;; amdgpu-corpus repo=pytorch/pytorch kind=compiled arch=gfx1250 opt=O3
	.amdgcn_target "amdgcn-amd-amdhsa--gfx1250"
	.amdhsa_code_object_version 6
	.section	.text._ZN2at6native8internal12_GLOBAL__N_114scatter_kernelElPKlS4_Pl,"axG",@progbits,_ZN2at6native8internal12_GLOBAL__N_114scatter_kernelElPKlS4_Pl,comdat
	.globl	_ZN2at6native8internal12_GLOBAL__N_114scatter_kernelElPKlS4_Pl ; -- Begin function _ZN2at6native8internal12_GLOBAL__N_114scatter_kernelElPKlS4_Pl
	.p2align	8
	.type	_ZN2at6native8internal12_GLOBAL__N_114scatter_kernelElPKlS4_Pl,@function
_ZN2at6native8internal12_GLOBAL__N_114scatter_kernelElPKlS4_Pl: ; @_ZN2at6native8internal12_GLOBAL__N_114scatter_kernelElPKlS4_Pl
; %bb.0:
	s_load_b32 s2, s[0:1], 0x2c
	s_bfe_u32 s12, ttmp6, 0x4000c
	s_load_b256 s[4:11], s[0:1], 0x0
	s_add_co_i32 s12, s12, 1
	s_and_b32 s3, ttmp6, 15
	s_mul_i32 s12, ttmp9, s12
	s_getreg_b32 s13, hwreg(HW_REG_IB_STS2, 6, 4)
	v_mov_b32_e32 v1, 0
	s_add_co_i32 s3, s3, s12
	s_mov_b32 s12, exec_lo
	s_wait_kmcnt 0x0
	s_and_b32 s2, s2, 0xffff
	s_cmp_eq_u32 s13, 0
	s_cselect_b32 s3, ttmp9, s3
	s_delay_alu instid0(SALU_CYCLE_1) | instskip(SKIP_1) | instid1(VALU_DEP_1)
	v_mad_nc_u64_u32 v[2:3], s2, s3, v[0:1]
	s_mov_b32 s3, 0
	v_cmpx_gt_i64_e64 s[4:5], v[2:3]
	s_cbranch_execz .LBB0_3
; %bb.1:
	s_add_nc_u64 s[0:1], s[0:1], 32
	v_dual_mov_b32 v0, v1 :: v_dual_mov_b32 v1, v2
	s_load_b32 s0, s[0:1], 0x0
	s_mov_b32 s12, s3
	s_wait_kmcnt 0x0
	s_mul_i32 s2, s0, s2
	s_mov_b32 s0, s3
	s_mov_b32 s1, s2
.LBB0_2:                                ; =>This Inner Loop Header: Depth=1
	v_ashrrev_i64 v[4:5], 29, v[0:1]
	v_add_nc_u64_e32 v[2:3], s[2:3], v[2:3]
	v_add_nc_u64_e32 v[0:1], s[0:1], v[0:1]
	s_delay_alu instid0(VALU_DEP_3) | instskip(SKIP_1) | instid1(VALU_DEP_4)
	v_add_nc_u64_e32 v[6:7], s[8:9], v[4:5]
	v_add_nc_u64_e32 v[4:5], s[6:7], v[4:5]
	v_cmp_le_i64_e32 vcc_lo, s[4:5], v[2:3]
	global_load_b64 v[8:9], v[6:7], off
	global_load_b64 v[10:11], v[4:5], off
	s_or_b32 s12, vcc_lo, s12
	s_wait_loadcnt 0x1
	s_wait_xcnt 0x0
	v_lshl_add_u64 v[4:5], v[8:9], 3, s[10:11]
	s_wait_loadcnt 0x0
	global_store_b64 v[4:5], v[10:11], off
	s_wait_xcnt 0x0
	s_and_not1_b32 exec_lo, exec_lo, s12
	s_cbranch_execnz .LBB0_2
.LBB0_3:
	s_endpgm
	.section	.rodata,"a",@progbits
	.p2align	6, 0x0
	.amdhsa_kernel _ZN2at6native8internal12_GLOBAL__N_114scatter_kernelElPKlS4_Pl
		.amdhsa_group_segment_fixed_size 0
		.amdhsa_private_segment_fixed_size 0
		.amdhsa_kernarg_size 288
		.amdhsa_user_sgpr_count 2
		.amdhsa_user_sgpr_dispatch_ptr 0
		.amdhsa_user_sgpr_queue_ptr 0
		.amdhsa_user_sgpr_kernarg_segment_ptr 1
		.amdhsa_user_sgpr_dispatch_id 0
		.amdhsa_user_sgpr_kernarg_preload_length 0
		.amdhsa_user_sgpr_kernarg_preload_offset 0
		.amdhsa_user_sgpr_private_segment_size 0
		.amdhsa_wavefront_size32 1
		.amdhsa_uses_dynamic_stack 0
		.amdhsa_enable_private_segment 0
		.amdhsa_system_sgpr_workgroup_id_x 1
		.amdhsa_system_sgpr_workgroup_id_y 0
		.amdhsa_system_sgpr_workgroup_id_z 0
		.amdhsa_system_sgpr_workgroup_info 0
		.amdhsa_system_vgpr_workitem_id 0
		.amdhsa_next_free_vgpr 12
		.amdhsa_next_free_sgpr 14
		.amdhsa_named_barrier_count 0
		.amdhsa_reserve_vcc 1
		.amdhsa_float_round_mode_32 0
		.amdhsa_float_round_mode_16_64 0
		.amdhsa_float_denorm_mode_32 3
		.amdhsa_float_denorm_mode_16_64 3
		.amdhsa_fp16_overflow 0
		.amdhsa_memory_ordered 1
		.amdhsa_forward_progress 1
		.amdhsa_inst_pref_size 2
		.amdhsa_round_robin_scheduling 0
		.amdhsa_exception_fp_ieee_invalid_op 0
		.amdhsa_exception_fp_denorm_src 0
		.amdhsa_exception_fp_ieee_div_zero 0
		.amdhsa_exception_fp_ieee_overflow 0
		.amdhsa_exception_fp_ieee_underflow 0
		.amdhsa_exception_fp_ieee_inexact 0
		.amdhsa_exception_int_div_zero 0
	.end_amdhsa_kernel
	.section	.text._ZN2at6native8internal12_GLOBAL__N_114scatter_kernelElPKlS4_Pl,"axG",@progbits,_ZN2at6native8internal12_GLOBAL__N_114scatter_kernelElPKlS4_Pl,comdat
.Lfunc_end0:
	.size	_ZN2at6native8internal12_GLOBAL__N_114scatter_kernelElPKlS4_Pl, .Lfunc_end0-_ZN2at6native8internal12_GLOBAL__N_114scatter_kernelElPKlS4_Pl
                                        ; -- End function
	.set _ZN2at6native8internal12_GLOBAL__N_114scatter_kernelElPKlS4_Pl.num_vgpr, 12
	.set _ZN2at6native8internal12_GLOBAL__N_114scatter_kernelElPKlS4_Pl.num_agpr, 0
	.set _ZN2at6native8internal12_GLOBAL__N_114scatter_kernelElPKlS4_Pl.numbered_sgpr, 14
	.set _ZN2at6native8internal12_GLOBAL__N_114scatter_kernelElPKlS4_Pl.num_named_barrier, 0
	.set _ZN2at6native8internal12_GLOBAL__N_114scatter_kernelElPKlS4_Pl.private_seg_size, 0
	.set _ZN2at6native8internal12_GLOBAL__N_114scatter_kernelElPKlS4_Pl.uses_vcc, 1
	.set _ZN2at6native8internal12_GLOBAL__N_114scatter_kernelElPKlS4_Pl.uses_flat_scratch, 0
	.set _ZN2at6native8internal12_GLOBAL__N_114scatter_kernelElPKlS4_Pl.has_dyn_sized_stack, 0
	.set _ZN2at6native8internal12_GLOBAL__N_114scatter_kernelElPKlS4_Pl.has_recursion, 0
	.set _ZN2at6native8internal12_GLOBAL__N_114scatter_kernelElPKlS4_Pl.has_indirect_call, 0
	.section	.AMDGPU.csdata,"",@progbits
; Kernel info:
; codeLenInByte = 248
; TotalNumSgprs: 16
; NumVgprs: 12
; ScratchSize: 0
; MemoryBound: 0
; FloatMode: 240
; IeeeMode: 1
; LDSByteSize: 0 bytes/workgroup (compile time only)
; SGPRBlocks: 0
; VGPRBlocks: 0
; NumSGPRsForWavesPerEU: 16
; NumVGPRsForWavesPerEU: 12
; NamedBarCnt: 0
; Occupancy: 16
; WaveLimiterHint : 1
; COMPUTE_PGM_RSRC2:SCRATCH_EN: 0
; COMPUTE_PGM_RSRC2:USER_SGPR: 2
; COMPUTE_PGM_RSRC2:TRAP_HANDLER: 0
; COMPUTE_PGM_RSRC2:TGID_X_EN: 1
; COMPUTE_PGM_RSRC2:TGID_Y_EN: 0
; COMPUTE_PGM_RSRC2:TGID_Z_EN: 0
; COMPUTE_PGM_RSRC2:TIDIG_COMP_CNT: 0
	.text
	.protected	_ZN2at6native8internal33unique_bool_write_inverse_indicesEiPKiPKbPl ; -- Begin function _ZN2at6native8internal33unique_bool_write_inverse_indicesEiPKiPKbPl
	.globl	_ZN2at6native8internal33unique_bool_write_inverse_indicesEiPKiPKbPl
	.p2align	8
	.type	_ZN2at6native8internal33unique_bool_write_inverse_indicesEiPKiPKbPl,@function
_ZN2at6native8internal33unique_bool_write_inverse_indicesEiPKiPKbPl: ; @_ZN2at6native8internal33unique_bool_write_inverse_indicesEiPKiPKbPl
; %bb.0:
	s_clause 0x1
	s_load_b32 s3, s[0:1], 0x2c
	s_load_b32 s2, s[0:1], 0x0
	s_bfe_u32 s4, ttmp6, 0x4000c
	s_and_b32 s5, ttmp6, 15
	s_add_co_i32 s4, s4, 1
	s_getreg_b32 s6, hwreg(HW_REG_IB_STS2, 6, 4)
	s_mul_i32 s4, ttmp9, s4
	v_mov_b32_e32 v1, 0
	s_add_co_i32 s5, s5, s4
	s_mov_b32 s9, 0
	s_mov_b32 s4, exec_lo
	s_wait_kmcnt 0x0
	s_and_b32 s8, s3, 0xffff
	s_cmp_eq_u32 s6, 0
	s_cselect_b32 s3, ttmp9, s5
	s_delay_alu instid0(SALU_CYCLE_1)
	v_mad_nc_u64_u32 v[2:3], s8, s3, v[0:1]
	s_ashr_i32 s3, s2, 31
	s_delay_alu instid0(VALU_DEP_1) | instid1(SALU_CYCLE_1)
	v_cmpx_gt_i64_e64 s[2:3], v[2:3]
	s_cbranch_execz .LBB1_3
; %bb.1:
	s_load_b128 s[4:7], s[0:1], 0x8
	s_add_nc_u64 s[12:13], s[0:1], 32
	v_dual_mov_b32 v0, v1 :: v_dual_mov_b32 v1, v2
	s_load_b64 s[10:11], s[0:1], 0x18
	s_load_b32 s14, s[12:13], 0x0
	s_wait_kmcnt 0x0
	s_load_b32 s15, s[4:5], 0x0
	s_wait_xcnt 0x0
	s_mov_b32 s4, s9
	s_mov_b32 s12, s9
	s_mul_i32 s8, s14, s8
	s_wait_kmcnt 0x0
	s_cmp_gt_i32 s2, s15
	s_mov_b32 s5, s8
	s_cselect_b32 s1, -1, 0
.LBB1_2:                                ; =>This Inner Loop Header: Depth=1
	v_dual_mov_b32 v4, v1 :: v_dual_ashrrev_i32 v5, 31, v1
	v_add_nc_u64_e32 v[2:3], s[8:9], v[2:3]
	v_mov_b32_e32 v7, s9
	s_delay_alu instid0(VALU_DEP_3) | instskip(NEXT) | instid1(VALU_DEP_3)
	v_add_nc_u64_e32 v[4:5], s[6:7], v[4:5]
	v_cmp_le_i64_e64 s0, s[2:3], v[2:3]
	global_load_u8 v6, v[4:5], off
	s_wait_xcnt 0x0
	v_ashrrev_i64 v[4:5], 29, v[0:1]
	v_add_nc_u64_e32 v[0:1], s[4:5], v[0:1]
	s_delay_alu instid0(VALU_DEP_2)
	v_add_nc_u64_e32 v[4:5], s[10:11], v[4:5]
	s_wait_loadcnt 0x0
	v_cmp_ne_u16_e32 vcc_lo, 0, v6
	s_and_b32 s13, vcc_lo, s1
	s_or_b32 s12, s0, s12
	v_cndmask_b32_e64 v6, 0, 1, s13
	global_store_b64 v[4:5], v[6:7], off
	s_wait_xcnt 0x0
	s_and_not1_b32 exec_lo, exec_lo, s12
	s_cbranch_execnz .LBB1_2
.LBB1_3:
	s_endpgm
	.section	.rodata,"a",@progbits
	.p2align	6, 0x0
	.amdhsa_kernel _ZN2at6native8internal33unique_bool_write_inverse_indicesEiPKiPKbPl
		.amdhsa_group_segment_fixed_size 0
		.amdhsa_private_segment_fixed_size 0
		.amdhsa_kernarg_size 288
		.amdhsa_user_sgpr_count 2
		.amdhsa_user_sgpr_dispatch_ptr 0
		.amdhsa_user_sgpr_queue_ptr 0
		.amdhsa_user_sgpr_kernarg_segment_ptr 1
		.amdhsa_user_sgpr_dispatch_id 0
		.amdhsa_user_sgpr_kernarg_preload_length 0
		.amdhsa_user_sgpr_kernarg_preload_offset 0
		.amdhsa_user_sgpr_private_segment_size 0
		.amdhsa_wavefront_size32 1
		.amdhsa_uses_dynamic_stack 0
		.amdhsa_enable_private_segment 0
		.amdhsa_system_sgpr_workgroup_id_x 1
		.amdhsa_system_sgpr_workgroup_id_y 0
		.amdhsa_system_sgpr_workgroup_id_z 0
		.amdhsa_system_sgpr_workgroup_info 0
		.amdhsa_system_vgpr_workitem_id 0
		.amdhsa_next_free_vgpr 8
		.amdhsa_next_free_sgpr 16
		.amdhsa_named_barrier_count 0
		.amdhsa_reserve_vcc 1
		.amdhsa_float_round_mode_32 0
		.amdhsa_float_round_mode_16_64 0
		.amdhsa_float_denorm_mode_32 3
		.amdhsa_float_denorm_mode_16_64 3
		.amdhsa_fp16_overflow 0
		.amdhsa_memory_ordered 1
		.amdhsa_forward_progress 1
		.amdhsa_inst_pref_size 3
		.amdhsa_round_robin_scheduling 0
		.amdhsa_exception_fp_ieee_invalid_op 0
		.amdhsa_exception_fp_denorm_src 0
		.amdhsa_exception_fp_ieee_div_zero 0
		.amdhsa_exception_fp_ieee_overflow 0
		.amdhsa_exception_fp_ieee_underflow 0
		.amdhsa_exception_fp_ieee_inexact 0
		.amdhsa_exception_int_div_zero 0
	.end_amdhsa_kernel
	.text
.Lfunc_end1:
	.size	_ZN2at6native8internal33unique_bool_write_inverse_indicesEiPKiPKbPl, .Lfunc_end1-_ZN2at6native8internal33unique_bool_write_inverse_indicesEiPKiPKbPl
                                        ; -- End function
	.set _ZN2at6native8internal33unique_bool_write_inverse_indicesEiPKiPKbPl.num_vgpr, 8
	.set _ZN2at6native8internal33unique_bool_write_inverse_indicesEiPKiPKbPl.num_agpr, 0
	.set _ZN2at6native8internal33unique_bool_write_inverse_indicesEiPKiPKbPl.numbered_sgpr, 16
	.set _ZN2at6native8internal33unique_bool_write_inverse_indicesEiPKiPKbPl.num_named_barrier, 0
	.set _ZN2at6native8internal33unique_bool_write_inverse_indicesEiPKiPKbPl.private_seg_size, 0
	.set _ZN2at6native8internal33unique_bool_write_inverse_indicesEiPKiPKbPl.uses_vcc, 1
	.set _ZN2at6native8internal33unique_bool_write_inverse_indicesEiPKiPKbPl.uses_flat_scratch, 0
	.set _ZN2at6native8internal33unique_bool_write_inverse_indicesEiPKiPKbPl.has_dyn_sized_stack, 0
	.set _ZN2at6native8internal33unique_bool_write_inverse_indicesEiPKiPKbPl.has_recursion, 0
	.set _ZN2at6native8internal33unique_bool_write_inverse_indicesEiPKiPKbPl.has_indirect_call, 0
	.section	.AMDGPU.csdata,"",@progbits
; Kernel info:
; codeLenInByte = 312
; TotalNumSgprs: 18
; NumVgprs: 8
; ScratchSize: 0
; MemoryBound: 0
; FloatMode: 240
; IeeeMode: 1
; LDSByteSize: 0 bytes/workgroup (compile time only)
; SGPRBlocks: 0
; VGPRBlocks: 0
; NumSGPRsForWavesPerEU: 18
; NumVGPRsForWavesPerEU: 8
; NamedBarCnt: 0
; Occupancy: 16
; WaveLimiterHint : 0
; COMPUTE_PGM_RSRC2:SCRATCH_EN: 0
; COMPUTE_PGM_RSRC2:USER_SGPR: 2
; COMPUTE_PGM_RSRC2:TRAP_HANDLER: 0
; COMPUTE_PGM_RSRC2:TGID_X_EN: 1
; COMPUTE_PGM_RSRC2:TGID_Y_EN: 0
; COMPUTE_PGM_RSRC2:TGID_Z_EN: 0
; COMPUTE_PGM_RSRC2:TIDIG_COMP_CNT: 0
	.text
	.protected	_ZN2at6native8internal24unique_bool_write_outputEiPKiPbPl ; -- Begin function _ZN2at6native8internal24unique_bool_write_outputEiPKiPbPl
	.globl	_ZN2at6native8internal24unique_bool_write_outputEiPKiPbPl
	.p2align	8
	.type	_ZN2at6native8internal24unique_bool_write_outputEiPKiPbPl,@function
_ZN2at6native8internal24unique_bool_write_outputEiPKiPbPl: ; @_ZN2at6native8internal24unique_bool_write_outputEiPKiPbPl
; %bb.0:
	s_bfe_u32 s2, ttmp6, 0x4000c
	s_and_b32 s3, ttmp6, 15
	s_add_co_i32 s2, s2, 1
	s_getreg_b32 s4, hwreg(HW_REG_IB_STS2, 6, 4)
	s_mul_i32 s2, ttmp9, s2
	s_delay_alu instid0(SALU_CYCLE_1) | instskip(SKIP_2) | instid1(SALU_CYCLE_1)
	s_add_co_i32 s3, s3, s2
	s_cmp_eq_u32 s4, 0
	s_cselect_b32 s2, ttmp9, s3
	s_cmp_lg_u32 s2, 0
	s_cbranch_scc0 .LBB2_2
.LBB2_1:
	s_endpgm
.LBB2_2:
	s_clause 0x1
	s_load_b128 s[4:7], s[0:1], 0x8
	s_load_b32 s9, s[0:1], 0x0
	s_wait_kmcnt 0x0
	s_load_b32 s8, s[4:5], 0x0
	s_load_b64 s[2:3], s[0:1], 0x18
	s_wait_kmcnt 0x0
	s_sub_co_i32 s1, s9, s8
	s_delay_alu instid0(SALU_CYCLE_1)
	s_cmp_gt_i32 s1, 0
	s_cselect_b32 s0, -1, 0
	s_cmp_lt_i32 s1, 1
	s_cbranch_scc1 .LBB2_4
; %bb.3:
	v_dual_mov_b32 v1, 0 :: v_dual_mov_b32 v0, s1
	s_clause 0x1
	global_store_b8 v1, v1, s[6:7]
	global_store_b64 v1, v[0:1], s[2:3]
.LBB2_4:
	s_cmp_lt_i32 s8, 1
	s_cbranch_scc1 .LBB2_1
; %bb.5:
	s_mov_b32 s1, 0
	s_wait_xcnt 0x0
	v_cndmask_b32_e64 v0, 0, 1, s0
	v_dual_mov_b32 v1, s1 :: v_dual_mov_b32 v4, s8
	v_mov_b32_e32 v5, 0
	s_delay_alu instid0(VALU_DEP_2)
	v_add_nc_u64_e32 v[2:3], s[6:7], v[0:1]
	v_mov_b32_e32 v1, 1
	global_store_b8 v[2:3], v1, off
	global_store_b64 v0, v[4:5], s[2:3] scale_offset
	s_endpgm
	.section	.rodata,"a",@progbits
	.p2align	6, 0x0
	.amdhsa_kernel _ZN2at6native8internal24unique_bool_write_outputEiPKiPbPl
		.amdhsa_group_segment_fixed_size 0
		.amdhsa_private_segment_fixed_size 0
		.amdhsa_kernarg_size 32
		.amdhsa_user_sgpr_count 2
		.amdhsa_user_sgpr_dispatch_ptr 0
		.amdhsa_user_sgpr_queue_ptr 0
		.amdhsa_user_sgpr_kernarg_segment_ptr 1
		.amdhsa_user_sgpr_dispatch_id 0
		.amdhsa_user_sgpr_kernarg_preload_length 0
		.amdhsa_user_sgpr_kernarg_preload_offset 0
		.amdhsa_user_sgpr_private_segment_size 0
		.amdhsa_wavefront_size32 1
		.amdhsa_uses_dynamic_stack 0
		.amdhsa_enable_private_segment 0
		.amdhsa_system_sgpr_workgroup_id_x 1
		.amdhsa_system_sgpr_workgroup_id_y 0
		.amdhsa_system_sgpr_workgroup_id_z 0
		.amdhsa_system_sgpr_workgroup_info 0
		.amdhsa_system_vgpr_workitem_id 0
		.amdhsa_next_free_vgpr 6
		.amdhsa_next_free_sgpr 10
		.amdhsa_named_barrier_count 0
		.amdhsa_reserve_vcc 0
		.amdhsa_float_round_mode_32 0
		.amdhsa_float_round_mode_16_64 0
		.amdhsa_float_denorm_mode_32 3
		.amdhsa_float_denorm_mode_16_64 3
		.amdhsa_fp16_overflow 0
		.amdhsa_memory_ordered 1
		.amdhsa_forward_progress 1
		.amdhsa_inst_pref_size 2
		.amdhsa_round_robin_scheduling 0
		.amdhsa_exception_fp_ieee_invalid_op 0
		.amdhsa_exception_fp_denorm_src 0
		.amdhsa_exception_fp_ieee_div_zero 0
		.amdhsa_exception_fp_ieee_overflow 0
		.amdhsa_exception_fp_ieee_underflow 0
		.amdhsa_exception_fp_ieee_inexact 0
		.amdhsa_exception_int_div_zero 0
	.end_amdhsa_kernel
	.text
.Lfunc_end2:
	.size	_ZN2at6native8internal24unique_bool_write_outputEiPKiPbPl, .Lfunc_end2-_ZN2at6native8internal24unique_bool_write_outputEiPKiPbPl
                                        ; -- End function
	.set _ZN2at6native8internal24unique_bool_write_outputEiPKiPbPl.num_vgpr, 6
	.set _ZN2at6native8internal24unique_bool_write_outputEiPKiPbPl.num_agpr, 0
	.set _ZN2at6native8internal24unique_bool_write_outputEiPKiPbPl.numbered_sgpr, 10
	.set _ZN2at6native8internal24unique_bool_write_outputEiPKiPbPl.num_named_barrier, 0
	.set _ZN2at6native8internal24unique_bool_write_outputEiPKiPbPl.private_seg_size, 0
	.set _ZN2at6native8internal24unique_bool_write_outputEiPKiPbPl.uses_vcc, 0
	.set _ZN2at6native8internal24unique_bool_write_outputEiPKiPbPl.uses_flat_scratch, 0
	.set _ZN2at6native8internal24unique_bool_write_outputEiPKiPbPl.has_dyn_sized_stack, 0
	.set _ZN2at6native8internal24unique_bool_write_outputEiPKiPbPl.has_recursion, 0
	.set _ZN2at6native8internal24unique_bool_write_outputEiPKiPbPl.has_indirect_call, 0
	.section	.AMDGPU.csdata,"",@progbits
; Kernel info:
; codeLenInByte = 232
; TotalNumSgprs: 10
; NumVgprs: 6
; ScratchSize: 0
; MemoryBound: 0
; FloatMode: 240
; IeeeMode: 1
; LDSByteSize: 0 bytes/workgroup (compile time only)
; SGPRBlocks: 0
; VGPRBlocks: 0
; NumSGPRsForWavesPerEU: 10
; NumVGPRsForWavesPerEU: 6
; NamedBarCnt: 0
; Occupancy: 16
; WaveLimiterHint : 0
; COMPUTE_PGM_RSRC2:SCRATCH_EN: 0
; COMPUTE_PGM_RSRC2:USER_SGPR: 2
; COMPUTE_PGM_RSRC2:TRAP_HANDLER: 0
; COMPUTE_PGM_RSRC2:TGID_X_EN: 1
; COMPUTE_PGM_RSRC2:TGID_Y_EN: 0
; COMPUTE_PGM_RSRC2:TGID_Z_EN: 0
; COMPUTE_PGM_RSRC2:TIDIG_COMP_CNT: 0
	.section	.text._ZN2at6native8internal12_GLOBAL__N_126adjacent_difference_kernelIN6hipcub16HIPCUB_304000_NS22TransformInputIteratorIbNS2_10LoadBoolOpEPKhlEEEEvlT_Pi,"axG",@progbits,_ZN2at6native8internal12_GLOBAL__N_126adjacent_difference_kernelIN6hipcub16HIPCUB_304000_NS22TransformInputIteratorIbNS2_10LoadBoolOpEPKhlEEEEvlT_Pi,comdat
	.globl	_ZN2at6native8internal12_GLOBAL__N_126adjacent_difference_kernelIN6hipcub16HIPCUB_304000_NS22TransformInputIteratorIbNS2_10LoadBoolOpEPKhlEEEEvlT_Pi ; -- Begin function _ZN2at6native8internal12_GLOBAL__N_126adjacent_difference_kernelIN6hipcub16HIPCUB_304000_NS22TransformInputIteratorIbNS2_10LoadBoolOpEPKhlEEEEvlT_Pi
	.p2align	8
	.type	_ZN2at6native8internal12_GLOBAL__N_126adjacent_difference_kernelIN6hipcub16HIPCUB_304000_NS22TransformInputIteratorIbNS2_10LoadBoolOpEPKhlEEEEvlT_Pi,@function
_ZN2at6native8internal12_GLOBAL__N_126adjacent_difference_kernelIN6hipcub16HIPCUB_304000_NS22TransformInputIteratorIbNS2_10LoadBoolOpEPKhlEEEEvlT_Pi: ; @_ZN2at6native8internal12_GLOBAL__N_126adjacent_difference_kernelIN6hipcub16HIPCUB_304000_NS22TransformInputIteratorIbNS2_10LoadBoolOpEPKhlEEEEvlT_Pi
; %bb.0:
	s_clause 0x1
	s_load_b32 s2, s[0:1], 0x2c
	s_load_b128 s[4:7], s[0:1], 0x0
	s_bfe_u32 s9, ttmp6, 0x4000c
	s_and_b32 s8, ttmp6, 15
	s_add_co_i32 s9, s9, 1
	s_getreg_b32 s10, hwreg(HW_REG_IB_STS2, 6, 4)
	s_mul_i32 s9, ttmp9, s9
	s_mov_b32 s3, 0
	s_add_co_i32 s8, s8, s9
	s_cmp_eq_u32 s10, 0
	v_mov_b32_e32 v1, 0
	s_mov_b32 s15, s3
	s_cselect_b32 s14, ttmp9, s8
	s_mov_b32 s13, s3
	s_wait_kmcnt 0x0
	s_and_b32 s12, s2, 0xffff
	s_mov_b32 s2, exec_lo
	s_mul_u64 s[8:9], s[12:13], s[14:15]
	s_delay_alu instid0(SALU_CYCLE_1) | instskip(NEXT) | instid1(VALU_DEP_1)
	v_add_nc_u64_e32 v[4:5], s[8:9], v[0:1]
	v_cmpx_gt_i64_e64 s[4:5], v[4:5]
	s_cbranch_execz .LBB3_5
; %bb.1:
	s_add_nc_u64 s[16:17], s[0:1], 32
	v_dual_mov_b32 v2, v1 :: v_dual_mov_b32 v3, v4
	s_load_b32 s2, s[16:17], 0x0
	s_load_b64 s[10:11], s[0:1], 0x18
	v_mov_b64_e32 v[4:5], v[0:1]
	s_wait_xcnt 0x0
	s_mul_i32 s1, s14, s12
	s_mov_b32 s14, s3
	s_wait_kmcnt 0x0
	s_mul_i32 s2, s2, s12
	s_mov_b32 s12, s3
	s_mov_b32 s13, s2
	s_branch .LBB3_3
.LBB3_2:                                ;   in Loop: Header=BB3_3 Depth=1
	s_or_b32 exec_lo, exec_lo, s15
	v_add_nc_u64_e32 v[4:5], s[2:3], v[4:5]
	v_ashrrev_i64 v[8:9], 30, v[2:3]
	v_add_nc_u64_e32 v[2:3], s[12:13], v[2:3]
	s_delay_alu instid0(VALU_DEP_3) | instskip(NEXT) | instid1(VALU_DEP_1)
	v_add_nc_u64_e32 v[6:7], s[8:9], v[4:5]
	v_cmp_le_i64_e32 vcc_lo, s[4:5], v[6:7]
	s_delay_alu instid0(VALU_DEP_4)
	v_add_nc_u64_e32 v[6:7], s[10:11], v[8:9]
	s_or_b32 s14, vcc_lo, s14
	global_store_b32 v[6:7], v0, off
	s_wait_xcnt 0x0
	s_and_not1_b32 exec_lo, exec_lo, s14
	s_cbranch_execz .LBB3_5
.LBB3_3:                                ; =>This Inner Loop Header: Depth=1
	v_dual_add_nc_u32 v6, s1, v4 :: v_dual_mov_b32 v0, 0
	s_mov_b32 s15, exec_lo
	s_delay_alu instid0(VALU_DEP_1)
	v_cmpx_lt_i32_e32 0, v6
	s_cbranch_execz .LBB3_2
; %bb.4:                                ;   in Loop: Header=BB3_3 Depth=1
	v_add_nc_u32_e32 v8, s8, v4
	s_delay_alu instid0(VALU_DEP_1) | instskip(NEXT) | instid1(VALU_DEP_1)
	v_and_b32_e32 v0, 0x7fffffff, v8
	v_add_nc_u64_e32 v[6:7], s[6:7], v[0:1]
	v_add_nc_u32_e32 v0, -1, v8
	s_clause 0x1
	global_load_u8 v8, v[6:7], off
	global_load_u8 v9, v0, s[6:7]
	s_wait_loadcnt 0x1
	v_cmp_ne_u16_e32 vcc_lo, 0, v8
	s_wait_loadcnt 0x0
	v_cmp_ne_u16_e64 s0, 0, v9
	s_xor_b32 s0, vcc_lo, s0
	s_wait_xcnt 0x0
	v_cndmask_b32_e64 v0, 0, 1, s0
	s_branch .LBB3_2
.LBB3_5:
	s_endpgm
	.section	.rodata,"a",@progbits
	.p2align	6, 0x0
	.amdhsa_kernel _ZN2at6native8internal12_GLOBAL__N_126adjacent_difference_kernelIN6hipcub16HIPCUB_304000_NS22TransformInputIteratorIbNS2_10LoadBoolOpEPKhlEEEEvlT_Pi
		.amdhsa_group_segment_fixed_size 0
		.amdhsa_private_segment_fixed_size 0
		.amdhsa_kernarg_size 288
		.amdhsa_user_sgpr_count 2
		.amdhsa_user_sgpr_dispatch_ptr 0
		.amdhsa_user_sgpr_queue_ptr 0
		.amdhsa_user_sgpr_kernarg_segment_ptr 1
		.amdhsa_user_sgpr_dispatch_id 0
		.amdhsa_user_sgpr_kernarg_preload_length 0
		.amdhsa_user_sgpr_kernarg_preload_offset 0
		.amdhsa_user_sgpr_private_segment_size 0
		.amdhsa_wavefront_size32 1
		.amdhsa_uses_dynamic_stack 0
		.amdhsa_enable_private_segment 0
		.amdhsa_system_sgpr_workgroup_id_x 1
		.amdhsa_system_sgpr_workgroup_id_y 0
		.amdhsa_system_sgpr_workgroup_id_z 0
		.amdhsa_system_sgpr_workgroup_info 0
		.amdhsa_system_vgpr_workitem_id 0
		.amdhsa_next_free_vgpr 10
		.amdhsa_next_free_sgpr 18
		.amdhsa_named_barrier_count 0
		.amdhsa_reserve_vcc 1
		.amdhsa_float_round_mode_32 0
		.amdhsa_float_round_mode_16_64 0
		.amdhsa_float_denorm_mode_32 3
		.amdhsa_float_denorm_mode_16_64 3
		.amdhsa_fp16_overflow 0
		.amdhsa_memory_ordered 1
		.amdhsa_forward_progress 1
		.amdhsa_inst_pref_size 3
		.amdhsa_round_robin_scheduling 0
		.amdhsa_exception_fp_ieee_invalid_op 0
		.amdhsa_exception_fp_denorm_src 0
		.amdhsa_exception_fp_ieee_div_zero 0
		.amdhsa_exception_fp_ieee_overflow 0
		.amdhsa_exception_fp_ieee_underflow 0
		.amdhsa_exception_fp_ieee_inexact 0
		.amdhsa_exception_int_div_zero 0
	.end_amdhsa_kernel
	.section	.text._ZN2at6native8internal12_GLOBAL__N_126adjacent_difference_kernelIN6hipcub16HIPCUB_304000_NS22TransformInputIteratorIbNS2_10LoadBoolOpEPKhlEEEEvlT_Pi,"axG",@progbits,_ZN2at6native8internal12_GLOBAL__N_126adjacent_difference_kernelIN6hipcub16HIPCUB_304000_NS22TransformInputIteratorIbNS2_10LoadBoolOpEPKhlEEEEvlT_Pi,comdat
.Lfunc_end3:
	.size	_ZN2at6native8internal12_GLOBAL__N_126adjacent_difference_kernelIN6hipcub16HIPCUB_304000_NS22TransformInputIteratorIbNS2_10LoadBoolOpEPKhlEEEEvlT_Pi, .Lfunc_end3-_ZN2at6native8internal12_GLOBAL__N_126adjacent_difference_kernelIN6hipcub16HIPCUB_304000_NS22TransformInputIteratorIbNS2_10LoadBoolOpEPKhlEEEEvlT_Pi
                                        ; -- End function
	.set _ZN2at6native8internal12_GLOBAL__N_126adjacent_difference_kernelIN6hipcub16HIPCUB_304000_NS22TransformInputIteratorIbNS2_10LoadBoolOpEPKhlEEEEvlT_Pi.num_vgpr, 10
	.set _ZN2at6native8internal12_GLOBAL__N_126adjacent_difference_kernelIN6hipcub16HIPCUB_304000_NS22TransformInputIteratorIbNS2_10LoadBoolOpEPKhlEEEEvlT_Pi.num_agpr, 0
	.set _ZN2at6native8internal12_GLOBAL__N_126adjacent_difference_kernelIN6hipcub16HIPCUB_304000_NS22TransformInputIteratorIbNS2_10LoadBoolOpEPKhlEEEEvlT_Pi.numbered_sgpr, 18
	.set _ZN2at6native8internal12_GLOBAL__N_126adjacent_difference_kernelIN6hipcub16HIPCUB_304000_NS22TransformInputIteratorIbNS2_10LoadBoolOpEPKhlEEEEvlT_Pi.num_named_barrier, 0
	.set _ZN2at6native8internal12_GLOBAL__N_126adjacent_difference_kernelIN6hipcub16HIPCUB_304000_NS22TransformInputIteratorIbNS2_10LoadBoolOpEPKhlEEEEvlT_Pi.private_seg_size, 0
	.set _ZN2at6native8internal12_GLOBAL__N_126adjacent_difference_kernelIN6hipcub16HIPCUB_304000_NS22TransformInputIteratorIbNS2_10LoadBoolOpEPKhlEEEEvlT_Pi.uses_vcc, 1
	.set _ZN2at6native8internal12_GLOBAL__N_126adjacent_difference_kernelIN6hipcub16HIPCUB_304000_NS22TransformInputIteratorIbNS2_10LoadBoolOpEPKhlEEEEvlT_Pi.uses_flat_scratch, 0
	.set _ZN2at6native8internal12_GLOBAL__N_126adjacent_difference_kernelIN6hipcub16HIPCUB_304000_NS22TransformInputIteratorIbNS2_10LoadBoolOpEPKhlEEEEvlT_Pi.has_dyn_sized_stack, 0
	.set _ZN2at6native8internal12_GLOBAL__N_126adjacent_difference_kernelIN6hipcub16HIPCUB_304000_NS22TransformInputIteratorIbNS2_10LoadBoolOpEPKhlEEEEvlT_Pi.has_recursion, 0
	.set _ZN2at6native8internal12_GLOBAL__N_126adjacent_difference_kernelIN6hipcub16HIPCUB_304000_NS22TransformInputIteratorIbNS2_10LoadBoolOpEPKhlEEEEvlT_Pi.has_indirect_call, 0
	.section	.AMDGPU.csdata,"",@progbits
; Kernel info:
; codeLenInByte = 368
; TotalNumSgprs: 20
; NumVgprs: 10
; ScratchSize: 0
; MemoryBound: 0
; FloatMode: 240
; IeeeMode: 1
; LDSByteSize: 0 bytes/workgroup (compile time only)
; SGPRBlocks: 0
; VGPRBlocks: 0
; NumSGPRsForWavesPerEU: 20
; NumVGPRsForWavesPerEU: 10
; NamedBarCnt: 0
; Occupancy: 16
; WaveLimiterHint : 0
; COMPUTE_PGM_RSRC2:SCRATCH_EN: 0
; COMPUTE_PGM_RSRC2:USER_SGPR: 2
; COMPUTE_PGM_RSRC2:TRAP_HANDLER: 0
; COMPUTE_PGM_RSRC2:TGID_X_EN: 1
; COMPUTE_PGM_RSRC2:TGID_Y_EN: 0
; COMPUTE_PGM_RSRC2:TGID_Z_EN: 0
; COMPUTE_PGM_RSRC2:TIDIG_COMP_CNT: 0
	.section	.text._ZN7rocprim17ROCPRIM_400000_NS6detail31init_lookback_scan_state_kernelINS1_19lookback_scan_stateIjLb0ELb1EEENS1_16block_id_wrapperIjLb0EEEEEvT_jT0_jPNS7_10value_typeE,"axG",@progbits,_ZN7rocprim17ROCPRIM_400000_NS6detail31init_lookback_scan_state_kernelINS1_19lookback_scan_stateIjLb0ELb1EEENS1_16block_id_wrapperIjLb0EEEEEvT_jT0_jPNS7_10value_typeE,comdat
	.protected	_ZN7rocprim17ROCPRIM_400000_NS6detail31init_lookback_scan_state_kernelINS1_19lookback_scan_stateIjLb0ELb1EEENS1_16block_id_wrapperIjLb0EEEEEvT_jT0_jPNS7_10value_typeE ; -- Begin function _ZN7rocprim17ROCPRIM_400000_NS6detail31init_lookback_scan_state_kernelINS1_19lookback_scan_stateIjLb0ELb1EEENS1_16block_id_wrapperIjLb0EEEEEvT_jT0_jPNS7_10value_typeE
	.globl	_ZN7rocprim17ROCPRIM_400000_NS6detail31init_lookback_scan_state_kernelINS1_19lookback_scan_stateIjLb0ELb1EEENS1_16block_id_wrapperIjLb0EEEEEvT_jT0_jPNS7_10value_typeE
	.p2align	8
	.type	_ZN7rocprim17ROCPRIM_400000_NS6detail31init_lookback_scan_state_kernelINS1_19lookback_scan_stateIjLb0ELb1EEENS1_16block_id_wrapperIjLb0EEEEEvT_jT0_jPNS7_10value_typeE,@function
_ZN7rocprim17ROCPRIM_400000_NS6detail31init_lookback_scan_state_kernelINS1_19lookback_scan_stateIjLb0ELb1EEENS1_16block_id_wrapperIjLb0EEEEEvT_jT0_jPNS7_10value_typeE: ; @_ZN7rocprim17ROCPRIM_400000_NS6detail31init_lookback_scan_state_kernelINS1_19lookback_scan_stateIjLb0ELb1EEENS1_16block_id_wrapperIjLb0EEEEEvT_jT0_jPNS7_10value_typeE
; %bb.0:
	s_clause 0x2
	s_load_b32 s7, s[0:1], 0x2c
	s_load_b96 s[4:6], s[0:1], 0x0
	s_load_b64 s[2:3], s[0:1], 0x18
	s_bfe_u32 s8, ttmp6, 0x4000c
	s_and_b32 s9, ttmp6, 15
	s_add_co_i32 s8, s8, 1
	s_getreg_b32 s10, hwreg(HW_REG_IB_STS2, 6, 4)
	s_mul_i32 s8, ttmp9, s8
	s_delay_alu instid0(SALU_CYCLE_1)
	s_add_co_i32 s9, s9, s8
	s_wait_kmcnt 0x0
	s_and_b32 s7, s7, 0xffff
	s_cmp_eq_u32 s10, 0
	s_cselect_b32 s8, ttmp9, s9
	s_cmp_eq_u64 s[2:3], 0
	v_mad_u32 v4, s8, s7, v0
	s_cbranch_scc1 .LBB4_7
; %bb.1:
	s_load_b32 s0, s[0:1], 0x10
	s_mov_b32 s7, exec_lo
	s_wait_kmcnt 0x0
	s_cmp_lt_u32 s0, s6
	s_cselect_b32 s1, s0, 0
	s_delay_alu instid0(VALU_DEP_1) | instid1(SALU_CYCLE_1)
	v_cmpx_eq_u32_e64 s1, v4
	s_cbranch_execz .LBB4_6
; %bb.2:
	s_add_co_i32 s0, s0, 32
	s_delay_alu instid0(SALU_CYCLE_1) | instskip(SKIP_3) | instid1(VALU_DEP_1)
	v_dual_mov_b32 v2, 0 :: v_dual_mov_b32 v0, s0
	global_load_b64 v[0:1], v0, s[4:5] scale_offset scope:SCOPE_DEV
	s_wait_loadcnt 0x0
	v_and_b32_e32 v3, 0xff, v1
	v_cmp_ne_u64_e32 vcc_lo, 0, v[2:3]
	s_cbranch_vccnz .LBB4_5
; %bb.3:
	s_mov_b32 s1, 0
	s_delay_alu instid0(SALU_CYCLE_1) | instskip(NEXT) | instid1(SALU_CYCLE_1)
	s_lshl_b64 s[0:1], s[0:1], 3
	s_add_nc_u64 s[0:1], s[4:5], s[0:1]
.LBB4_4:                                ; =>This Inner Loop Header: Depth=1
	global_load_b64 v[0:1], v2, s[0:1] scope:SCOPE_DEV
	s_wait_loadcnt 0x0
	v_and_b32_e32 v3, 0xff, v1
	s_delay_alu instid0(VALU_DEP_1)
	v_cmp_eq_u64_e32 vcc_lo, 0, v[2:3]
	s_cbranch_vccnz .LBB4_4
.LBB4_5:
	v_mov_b32_e32 v1, 0
	global_store_b32 v1, v0, s[2:3]
.LBB4_6:
	s_wait_xcnt 0x0
	s_or_b32 exec_lo, exec_lo, s7
.LBB4_7:
	s_delay_alu instid0(SALU_CYCLE_1) | instskip(NEXT) | instid1(VALU_DEP_1)
	s_mov_b32 s0, exec_lo
	v_cmpx_gt_u32_e64 s6, v4
	s_cbranch_execz .LBB4_9
; %bb.8:
	v_mov_b64_e32 v[0:1], 0
	v_add_nc_u32_e32 v2, 32, v4
	global_store_b64 v2, v[0:1], s[4:5] scale_offset
.LBB4_9:
	s_wait_xcnt 0x0
	s_or_b32 exec_lo, exec_lo, s0
	s_delay_alu instid0(SALU_CYCLE_1)
	s_mov_b32 s0, exec_lo
	v_cmpx_gt_u32_e32 32, v4
	s_cbranch_execz .LBB4_11
; %bb.10:
	v_mov_b64_e32 v[0:1], 0xff00000000
	global_store_b64 v4, v[0:1], s[4:5] scale_offset
.LBB4_11:
	s_endpgm
	.section	.rodata,"a",@progbits
	.p2align	6, 0x0
	.amdhsa_kernel _ZN7rocprim17ROCPRIM_400000_NS6detail31init_lookback_scan_state_kernelINS1_19lookback_scan_stateIjLb0ELb1EEENS1_16block_id_wrapperIjLb0EEEEEvT_jT0_jPNS7_10value_typeE
		.amdhsa_group_segment_fixed_size 0
		.amdhsa_private_segment_fixed_size 0
		.amdhsa_kernarg_size 288
		.amdhsa_user_sgpr_count 2
		.amdhsa_user_sgpr_dispatch_ptr 0
		.amdhsa_user_sgpr_queue_ptr 0
		.amdhsa_user_sgpr_kernarg_segment_ptr 1
		.amdhsa_user_sgpr_dispatch_id 0
		.amdhsa_user_sgpr_kernarg_preload_length 0
		.amdhsa_user_sgpr_kernarg_preload_offset 0
		.amdhsa_user_sgpr_private_segment_size 0
		.amdhsa_wavefront_size32 1
		.amdhsa_uses_dynamic_stack 0
		.amdhsa_enable_private_segment 0
		.amdhsa_system_sgpr_workgroup_id_x 1
		.amdhsa_system_sgpr_workgroup_id_y 0
		.amdhsa_system_sgpr_workgroup_id_z 0
		.amdhsa_system_sgpr_workgroup_info 0
		.amdhsa_system_vgpr_workitem_id 0
		.amdhsa_next_free_vgpr 5
		.amdhsa_next_free_sgpr 11
		.amdhsa_named_barrier_count 0
		.amdhsa_reserve_vcc 1
		.amdhsa_float_round_mode_32 0
		.amdhsa_float_round_mode_16_64 0
		.amdhsa_float_denorm_mode_32 3
		.amdhsa_float_denorm_mode_16_64 3
		.amdhsa_fp16_overflow 0
		.amdhsa_memory_ordered 1
		.amdhsa_forward_progress 1
		.amdhsa_inst_pref_size 3
		.amdhsa_round_robin_scheduling 0
		.amdhsa_exception_fp_ieee_invalid_op 0
		.amdhsa_exception_fp_denorm_src 0
		.amdhsa_exception_fp_ieee_div_zero 0
		.amdhsa_exception_fp_ieee_overflow 0
		.amdhsa_exception_fp_ieee_underflow 0
		.amdhsa_exception_fp_ieee_inexact 0
		.amdhsa_exception_int_div_zero 0
	.end_amdhsa_kernel
	.section	.text._ZN7rocprim17ROCPRIM_400000_NS6detail31init_lookback_scan_state_kernelINS1_19lookback_scan_stateIjLb0ELb1EEENS1_16block_id_wrapperIjLb0EEEEEvT_jT0_jPNS7_10value_typeE,"axG",@progbits,_ZN7rocprim17ROCPRIM_400000_NS6detail31init_lookback_scan_state_kernelINS1_19lookback_scan_stateIjLb0ELb1EEENS1_16block_id_wrapperIjLb0EEEEEvT_jT0_jPNS7_10value_typeE,comdat
.Lfunc_end4:
	.size	_ZN7rocprim17ROCPRIM_400000_NS6detail31init_lookback_scan_state_kernelINS1_19lookback_scan_stateIjLb0ELb1EEENS1_16block_id_wrapperIjLb0EEEEEvT_jT0_jPNS7_10value_typeE, .Lfunc_end4-_ZN7rocprim17ROCPRIM_400000_NS6detail31init_lookback_scan_state_kernelINS1_19lookback_scan_stateIjLb0ELb1EEENS1_16block_id_wrapperIjLb0EEEEEvT_jT0_jPNS7_10value_typeE
                                        ; -- End function
	.set _ZN7rocprim17ROCPRIM_400000_NS6detail31init_lookback_scan_state_kernelINS1_19lookback_scan_stateIjLb0ELb1EEENS1_16block_id_wrapperIjLb0EEEEEvT_jT0_jPNS7_10value_typeE.num_vgpr, 5
	.set _ZN7rocprim17ROCPRIM_400000_NS6detail31init_lookback_scan_state_kernelINS1_19lookback_scan_stateIjLb0ELb1EEENS1_16block_id_wrapperIjLb0EEEEEvT_jT0_jPNS7_10value_typeE.num_agpr, 0
	.set _ZN7rocprim17ROCPRIM_400000_NS6detail31init_lookback_scan_state_kernelINS1_19lookback_scan_stateIjLb0ELb1EEENS1_16block_id_wrapperIjLb0EEEEEvT_jT0_jPNS7_10value_typeE.numbered_sgpr, 11
	.set _ZN7rocprim17ROCPRIM_400000_NS6detail31init_lookback_scan_state_kernelINS1_19lookback_scan_stateIjLb0ELb1EEENS1_16block_id_wrapperIjLb0EEEEEvT_jT0_jPNS7_10value_typeE.num_named_barrier, 0
	.set _ZN7rocprim17ROCPRIM_400000_NS6detail31init_lookback_scan_state_kernelINS1_19lookback_scan_stateIjLb0ELb1EEENS1_16block_id_wrapperIjLb0EEEEEvT_jT0_jPNS7_10value_typeE.private_seg_size, 0
	.set _ZN7rocprim17ROCPRIM_400000_NS6detail31init_lookback_scan_state_kernelINS1_19lookback_scan_stateIjLb0ELb1EEENS1_16block_id_wrapperIjLb0EEEEEvT_jT0_jPNS7_10value_typeE.uses_vcc, 1
	.set _ZN7rocprim17ROCPRIM_400000_NS6detail31init_lookback_scan_state_kernelINS1_19lookback_scan_stateIjLb0ELb1EEENS1_16block_id_wrapperIjLb0EEEEEvT_jT0_jPNS7_10value_typeE.uses_flat_scratch, 0
	.set _ZN7rocprim17ROCPRIM_400000_NS6detail31init_lookback_scan_state_kernelINS1_19lookback_scan_stateIjLb0ELb1EEENS1_16block_id_wrapperIjLb0EEEEEvT_jT0_jPNS7_10value_typeE.has_dyn_sized_stack, 0
	.set _ZN7rocprim17ROCPRIM_400000_NS6detail31init_lookback_scan_state_kernelINS1_19lookback_scan_stateIjLb0ELb1EEENS1_16block_id_wrapperIjLb0EEEEEvT_jT0_jPNS7_10value_typeE.has_recursion, 0
	.set _ZN7rocprim17ROCPRIM_400000_NS6detail31init_lookback_scan_state_kernelINS1_19lookback_scan_stateIjLb0ELb1EEENS1_16block_id_wrapperIjLb0EEEEEvT_jT0_jPNS7_10value_typeE.has_indirect_call, 0
	.section	.AMDGPU.csdata,"",@progbits
; Kernel info:
; codeLenInByte = 356
; TotalNumSgprs: 13
; NumVgprs: 5
; ScratchSize: 0
; MemoryBound: 0
; FloatMode: 240
; IeeeMode: 1
; LDSByteSize: 0 bytes/workgroup (compile time only)
; SGPRBlocks: 0
; VGPRBlocks: 0
; NumSGPRsForWavesPerEU: 13
; NumVGPRsForWavesPerEU: 5
; NamedBarCnt: 0
; Occupancy: 16
; WaveLimiterHint : 0
; COMPUTE_PGM_RSRC2:SCRATCH_EN: 0
; COMPUTE_PGM_RSRC2:USER_SGPR: 2
; COMPUTE_PGM_RSRC2:TRAP_HANDLER: 0
; COMPUTE_PGM_RSRC2:TGID_X_EN: 1
; COMPUTE_PGM_RSRC2:TGID_Y_EN: 0
; COMPUTE_PGM_RSRC2:TGID_Z_EN: 0
; COMPUTE_PGM_RSRC2:TIDIG_COMP_CNT: 0
	.section	.text._ZN7rocprim17ROCPRIM_400000_NS6detail17trampoline_kernelINS0_14default_configENS1_25partition_config_selectorILNS1_17partition_subalgoE8EbNS0_10empty_typeEbEEZZNS1_14partition_implILS5_8ELb0ES3_jN6hipcub16HIPCUB_304000_NS22TransformInputIteratorIbN2at6native8internal12_GLOBAL__N_110LoadBoolOpEPKhlEEPS6_PKS6_NS0_5tupleIJPbS6_EEENSN_IJSK_SK_EEENS0_18inequality_wrapperINSA_8EqualityEEEPlJS6_EEE10hipError_tPvRmT3_T4_T5_T6_T7_T9_mT8_P12ihipStream_tbDpT10_ENKUlT_T0_E_clISt17integral_constantIbLb0EES1E_EEDaS19_S1A_EUlS19_E_NS1_11comp_targetILNS1_3genE0ELNS1_11target_archE4294967295ELNS1_3gpuE0ELNS1_3repE0EEENS1_30default_config_static_selectorELNS0_4arch9wavefront6targetE0EEEvT1_,"axG",@progbits,_ZN7rocprim17ROCPRIM_400000_NS6detail17trampoline_kernelINS0_14default_configENS1_25partition_config_selectorILNS1_17partition_subalgoE8EbNS0_10empty_typeEbEEZZNS1_14partition_implILS5_8ELb0ES3_jN6hipcub16HIPCUB_304000_NS22TransformInputIteratorIbN2at6native8internal12_GLOBAL__N_110LoadBoolOpEPKhlEEPS6_PKS6_NS0_5tupleIJPbS6_EEENSN_IJSK_SK_EEENS0_18inequality_wrapperINSA_8EqualityEEEPlJS6_EEE10hipError_tPvRmT3_T4_T5_T6_T7_T9_mT8_P12ihipStream_tbDpT10_ENKUlT_T0_E_clISt17integral_constantIbLb0EES1E_EEDaS19_S1A_EUlS19_E_NS1_11comp_targetILNS1_3genE0ELNS1_11target_archE4294967295ELNS1_3gpuE0ELNS1_3repE0EEENS1_30default_config_static_selectorELNS0_4arch9wavefront6targetE0EEEvT1_,comdat
	.globl	_ZN7rocprim17ROCPRIM_400000_NS6detail17trampoline_kernelINS0_14default_configENS1_25partition_config_selectorILNS1_17partition_subalgoE8EbNS0_10empty_typeEbEEZZNS1_14partition_implILS5_8ELb0ES3_jN6hipcub16HIPCUB_304000_NS22TransformInputIteratorIbN2at6native8internal12_GLOBAL__N_110LoadBoolOpEPKhlEEPS6_PKS6_NS0_5tupleIJPbS6_EEENSN_IJSK_SK_EEENS0_18inequality_wrapperINSA_8EqualityEEEPlJS6_EEE10hipError_tPvRmT3_T4_T5_T6_T7_T9_mT8_P12ihipStream_tbDpT10_ENKUlT_T0_E_clISt17integral_constantIbLb0EES1E_EEDaS19_S1A_EUlS19_E_NS1_11comp_targetILNS1_3genE0ELNS1_11target_archE4294967295ELNS1_3gpuE0ELNS1_3repE0EEENS1_30default_config_static_selectorELNS0_4arch9wavefront6targetE0EEEvT1_ ; -- Begin function _ZN7rocprim17ROCPRIM_400000_NS6detail17trampoline_kernelINS0_14default_configENS1_25partition_config_selectorILNS1_17partition_subalgoE8EbNS0_10empty_typeEbEEZZNS1_14partition_implILS5_8ELb0ES3_jN6hipcub16HIPCUB_304000_NS22TransformInputIteratorIbN2at6native8internal12_GLOBAL__N_110LoadBoolOpEPKhlEEPS6_PKS6_NS0_5tupleIJPbS6_EEENSN_IJSK_SK_EEENS0_18inequality_wrapperINSA_8EqualityEEEPlJS6_EEE10hipError_tPvRmT3_T4_T5_T6_T7_T9_mT8_P12ihipStream_tbDpT10_ENKUlT_T0_E_clISt17integral_constantIbLb0EES1E_EEDaS19_S1A_EUlS19_E_NS1_11comp_targetILNS1_3genE0ELNS1_11target_archE4294967295ELNS1_3gpuE0ELNS1_3repE0EEENS1_30default_config_static_selectorELNS0_4arch9wavefront6targetE0EEEvT1_
	.p2align	8
	.type	_ZN7rocprim17ROCPRIM_400000_NS6detail17trampoline_kernelINS0_14default_configENS1_25partition_config_selectorILNS1_17partition_subalgoE8EbNS0_10empty_typeEbEEZZNS1_14partition_implILS5_8ELb0ES3_jN6hipcub16HIPCUB_304000_NS22TransformInputIteratorIbN2at6native8internal12_GLOBAL__N_110LoadBoolOpEPKhlEEPS6_PKS6_NS0_5tupleIJPbS6_EEENSN_IJSK_SK_EEENS0_18inequality_wrapperINSA_8EqualityEEEPlJS6_EEE10hipError_tPvRmT3_T4_T5_T6_T7_T9_mT8_P12ihipStream_tbDpT10_ENKUlT_T0_E_clISt17integral_constantIbLb0EES1E_EEDaS19_S1A_EUlS19_E_NS1_11comp_targetILNS1_3genE0ELNS1_11target_archE4294967295ELNS1_3gpuE0ELNS1_3repE0EEENS1_30default_config_static_selectorELNS0_4arch9wavefront6targetE0EEEvT1_,@function
_ZN7rocprim17ROCPRIM_400000_NS6detail17trampoline_kernelINS0_14default_configENS1_25partition_config_selectorILNS1_17partition_subalgoE8EbNS0_10empty_typeEbEEZZNS1_14partition_implILS5_8ELb0ES3_jN6hipcub16HIPCUB_304000_NS22TransformInputIteratorIbN2at6native8internal12_GLOBAL__N_110LoadBoolOpEPKhlEEPS6_PKS6_NS0_5tupleIJPbS6_EEENSN_IJSK_SK_EEENS0_18inequality_wrapperINSA_8EqualityEEEPlJS6_EEE10hipError_tPvRmT3_T4_T5_T6_T7_T9_mT8_P12ihipStream_tbDpT10_ENKUlT_T0_E_clISt17integral_constantIbLb0EES1E_EEDaS19_S1A_EUlS19_E_NS1_11comp_targetILNS1_3genE0ELNS1_11target_archE4294967295ELNS1_3gpuE0ELNS1_3repE0EEENS1_30default_config_static_selectorELNS0_4arch9wavefront6targetE0EEEvT1_: ; @_ZN7rocprim17ROCPRIM_400000_NS6detail17trampoline_kernelINS0_14default_configENS1_25partition_config_selectorILNS1_17partition_subalgoE8EbNS0_10empty_typeEbEEZZNS1_14partition_implILS5_8ELb0ES3_jN6hipcub16HIPCUB_304000_NS22TransformInputIteratorIbN2at6native8internal12_GLOBAL__N_110LoadBoolOpEPKhlEEPS6_PKS6_NS0_5tupleIJPbS6_EEENSN_IJSK_SK_EEENS0_18inequality_wrapperINSA_8EqualityEEEPlJS6_EEE10hipError_tPvRmT3_T4_T5_T6_T7_T9_mT8_P12ihipStream_tbDpT10_ENKUlT_T0_E_clISt17integral_constantIbLb0EES1E_EEDaS19_S1A_EUlS19_E_NS1_11comp_targetILNS1_3genE0ELNS1_11target_archE4294967295ELNS1_3gpuE0ELNS1_3repE0EEENS1_30default_config_static_selectorELNS0_4arch9wavefront6targetE0EEEvT1_
; %bb.0:
	s_clause 0x4
	s_load_b64 s[4:5], s[0:1], 0x8
	s_load_b64 s[2:3], s[0:1], 0x18
	s_load_b128 s[36:39], s[0:1], 0x48
	s_load_b32 s12, s[0:1], 0x70
	s_load_b64 s[6:7], s[0:1], 0x58
	s_bfe_u32 s8, ttmp6, 0x4000c
	s_and_b32 s10, ttmp6, 15
	s_add_co_i32 s8, s8, 1
	s_getreg_b32 s11, hwreg(HW_REG_IB_STS2, 6, 4)
	s_mul_i32 s8, ttmp9, s8
	s_mov_b32 s9, 0
	s_add_co_i32 s10, s10, s8
	s_cmp_eq_u32 s11, 0
	v_mov_b32_e32 v22, v0
	s_cselect_b32 s34, ttmp9, s10
	s_wait_kmcnt 0x0
	s_add_nc_u64 s[4:5], s[4:5], s[2:3]
	s_load_b64 s[30:31], s[38:39], 0x0
	s_mul_i32 s8, s12, 0x1c00
	s_add_co_i32 s12, s12, -1
	s_add_nc_u64 s[10:11], s[2:3], s[8:9]
	s_add_co_i32 s8, s8, s2
	v_cmp_le_u64_e64 s7, s[6:7], s[10:11]
	s_wait_xcnt 0x0
	s_sub_co_i32 s38, s6, s8
	s_cmp_eq_u32 s34, s12
	s_mul_i32 s8, s34, 0x1c00
	s_cselect_b32 s29, -1, 0
	s_mov_b32 s6, -1
	s_add_nc_u64 s[4:5], s[4:5], s[8:9]
	s_and_b32 s35, s29, s7
	s_delay_alu instid0(SALU_CYCLE_1) | instskip(NEXT) | instid1(SALU_CYCLE_1)
	s_xor_b32 s33, s35, -1
	s_and_b32 vcc_lo, exec_lo, s33
	s_cbranch_vccz .LBB5_2
; %bb.1:
	s_clause 0x1b
	global_load_u8 v1, v0, s[4:5]
	global_load_u8 v2, v0, s[4:5] offset:256
	global_load_u8 v3, v0, s[4:5] offset:512
	;; [unrolled: 1-line block ×27, first 2 shown]
	s_mov_b32 s6, 0
	s_wait_loadcnt 0x1b
	v_cmp_ne_u16_e32 vcc_lo, 0, v1
	v_cndmask_b32_e64 v1, 0, 1, vcc_lo
	s_wait_loadcnt 0x1a
	v_cmp_ne_u16_e32 vcc_lo, 0, v2
	v_cndmask_b32_e64 v2, 0, 1, vcc_lo
	;; [unrolled: 3-line block ×28, first 2 shown]
	ds_store_b8 v0, v1
	ds_store_b8 v0, v2 offset:256
	ds_store_b8 v0, v3 offset:512
	;; [unrolled: 1-line block ×27, first 2 shown]
	s_wait_dscnt 0x0
	s_barrier_signal -1
	s_barrier_wait -1
.LBB5_2:
	s_and_not1_b32 vcc_lo, exec_lo, s6
	s_addk_co_i32 s38, 0x1c00
	s_cbranch_vccnz .LBB5_60
; %bb.3:
	v_mov_b32_e32 v2, 0
	s_mov_b32 s6, exec_lo
	s_delay_alu instid0(VALU_DEP_1)
	v_dual_mov_b32 v3, v2 :: v_dual_mov_b32 v4, v2
	v_dual_mov_b32 v5, v2 :: v_dual_mov_b32 v6, v2
	;; [unrolled: 1-line block ×3, first 2 shown]
	v_cmpx_gt_u32_e64 s38, v0
	s_cbranch_execz .LBB5_5
; %bb.4:
	global_load_u8 v1, v0, s[4:5]
	v_dual_mov_b32 v9, v2 :: v_dual_mov_b32 v10, v2
	v_dual_mov_b32 v5, v2 :: v_dual_mov_b32 v6, v2
	;; [unrolled: 1-line block ×3, first 2 shown]
	s_wait_loadcnt 0x0
	v_cmp_ne_u16_e32 vcc_lo, 0, v1
	v_cndmask_b32_e64 v1, 0, 1, vcc_lo
	s_delay_alu instid0(VALU_DEP_1) | instskip(NEXT) | instid1(VALU_DEP_1)
	v_and_b32_e32 v4, 0xffff, v1
	v_mov_b32_e32 v2, v4
	v_dual_mov_b32 v3, v5 :: v_dual_mov_b32 v4, v6
	v_mov_b32_e32 v5, v7
	v_mov_b32_e32 v6, v8
	;; [unrolled: 1-line block ×4, first 2 shown]
.LBB5_5:
	s_or_b32 exec_lo, exec_lo, s6
	v_or_b32_e32 v1, 0x100, v0
	s_mov_b32 s6, exec_lo
	s_delay_alu instid0(VALU_DEP_1)
	v_cmpx_gt_u32_e64 s38, v1
	s_cbranch_execz .LBB5_7
; %bb.6:
	global_load_u8 v1, v0, s[4:5] offset:256
	s_wait_loadcnt 0x0
	v_cmp_ne_u16_e32 vcc_lo, 0, v1
	v_cndmask_b32_e64 v1, 0, 1, vcc_lo
	s_delay_alu instid0(VALU_DEP_1) | instskip(NEXT) | instid1(VALU_DEP_1)
	v_lshlrev_b16 v1, 8, v1
	v_bitop3_b16 v1, v2, v1, 0xff bitop3:0xec
	s_delay_alu instid0(VALU_DEP_1) | instskip(NEXT) | instid1(VALU_DEP_1)
	v_and_b32_e32 v1, 0xffff, v1
	v_and_or_b32 v2, 0xffff0000, v2, v1
.LBB5_7:
	s_or_b32 exec_lo, exec_lo, s6
	v_or_b32_e32 v1, 0x200, v0
	s_mov_b32 s6, exec_lo
	s_delay_alu instid0(VALU_DEP_1)
	v_cmpx_gt_u32_e64 s38, v1
	s_cbranch_execz .LBB5_9
; %bb.8:
	global_load_u8 v1, v0, s[4:5] offset:512
	v_lshrrev_b32_e32 v9, 16, v2
	s_wait_loadcnt 0x0
	v_cmp_ne_u16_e32 vcc_lo, 0, v1
	v_cndmask_b32_e64 v1, 0, 1, vcc_lo
	s_delay_alu instid0(VALU_DEP_1) | instskip(NEXT) | instid1(VALU_DEP_1)
	v_bitop3_b16 v1, v1, v9, 0xff00 bitop3:0xf8
	v_lshlrev_b32_e32 v1, 16, v1
	s_delay_alu instid0(VALU_DEP_1)
	v_and_or_b32 v2, 0xffff, v2, v1
.LBB5_9:
	s_or_b32 exec_lo, exec_lo, s6
	v_or_b32_e32 v1, 0x300, v0
	s_mov_b32 s6, exec_lo
	s_delay_alu instid0(VALU_DEP_1)
	v_cmpx_gt_u32_e64 s38, v1
	s_cbranch_execz .LBB5_11
; %bb.10:
	global_load_u8 v1, v0, s[4:5] offset:768
	v_lshrrev_b32_e32 v9, 16, v2
	s_wait_loadcnt 0x0
	v_cmp_ne_u16_e32 vcc_lo, 0, v1
	v_cndmask_b32_e64 v1, 0, 1, vcc_lo
	s_delay_alu instid0(VALU_DEP_1) | instskip(NEXT) | instid1(VALU_DEP_1)
	v_lshlrev_b16 v1, 8, v1
	v_bitop3_b16 v1, v9, v1, 0xff bitop3:0xec
	s_delay_alu instid0(VALU_DEP_1) | instskip(NEXT) | instid1(VALU_DEP_1)
	v_lshlrev_b32_e32 v1, 16, v1
	v_and_or_b32 v2, 0xffff, v2, v1
.LBB5_11:
	s_or_b32 exec_lo, exec_lo, s6
	v_or_b32_e32 v1, 0x400, v0
	s_mov_b32 s6, exec_lo
	s_delay_alu instid0(VALU_DEP_1)
	v_cmpx_gt_u32_e64 s38, v1
	s_cbranch_execz .LBB5_13
; %bb.12:
	global_load_u8 v1, v0, s[4:5] offset:1024
	s_wait_loadcnt 0x0
	v_cmp_ne_u16_e32 vcc_lo, 0, v1
	v_cndmask_b32_e64 v1, 0, 1, vcc_lo
	s_delay_alu instid0(VALU_DEP_1) | instskip(NEXT) | instid1(VALU_DEP_1)
	v_bitop3_b16 v1, v1, v3, 0xff00 bitop3:0xf8
	v_and_b32_e32 v1, 0xffff, v1
	s_delay_alu instid0(VALU_DEP_1)
	v_and_or_b32 v3, 0xffff0000, v3, v1
.LBB5_13:
	s_or_b32 exec_lo, exec_lo, s6
	v_or_b32_e32 v1, 0x500, v0
	s_mov_b32 s6, exec_lo
	s_delay_alu instid0(VALU_DEP_1)
	v_cmpx_gt_u32_e64 s38, v1
	s_cbranch_execz .LBB5_15
; %bb.14:
	global_load_u8 v1, v0, s[4:5] offset:1280
	s_wait_loadcnt 0x0
	v_cmp_ne_u16_e32 vcc_lo, 0, v1
	v_cndmask_b32_e64 v1, 0, 1, vcc_lo
	s_delay_alu instid0(VALU_DEP_1) | instskip(NEXT) | instid1(VALU_DEP_1)
	v_lshlrev_b16 v1, 8, v1
	v_bitop3_b16 v1, v3, v1, 0xff bitop3:0xec
	s_delay_alu instid0(VALU_DEP_1) | instskip(NEXT) | instid1(VALU_DEP_1)
	v_and_b32_e32 v1, 0xffff, v1
	v_and_or_b32 v3, 0xffff0000, v3, v1
.LBB5_15:
	s_or_b32 exec_lo, exec_lo, s6
	v_or_b32_e32 v1, 0x600, v0
	s_mov_b32 s6, exec_lo
	s_delay_alu instid0(VALU_DEP_1)
	v_cmpx_gt_u32_e64 s38, v1
	s_cbranch_execz .LBB5_17
; %bb.16:
	global_load_u8 v1, v0, s[4:5] offset:1536
	v_lshrrev_b32_e32 v9, 16, v3
	s_wait_loadcnt 0x0
	v_cmp_ne_u16_e32 vcc_lo, 0, v1
	v_cndmask_b32_e64 v1, 0, 1, vcc_lo
	s_delay_alu instid0(VALU_DEP_1) | instskip(NEXT) | instid1(VALU_DEP_1)
	v_bitop3_b16 v1, v1, v9, 0xff00 bitop3:0xf8
	v_lshlrev_b32_e32 v1, 16, v1
	s_delay_alu instid0(VALU_DEP_1)
	v_and_or_b32 v3, 0xffff, v3, v1
.LBB5_17:
	s_or_b32 exec_lo, exec_lo, s6
	v_or_b32_e32 v1, 0x700, v0
	s_mov_b32 s6, exec_lo
	s_delay_alu instid0(VALU_DEP_1)
	v_cmpx_gt_u32_e64 s38, v1
	s_cbranch_execz .LBB5_19
; %bb.18:
	global_load_u8 v1, v0, s[4:5] offset:1792
	v_lshrrev_b32_e32 v9, 16, v3
	s_wait_loadcnt 0x0
	v_cmp_ne_u16_e32 vcc_lo, 0, v1
	v_cndmask_b32_e64 v1, 0, 1, vcc_lo
	s_delay_alu instid0(VALU_DEP_1) | instskip(NEXT) | instid1(VALU_DEP_1)
	v_lshlrev_b16 v1, 8, v1
	v_bitop3_b16 v1, v9, v1, 0xff bitop3:0xec
	s_delay_alu instid0(VALU_DEP_1) | instskip(NEXT) | instid1(VALU_DEP_1)
	v_lshlrev_b32_e32 v1, 16, v1
	v_and_or_b32 v3, 0xffff, v3, v1
.LBB5_19:
	s_or_b32 exec_lo, exec_lo, s6
	v_or_b32_e32 v1, 0x800, v0
	s_mov_b32 s6, exec_lo
	s_delay_alu instid0(VALU_DEP_1)
	v_cmpx_gt_u32_e64 s38, v1
	s_cbranch_execz .LBB5_21
; %bb.20:
	global_load_u8 v1, v0, s[4:5] offset:2048
	s_wait_loadcnt 0x0
	v_cmp_ne_u16_e32 vcc_lo, 0, v1
	v_cndmask_b32_e64 v1, 0, 1, vcc_lo
	s_delay_alu instid0(VALU_DEP_1) | instskip(NEXT) | instid1(VALU_DEP_1)
	v_bitop3_b16 v1, v1, v4, 0xff00 bitop3:0xf8
	v_and_b32_e32 v1, 0xffff, v1
	s_delay_alu instid0(VALU_DEP_1)
	v_and_or_b32 v4, 0xffff0000, v4, v1
.LBB5_21:
	s_or_b32 exec_lo, exec_lo, s6
	v_or_b32_e32 v1, 0x900, v0
	s_mov_b32 s6, exec_lo
	s_delay_alu instid0(VALU_DEP_1)
	v_cmpx_gt_u32_e64 s38, v1
	s_cbranch_execz .LBB5_23
; %bb.22:
	global_load_u8 v1, v0, s[4:5] offset:2304
	s_wait_loadcnt 0x0
	v_cmp_ne_u16_e32 vcc_lo, 0, v1
	v_cndmask_b32_e64 v1, 0, 1, vcc_lo
	s_delay_alu instid0(VALU_DEP_1) | instskip(NEXT) | instid1(VALU_DEP_1)
	v_lshlrev_b16 v1, 8, v1
	v_bitop3_b16 v1, v4, v1, 0xff bitop3:0xec
	s_delay_alu instid0(VALU_DEP_1) | instskip(NEXT) | instid1(VALU_DEP_1)
	v_and_b32_e32 v1, 0xffff, v1
	v_and_or_b32 v4, 0xffff0000, v4, v1
.LBB5_23:
	s_or_b32 exec_lo, exec_lo, s6
	v_or_b32_e32 v1, 0xa00, v0
	s_mov_b32 s6, exec_lo
	s_delay_alu instid0(VALU_DEP_1)
	v_cmpx_gt_u32_e64 s38, v1
	s_cbranch_execz .LBB5_25
; %bb.24:
	global_load_u8 v1, v0, s[4:5] offset:2560
	v_lshrrev_b32_e32 v9, 16, v4
	s_wait_loadcnt 0x0
	v_cmp_ne_u16_e32 vcc_lo, 0, v1
	v_cndmask_b32_e64 v1, 0, 1, vcc_lo
	s_delay_alu instid0(VALU_DEP_1) | instskip(NEXT) | instid1(VALU_DEP_1)
	v_bitop3_b16 v1, v1, v9, 0xff00 bitop3:0xf8
	v_lshlrev_b32_e32 v1, 16, v1
	s_delay_alu instid0(VALU_DEP_1)
	v_and_or_b32 v4, 0xffff, v4, v1
.LBB5_25:
	s_or_b32 exec_lo, exec_lo, s6
	v_or_b32_e32 v1, 0xb00, v0
	s_mov_b32 s6, exec_lo
	s_delay_alu instid0(VALU_DEP_1)
	v_cmpx_gt_u32_e64 s38, v1
	s_cbranch_execz .LBB5_27
; %bb.26:
	global_load_u8 v1, v0, s[4:5] offset:2816
	v_lshrrev_b32_e32 v9, 16, v4
	s_wait_loadcnt 0x0
	v_cmp_ne_u16_e32 vcc_lo, 0, v1
	v_cndmask_b32_e64 v1, 0, 1, vcc_lo
	s_delay_alu instid0(VALU_DEP_1) | instskip(NEXT) | instid1(VALU_DEP_1)
	v_lshlrev_b16 v1, 8, v1
	v_bitop3_b16 v1, v9, v1, 0xff bitop3:0xec
	s_delay_alu instid0(VALU_DEP_1) | instskip(NEXT) | instid1(VALU_DEP_1)
	v_lshlrev_b32_e32 v1, 16, v1
	v_and_or_b32 v4, 0xffff, v4, v1
.LBB5_27:
	s_or_b32 exec_lo, exec_lo, s6
	v_or_b32_e32 v1, 0xc00, v0
	s_mov_b32 s6, exec_lo
	s_delay_alu instid0(VALU_DEP_1)
	v_cmpx_gt_u32_e64 s38, v1
	s_cbranch_execz .LBB5_29
; %bb.28:
	global_load_u8 v1, v0, s[4:5] offset:3072
	s_wait_loadcnt 0x0
	v_cmp_ne_u16_e32 vcc_lo, 0, v1
	v_cndmask_b32_e64 v1, 0, 1, vcc_lo
	s_delay_alu instid0(VALU_DEP_1) | instskip(NEXT) | instid1(VALU_DEP_1)
	v_bitop3_b16 v1, v1, v5, 0xff00 bitop3:0xf8
	v_and_b32_e32 v1, 0xffff, v1
	s_delay_alu instid0(VALU_DEP_1)
	v_and_or_b32 v5, 0xffff0000, v5, v1
.LBB5_29:
	s_or_b32 exec_lo, exec_lo, s6
	v_or_b32_e32 v1, 0xd00, v0
	s_mov_b32 s6, exec_lo
	s_delay_alu instid0(VALU_DEP_1)
	v_cmpx_gt_u32_e64 s38, v1
	s_cbranch_execz .LBB5_31
; %bb.30:
	global_load_u8 v1, v0, s[4:5] offset:3328
	s_wait_loadcnt 0x0
	v_cmp_ne_u16_e32 vcc_lo, 0, v1
	v_cndmask_b32_e64 v1, 0, 1, vcc_lo
	s_delay_alu instid0(VALU_DEP_1) | instskip(NEXT) | instid1(VALU_DEP_1)
	v_lshlrev_b16 v1, 8, v1
	v_bitop3_b16 v1, v5, v1, 0xff bitop3:0xec
	s_delay_alu instid0(VALU_DEP_1) | instskip(NEXT) | instid1(VALU_DEP_1)
	v_and_b32_e32 v1, 0xffff, v1
	v_and_or_b32 v5, 0xffff0000, v5, v1
.LBB5_31:
	s_or_b32 exec_lo, exec_lo, s6
	v_or_b32_e32 v1, 0xe00, v0
	s_mov_b32 s6, exec_lo
	s_delay_alu instid0(VALU_DEP_1)
	v_cmpx_gt_u32_e64 s38, v1
	s_cbranch_execz .LBB5_33
; %bb.32:
	global_load_u8 v1, v0, s[4:5] offset:3584
	v_lshrrev_b32_e32 v9, 16, v5
	s_wait_loadcnt 0x0
	v_cmp_ne_u16_e32 vcc_lo, 0, v1
	v_cndmask_b32_e64 v1, 0, 1, vcc_lo
	s_delay_alu instid0(VALU_DEP_1) | instskip(NEXT) | instid1(VALU_DEP_1)
	v_bitop3_b16 v1, v1, v9, 0xff00 bitop3:0xf8
	v_lshlrev_b32_e32 v1, 16, v1
	s_delay_alu instid0(VALU_DEP_1)
	v_and_or_b32 v5, 0xffff, v5, v1
.LBB5_33:
	s_or_b32 exec_lo, exec_lo, s6
	v_or_b32_e32 v1, 0xf00, v0
	s_mov_b32 s6, exec_lo
	s_delay_alu instid0(VALU_DEP_1)
	v_cmpx_gt_u32_e64 s38, v1
	s_cbranch_execz .LBB5_35
; %bb.34:
	global_load_u8 v1, v0, s[4:5] offset:3840
	v_lshrrev_b32_e32 v9, 16, v5
	s_wait_loadcnt 0x0
	v_cmp_ne_u16_e32 vcc_lo, 0, v1
	v_cndmask_b32_e64 v1, 0, 1, vcc_lo
	s_delay_alu instid0(VALU_DEP_1) | instskip(NEXT) | instid1(VALU_DEP_1)
	v_lshlrev_b16 v1, 8, v1
	v_bitop3_b16 v1, v9, v1, 0xff bitop3:0xec
	s_delay_alu instid0(VALU_DEP_1) | instskip(NEXT) | instid1(VALU_DEP_1)
	v_lshlrev_b32_e32 v1, 16, v1
	v_and_or_b32 v5, 0xffff, v5, v1
.LBB5_35:
	s_or_b32 exec_lo, exec_lo, s6
	v_or_b32_e32 v1, 0x1000, v0
	s_mov_b32 s6, exec_lo
	s_delay_alu instid0(VALU_DEP_1)
	v_cmpx_gt_u32_e64 s38, v1
	s_cbranch_execz .LBB5_37
; %bb.36:
	global_load_u8 v1, v0, s[4:5] offset:4096
	s_wait_loadcnt 0x0
	v_cmp_ne_u16_e32 vcc_lo, 0, v1
	v_cndmask_b32_e64 v1, 0, 1, vcc_lo
	s_delay_alu instid0(VALU_DEP_1) | instskip(NEXT) | instid1(VALU_DEP_1)
	v_bitop3_b16 v1, v1, v6, 0xff00 bitop3:0xf8
	v_and_b32_e32 v1, 0xffff, v1
	s_delay_alu instid0(VALU_DEP_1)
	v_and_or_b32 v6, 0xffff0000, v6, v1
.LBB5_37:
	s_or_b32 exec_lo, exec_lo, s6
	v_or_b32_e32 v1, 0x1100, v0
	s_mov_b32 s6, exec_lo
	s_delay_alu instid0(VALU_DEP_1)
	v_cmpx_gt_u32_e64 s38, v1
	s_cbranch_execz .LBB5_39
; %bb.38:
	global_load_u8 v1, v0, s[4:5] offset:4352
	s_wait_loadcnt 0x0
	v_cmp_ne_u16_e32 vcc_lo, 0, v1
	v_cndmask_b32_e64 v1, 0, 1, vcc_lo
	s_delay_alu instid0(VALU_DEP_1) | instskip(NEXT) | instid1(VALU_DEP_1)
	v_lshlrev_b16 v1, 8, v1
	v_bitop3_b16 v1, v6, v1, 0xff bitop3:0xec
	s_delay_alu instid0(VALU_DEP_1) | instskip(NEXT) | instid1(VALU_DEP_1)
	v_and_b32_e32 v1, 0xffff, v1
	v_and_or_b32 v6, 0xffff0000, v6, v1
.LBB5_39:
	s_or_b32 exec_lo, exec_lo, s6
	v_or_b32_e32 v1, 0x1200, v0
	s_mov_b32 s6, exec_lo
	s_delay_alu instid0(VALU_DEP_1)
	v_cmpx_gt_u32_e64 s38, v1
	s_cbranch_execz .LBB5_41
; %bb.40:
	global_load_u8 v1, v0, s[4:5] offset:4608
	v_lshrrev_b32_e32 v9, 16, v6
	s_wait_loadcnt 0x0
	v_cmp_ne_u16_e32 vcc_lo, 0, v1
	v_cndmask_b32_e64 v1, 0, 1, vcc_lo
	s_delay_alu instid0(VALU_DEP_1) | instskip(NEXT) | instid1(VALU_DEP_1)
	v_bitop3_b16 v1, v1, v9, 0xff00 bitop3:0xf8
	v_lshlrev_b32_e32 v1, 16, v1
	s_delay_alu instid0(VALU_DEP_1)
	v_and_or_b32 v6, 0xffff, v6, v1
.LBB5_41:
	s_or_b32 exec_lo, exec_lo, s6
	v_or_b32_e32 v1, 0x1300, v0
	s_mov_b32 s6, exec_lo
	s_delay_alu instid0(VALU_DEP_1)
	v_cmpx_gt_u32_e64 s38, v1
	s_cbranch_execz .LBB5_43
; %bb.42:
	global_load_u8 v1, v0, s[4:5] offset:4864
	v_lshrrev_b32_e32 v9, 16, v6
	s_wait_loadcnt 0x0
	v_cmp_ne_u16_e32 vcc_lo, 0, v1
	v_cndmask_b32_e64 v1, 0, 1, vcc_lo
	s_delay_alu instid0(VALU_DEP_1) | instskip(NEXT) | instid1(VALU_DEP_1)
	v_lshlrev_b16 v1, 8, v1
	v_bitop3_b16 v1, v9, v1, 0xff bitop3:0xec
	s_delay_alu instid0(VALU_DEP_1) | instskip(NEXT) | instid1(VALU_DEP_1)
	v_lshlrev_b32_e32 v1, 16, v1
	v_and_or_b32 v6, 0xffff, v6, v1
.LBB5_43:
	s_or_b32 exec_lo, exec_lo, s6
	v_or_b32_e32 v1, 0x1400, v0
	s_mov_b32 s6, exec_lo
	s_delay_alu instid0(VALU_DEP_1)
	v_cmpx_gt_u32_e64 s38, v1
	s_cbranch_execz .LBB5_45
; %bb.44:
	global_load_u8 v1, v0, s[4:5] offset:5120
	s_wait_loadcnt 0x0
	v_cmp_ne_u16_e32 vcc_lo, 0, v1
	v_cndmask_b32_e64 v1, 0, 1, vcc_lo
	s_delay_alu instid0(VALU_DEP_1) | instskip(NEXT) | instid1(VALU_DEP_1)
	v_bitop3_b16 v1, v1, v7, 0xff00 bitop3:0xf8
	v_and_b32_e32 v1, 0xffff, v1
	s_delay_alu instid0(VALU_DEP_1)
	v_and_or_b32 v7, 0xffff0000, v7, v1
.LBB5_45:
	s_or_b32 exec_lo, exec_lo, s6
	v_or_b32_e32 v1, 0x1500, v0
	s_mov_b32 s6, exec_lo
	s_delay_alu instid0(VALU_DEP_1)
	v_cmpx_gt_u32_e64 s38, v1
	s_cbranch_execz .LBB5_47
; %bb.46:
	global_load_u8 v1, v0, s[4:5] offset:5376
	s_wait_loadcnt 0x0
	v_cmp_ne_u16_e32 vcc_lo, 0, v1
	v_cndmask_b32_e64 v1, 0, 1, vcc_lo
	s_delay_alu instid0(VALU_DEP_1) | instskip(NEXT) | instid1(VALU_DEP_1)
	v_lshlrev_b16 v1, 8, v1
	v_bitop3_b16 v1, v7, v1, 0xff bitop3:0xec
	s_delay_alu instid0(VALU_DEP_1) | instskip(NEXT) | instid1(VALU_DEP_1)
	v_and_b32_e32 v1, 0xffff, v1
	v_and_or_b32 v7, 0xffff0000, v7, v1
.LBB5_47:
	s_or_b32 exec_lo, exec_lo, s6
	v_or_b32_e32 v1, 0x1600, v0
	s_mov_b32 s6, exec_lo
	s_delay_alu instid0(VALU_DEP_1)
	v_cmpx_gt_u32_e64 s38, v1
	s_cbranch_execz .LBB5_49
; %bb.48:
	global_load_u8 v1, v0, s[4:5] offset:5632
	v_lshrrev_b32_e32 v9, 16, v7
	s_wait_loadcnt 0x0
	v_cmp_ne_u16_e32 vcc_lo, 0, v1
	v_cndmask_b32_e64 v1, 0, 1, vcc_lo
	s_delay_alu instid0(VALU_DEP_1) | instskip(NEXT) | instid1(VALU_DEP_1)
	v_bitop3_b16 v1, v1, v9, 0xff00 bitop3:0xf8
	v_lshlrev_b32_e32 v1, 16, v1
	s_delay_alu instid0(VALU_DEP_1)
	v_and_or_b32 v7, 0xffff, v7, v1
.LBB5_49:
	s_or_b32 exec_lo, exec_lo, s6
	v_or_b32_e32 v1, 0x1700, v0
	s_mov_b32 s6, exec_lo
	s_delay_alu instid0(VALU_DEP_1)
	v_cmpx_gt_u32_e64 s38, v1
	s_cbranch_execz .LBB5_51
; %bb.50:
	global_load_u8 v1, v0, s[4:5] offset:5888
	v_lshrrev_b32_e32 v9, 16, v7
	s_wait_loadcnt 0x0
	v_cmp_ne_u16_e32 vcc_lo, 0, v1
	v_cndmask_b32_e64 v1, 0, 1, vcc_lo
	s_delay_alu instid0(VALU_DEP_1) | instskip(NEXT) | instid1(VALU_DEP_1)
	v_lshlrev_b16 v1, 8, v1
	v_bitop3_b16 v1, v9, v1, 0xff bitop3:0xec
	s_delay_alu instid0(VALU_DEP_1) | instskip(NEXT) | instid1(VALU_DEP_1)
	v_lshlrev_b32_e32 v1, 16, v1
	v_and_or_b32 v7, 0xffff, v7, v1
.LBB5_51:
	s_or_b32 exec_lo, exec_lo, s6
	v_or_b32_e32 v1, 0x1800, v0
	s_mov_b32 s6, exec_lo
	s_delay_alu instid0(VALU_DEP_1)
	v_cmpx_gt_u32_e64 s38, v1
	s_cbranch_execz .LBB5_53
; %bb.52:
	global_load_u8 v1, v0, s[4:5] offset:6144
	s_wait_loadcnt 0x0
	v_cmp_ne_u16_e32 vcc_lo, 0, v1
	v_cndmask_b32_e64 v1, 0, 1, vcc_lo
	s_delay_alu instid0(VALU_DEP_1) | instskip(NEXT) | instid1(VALU_DEP_1)
	v_bitop3_b16 v1, v1, v8, 0xff00 bitop3:0xf8
	v_and_b32_e32 v1, 0xffff, v1
	s_delay_alu instid0(VALU_DEP_1)
	v_and_or_b32 v8, 0xffff0000, v8, v1
.LBB5_53:
	s_or_b32 exec_lo, exec_lo, s6
	v_or_b32_e32 v1, 0x1900, v0
	s_mov_b32 s6, exec_lo
	s_delay_alu instid0(VALU_DEP_1)
	v_cmpx_gt_u32_e64 s38, v1
	s_cbranch_execz .LBB5_55
; %bb.54:
	global_load_u8 v1, v0, s[4:5] offset:6400
	s_wait_loadcnt 0x0
	v_cmp_ne_u16_e32 vcc_lo, 0, v1
	v_cndmask_b32_e64 v1, 0, 1, vcc_lo
	s_delay_alu instid0(VALU_DEP_1) | instskip(NEXT) | instid1(VALU_DEP_1)
	v_lshlrev_b16 v1, 8, v1
	v_bitop3_b16 v1, v8, v1, 0xff bitop3:0xec
	s_delay_alu instid0(VALU_DEP_1) | instskip(NEXT) | instid1(VALU_DEP_1)
	v_and_b32_e32 v1, 0xffff, v1
	v_and_or_b32 v8, 0xffff0000, v8, v1
.LBB5_55:
	s_or_b32 exec_lo, exec_lo, s6
	v_or_b32_e32 v1, 0x1a00, v0
	s_mov_b32 s6, exec_lo
	s_delay_alu instid0(VALU_DEP_1)
	v_cmpx_gt_u32_e64 s38, v1
	s_cbranch_execz .LBB5_57
; %bb.56:
	global_load_u8 v1, v0, s[4:5] offset:6656
	v_lshrrev_b32_e32 v9, 16, v8
	s_wait_loadcnt 0x0
	v_cmp_ne_u16_e32 vcc_lo, 0, v1
	v_cndmask_b32_e64 v1, 0, 1, vcc_lo
	s_delay_alu instid0(VALU_DEP_1) | instskip(NEXT) | instid1(VALU_DEP_1)
	v_bitop3_b16 v1, v1, v9, 0xff00 bitop3:0xf8
	v_lshlrev_b32_e32 v1, 16, v1
	s_delay_alu instid0(VALU_DEP_1)
	v_and_or_b32 v8, 0xffff, v8, v1
.LBB5_57:
	s_or_b32 exec_lo, exec_lo, s6
	v_or_b32_e32 v1, 0x1b00, v0
	s_mov_b32 s6, exec_lo
	s_delay_alu instid0(VALU_DEP_1)
	v_cmpx_gt_u32_e64 s38, v1
	s_cbranch_execz .LBB5_59
; %bb.58:
	global_load_u8 v1, v0, s[4:5] offset:6912
	v_lshrrev_b32_e32 v9, 16, v8
	s_wait_loadcnt 0x0
	v_cmp_ne_u16_e32 vcc_lo, 0, v1
	v_cndmask_b32_e64 v1, 0, 1, vcc_lo
	s_delay_alu instid0(VALU_DEP_1) | instskip(NEXT) | instid1(VALU_DEP_1)
	v_lshlrev_b16 v1, 8, v1
	v_bitop3_b16 v1, v9, v1, 0xff bitop3:0xec
	s_delay_alu instid0(VALU_DEP_1) | instskip(NEXT) | instid1(VALU_DEP_1)
	v_lshlrev_b32_e32 v1, 16, v1
	v_and_or_b32 v8, 0xffff, v8, v1
.LBB5_59:
	s_or_b32 exec_lo, exec_lo, s6
	v_dual_lshrrev_b32 v1, 8, v2 :: v_dual_lshrrev_b32 v9, 24, v2
	v_dual_lshrrev_b32 v10, 8, v3 :: v_dual_lshrrev_b32 v11, 24, v3
	ds_store_b8 v0, v2
	ds_store_b8 v0, v1 offset:256
	ds_store_b8_d16_hi v0, v2 offset:512
	ds_store_b8 v0, v9 offset:768
	ds_store_b8 v0, v3 offset:1024
	;; [unrolled: 1-line block ×3, first 2 shown]
	ds_store_b8_d16_hi v0, v3 offset:1536
	ds_store_b8 v0, v11 offset:1792
	v_dual_lshrrev_b32 v1, 8, v4 :: v_dual_lshrrev_b32 v2, 24, v4
	v_dual_lshrrev_b32 v3, 8, v5 :: v_dual_lshrrev_b32 v9, 24, v5
	ds_store_b8 v0, v4 offset:2048
	ds_store_b8 v0, v1 offset:2304
	ds_store_b8_d16_hi v0, v4 offset:2560
	ds_store_b8 v0, v2 offset:2816
	ds_store_b8 v0, v5 offset:3072
	;; [unrolled: 1-line block ×3, first 2 shown]
	ds_store_b8_d16_hi v0, v5 offset:3584
	ds_store_b8 v0, v9 offset:3840
	v_dual_lshrrev_b32 v1, 8, v6 :: v_dual_lshrrev_b32 v2, 24, v6
	v_dual_lshrrev_b32 v3, 8, v7 :: v_dual_lshrrev_b32 v4, 24, v7
	;; [unrolled: 1-line block ×3, first 2 shown]
	ds_store_b8 v0, v6 offset:4096
	ds_store_b8 v0, v1 offset:4352
	ds_store_b8_d16_hi v0, v6 offset:4608
	ds_store_b8 v0, v2 offset:4864
	ds_store_b8 v0, v7 offset:5120
	ds_store_b8 v0, v3 offset:5376
	ds_store_b8_d16_hi v0, v7 offset:5632
	ds_store_b8 v0, v4 offset:5888
	;; [unrolled: 4-line block ×3, first 2 shown]
	s_wait_dscnt 0x0
	s_barrier_signal -1
	s_barrier_wait -1
.LBB5_60:
	v_mul_u32_u24_e32 v8, 28, v0
	s_cmp_lg_u32 s34, 0
	s_mov_b32 s40, 0
	s_cselect_b32 s39, -1, 0
	ds_load_2addr_b32 v[6:7], v8 offset1:1
	ds_load_2addr_b32 v[4:5], v8 offset0:2 offset1:3
	ds_load_2addr_b32 v[2:3], v8 offset0:4 offset1:5
	ds_load_b32 v20, v8 offset:24
	s_cmp_lg_u64 s[2:3], 0
	s_wait_dscnt 0x0
	s_cselect_b32 s2, -1, 0
	s_barrier_signal -1
	s_or_b32 s2, s39, s2
	s_barrier_wait -1
	s_and_b32 vcc_lo, exec_lo, s2
	v_dual_lshrrev_b32 v40, 8, v6 :: v_dual_lshrrev_b32 v39, 16, v6
	v_dual_lshrrev_b32 v38, 24, v6 :: v_dual_lshrrev_b32 v37, 8, v7
	;; [unrolled: 1-line block ×10, first 2 shown]
	v_lshrrev_b32_e32 v1, 24, v20
	s_cbranch_vccz .LBB5_65
; %bb.61:
	s_add_nc_u64 s[2:3], s[4:5], -1
	ds_store_b8 v0, v1
	s_load_u8 s2, s[2:3], 0x0
	s_wait_kmcnt 0x0
	s_cmp_lg_u32 s2, 0
	s_cselect_b32 s2, -1, 0
	s_and_b32 vcc_lo, exec_lo, s33
	v_cndmask_b32_e64 v9, 0, 1, s2
	s_cbranch_vccz .LBB5_66
; %bb.62:
	v_cndmask_b32_e64 v10, 0, 1, s2
	s_mov_b32 s2, exec_lo
	s_wait_dscnt 0x0
	s_barrier_signal -1
	s_barrier_wait -1
	v_cmpx_ne_u32_e32 0, v0
; %bb.63:
	v_add_nc_u32_e32 v10, -1, v0
	ds_load_u8 v10, v10
; %bb.64:
	s_or_b32 exec_lo, exec_lo, s2
	v_and_b32_e32 v11, 0xff, v19
	v_and_b32_e32 v12, 0xff, v21
	;; [unrolled: 1-line block ×3, first 2 shown]
	s_wait_dscnt 0x0
	v_and_b32_e32 v10, 0xff, v10
	v_cmp_ne_u16_e32 vcc_lo, v11, v1
	v_cndmask_b32_e64 v41, 0, 1, vcc_lo
	v_cmp_ne_u16_e32 vcc_lo, v12, v11
	v_and_b32_e32 v11, 0xff, v24
	v_cndmask_b32_e64 v42, 0, 1, vcc_lo
	v_cmp_ne_u16_e32 vcc_lo, v13, v12
	v_and_b32_e32 v12, 0xff, v25
	v_cndmask_b32_e64 v43, 0, 1, vcc_lo
	v_cmp_ne_u16_e32 vcc_lo, v23, v13
	v_and_b32_e32 v13, 0xff, v3
	v_cndmask_b32_e64 v44, 0, 1, vcc_lo
	v_cmp_ne_u16_e32 vcc_lo, v11, v23
	v_cndmask_b32_e64 v45, 0, 1, vcc_lo
	v_cmp_ne_u16_e32 vcc_lo, v12, v11
	v_and_b32_e32 v11, 0xff, v27
	v_cndmask_b32_e64 v46, 0, 1, vcc_lo
	v_cmp_ne_u16_e32 vcc_lo, v13, v12
	v_and_b32_e32 v12, 0xff, v28
	v_cndmask_b32_e64 v47, 0, 1, vcc_lo
	v_cmp_ne_u16_e32 vcc_lo, v26, v13
	v_and_b32_e32 v13, 0xff, v2
	v_cndmask_b32_e64 v48, 0, 1, vcc_lo
	;; [unrolled: 11-line block ×6, first 2 shown]
	v_cmp_ne_u16_e32 vcc_lo, v11, v38
	s_delay_alu instid0(VALU_DEP_3)
	v_cmp_ne_u16_e64 s41, v10, v13
	v_cndmask_b32_e64 v65, 0, 1, vcc_lo
	v_cmp_ne_u16_e32 vcc_lo, v12, v11
	v_cndmask_b32_e64 v66, 0, 1, vcc_lo
	v_cmp_ne_u16_e32 vcc_lo, v13, v12
	v_cndmask_b32_e64 v67, 0, 1, vcc_lo
	s_branch .LBB5_70
.LBB5_65:
                                        ; implicit-def: $sgpr41
                                        ; implicit-def: $vgpr41
                                        ; implicit-def: $vgpr42
                                        ; implicit-def: $vgpr43
                                        ; implicit-def: $vgpr44
                                        ; implicit-def: $vgpr45
                                        ; implicit-def: $vgpr46
                                        ; implicit-def: $vgpr47
                                        ; implicit-def: $vgpr48
                                        ; implicit-def: $vgpr49
                                        ; implicit-def: $vgpr50
                                        ; implicit-def: $vgpr51
                                        ; implicit-def: $vgpr52
                                        ; implicit-def: $vgpr53
                                        ; implicit-def: $vgpr54
                                        ; implicit-def: $vgpr55
                                        ; implicit-def: $vgpr56
                                        ; implicit-def: $vgpr57
                                        ; implicit-def: $vgpr67
                                        ; implicit-def: $vgpr66
                                        ; implicit-def: $vgpr65
                                        ; implicit-def: $vgpr64
                                        ; implicit-def: $vgpr63
                                        ; implicit-def: $vgpr62
                                        ; implicit-def: $vgpr61
                                        ; implicit-def: $vgpr60
                                        ; implicit-def: $vgpr59
                                        ; implicit-def: $vgpr58
	s_branch .LBB5_71
.LBB5_66:
                                        ; implicit-def: $sgpr41
                                        ; implicit-def: $vgpr41
                                        ; implicit-def: $vgpr42
                                        ; implicit-def: $vgpr43
                                        ; implicit-def: $vgpr44
                                        ; implicit-def: $vgpr45
                                        ; implicit-def: $vgpr46
                                        ; implicit-def: $vgpr47
                                        ; implicit-def: $vgpr48
                                        ; implicit-def: $vgpr49
                                        ; implicit-def: $vgpr50
                                        ; implicit-def: $vgpr51
                                        ; implicit-def: $vgpr52
                                        ; implicit-def: $vgpr53
                                        ; implicit-def: $vgpr54
                                        ; implicit-def: $vgpr55
                                        ; implicit-def: $vgpr56
                                        ; implicit-def: $vgpr57
                                        ; implicit-def: $vgpr67
                                        ; implicit-def: $vgpr66
                                        ; implicit-def: $vgpr65
                                        ; implicit-def: $vgpr64
                                        ; implicit-def: $vgpr63
                                        ; implicit-def: $vgpr62
                                        ; implicit-def: $vgpr61
                                        ; implicit-def: $vgpr60
                                        ; implicit-def: $vgpr59
                                        ; implicit-def: $vgpr58
	s_cbranch_execz .LBB5_70
; %bb.67:
	s_mov_b32 s2, exec_lo
	s_wait_dscnt 0x0
	s_barrier_signal -1
	s_barrier_wait -1
	v_cmpx_ne_u32_e32 0, v0
; %bb.68:
	v_add_nc_u32_e32 v9, -1, v0
	ds_load_u8 v9, v9
; %bb.69:
	s_or_b32 exec_lo, exec_lo, s2
	v_dual_add_nc_u32 v10, 27, v8 :: v_dual_add_nc_u32 v12, 26, v8
	v_and_b32_e32 v11, 0xff, v19
	v_and_b32_e32 v14, 0xff, v20
	v_dual_add_nc_u32 v13, 25, v8 :: v_dual_add_nc_u32 v15, 24, v8
	s_delay_alu instid0(VALU_DEP_4) | instskip(NEXT) | instid1(VALU_DEP_4)
	v_cmp_gt_u32_e32 vcc_lo, s38, v10
	v_cmp_ne_u16_e64 s2, v11, v1
	v_and_b32_e32 v10, 0xff, v21
	s_delay_alu instid0(VALU_DEP_4)
	v_cmp_gt_u32_e64 s3, s38, v13
	v_cmp_gt_u32_e64 s5, s38, v15
	v_cmp_ne_u16_e64 s6, v23, v14
	s_and_b32 s2, vcc_lo, s2
	v_cmp_gt_u32_e32 vcc_lo, s38, v12
	v_cndmask_b32_e64 v41, 0, 1, s2
	v_cmp_ne_u16_e64 s2, v10, v11
	v_cmp_ne_u16_e64 s4, v14, v10
	v_dual_add_nc_u32 v10, 23, v8 :: v_dual_add_nc_u32 v11, 22, v8
	v_and_b32_e32 v12, 0xff, v25
	s_and_b32 s2, vcc_lo, s2
	v_add_nc_u32_e32 v13, 21, v8
	s_delay_alu instid0(VALU_DEP_3)
	v_cmp_gt_u32_e32 vcc_lo, s38, v10
	v_and_b32_e32 v10, 0xff, v24
	v_cndmask_b32_e64 v42, 0, 1, s2
	s_and_b32 s2, s3, s4
	v_and_b32_e32 v14, 0xff, v3
	v_cndmask_b32_e64 v43, 0, 1, s2
	s_and_b32 s2, s5, s6
	v_cmp_gt_u32_e64 s3, s38, v11
	v_cndmask_b32_e64 v44, 0, 1, s2
	v_cmp_ne_u16_e64 s2, v10, v23
	v_cmp_ne_u16_e64 s4, v12, v10
	v_add_nc_u32_e32 v10, 20, v8
	v_cmp_gt_u32_e64 s5, s38, v13
	v_cmp_ne_u16_e64 s6, v14, v12
	s_and_b32 s2, vcc_lo, s2
	v_and_b32_e32 v11, 0xff, v27
	v_cndmask_b32_e64 v45, 0, 1, s2
	s_and_b32 s2, s3, s4
	v_cmp_gt_u32_e32 vcc_lo, s38, v10
	v_dual_add_nc_u32 v10, 19, v8 :: v_dual_add_nc_u32 v12, 18, v8
	v_cndmask_b32_e64 v46, 0, 1, s2
	s_and_b32 s2, s5, s6
	v_and_b32_e32 v13, 0xff, v28
	v_cndmask_b32_e64 v47, 0, 1, s2
	v_cmp_ne_u16_e64 s2, v26, v14
	v_cmp_gt_u32_e64 s3, s38, v10
	v_cmp_ne_u16_e64 s4, v11, v26
	v_cmp_gt_u32_e64 s5, s38, v12
	v_cmp_ne_u16_e64 s6, v13, v11
	s_and_b32 s2, vcc_lo, s2
	v_dual_add_nc_u32 v10, 17, v8 :: v_dual_add_nc_u32 v12, 16, v8
	v_and_b32_e32 v11, 0xff, v2
	v_cndmask_b32_e64 v48, 0, 1, s2
	s_and_b32 s2, s3, s4
	s_delay_alu instid0(VALU_DEP_3)
	v_cmp_gt_u32_e32 vcc_lo, s38, v10
	v_cndmask_b32_e64 v49, 0, 1, s2
	s_and_b32 s2, s5, s6
	v_add_nc_u32_e32 v10, 15, v8
	v_and_b32_e32 v14, 0xff, v30
	v_cndmask_b32_e64 v50, 0, 1, s2
	v_cmp_ne_u16_e64 s2, v11, v13
	v_cmp_gt_u32_e64 s3, s38, v12
	v_cmp_ne_u16_e64 s4, v29, v11
	v_cmp_ne_u16_e64 s6, v14, v29
	v_add_nc_u32_e32 v12, 13, v8
	v_cmp_gt_u32_e64 s5, s38, v10
	s_and_b32 s2, vcc_lo, s2
	v_dual_add_nc_u32 v10, 14, v8 :: v_dual_add_nc_u32 v15, 12, v8
	v_and_b32_e32 v11, 0xff, v31
	v_cndmask_b32_e64 v51, 0, 1, s2
	s_and_b32 s2, s3, s4
	v_and_b32_e32 v13, 0xff, v5
	v_cndmask_b32_e64 v52, 0, 1, s2
	s_and_b32 s2, s5, s6
	v_cmp_gt_u32_e32 vcc_lo, s38, v10
	v_cndmask_b32_e64 v53, 0, 1, s2
	v_cmp_ne_u16_e64 s2, v11, v14
	v_add_nc_u32_e32 v10, 11, v8
	v_cmp_gt_u32_e64 s3, s38, v12
	v_cmp_ne_u16_e64 s4, v13, v11
	v_cmp_gt_u32_e64 s5, s38, v15
	v_cmp_ne_u16_e64 s6, v32, v13
	s_and_b32 s2, vcc_lo, s2
	v_add_nc_u32_e32 v11, 10, v8
	v_cmp_gt_u32_e32 vcc_lo, s38, v10
	v_and_b32_e32 v10, 0xff, v33
	v_cndmask_b32_e64 v54, 0, 1, s2
	s_and_b32 s2, s3, s4
	v_and_b32_e32 v12, 0xff, v34
	v_cndmask_b32_e64 v55, 0, 1, s2
	s_and_b32 s2, s5, s6
	v_add_nc_u32_e32 v13, 9, v8
	v_and_b32_e32 v14, 0xff, v4
	v_cndmask_b32_e64 v56, 0, 1, s2
	v_cmp_ne_u16_e64 s2, v10, v32
	v_cmp_gt_u32_e64 s3, s38, v11
	v_cmp_ne_u16_e64 s4, v12, v10
	v_cmp_ne_u16_e64 s6, v14, v12
	v_add_nc_u32_e32 v10, 8, v8
	v_cmp_gt_u32_e64 s5, s38, v13
	s_and_b32 s2, vcc_lo, s2
	v_and_b32_e32 v11, 0xff, v36
	v_cndmask_b32_e64 v57, 0, 1, s2
	s_and_b32 s2, s3, s4
	v_cmp_gt_u32_e32 vcc_lo, s38, v10
	v_cndmask_b32_e64 v58, 0, 1, s2
	s_and_b32 s2, s5, s6
	v_dual_add_nc_u32 v10, 7, v8 :: v_dual_add_nc_u32 v12, 6, v8
	v_cndmask_b32_e64 v59, 0, 1, s2
	v_cmp_ne_u16_e64 s2, v35, v14
	v_and_b32_e32 v13, 0xff, v37
	s_wait_dscnt 0x0
	v_and_b32_e32 v9, 0xff, v9
	v_cmp_gt_u32_e64 s3, s38, v12
	v_add_nc_u32_e32 v12, 4, v8
	s_and_b32 s2, vcc_lo, s2
	v_cmp_gt_u32_e32 vcc_lo, s38, v10
	v_cndmask_b32_e64 v60, 0, 1, s2
	v_cmp_ne_u16_e64 s2, v11, v35
	v_cmp_ne_u16_e64 s4, v13, v11
	v_add_nc_u32_e32 v10, 5, v8
	v_and_b32_e32 v11, 0xff, v7
	s_and_b32 s2, vcc_lo, s2
	s_and_b32 s3, s3, s4
	v_cndmask_b32_e64 v61, 0, 1, s2
	v_cmp_gt_u32_e32 vcc_lo, s38, v10
	v_cmp_ne_u16_e64 s2, v11, v13
	v_cndmask_b32_e64 v62, 0, 1, s3
	v_cmp_gt_u32_e64 s3, s38, v12
	v_cmp_ne_u16_e64 s4, v38, v11
	v_or_b32_e32 v10, 3, v8
	v_and_b32_e32 v11, 0xff, v39
	s_and_b32 s2, vcc_lo, s2
	v_and_b32_e32 v13, 0xff, v40
	v_cndmask_b32_e64 v63, 0, 1, s2
	s_and_b32 s2, s3, s4
	v_or_b32_e32 v12, 2, v8
	v_cndmask_b32_e64 v64, 0, 1, s2
	v_cmp_gt_u32_e32 vcc_lo, s38, v10
	v_cmp_ne_u16_e64 s2, v11, v38
	v_or_b32_e32 v10, 1, v8
	v_cmp_ne_u16_e64 s4, v13, v11
	v_and_b32_e32 v11, 0xff, v6
	v_cmp_gt_u32_e64 s3, s38, v12
	s_and_b32 s2, vcc_lo, s2
	v_cmp_gt_u32_e32 vcc_lo, s38, v10
	v_cndmask_b32_e64 v65, 0, 1, s2
	v_cmp_ne_u16_e64 s2, v11, v13
	s_and_b32 s3, s3, s4
	v_cmp_ne_u16_e64 s4, v9, v11
	v_cndmask_b32_e64 v66, 0, 1, s3
	v_cmp_gt_u32_e64 s3, s38, v8
	s_and_b32 s2, vcc_lo, s2
	s_delay_alu instid0(SALU_CYCLE_1)
	v_cndmask_b32_e64 v67, 0, 1, s2
	s_and_b32 s41, s3, s4
.LBB5_70:
	s_mov_b32 s40, -1
	s_cbranch_execnz .LBB5_79
.LBB5_71:
	s_delay_alu instid0(VALU_DEP_2)
	v_and_b32_e32 v78, 0xff, v19
	v_and_b32_e32 v77, 0xff, v21
	;; [unrolled: 1-line block ×21, first 2 shown]
	s_and_b32 vcc_lo, exec_lo, s33
	ds_store_b8 v0, v1
	s_cbranch_vccz .LBB5_75
; %bb.72:
	v_cmp_ne_u16_e64 s2, v77, v78
	v_cmp_ne_u16_e64 s3, v76, v77
	;; [unrolled: 1-line block ×26, first 2 shown]
	v_cmp_ne_u32_e64 s28, 0, v0
	s_mov_b32 s42, 0
	v_cmp_ne_u16_e32 vcc_lo, v78, v1
	s_wait_dscnt 0x0
	s_barrier_signal -1
	s_barrier_wait -1
                                        ; implicit-def: $sgpr41
	s_and_saveexec_b32 s43, s28
	s_delay_alu instid0(SALU_CYCLE_1)
	s_xor_b32 s28, exec_lo, s43
	s_cbranch_execz .LBB5_74
; %bb.73:
	v_add_nc_u32_e32 v41, -1, v0
	s_or_b32 s40, s40, exec_lo
	ds_load_u8 v41, v41
	s_wait_dscnt 0x0
	v_cmp_ne_u16_e64 s41, v41, v9
.LBB5_74:
	s_or_b32 exec_lo, exec_lo, s28
	v_cndmask_b32_e64 v41, 0, 1, vcc_lo
	v_cndmask_b32_e64 v42, 0, 1, s2
	v_cndmask_b32_e64 v43, 0, 1, s3
	;; [unrolled: 1-line block ×26, first 2 shown]
	s_and_b32 vcc_lo, exec_lo, s42
	s_cbranch_vccnz .LBB5_76
	s_branch .LBB5_79
.LBB5_75:
                                        ; implicit-def: $sgpr41
                                        ; implicit-def: $vgpr41
                                        ; implicit-def: $vgpr42
                                        ; implicit-def: $vgpr43
                                        ; implicit-def: $vgpr44
                                        ; implicit-def: $vgpr45
                                        ; implicit-def: $vgpr46
                                        ; implicit-def: $vgpr47
                                        ; implicit-def: $vgpr48
                                        ; implicit-def: $vgpr49
                                        ; implicit-def: $vgpr50
                                        ; implicit-def: $vgpr51
                                        ; implicit-def: $vgpr52
                                        ; implicit-def: $vgpr53
                                        ; implicit-def: $vgpr54
                                        ; implicit-def: $vgpr55
                                        ; implicit-def: $vgpr56
                                        ; implicit-def: $vgpr57
                                        ; implicit-def: $vgpr67
                                        ; implicit-def: $vgpr66
                                        ; implicit-def: $vgpr65
                                        ; implicit-def: $vgpr64
                                        ; implicit-def: $vgpr63
                                        ; implicit-def: $vgpr62
                                        ; implicit-def: $vgpr61
                                        ; implicit-def: $vgpr60
                                        ; implicit-def: $vgpr59
                                        ; implicit-def: $vgpr58
	s_cbranch_execz .LBB5_79
.LBB5_76:
	v_dual_add_nc_u32 v41, 27, v8 :: v_dual_add_nc_u32 v42, 26, v8
	v_cmp_ne_u16_e32 vcc_lo, v78, v1
	v_add_nc_u32_e32 v43, 25, v8
	v_cmp_ne_u16_e64 s2, v77, v78
	s_delay_alu instid0(VALU_DEP_4)
	v_cmp_gt_u32_e64 s3, s38, v41
	v_add_nc_u32_e32 v41, 24, v8
	v_cmp_ne_u16_e64 s4, v76, v77
	v_cmp_gt_u32_e64 s5, s38, v42
	v_cmp_gt_u32_e64 s6, s38, v43
	s_and_b32 s11, s3, vcc_lo
	v_cmp_gt_u32_e32 vcc_lo, s38, v41
	v_cmp_ne_u16_e64 s3, v23, v76
	v_dual_add_nc_u32 v41, 23, v8 :: v_dual_add_nc_u32 v42, 22, v8
	v_add_nc_u32_e32 v43, 21, v8
	s_and_b32 s12, s5, s2
	s_and_b32 s13, s6, s4
	s_and_b32 s14, vcc_lo, s3
	v_cmp_gt_u32_e32 vcc_lo, s38, v41
	v_cmp_ne_u16_e64 s2, v75, v23
	v_cmp_gt_u32_e64 s3, s38, v42
	v_cmp_ne_u16_e64 s4, v74, v75
	v_cmp_ne_u16_e64 s6, v73, v74
	v_add_nc_u32_e32 v41, 20, v8
	v_cmp_gt_u32_e64 s5, s38, v43
	v_dual_add_nc_u32 v42, 19, v8 :: v_dual_add_nc_u32 v43, 18, v8
	s_and_b32 s15, vcc_lo, s2
	s_and_b32 s16, s3, s4
	s_and_b32 s17, s5, s6
	v_cmp_gt_u32_e32 vcc_lo, s38, v41
	v_cmp_ne_u16_e64 s2, v26, v73
	v_cmp_gt_u32_e64 s3, s38, v42
	v_cmp_ne_u16_e64 s4, v72, v26
	v_cmp_gt_u32_e64 s5, s38, v43
	v_cmp_ne_u16_e64 s6, v71, v72
	v_dual_add_nc_u32 v41, 17, v8 :: v_dual_add_nc_u32 v42, 16, v8
	v_add_nc_u32_e32 v43, 15, v8
	s_and_b32 s18, vcc_lo, s2
	s_and_b32 s19, s3, s4
	s_and_b32 s20, s5, s6
	v_cmp_gt_u32_e32 vcc_lo, s38, v41
	v_cmp_ne_u16_e64 s2, v70, v71
	v_cmp_gt_u32_e64 s3, s38, v42
	v_cmp_ne_u16_e64 s4, v29, v70
	v_cmp_ne_u16_e64 s6, v69, v29
	v_add_nc_u32_e32 v41, 14, v8
	v_cmp_gt_u32_e64 s5, s38, v43
	v_dual_add_nc_u32 v42, 13, v8 :: v_dual_add_nc_u32 v43, 12, v8
	s_and_b32 s21, vcc_lo, s2
	s_and_b32 s22, s3, s4
	s_and_b32 s23, s5, s6
	v_cmp_gt_u32_e32 vcc_lo, s38, v41
	v_cmp_ne_u16_e64 s2, v68, v69
	v_cmp_gt_u32_e64 s3, s38, v42
	v_cmp_ne_u16_e64 s4, v18, v68
	v_cmp_gt_u32_e64 s5, s38, v43
	v_cmp_ne_u16_e64 s6, v32, v18
	v_dual_add_nc_u32 v18, 11, v8 :: v_dual_add_nc_u32 v41, 10, v8
	v_add_nc_u32_e32 v42, 9, v8
	s_and_b32 s24, vcc_lo, s2
	s_and_b32 s25, s3, s4
	s_and_b32 s26, s5, s6
	v_cmp_gt_u32_e32 vcc_lo, s38, v18
	v_cmp_ne_u16_e64 s2, v17, v32
	v_cmp_gt_u32_e64 s3, s38, v41
	v_cmp_ne_u16_e64 s4, v16, v17
	v_cmp_ne_u16_e64 s6, v15, v16
	v_add_nc_u32_e32 v16, 8, v8
	v_cmp_gt_u32_e64 s5, s38, v42
	v_dual_add_nc_u32 v17, 7, v8 :: v_dual_add_nc_u32 v18, 6, v8
	s_and_b32 s27, vcc_lo, s2
	s_and_b32 s28, s3, s4
	s_and_b32 s42, s5, s6
	v_cmp_gt_u32_e32 vcc_lo, s38, v16
	v_cmp_ne_u16_e64 s2, v35, v15
	v_cmp_gt_u32_e64 s3, s38, v17
	v_cmp_ne_u16_e64 s4, v14, v35
	v_cmp_ne_u16_e64 s6, v13, v14
	v_dual_add_nc_u32 v14, 5, v8 :: v_dual_add_nc_u32 v15, 4, v8
	v_cmp_gt_u32_e64 s5, s38, v18
	s_and_b32 s43, vcc_lo, s2
	s_and_b32 s44, s3, s4
	v_cmp_gt_u32_e32 vcc_lo, s38, v14
	v_cmp_ne_u16_e64 s2, v12, v13
	v_or_b32_e32 v13, 3, v8
	v_or_b32_e32 v14, 2, v8
	v_cmp_ne_u16_e64 s4, v38, v12
	v_or_b32_e32 v12, 1, v8
	s_and_b32 s45, s5, s6
	v_cmp_gt_u32_e64 s3, s38, v15
	v_cmp_gt_u32_e64 s5, s38, v13
	v_cmp_ne_u16_e64 s6, v11, v38
	v_cmp_gt_u32_e64 s7, s38, v14
	v_cmp_ne_u16_e64 s8, v10, v11
	;; [unrolled: 2-line block ×3, first 2 shown]
	s_and_b32 s46, vcc_lo, s2
	s_and_b32 s3, s3, s4
	s_and_b32 s4, s5, s6
	s_and_b32 s5, s7, s8
	s_and_b32 s6, s9, s10
	s_mov_b32 s7, exec_lo
	s_wait_dscnt 0x0
	s_barrier_signal -1
	s_barrier_wait -1
                                        ; implicit-def: $sgpr41
	v_cmpx_ne_u32_e32 0, v0
	s_cbranch_execz .LBB5_78
; %bb.77:
	v_add_nc_u32_e32 v10, -1, v0
	v_cmp_gt_u32_e32 vcc_lo, s38, v8
	s_or_b32 s40, s40, exec_lo
	ds_load_u8 v10, v10
	s_wait_dscnt 0x0
	v_and_b32_e32 v10, 0xff, v10
	s_delay_alu instid0(VALU_DEP_1)
	v_cmp_ne_u16_e64 s2, v10, v9
	s_and_b32 s41, vcc_lo, s2
.LBB5_78:
	s_or_b32 exec_lo, exec_lo, s7
	v_cndmask_b32_e64 v41, 0, 1, s11
	v_cndmask_b32_e64 v42, 0, 1, s12
	;; [unrolled: 1-line block ×27, first 2 shown]
.LBB5_79:
	v_mov_b32_e32 v68, 1
	s_and_saveexec_b32 s2, s40
; %bb.80:
	v_cndmask_b32_e64 v68, 0, 1, s41
; %bb.81:
	s_or_b32 exec_lo, exec_lo, s2
	s_load_b64 s[10:11], s[0:1], 0x68
	s_and_not1_b32 vcc_lo, exec_lo, s35
	s_cbranch_vccnz .LBB5_83
; %bb.82:
	v_or_b32_e32 v9, 1, v8
	v_cmp_gt_u32_e32 vcc_lo, s38, v8
	v_or_b32_e32 v10, 2, v8
	v_or_b32_e32 v11, 3, v8
	v_cndmask_b32_e32 v68, 0, v68, vcc_lo
	v_cmp_gt_u32_e32 vcc_lo, s38, v9
	v_dual_add_nc_u32 v9, 4, v8 :: v_dual_cndmask_b32 v67, 0, v67, vcc_lo
	v_cmp_gt_u32_e32 vcc_lo, s38, v10
	v_dual_add_nc_u32 v10, 5, v8 :: v_dual_cndmask_b32 v66, 0, v66, vcc_lo
	;; [unrolled: 2-line block ×3, first 2 shown]
	v_cmp_gt_u32_e32 vcc_lo, s38, v9
	v_cndmask_b32_e32 v64, 0, v64, vcc_lo
	v_cmp_gt_u32_e32 vcc_lo, s38, v10
	v_cndmask_b32_e32 v63, 0, v63, vcc_lo
	v_cmp_gt_u32_e32 vcc_lo, s38, v11
	v_dual_add_nc_u32 v9, 7, v8 :: v_dual_add_nc_u32 v11, 10, v8
	v_cndmask_b32_e32 v62, 0, v62, vcc_lo
	s_delay_alu instid0(VALU_DEP_2) | instskip(SKIP_2) | instid1(VALU_DEP_2)
	v_cmp_gt_u32_e32 vcc_lo, s38, v9
	v_dual_add_nc_u32 v10, 8, v8 :: v_dual_add_nc_u32 v9, 9, v8
	v_cndmask_b32_e32 v61, 0, v61, vcc_lo
	v_cmp_gt_u32_e32 vcc_lo, s38, v10
	v_cndmask_b32_e32 v60, 0, v60, vcc_lo
	s_delay_alu instid0(VALU_DEP_4) | instskip(SKIP_4) | instid1(VALU_DEP_2)
	v_cmp_gt_u32_e32 vcc_lo, s38, v9
	v_cndmask_b32_e32 v59, 0, v59, vcc_lo
	v_cmp_gt_u32_e32 vcc_lo, s38, v11
	v_dual_add_nc_u32 v10, 11, v8 :: v_dual_add_nc_u32 v11, 14, v8
	v_cndmask_b32_e32 v58, 0, v58, vcc_lo
	v_cmp_gt_u32_e32 vcc_lo, s38, v10
	v_dual_add_nc_u32 v9, 12, v8 :: v_dual_add_nc_u32 v10, 13, v8
	v_cndmask_b32_e32 v57, 0, v57, vcc_lo
	s_delay_alu instid0(VALU_DEP_2) | instskip(SKIP_1) | instid1(VALU_DEP_4)
	v_cmp_gt_u32_e32 vcc_lo, s38, v9
	v_cndmask_b32_e32 v56, 0, v56, vcc_lo
	v_cmp_gt_u32_e32 vcc_lo, s38, v10
	v_cndmask_b32_e32 v55, 0, v55, vcc_lo
	v_cmp_gt_u32_e32 vcc_lo, s38, v11
	v_dual_add_nc_u32 v9, 15, v8 :: v_dual_add_nc_u32 v11, 18, v8
	v_cndmask_b32_e32 v54, 0, v54, vcc_lo
	s_delay_alu instid0(VALU_DEP_2) | instskip(SKIP_2) | instid1(VALU_DEP_2)
	v_cmp_gt_u32_e32 vcc_lo, s38, v9
	v_dual_add_nc_u32 v10, 16, v8 :: v_dual_add_nc_u32 v9, 17, v8
	v_cndmask_b32_e32 v53, 0, v53, vcc_lo
	v_cmp_gt_u32_e32 vcc_lo, s38, v10
	v_cndmask_b32_e32 v52, 0, v52, vcc_lo
	s_delay_alu instid0(VALU_DEP_4) | instskip(SKIP_4) | instid1(VALU_DEP_2)
	v_cmp_gt_u32_e32 vcc_lo, s38, v9
	v_cndmask_b32_e32 v51, 0, v51, vcc_lo
	v_cmp_gt_u32_e32 vcc_lo, s38, v11
	v_dual_add_nc_u32 v10, 19, v8 :: v_dual_add_nc_u32 v11, 22, v8
	v_cndmask_b32_e32 v50, 0, v50, vcc_lo
	v_cmp_gt_u32_e32 vcc_lo, s38, v10
	v_dual_add_nc_u32 v9, 20, v8 :: v_dual_add_nc_u32 v10, 21, v8
	v_cndmask_b32_e32 v49, 0, v49, vcc_lo
	s_delay_alu instid0(VALU_DEP_2) | instskip(SKIP_1) | instid1(VALU_DEP_4)
	v_cmp_gt_u32_e32 vcc_lo, s38, v9
	v_cndmask_b32_e32 v48, 0, v48, vcc_lo
	v_cmp_gt_u32_e32 vcc_lo, s38, v10
	v_cndmask_b32_e32 v47, 0, v47, vcc_lo
	v_cmp_gt_u32_e32 vcc_lo, s38, v11
	v_dual_add_nc_u32 v9, 23, v8 :: v_dual_add_nc_u32 v11, 26, v8
	v_cndmask_b32_e32 v46, 0, v46, vcc_lo
	s_delay_alu instid0(VALU_DEP_2) | instskip(SKIP_2) | instid1(VALU_DEP_2)
	v_cmp_gt_u32_e32 vcc_lo, s38, v9
	v_dual_add_nc_u32 v10, 24, v8 :: v_dual_add_nc_u32 v9, 25, v8
	v_cndmask_b32_e32 v45, 0, v45, vcc_lo
	v_cmp_gt_u32_e32 vcc_lo, s38, v10
	v_cndmask_b32_e32 v44, 0, v44, vcc_lo
	s_delay_alu instid0(VALU_DEP_4) | instskip(SKIP_3) | instid1(VALU_DEP_1)
	v_cmp_gt_u32_e32 vcc_lo, s38, v9
	v_cndmask_b32_e32 v43, 0, v43, vcc_lo
	v_cmp_gt_u32_e32 vcc_lo, s38, v11
	v_dual_add_nc_u32 v8, 27, v8 :: v_dual_cndmask_b32 v42, 0, v42, vcc_lo
	v_cmp_gt_u32_e32 vcc_lo, s38, v8
	v_cndmask_b32_e32 v41, 0, v41, vcc_lo
.LBB5_83:
	v_and_b32_e32 v69, 0xff, v59
	v_and_b32_e32 v70, 0xff, v58
	;; [unrolled: 1-line block ×6, first 2 shown]
	v_dual_add_nc_u32 v8, v69, v70 :: v_dual_bitop2_b32 v10, 31, v0 bitop3:0x54
	v_and_b32_e32 v76, 0xff, v65
	v_and_b32_e32 v77, 0xff, v64
	;; [unrolled: 1-line block ×3, first 2 shown]
	s_delay_alu instid0(VALU_DEP_4)
	v_add3_u32 v8, v8, v72, v71
	v_and_b32_e32 v85, 0xff, v66
	v_and_b32_e32 v91, 0xffff, v68
	v_and_b32_e32 v75, 0xff, v57
	v_and_b32_e32 v78, 0xff, v56
	v_add3_u32 v8, v8, v74, v73
	v_and_b32_e32 v79, 0xff, v55
	v_and_b32_e32 v80, 0xff, v54
	v_and_b32_e32 v81, 0xff, v53
	v_and_b32_e32 v82, 0xff, v52
	;; [unrolled: 5-line block ×4, first 2 shown]
	v_add3_u32 v8, v8, v91, v75
	v_and_b32_e32 v94, 0xff, v43
	v_mbcnt_lo_u32_b32 v96, -1, 0
	v_and_b32_e32 v95, 0xff, v42
	v_and_b32_e32 v9, 0xff, v41
	v_add3_u32 v8, v8, v78, v79
	v_lshrrev_b32_e32 v97, 5, v0
	v_and_b32_e32 v11, 15, v96
	v_and_b32_e32 v12, 16, v96
	v_cmp_eq_u32_e64 s2, v0, v10
	v_add3_u32 v8, v8, v80, v81
	s_and_b32 vcc_lo, exec_lo, s39
	v_cmp_eq_u32_e64 s7, 0, v11
	v_cmp_lt_u32_e64 s6, 1, v11
	v_cmp_lt_u32_e64 s5, 3, v11
	v_add3_u32 v8, v8, v82, v83
	v_cmp_lt_u32_e64 s4, 7, v11
	v_cmp_eq_u32_e64 s3, 0, v12
	s_mov_b32 s8, -1
	s_wait_dscnt 0x0
	v_add3_u32 v8, v8, v86, v87
	s_barrier_signal -1
	s_barrier_wait -1
	s_delay_alu instid0(VALU_DEP_1) | instskip(NEXT) | instid1(VALU_DEP_1)
	v_add3_u32 v8, v8, v88, v89
	v_add3_u32 v8, v8, v90, v92
	s_delay_alu instid0(VALU_DEP_1) | instskip(NEXT) | instid1(VALU_DEP_1)
	v_add3_u32 v8, v8, v93, v94
	v_add3_u32 v98, v8, v95, v9
	s_cbranch_vccz .LBB5_105
; %bb.84:
	s_delay_alu instid0(VALU_DEP_1) | instskip(NEXT) | instid1(VALU_DEP_1)
	v_mov_b32_dpp v8, v98 row_shr:1 row_mask:0xf bank_mask:0xf
	v_cndmask_b32_e64 v8, v8, 0, s7
	s_delay_alu instid0(VALU_DEP_1) | instskip(NEXT) | instid1(VALU_DEP_1)
	v_add_nc_u32_e32 v8, v8, v98
	v_mov_b32_dpp v9, v8 row_shr:2 row_mask:0xf bank_mask:0xf
	s_delay_alu instid0(VALU_DEP_1) | instskip(NEXT) | instid1(VALU_DEP_1)
	v_cndmask_b32_e64 v9, 0, v9, s6
	v_add_nc_u32_e32 v8, v8, v9
	s_delay_alu instid0(VALU_DEP_1) | instskip(NEXT) | instid1(VALU_DEP_1)
	v_mov_b32_dpp v9, v8 row_shr:4 row_mask:0xf bank_mask:0xf
	v_cndmask_b32_e64 v9, 0, v9, s5
	s_delay_alu instid0(VALU_DEP_1) | instskip(NEXT) | instid1(VALU_DEP_1)
	v_add_nc_u32_e32 v8, v8, v9
	v_mov_b32_dpp v9, v8 row_shr:8 row_mask:0xf bank_mask:0xf
	s_delay_alu instid0(VALU_DEP_1) | instskip(NEXT) | instid1(VALU_DEP_1)
	v_cndmask_b32_e64 v9, 0, v9, s4
	v_add_nc_u32_e32 v8, v8, v9
	ds_swizzle_b32 v9, v8 offset:swizzle(BROADCAST,32,15)
	s_wait_dscnt 0x0
	v_cndmask_b32_e64 v9, v9, 0, s3
	s_delay_alu instid0(VALU_DEP_1)
	v_add_nc_u32_e32 v8, v8, v9
	s_and_saveexec_b32 s8, s2
; %bb.85:
	v_lshlrev_b32_e32 v9, 2, v97
	ds_store_b32 v9, v8
; %bb.86:
	s_or_b32 exec_lo, exec_lo, s8
	s_delay_alu instid0(SALU_CYCLE_1)
	s_mov_b32 s8, exec_lo
	s_wait_dscnt 0x0
	s_barrier_signal -1
	s_barrier_wait -1
	v_cmpx_gt_u32_e32 8, v0
	s_cbranch_execz .LBB5_88
; %bb.87:
	v_lshlrev_b32_e32 v9, 2, v0
	v_and_b32_e32 v11, 7, v96
	ds_load_b32 v10, v9
	v_cmp_ne_u32_e32 vcc_lo, 0, v11
	s_wait_dscnt 0x0
	v_mov_b32_dpp v12, v10 row_shr:1 row_mask:0xf bank_mask:0xf
	s_delay_alu instid0(VALU_DEP_1) | instskip(SKIP_1) | instid1(VALU_DEP_2)
	v_cndmask_b32_e32 v12, 0, v12, vcc_lo
	v_cmp_lt_u32_e32 vcc_lo, 1, v11
	v_add_nc_u32_e32 v10, v12, v10
	s_delay_alu instid0(VALU_DEP_1) | instskip(NEXT) | instid1(VALU_DEP_1)
	v_mov_b32_dpp v12, v10 row_shr:2 row_mask:0xf bank_mask:0xf
	v_cndmask_b32_e32 v12, 0, v12, vcc_lo
	v_cmp_lt_u32_e32 vcc_lo, 3, v11
	s_delay_alu instid0(VALU_DEP_2) | instskip(NEXT) | instid1(VALU_DEP_1)
	v_add_nc_u32_e32 v10, v10, v12
	v_mov_b32_dpp v12, v10 row_shr:4 row_mask:0xf bank_mask:0xf
	s_delay_alu instid0(VALU_DEP_1) | instskip(NEXT) | instid1(VALU_DEP_1)
	v_cndmask_b32_e32 v11, 0, v12, vcc_lo
	v_add_nc_u32_e32 v10, v10, v11
	ds_store_b32 v9, v10
.LBB5_88:
	s_or_b32 exec_lo, exec_lo, s8
	s_delay_alu instid0(SALU_CYCLE_1)
	s_mov_b32 s9, exec_lo
	v_cmp_gt_u32_e32 vcc_lo, 32, v0
	s_wait_dscnt 0x0
	s_barrier_signal -1
	s_barrier_wait -1
                                        ; implicit-def: $vgpr18
	v_cmpx_lt_u32_e32 31, v0
	s_cbranch_execz .LBB5_90
; %bb.89:
	v_lshl_add_u32 v9, v97, 2, -4
	ds_load_b32 v18, v9
	s_wait_dscnt 0x0
	v_add_nc_u32_e32 v8, v18, v8
.LBB5_90:
	s_or_b32 exec_lo, exec_lo, s9
	v_sub_co_u32 v9, s8, v96, 1
	s_delay_alu instid0(VALU_DEP_1) | instskip(NEXT) | instid1(VALU_DEP_1)
	v_cmp_gt_i32_e64 s9, 0, v9
	v_cndmask_b32_e64 v9, v9, v96, s9
	s_delay_alu instid0(VALU_DEP_1)
	v_lshlrev_b32_e32 v9, 2, v9
	ds_bpermute_b32 v99, v9, v8
	s_and_saveexec_b32 s9, vcc_lo
	s_cbranch_execz .LBB5_110
; %bb.91:
	v_mov_b32_e32 v15, 0
	ds_load_b32 v8, v15 offset:28
	s_and_saveexec_b32 s12, s8
	s_cbranch_execz .LBB5_93
; %bb.92:
	s_add_co_i32 s13, s34, 32
	s_delay_alu instid0(SALU_CYCLE_1)
	v_dual_mov_b32 v9, 1 :: v_dual_mov_b32 v10, s13
	s_wait_xcnt 0x0
	s_wait_dscnt 0x0
	s_wait_kmcnt 0x0
	global_store_b64 v10, v[8:9], s[10:11] scale_offset scope:SCOPE_DEV
.LBB5_93:
	s_wait_xcnt 0x0
	s_or_b32 exec_lo, exec_lo, s12
	v_xad_u32 v10, v96, -1, s34
	s_mov_b32 s13, 0
	s_mov_b32 s12, exec_lo
	s_delay_alu instid0(VALU_DEP_1)
	v_add_nc_u32_e32 v14, 32, v10
	s_wait_kmcnt 0x0
	global_load_b64 v[12:13], v14, s[10:11] scale_offset scope:SCOPE_DEV
	s_wait_loadcnt 0x0
	v_and_b32_e32 v9, 0xff, v13
	s_wait_xcnt 0x0
	s_delay_alu instid0(VALU_DEP_1)
	v_cmpx_eq_u16_e32 0, v9
	s_cbranch_execz .LBB5_97
; %bb.94:
	v_lshl_add_u64 v[14:15], v[14:15], 3, s[10:11]
.LBB5_95:                               ; =>This Inner Loop Header: Depth=1
	global_load_b64 v[12:13], v[14:15], off scope:SCOPE_DEV
	s_wait_loadcnt 0x0
	v_and_b32_e32 v9, 0xff, v13
	s_delay_alu instid0(VALU_DEP_1)
	v_cmp_ne_u16_e32 vcc_lo, 0, v9
	s_or_b32 s13, vcc_lo, s13
	s_wait_xcnt 0x0
	s_and_not1_b32 exec_lo, exec_lo, s13
	s_cbranch_execnz .LBB5_95
; %bb.96:
	s_or_b32 exec_lo, exec_lo, s13
.LBB5_97:
	s_delay_alu instid0(SALU_CYCLE_1)
	s_or_b32 exec_lo, exec_lo, s12
	v_cmp_ne_u32_e32 vcc_lo, 31, v96
	v_lshlrev_b32_e64 v17, v96, -1
	v_dual_add_nc_u32 v101, 2, v96 :: v_dual_add_nc_u32 v103, 4, v96
	v_dual_add_nc_u32 v105, 8, v96 :: v_dual_add_nc_u32 v107, 16, v96
	v_add_co_ci_u32_e64 v9, null, 0, v96, vcc_lo
	v_lshl_or_b32 v106, v96, 2, 64
	s_delay_alu instid0(VALU_DEP_2)
	v_lshlrev_b32_e32 v16, 2, v9
	v_and_b32_e32 v9, 0xff, v13
	ds_bpermute_b32 v11, v16, v12
	v_cmp_eq_u16_e32 vcc_lo, 2, v9
	v_and_or_b32 v9, vcc_lo, v17, 0x80000000
	v_cmp_gt_u32_e32 vcc_lo, 30, v96
	s_delay_alu instid0(VALU_DEP_2) | instskip(SKIP_1) | instid1(VALU_DEP_2)
	v_ctz_i32_b32_e32 v9, v9
	v_cndmask_b32_e64 v14, 0, 2, vcc_lo
	v_cmp_lt_u32_e32 vcc_lo, v96, v9
	s_delay_alu instid0(VALU_DEP_2)
	v_add_lshl_u32 v100, v14, v96, 2
	s_wait_dscnt 0x0
	v_cndmask_b32_e32 v11, 0, v11, vcc_lo
	v_cmp_gt_u32_e32 vcc_lo, 28, v96
	v_cndmask_b32_e64 v14, 0, 4, vcc_lo
	v_cmp_le_u32_e32 vcc_lo, v101, v9
	s_delay_alu instid0(VALU_DEP_4) | instskip(NEXT) | instid1(VALU_DEP_3)
	v_add_nc_u32_e32 v11, v11, v12
	v_add_lshl_u32 v102, v14, v96, 2
	ds_bpermute_b32 v12, v100, v11
	s_wait_dscnt 0x0
	v_cndmask_b32_e32 v12, 0, v12, vcc_lo
	v_cmp_gt_u32_e32 vcc_lo, 24, v96
	v_cndmask_b32_e64 v14, 0, 8, vcc_lo
	v_cmp_le_u32_e32 vcc_lo, v103, v9
	s_delay_alu instid0(VALU_DEP_4) | instskip(NEXT) | instid1(VALU_DEP_3)
	v_add_nc_u32_e32 v11, v11, v12
	v_add_lshl_u32 v104, v14, v96, 2
	ds_bpermute_b32 v12, v102, v11
	s_wait_dscnt 0x0
	v_cndmask_b32_e32 v12, 0, v12, vcc_lo
	v_cmp_le_u32_e32 vcc_lo, v105, v9
	s_delay_alu instid0(VALU_DEP_2) | instskip(SKIP_4) | instid1(VALU_DEP_2)
	v_add_nc_u32_e32 v11, v11, v12
	ds_bpermute_b32 v12, v104, v11
	s_wait_dscnt 0x0
	v_cndmask_b32_e32 v12, 0, v12, vcc_lo
	v_cmp_le_u32_e32 vcc_lo, v107, v9
	v_add_nc_u32_e32 v11, v11, v12
	ds_bpermute_b32 v12, v106, v11
	s_wait_dscnt 0x0
	v_cndmask_b32_e32 v9, 0, v12, vcc_lo
	s_delay_alu instid0(VALU_DEP_1)
	v_dual_mov_b32 v11, 0 :: v_dual_add_nc_u32 v12, v11, v9
	s_branch .LBB5_100
.LBB5_98:                               ;   in Loop: Header=BB5_100 Depth=1
	s_or_b32 exec_lo, exec_lo, s12
	v_and_b32_e32 v14, 0xff, v13
	ds_bpermute_b32 v15, v16, v12
	v_subrev_nc_u32_e32 v10, 32, v10
	s_mov_b32 s12, 0
	v_cmp_eq_u16_e32 vcc_lo, 2, v14
	v_and_or_b32 v14, vcc_lo, v17, 0x80000000
	s_delay_alu instid0(VALU_DEP_1) | instskip(NEXT) | instid1(VALU_DEP_1)
	v_ctz_i32_b32_e32 v14, v14
	v_cmp_lt_u32_e32 vcc_lo, v96, v14
	s_wait_dscnt 0x0
	v_cndmask_b32_e32 v15, 0, v15, vcc_lo
	v_cmp_le_u32_e32 vcc_lo, v101, v14
	s_delay_alu instid0(VALU_DEP_2) | instskip(SKIP_4) | instid1(VALU_DEP_2)
	v_add_nc_u32_e32 v12, v15, v12
	ds_bpermute_b32 v15, v100, v12
	s_wait_dscnt 0x0
	v_cndmask_b32_e32 v15, 0, v15, vcc_lo
	v_cmp_le_u32_e32 vcc_lo, v103, v14
	v_add_nc_u32_e32 v12, v12, v15
	ds_bpermute_b32 v15, v102, v12
	s_wait_dscnt 0x0
	v_cndmask_b32_e32 v15, 0, v15, vcc_lo
	v_cmp_le_u32_e32 vcc_lo, v105, v14
	s_delay_alu instid0(VALU_DEP_2) | instskip(SKIP_4) | instid1(VALU_DEP_2)
	v_add_nc_u32_e32 v12, v12, v15
	ds_bpermute_b32 v15, v104, v12
	s_wait_dscnt 0x0
	v_cndmask_b32_e32 v15, 0, v15, vcc_lo
	v_cmp_le_u32_e32 vcc_lo, v107, v14
	v_add_nc_u32_e32 v12, v12, v15
	ds_bpermute_b32 v15, v106, v12
	s_wait_dscnt 0x0
	v_cndmask_b32_e32 v14, 0, v15, vcc_lo
	s_delay_alu instid0(VALU_DEP_1)
	v_add3_u32 v12, v14, v9, v12
.LBB5_99:                               ;   in Loop: Header=BB5_100 Depth=1
	s_and_b32 vcc_lo, exec_lo, s12
	s_cbranch_vccnz .LBB5_106
.LBB5_100:                              ; =>This Loop Header: Depth=1
                                        ;     Child Loop BB5_103 Depth 2
	v_and_b32_e32 v9, 0xff, v13
	s_mov_b32 s12, -1
                                        ; implicit-def: $vgpr13
	s_delay_alu instid0(VALU_DEP_1)
	v_cmp_ne_u16_e32 vcc_lo, 2, v9
	v_mov_b32_e32 v9, v12
                                        ; implicit-def: $vgpr12
	s_cmp_lg_u32 vcc_lo, exec_lo
	s_cbranch_scc1 .LBB5_99
; %bb.101:                              ;   in Loop: Header=BB5_100 Depth=1
	global_load_b64 v[12:13], v10, s[10:11] scale_offset scope:SCOPE_DEV
	s_mov_b32 s12, exec_lo
	s_wait_loadcnt 0x0
	v_and_b32_e32 v14, 0xff, v13
	s_wait_xcnt 0x0
	s_delay_alu instid0(VALU_DEP_1)
	v_cmpx_eq_u16_e32 0, v14
	s_cbranch_execz .LBB5_98
; %bb.102:                              ;   in Loop: Header=BB5_100 Depth=1
	v_lshl_add_u64 v[14:15], v[10:11], 3, s[10:11]
	s_mov_b32 s13, 0
.LBB5_103:                              ;   Parent Loop BB5_100 Depth=1
                                        ; =>  This Inner Loop Header: Depth=2
	global_load_b64 v[12:13], v[14:15], off scope:SCOPE_DEV
	s_wait_loadcnt 0x0
	v_and_b32_e32 v108, 0xff, v13
	s_delay_alu instid0(VALU_DEP_1)
	v_cmp_ne_u16_e32 vcc_lo, 0, v108
	s_or_b32 s13, vcc_lo, s13
	s_wait_xcnt 0x0
	s_and_not1_b32 exec_lo, exec_lo, s13
	s_cbranch_execnz .LBB5_103
; %bb.104:                              ;   in Loop: Header=BB5_100 Depth=1
	s_or_b32 exec_lo, exec_lo, s13
	s_branch .LBB5_98
.LBB5_105:
                                        ; implicit-def: $vgpr18
                                        ; implicit-def: $vgpr16
                                        ; implicit-def: $vgpr99
	s_and_b32 vcc_lo, exec_lo, s8
	s_cbranch_vccnz .LBB5_111
	s_branch .LBB5_120
.LBB5_106:
	s_and_saveexec_b32 s12, s8
	s_cbranch_execz .LBB5_108
; %bb.107:
	s_add_co_i32 s13, s34, 32
	v_dual_mov_b32 v11, 2 :: v_dual_add_nc_u32 v10, v9, v8
	v_dual_mov_b32 v12, s13 :: v_dual_mov_b32 v13, 0
	global_store_b64 v12, v[10:11], s[10:11] scale_offset scope:SCOPE_DEV
	ds_store_b64 v13, v[8:9] offset:7168
.LBB5_108:
	s_wait_xcnt 0x0
	s_or_b32 exec_lo, exec_lo, s12
	v_cmp_eq_u32_e32 vcc_lo, 0, v0
	s_and_b32 exec_lo, exec_lo, vcc_lo
; %bb.109:
	v_mov_b32_e32 v8, 0
	ds_store_b32 v8, v9 offset:28
.LBB5_110:
	s_or_b32 exec_lo, exec_lo, s9
	v_mov_b32_e32 v8, 0
	s_wait_storecnt_dscnt 0x0
	s_barrier_signal -1
	s_barrier_wait -1
	ds_load_b32 v9, v8 offset:28
	s_wait_dscnt 0x0
	s_barrier_signal -1
	s_barrier_wait -1
	ds_load_b64 v[16:17], v8 offset:7168
	v_cndmask_b32_e64 v8, v99, v18, s8
	v_cmp_ne_u32_e32 vcc_lo, 0, v0
	s_delay_alu instid0(VALU_DEP_2) | instskip(NEXT) | instid1(VALU_DEP_1)
	v_cndmask_b32_e32 v8, 0, v8, vcc_lo
	v_add_nc_u32_e32 v99, v9, v8
	s_wait_dscnt 0x0
	v_mov_b32_e32 v18, v17
	s_branch .LBB5_120
.LBB5_111:
	v_mov_b32_dpp v8, v98 row_shr:1 row_mask:0xf bank_mask:0xf
	s_delay_alu instid0(VALU_DEP_1) | instskip(NEXT) | instid1(VALU_DEP_1)
	v_cndmask_b32_e64 v8, v8, 0, s7
	v_add_nc_u32_e32 v8, v8, v98
	s_delay_alu instid0(VALU_DEP_1) | instskip(NEXT) | instid1(VALU_DEP_1)
	v_mov_b32_dpp v9, v8 row_shr:2 row_mask:0xf bank_mask:0xf
	v_cndmask_b32_e64 v9, 0, v9, s6
	s_delay_alu instid0(VALU_DEP_1) | instskip(NEXT) | instid1(VALU_DEP_1)
	v_add_nc_u32_e32 v8, v8, v9
	v_mov_b32_dpp v9, v8 row_shr:4 row_mask:0xf bank_mask:0xf
	s_delay_alu instid0(VALU_DEP_1) | instskip(NEXT) | instid1(VALU_DEP_1)
	v_cndmask_b32_e64 v9, 0, v9, s5
	v_add_nc_u32_e32 v8, v8, v9
	s_delay_alu instid0(VALU_DEP_1) | instskip(NEXT) | instid1(VALU_DEP_1)
	v_mov_b32_dpp v9, v8 row_shr:8 row_mask:0xf bank_mask:0xf
	v_cndmask_b32_e64 v9, 0, v9, s4
	s_delay_alu instid0(VALU_DEP_1) | instskip(SKIP_3) | instid1(VALU_DEP_1)
	v_add_nc_u32_e32 v8, v8, v9
	ds_swizzle_b32 v9, v8 offset:swizzle(BROADCAST,32,15)
	s_wait_dscnt 0x0
	v_cndmask_b32_e64 v9, v9, 0, s3
	v_add_nc_u32_e32 v8, v8, v9
	s_and_saveexec_b32 s3, s2
; %bb.112:
	v_lshlrev_b32_e32 v9, 2, v97
	ds_store_b32 v9, v8
; %bb.113:
	s_or_b32 exec_lo, exec_lo, s3
	s_delay_alu instid0(SALU_CYCLE_1)
	s_mov_b32 s2, exec_lo
	s_wait_dscnt 0x0
	s_barrier_signal -1
	s_barrier_wait -1
	v_cmpx_gt_u32_e32 8, v0
	s_cbranch_execz .LBB5_115
; %bb.114:
	v_lshlrev_b32_e32 v9, 2, v0
	v_and_b32_e32 v11, 7, v96
	ds_load_b32 v10, v9
	v_cmp_ne_u32_e32 vcc_lo, 0, v11
	s_wait_dscnt 0x0
	v_mov_b32_dpp v12, v10 row_shr:1 row_mask:0xf bank_mask:0xf
	s_delay_alu instid0(VALU_DEP_1) | instskip(SKIP_1) | instid1(VALU_DEP_2)
	v_cndmask_b32_e32 v12, 0, v12, vcc_lo
	v_cmp_lt_u32_e32 vcc_lo, 1, v11
	v_add_nc_u32_e32 v10, v12, v10
	s_delay_alu instid0(VALU_DEP_1) | instskip(NEXT) | instid1(VALU_DEP_1)
	v_mov_b32_dpp v12, v10 row_shr:2 row_mask:0xf bank_mask:0xf
	v_cndmask_b32_e32 v12, 0, v12, vcc_lo
	v_cmp_lt_u32_e32 vcc_lo, 3, v11
	s_delay_alu instid0(VALU_DEP_2) | instskip(NEXT) | instid1(VALU_DEP_1)
	v_add_nc_u32_e32 v10, v10, v12
	v_mov_b32_dpp v12, v10 row_shr:4 row_mask:0xf bank_mask:0xf
	s_delay_alu instid0(VALU_DEP_1) | instskip(NEXT) | instid1(VALU_DEP_1)
	v_cndmask_b32_e32 v11, 0, v12, vcc_lo
	v_add_nc_u32_e32 v10, v10, v11
	ds_store_b32 v9, v10
.LBB5_115:
	s_or_b32 exec_lo, exec_lo, s2
	v_dual_mov_b32 v10, 0 :: v_dual_mov_b32 v9, 0
	s_mov_b32 s2, exec_lo
	s_wait_dscnt 0x0
	s_barrier_signal -1
	s_barrier_wait -1
	v_cmpx_lt_u32_e32 31, v0
; %bb.116:
	v_lshl_add_u32 v9, v97, 2, -4
	ds_load_b32 v9, v9
; %bb.117:
	s_or_b32 exec_lo, exec_lo, s2
	v_sub_co_u32 v11, vcc_lo, v96, 1
	ds_load_b32 v16, v10 offset:28
	v_cmp_gt_i32_e64 s2, 0, v11
	s_delay_alu instid0(VALU_DEP_1) | instskip(SKIP_3) | instid1(VALU_DEP_3)
	v_cndmask_b32_e64 v11, v11, v96, s2
	s_wait_dscnt 0x1
	v_add_nc_u32_e32 v8, v9, v8
	v_cmp_eq_u32_e64 s2, 0, v0
	v_lshlrev_b32_e32 v11, 2, v11
	ds_bpermute_b32 v8, v11, v8
	s_and_saveexec_b32 s3, s2
	s_cbranch_execz .LBB5_119
; %bb.118:
	v_dual_mov_b32 v10, 0 :: v_dual_mov_b32 v17, 2
	s_wait_xcnt 0x0
	s_wait_dscnt 0x1
	s_wait_kmcnt 0x0
	global_store_b64 v10, v[16:17], s[10:11] offset:256 scope:SCOPE_DEV
.LBB5_119:
	s_wait_xcnt 0x0
	s_or_b32 exec_lo, exec_lo, s3
	s_wait_dscnt 0x0
	v_dual_cndmask_b32 v8, v8, v9, vcc_lo :: v_dual_mov_b32 v18, 0
	s_wait_storecnt 0x0
	s_barrier_signal -1
	s_barrier_wait -1
	s_delay_alu instid0(VALU_DEP_1)
	v_cndmask_b32_e64 v99, v8, 0, s2
.LBB5_120:
	s_delay_alu instid0(VALU_DEP_1)
	v_add_nc_u32_e32 v102, v99, v91
	s_wait_xcnt 0x0
	s_load_b64 s[0:1], s[0:1], 0x30
	v_cmp_gt_u32_e32 vcc_lo, 0x101, v16
	s_mov_b32 s4, -1
	v_and_b32_e32 v68, 1, v68
	v_add_nc_u32_e32 v101, v102, v84
	s_and_b32 vcc_lo, exec_lo, vcc_lo
	s_delay_alu instid0(VALU_DEP_1) | instskip(NEXT) | instid1(VALU_DEP_1)
	v_add_nc_u32_e32 v100, v101, v85
	v_add_nc_u32_e32 v98, v100, v76
	s_delay_alu instid0(VALU_DEP_1) | instskip(SKIP_2) | instid1(VALU_DEP_1)
	v_add_nc_u32_e32 v97, v98, v77
	s_wait_kmcnt 0x0
	s_add_nc_u64 s[2:3], s[0:1], s[30:31]
	v_add_nc_u32_e32 v96, v97, v73
	s_delay_alu instid0(VALU_DEP_1) | instskip(NEXT) | instid1(VALU_DEP_1)
	v_add_nc_u32_e32 v91, v96, v74
	v_add_nc_u32_e32 v85, v91, v71
	s_delay_alu instid0(VALU_DEP_1) | instskip(NEXT) | instid1(VALU_DEP_1)
	v_add_nc_u32_e32 v84, v85, v72
	;; [unrolled: 3-line block ×10, first 2 shown]
	v_add_nc_u32_e32 v9, v10, v94
	s_delay_alu instid0(VALU_DEP_1)
	v_add_nc_u32_e32 v8, v9, v95
	s_cbranch_vccnz .LBB5_124
; %bb.121:
	s_and_b32 vcc_lo, exec_lo, s4
	s_cbranch_vccnz .LBB5_181
.LBB5_122:
	v_cmp_eq_u32_e32 vcc_lo, 0, v0
	s_and_b32 s0, vcc_lo, s29
	s_delay_alu instid0(SALU_CYCLE_1)
	s_and_saveexec_b32 s1, s0
	s_cbranch_execnz .LBB5_251
.LBB5_123:
	s_sendmsg sendmsg(MSG_DEALLOC_VGPRS)
	s_endpgm
.LBB5_124:
	v_add_nc_u32_e32 v78, v18, v16
	v_cmp_eq_u32_e64 s0, 1, v68
	s_delay_alu instid0(VALU_DEP_2) | instskip(SKIP_1) | instid1(SALU_CYCLE_1)
	v_cmp_lt_u32_e32 vcc_lo, v99, v78
	s_or_b32 s1, s33, vcc_lo
	s_and_b32 s1, s1, s0
	s_delay_alu instid0(SALU_CYCLE_1)
	s_and_saveexec_b32 s0, s1
	s_cbranch_execz .LBB5_126
; %bb.125:
	global_store_b8 v99, v6, s[2:3]
.LBB5_126:
	s_wait_xcnt 0x0
	s_or_b32 exec_lo, exec_lo, s0
	v_and_b32_e32 v79, 1, v67
	v_cmp_lt_u32_e32 vcc_lo, v102, v78
	s_delay_alu instid0(VALU_DEP_2) | instskip(SKIP_1) | instid1(SALU_CYCLE_1)
	v_cmp_eq_u32_e64 s0, 1, v79
	s_or_b32 s1, s33, vcc_lo
	s_and_b32 s1, s1, s0
	s_delay_alu instid0(SALU_CYCLE_1)
	s_and_saveexec_b32 s0, s1
	s_cbranch_execz .LBB5_128
; %bb.127:
	global_store_b8 v102, v40, s[2:3]
.LBB5_128:
	s_wait_xcnt 0x0
	s_or_b32 exec_lo, exec_lo, s0
	v_and_b32_e32 v79, 1, v66
	v_cmp_lt_u32_e32 vcc_lo, v101, v78
	s_delay_alu instid0(VALU_DEP_2) | instskip(SKIP_1) | instid1(SALU_CYCLE_1)
	v_cmp_eq_u32_e64 s0, 1, v79
	s_or_b32 s1, s33, vcc_lo
	s_and_b32 s1, s1, s0
	s_delay_alu instid0(SALU_CYCLE_1)
	s_and_saveexec_b32 s0, s1
	s_cbranch_execz .LBB5_130
; %bb.129:
	global_store_b8 v101, v39, s[2:3]
.LBB5_130:
	s_wait_xcnt 0x0
	s_or_b32 exec_lo, exec_lo, s0
	v_and_b32_e32 v79, 1, v65
	v_cmp_lt_u32_e32 vcc_lo, v100, v78
	s_delay_alu instid0(VALU_DEP_2) | instskip(SKIP_1) | instid1(SALU_CYCLE_1)
	v_cmp_eq_u32_e64 s0, 1, v79
	s_or_b32 s1, s33, vcc_lo
	s_and_b32 s1, s1, s0
	s_delay_alu instid0(SALU_CYCLE_1)
	s_and_saveexec_b32 s0, s1
	s_cbranch_execz .LBB5_132
; %bb.131:
	global_store_b8 v100, v38, s[2:3]
.LBB5_132:
	s_wait_xcnt 0x0
	s_or_b32 exec_lo, exec_lo, s0
	v_and_b32_e32 v79, 1, v64
	v_cmp_lt_u32_e32 vcc_lo, v98, v78
	s_delay_alu instid0(VALU_DEP_2) | instskip(SKIP_1) | instid1(SALU_CYCLE_1)
	v_cmp_eq_u32_e64 s0, 1, v79
	s_or_b32 s1, s33, vcc_lo
	s_and_b32 s1, s1, s0
	s_delay_alu instid0(SALU_CYCLE_1)
	s_and_saveexec_b32 s0, s1
	s_cbranch_execz .LBB5_134
; %bb.133:
	global_store_b8 v98, v7, s[2:3]
.LBB5_134:
	s_wait_xcnt 0x0
	s_or_b32 exec_lo, exec_lo, s0
	v_and_b32_e32 v79, 1, v63
	v_cmp_lt_u32_e32 vcc_lo, v97, v78
	s_delay_alu instid0(VALU_DEP_2) | instskip(SKIP_1) | instid1(SALU_CYCLE_1)
	v_cmp_eq_u32_e64 s0, 1, v79
	s_or_b32 s1, s33, vcc_lo
	s_and_b32 s1, s1, s0
	s_delay_alu instid0(SALU_CYCLE_1)
	s_and_saveexec_b32 s0, s1
	s_cbranch_execz .LBB5_136
; %bb.135:
	global_store_b8 v97, v37, s[2:3]
.LBB5_136:
	s_wait_xcnt 0x0
	s_or_b32 exec_lo, exec_lo, s0
	v_and_b32_e32 v79, 1, v62
	v_cmp_lt_u32_e32 vcc_lo, v96, v78
	s_delay_alu instid0(VALU_DEP_2) | instskip(SKIP_1) | instid1(SALU_CYCLE_1)
	v_cmp_eq_u32_e64 s0, 1, v79
	s_or_b32 s1, s33, vcc_lo
	s_and_b32 s1, s1, s0
	s_delay_alu instid0(SALU_CYCLE_1)
	s_and_saveexec_b32 s0, s1
	s_cbranch_execz .LBB5_138
; %bb.137:
	global_store_b8 v96, v36, s[2:3]
.LBB5_138:
	s_wait_xcnt 0x0
	s_or_b32 exec_lo, exec_lo, s0
	v_and_b32_e32 v79, 1, v61
	v_cmp_lt_u32_e32 vcc_lo, v91, v78
	s_delay_alu instid0(VALU_DEP_2) | instskip(SKIP_1) | instid1(SALU_CYCLE_1)
	v_cmp_eq_u32_e64 s0, 1, v79
	s_or_b32 s1, s33, vcc_lo
	s_and_b32 s1, s1, s0
	s_delay_alu instid0(SALU_CYCLE_1)
	s_and_saveexec_b32 s0, s1
	s_cbranch_execz .LBB5_140
; %bb.139:
	global_store_b8 v91, v35, s[2:3]
.LBB5_140:
	s_wait_xcnt 0x0
	s_or_b32 exec_lo, exec_lo, s0
	v_and_b32_e32 v79, 1, v60
	v_cmp_lt_u32_e32 vcc_lo, v85, v78
	s_delay_alu instid0(VALU_DEP_2) | instskip(SKIP_1) | instid1(SALU_CYCLE_1)
	v_cmp_eq_u32_e64 s0, 1, v79
	s_or_b32 s1, s33, vcc_lo
	s_and_b32 s1, s1, s0
	s_delay_alu instid0(SALU_CYCLE_1)
	s_and_saveexec_b32 s0, s1
	s_cbranch_execz .LBB5_142
; %bb.141:
	global_store_b8 v85, v4, s[2:3]
.LBB5_142:
	s_wait_xcnt 0x0
	s_or_b32 exec_lo, exec_lo, s0
	v_and_b32_e32 v79, 1, v59
	v_cmp_lt_u32_e32 vcc_lo, v84, v78
	s_delay_alu instid0(VALU_DEP_2) | instskip(SKIP_1) | instid1(SALU_CYCLE_1)
	v_cmp_eq_u32_e64 s0, 1, v79
	s_or_b32 s1, s33, vcc_lo
	s_and_b32 s1, s1, s0
	s_delay_alu instid0(SALU_CYCLE_1)
	s_and_saveexec_b32 s0, s1
	s_cbranch_execz .LBB5_144
; %bb.143:
	global_store_b8 v84, v34, s[2:3]
.LBB5_144:
	s_wait_xcnt 0x0
	s_or_b32 exec_lo, exec_lo, s0
	v_and_b32_e32 v79, 1, v58
	v_cmp_lt_u32_e32 vcc_lo, v77, v78
	s_delay_alu instid0(VALU_DEP_2) | instskip(SKIP_1) | instid1(SALU_CYCLE_1)
	v_cmp_eq_u32_e64 s0, 1, v79
	s_or_b32 s1, s33, vcc_lo
	s_and_b32 s1, s1, s0
	s_delay_alu instid0(SALU_CYCLE_1)
	s_and_saveexec_b32 s0, s1
	s_cbranch_execz .LBB5_146
; %bb.145:
	global_store_b8 v77, v33, s[2:3]
.LBB5_146:
	s_wait_xcnt 0x0
	s_or_b32 exec_lo, exec_lo, s0
	v_and_b32_e32 v79, 1, v57
	v_cmp_lt_u32_e32 vcc_lo, v76, v78
	s_delay_alu instid0(VALU_DEP_2) | instskip(SKIP_1) | instid1(SALU_CYCLE_1)
	v_cmp_eq_u32_e64 s0, 1, v79
	s_or_b32 s1, s33, vcc_lo
	s_and_b32 s1, s1, s0
	s_delay_alu instid0(SALU_CYCLE_1)
	s_and_saveexec_b32 s0, s1
	s_cbranch_execz .LBB5_148
; %bb.147:
	global_store_b8 v76, v32, s[2:3]
.LBB5_148:
	s_wait_xcnt 0x0
	s_or_b32 exec_lo, exec_lo, s0
	v_and_b32_e32 v79, 1, v56
	v_cmp_lt_u32_e32 vcc_lo, v75, v78
	s_delay_alu instid0(VALU_DEP_2) | instskip(SKIP_1) | instid1(SALU_CYCLE_1)
	v_cmp_eq_u32_e64 s0, 1, v79
	s_or_b32 s1, s33, vcc_lo
	s_and_b32 s1, s1, s0
	s_delay_alu instid0(SALU_CYCLE_1)
	s_and_saveexec_b32 s0, s1
	s_cbranch_execz .LBB5_150
; %bb.149:
	global_store_b8 v75, v5, s[2:3]
.LBB5_150:
	s_wait_xcnt 0x0
	s_or_b32 exec_lo, exec_lo, s0
	v_and_b32_e32 v79, 1, v55
	v_cmp_lt_u32_e32 vcc_lo, v74, v78
	s_delay_alu instid0(VALU_DEP_2) | instskip(SKIP_1) | instid1(SALU_CYCLE_1)
	v_cmp_eq_u32_e64 s0, 1, v79
	s_or_b32 s1, s33, vcc_lo
	s_and_b32 s1, s1, s0
	s_delay_alu instid0(SALU_CYCLE_1)
	s_and_saveexec_b32 s0, s1
	s_cbranch_execz .LBB5_152
; %bb.151:
	global_store_b8 v74, v31, s[2:3]
.LBB5_152:
	s_wait_xcnt 0x0
	s_or_b32 exec_lo, exec_lo, s0
	v_and_b32_e32 v79, 1, v54
	v_cmp_lt_u32_e32 vcc_lo, v73, v78
	s_delay_alu instid0(VALU_DEP_2) | instskip(SKIP_1) | instid1(SALU_CYCLE_1)
	v_cmp_eq_u32_e64 s0, 1, v79
	s_or_b32 s1, s33, vcc_lo
	s_and_b32 s1, s1, s0
	s_delay_alu instid0(SALU_CYCLE_1)
	s_and_saveexec_b32 s0, s1
	s_cbranch_execz .LBB5_154
; %bb.153:
	global_store_b8 v73, v30, s[2:3]
.LBB5_154:
	s_wait_xcnt 0x0
	s_or_b32 exec_lo, exec_lo, s0
	v_and_b32_e32 v79, 1, v53
	v_cmp_lt_u32_e32 vcc_lo, v72, v78
	s_delay_alu instid0(VALU_DEP_2) | instskip(SKIP_1) | instid1(SALU_CYCLE_1)
	v_cmp_eq_u32_e64 s0, 1, v79
	s_or_b32 s1, s33, vcc_lo
	s_and_b32 s1, s1, s0
	s_delay_alu instid0(SALU_CYCLE_1)
	s_and_saveexec_b32 s0, s1
	s_cbranch_execz .LBB5_156
; %bb.155:
	global_store_b8 v72, v29, s[2:3]
.LBB5_156:
	s_wait_xcnt 0x0
	s_or_b32 exec_lo, exec_lo, s0
	v_and_b32_e32 v79, 1, v52
	v_cmp_lt_u32_e32 vcc_lo, v71, v78
	s_delay_alu instid0(VALU_DEP_2) | instskip(SKIP_1) | instid1(SALU_CYCLE_1)
	v_cmp_eq_u32_e64 s0, 1, v79
	s_or_b32 s1, s33, vcc_lo
	s_and_b32 s1, s1, s0
	s_delay_alu instid0(SALU_CYCLE_1)
	s_and_saveexec_b32 s0, s1
	s_cbranch_execz .LBB5_158
; %bb.157:
	global_store_b8 v71, v2, s[2:3]
.LBB5_158:
	s_wait_xcnt 0x0
	s_or_b32 exec_lo, exec_lo, s0
	v_and_b32_e32 v79, 1, v51
	v_cmp_lt_u32_e32 vcc_lo, v70, v78
	s_delay_alu instid0(VALU_DEP_2) | instskip(SKIP_1) | instid1(SALU_CYCLE_1)
	v_cmp_eq_u32_e64 s0, 1, v79
	s_or_b32 s1, s33, vcc_lo
	s_and_b32 s1, s1, s0
	s_delay_alu instid0(SALU_CYCLE_1)
	s_and_saveexec_b32 s0, s1
	s_cbranch_execz .LBB5_160
; %bb.159:
	global_store_b8 v70, v28, s[2:3]
.LBB5_160:
	s_wait_xcnt 0x0
	s_or_b32 exec_lo, exec_lo, s0
	v_and_b32_e32 v79, 1, v50
	v_cmp_lt_u32_e32 vcc_lo, v69, v78
	s_delay_alu instid0(VALU_DEP_2) | instskip(SKIP_1) | instid1(SALU_CYCLE_1)
	v_cmp_eq_u32_e64 s0, 1, v79
	s_or_b32 s1, s33, vcc_lo
	s_and_b32 s1, s1, s0
	s_delay_alu instid0(SALU_CYCLE_1)
	s_and_saveexec_b32 s0, s1
	s_cbranch_execz .LBB5_162
; %bb.161:
	global_store_b8 v69, v27, s[2:3]
.LBB5_162:
	s_wait_xcnt 0x0
	s_or_b32 exec_lo, exec_lo, s0
	v_and_b32_e32 v79, 1, v49
	v_cmp_lt_u32_e32 vcc_lo, v17, v78
	s_delay_alu instid0(VALU_DEP_2) | instskip(SKIP_1) | instid1(SALU_CYCLE_1)
	v_cmp_eq_u32_e64 s0, 1, v79
	s_or_b32 s1, s33, vcc_lo
	s_and_b32 s1, s1, s0
	s_delay_alu instid0(SALU_CYCLE_1)
	s_and_saveexec_b32 s0, s1
	s_cbranch_execz .LBB5_164
; %bb.163:
	global_store_b8 v17, v26, s[2:3]
.LBB5_164:
	s_wait_xcnt 0x0
	s_or_b32 exec_lo, exec_lo, s0
	v_and_b32_e32 v79, 1, v48
	v_cmp_lt_u32_e32 vcc_lo, v15, v78
	s_delay_alu instid0(VALU_DEP_2) | instskip(SKIP_1) | instid1(SALU_CYCLE_1)
	v_cmp_eq_u32_e64 s0, 1, v79
	s_or_b32 s1, s33, vcc_lo
	s_and_b32 s1, s1, s0
	s_delay_alu instid0(SALU_CYCLE_1)
	s_and_saveexec_b32 s0, s1
	s_cbranch_execz .LBB5_166
; %bb.165:
	global_store_b8 v15, v3, s[2:3]
.LBB5_166:
	s_wait_xcnt 0x0
	s_or_b32 exec_lo, exec_lo, s0
	v_and_b32_e32 v79, 1, v47
	v_cmp_lt_u32_e32 vcc_lo, v14, v78
	s_delay_alu instid0(VALU_DEP_2) | instskip(SKIP_1) | instid1(SALU_CYCLE_1)
	v_cmp_eq_u32_e64 s0, 1, v79
	s_or_b32 s1, s33, vcc_lo
	s_and_b32 s1, s1, s0
	s_delay_alu instid0(SALU_CYCLE_1)
	s_and_saveexec_b32 s0, s1
	s_cbranch_execz .LBB5_168
; %bb.167:
	global_store_b8 v14, v25, s[2:3]
.LBB5_168:
	s_wait_xcnt 0x0
	s_or_b32 exec_lo, exec_lo, s0
	v_and_b32_e32 v79, 1, v46
	v_cmp_lt_u32_e32 vcc_lo, v13, v78
	s_delay_alu instid0(VALU_DEP_2) | instskip(SKIP_1) | instid1(SALU_CYCLE_1)
	v_cmp_eq_u32_e64 s0, 1, v79
	s_or_b32 s1, s33, vcc_lo
	s_and_b32 s1, s1, s0
	s_delay_alu instid0(SALU_CYCLE_1)
	s_and_saveexec_b32 s0, s1
	s_cbranch_execz .LBB5_170
; %bb.169:
	global_store_b8 v13, v24, s[2:3]
.LBB5_170:
	s_wait_xcnt 0x0
	s_or_b32 exec_lo, exec_lo, s0
	v_and_b32_e32 v79, 1, v45
	v_cmp_lt_u32_e32 vcc_lo, v12, v78
	s_delay_alu instid0(VALU_DEP_2) | instskip(SKIP_1) | instid1(SALU_CYCLE_1)
	v_cmp_eq_u32_e64 s0, 1, v79
	s_or_b32 s1, s33, vcc_lo
	s_and_b32 s1, s1, s0
	s_delay_alu instid0(SALU_CYCLE_1)
	s_and_saveexec_b32 s0, s1
	s_cbranch_execz .LBB5_172
; %bb.171:
	global_store_b8 v12, v23, s[2:3]
.LBB5_172:
	s_wait_xcnt 0x0
	s_or_b32 exec_lo, exec_lo, s0
	v_and_b32_e32 v79, 1, v44
	v_cmp_lt_u32_e32 vcc_lo, v11, v78
	s_delay_alu instid0(VALU_DEP_2) | instskip(SKIP_1) | instid1(SALU_CYCLE_1)
	v_cmp_eq_u32_e64 s0, 1, v79
	s_or_b32 s1, s33, vcc_lo
	s_and_b32 s1, s1, s0
	s_delay_alu instid0(SALU_CYCLE_1)
	s_and_saveexec_b32 s0, s1
	s_cbranch_execz .LBB5_174
; %bb.173:
	global_store_b8 v11, v20, s[2:3]
.LBB5_174:
	s_wait_xcnt 0x0
	s_or_b32 exec_lo, exec_lo, s0
	v_and_b32_e32 v79, 1, v43
	v_cmp_lt_u32_e32 vcc_lo, v10, v78
	s_delay_alu instid0(VALU_DEP_2) | instskip(SKIP_1) | instid1(SALU_CYCLE_1)
	v_cmp_eq_u32_e64 s0, 1, v79
	s_or_b32 s1, s33, vcc_lo
	s_and_b32 s1, s1, s0
	s_delay_alu instid0(SALU_CYCLE_1)
	s_and_saveexec_b32 s0, s1
	s_cbranch_execz .LBB5_176
; %bb.175:
	global_store_b8 v10, v21, s[2:3]
.LBB5_176:
	s_wait_xcnt 0x0
	s_or_b32 exec_lo, exec_lo, s0
	v_and_b32_e32 v79, 1, v42
	v_cmp_lt_u32_e32 vcc_lo, v9, v78
	s_delay_alu instid0(VALU_DEP_2) | instskip(SKIP_1) | instid1(SALU_CYCLE_1)
	v_cmp_eq_u32_e64 s0, 1, v79
	s_or_b32 s1, s33, vcc_lo
	s_and_b32 s1, s1, s0
	s_delay_alu instid0(SALU_CYCLE_1)
	s_and_saveexec_b32 s0, s1
	s_cbranch_execz .LBB5_178
; %bb.177:
	global_store_b8 v9, v19, s[2:3]
.LBB5_178:
	s_wait_xcnt 0x0
	s_or_b32 exec_lo, exec_lo, s0
	v_and_b32_e32 v79, 1, v41
	v_cmp_lt_u32_e32 vcc_lo, v8, v78
	s_delay_alu instid0(VALU_DEP_2) | instskip(SKIP_1) | instid1(SALU_CYCLE_1)
	v_cmp_eq_u32_e64 s0, 1, v79
	s_or_b32 s1, s33, vcc_lo
	s_and_b32 s1, s1, s0
	s_delay_alu instid0(SALU_CYCLE_1)
	s_and_saveexec_b32 s0, s1
	s_cbranch_execz .LBB5_180
; %bb.179:
	global_store_b8 v8, v1, s[2:3]
.LBB5_180:
	s_wait_xcnt 0x0
	s_or_b32 exec_lo, exec_lo, s0
	s_branch .LBB5_122
.LBB5_181:
	s_mov_b32 s0, exec_lo
	v_cmpx_eq_u32_e32 1, v68
; %bb.182:
	v_sub_nc_u32_e32 v68, v99, v18
	ds_store_b8 v68, v6
; %bb.183:
	s_or_b32 exec_lo, exec_lo, s0
	v_and_b32_e32 v6, 1, v67
	s_mov_b32 s0, exec_lo
	s_delay_alu instid0(VALU_DEP_1)
	v_cmpx_eq_u32_e32 1, v6
; %bb.184:
	v_sub_nc_u32_e32 v6, v102, v18
	ds_store_b8 v6, v40
; %bb.185:
	s_or_b32 exec_lo, exec_lo, s0
	v_and_b32_e32 v6, 1, v66
	s_mov_b32 s0, exec_lo
	s_delay_alu instid0(VALU_DEP_1)
	;; [unrolled: 9-line block ×27, first 2 shown]
	v_cmpx_eq_u32_e32 1, v2
; %bb.236:
	v_sub_nc_u32_e32 v2, v8, v18
	ds_store_b8 v2, v1
; %bb.237:
	s_or_b32 exec_lo, exec_lo, s0
	v_or_b32_e32 v1, 0x100, v0
	v_mov_b32_e32 v19, 0
	s_mov_b32 s1, exec_lo
	s_wait_storecnt_dscnt 0x0
	s_barrier_signal -1
	v_max_u32_e32 v3, v16, v1
	v_add_nc_u64_e32 v[20:21], s[2:3], v[18:19]
	s_mov_b32 s3, -1
	s_barrier_wait -1
	s_delay_alu instid0(VALU_DEP_2) | instskip(NEXT) | instid1(VALU_DEP_1)
	v_xad_u32 v2, v0, -1, v3
	v_cmp_gt_u32_e64 s0, 0x1f00, v2
	v_cmpx_lt_u32_e32 0x1eff, v2
	s_cbranch_execz .LBB5_247
; %bb.238:
	v_sub_nc_u32_e32 v3, v0, v3
	s_mov_b32 s2, exec_lo
	s_delay_alu instid0(VALU_DEP_1) | instskip(NEXT) | instid1(VALU_DEP_1)
	v_or_b32_e32 v3, 0xff, v3
	v_cmpx_ge_u32_e64 v3, v0
	s_cbranch_execz .LBB5_246
; %bb.239:
	v_or_b32_e32 v7, 0x700, v0
	v_or_b32_e32 v6, 0x600, v0
	v_dual_mov_b32 v22, 0 :: v_dual_lshrrev_b32 v17, 8, v2
	v_or_b32_e32 v5, 0x500, v0
	v_or_b32_e32 v4, 0x400, v0
	;; [unrolled: 1-line block ×4, first 2 shown]
	v_mov_b64_e32 v[14:15], v[6:7]
	v_mov_b64_e32 v[8:9], v[0:1]
	;; [unrolled: 1-line block ×3, first 2 shown]
	v_add_nc_u32_e32 v19, -7, v17
	v_mov_b64_e32 v[10:11], v[2:3]
	s_mov_b32 s3, exec_lo
	s_delay_alu instid0(VALU_DEP_2)
	v_cmpx_lt_u32_e32 7, v19
	s_cbranch_execz .LBB5_243
; %bb.240:
	v_dual_mov_b32 v23, 0 :: v_dual_lshrrev_b32 v8, 3, v19
	s_mov_b32 s4, 0
	s_mov_b32 s5, 0
	s_delay_alu instid0(VALU_DEP_1) | instskip(NEXT) | instid1(VALU_DEP_1)
	v_dual_mov_b32 v24, v0 :: v_dual_add_nc_u32 v8, 1, v8
	v_and_b32_e32 v25, 0x3ffffffe, v8
	v_mov_b64_e32 v[14:15], v[6:7]
	v_mov_b64_e32 v[12:13], v[4:5]
	;; [unrolled: 1-line block ×4, first 2 shown]
.LBB5_241:                              ; =>This Inner Loop Header: Depth=1
	s_delay_alu instid0(VALU_DEP_1)
	v_dual_mov_b32 v22, v8 :: v_dual_mov_b32 v33, v23
	v_add_nc_u32_e32 v25, -2, v25
	s_add_co_i32 s5, s5, 16
	s_delay_alu instid0(VALU_DEP_3) | instid1(SALU_CYCLE_1)
	v_dual_mov_b32 v1, s5 :: v_dual_add_nc_u32 v32, 0x800, v9
	s_delay_alu instid0(VALU_DEP_3)
	v_add_nc_u64_e32 v[34:35], v[20:21], v[22:23]
	v_dual_mov_b32 v22, v9 :: v_dual_add_nc_u32 v9, 0x1000, v9
	ds_load_u8 v42, v24
	ds_load_u8 v43, v24 offset:256
	ds_load_u8 v44, v24 offset:512
	;; [unrolled: 1-line block ×7, first 2 shown]
	v_dual_mov_b32 v5, v23 :: v_dual_add_nc_u32 v28, 0x800, v11
	v_add_nc_u64_e32 v[36:37], v[20:21], v[22:23]
	v_mov_b32_e32 v22, v10
	ds_load_u8 v50, v24 offset:2048
	ds_load_u8 v51, v24 offset:2304
	;; [unrolled: 1-line block ×8, first 2 shown]
	v_dual_mov_b32 v31, v23 :: v_dual_add_nc_u32 v2, 0x800, v15
	s_wait_dscnt 0xf
	global_store_b8 v[34:35], v42, off
	s_wait_dscnt 0xe
	global_store_b8 v[36:37], v43, off
	v_add_nc_u64_e32 v[38:39], v[20:21], v[22:23]
	v_dual_mov_b32 v22, v11 :: v_dual_add_nc_u32 v11, 0x1000, v11
	v_dual_mov_b32 v3, v23 :: v_dual_add_nc_u32 v30, 0x800, v10
	;; [unrolled: 1-line block ×3, first 2 shown]
	s_delay_alu instid0(VALU_DEP_3)
	v_add_nc_u64_e32 v[40:41], v[20:21], v[22:23]
	v_mov_b32_e32 v22, v12
	s_wait_dscnt 0xd
	global_store_b8 v[38:39], v44, off
	v_dual_mov_b32 v27, v23 :: v_dual_add_nc_u32 v6, 0x800, v13
	v_dual_mov_b32 v7, v23 :: v_dual_add_nc_u32 v26, 0x800, v12
	s_wait_xcnt 0x2
	v_add_nc_u64_e32 v[34:35], v[20:21], v[22:23]
	v_mov_b32_e32 v22, v13
	s_wait_dscnt 0xc
	global_store_b8 v[40:41], v45, off
	v_cmp_eq_u32_e32 vcc_lo, 0, v25
	v_add_nc_u32_e32 v24, 0x1000, v24
	v_add_nc_u64_e32 v[32:33], v[20:21], v[32:33]
	s_wait_xcnt 0x2
	v_add_nc_u64_e32 v[36:37], v[20:21], v[22:23]
	v_mov_b32_e32 v22, v14
	s_wait_dscnt 0xb
	global_store_b8 v[34:35], v46, off
	v_add_nc_u32_e32 v10, 0x1000, v10
	v_add_nc_u32_e32 v12, 0x1000, v12
	;; [unrolled: 1-line block ×3, first 2 shown]
	s_wait_xcnt 0x0
	v_add_nc_u64_e32 v[34:35], v[20:21], v[22:23]
	v_mov_b32_e32 v22, v15
	s_wait_dscnt 0xa
	global_store_b8 v[36:37], v47, off
	v_add_nc_u32_e32 v14, 0x1000, v14
	v_add_nc_u32_e32 v15, 0x1000, v15
	v_add_nc_u64_e32 v[30:31], v[20:21], v[30:31]
	s_wait_xcnt 0x0
	v_add_nc_u64_e32 v[36:37], v[20:21], v[22:23]
	v_add_nc_u32_e32 v22, 0x800, v8
	s_wait_dscnt 0x9
	global_store_b8 v[34:35], v48, off
	v_add_nc_u32_e32 v8, 0x1000, v8
	v_add_nc_u64_e32 v[28:29], v[20:21], v[28:29]
	v_add_nc_u64_e32 v[26:27], v[20:21], v[26:27]
	s_wait_xcnt 0x0
	v_add_nc_u64_e32 v[34:35], v[20:21], v[22:23]
	s_or_b32 s4, vcc_lo, s4
	v_add_nc_u64_e32 v[6:7], v[20:21], v[6:7]
	v_add_nc_u64_e32 v[4:5], v[20:21], v[4:5]
	;; [unrolled: 1-line block ×3, first 2 shown]
	s_wait_dscnt 0x8
	global_store_b8 v[36:37], v49, off
	s_wait_dscnt 0x7
	global_store_b8 v[34:35], v50, off
	;; [unrolled: 2-line block ×9, first 2 shown]
	s_wait_xcnt 0x0
	s_and_not1_b32 exec_lo, exec_lo, s4
	s_cbranch_execnz .LBB5_241
; %bb.242:
	s_or_b32 exec_lo, exec_lo, s4
	v_lshlrev_b32_e32 v22, 8, v1
.LBB5_243:
	s_or_b32 exec_lo, exec_lo, s3
	v_and_b32_e32 v1, 8, v19
	s_mov_b32 s3, exec_lo
	s_delay_alu instid0(VALU_DEP_1)
	v_cmpx_eq_u32_e32 0, v1
	s_cbranch_execz .LBB5_245
; %bb.244:
	v_dual_mov_b32 v3, 0 :: v_dual_mov_b32 v2, v8
	v_or_b32_e32 v1, v0, v22
	ds_load_u8 v19, v1
	ds_load_u8 v26, v1 offset:256
	ds_load_u8 v27, v1 offset:512
	;; [unrolled: 1-line block ×7, first 2 shown]
	v_add_nc_u64_e32 v[4:5], v[20:21], v[2:3]
	v_mov_b32_e32 v2, v9
	s_delay_alu instid0(VALU_DEP_1) | instskip(SKIP_1) | instid1(VALU_DEP_1)
	v_add_nc_u64_e32 v[6:7], v[20:21], v[2:3]
	v_mov_b32_e32 v2, v10
	v_add_nc_u64_e32 v[8:9], v[20:21], v[2:3]
	v_mov_b32_e32 v2, v11
	s_delay_alu instid0(VALU_DEP_1) | instskip(SKIP_1) | instid1(VALU_DEP_1)
	v_add_nc_u64_e32 v[10:11], v[20:21], v[2:3]
	v_mov_b32_e32 v2, v12
	;; [unrolled: 5-line block ×3, first 2 shown]
	v_add_nc_u64_e32 v[24:25], v[20:21], v[2:3]
	v_mov_b32_e32 v2, v15
	s_delay_alu instid0(VALU_DEP_1)
	v_add_nc_u64_e32 v[2:3], v[20:21], v[2:3]
	s_wait_dscnt 0x7
	global_store_b8 v[4:5], v19, off
	s_wait_dscnt 0x6
	global_store_b8 v[6:7], v26, off
	;; [unrolled: 2-line block ×8, first 2 shown]
.LBB5_245:
	s_wait_xcnt 0x0
	s_or_b32 exec_lo, exec_lo, s3
	v_add_nc_u32_e32 v1, 1, v17
	s_delay_alu instid0(VALU_DEP_1) | instskip(NEXT) | instid1(VALU_DEP_1)
	v_and_b32_e32 v2, 0x1fffff8, v1
	v_cmp_ne_u32_e32 vcc_lo, v1, v2
	v_lshl_or_b32 v22, v2, 8, v0
	s_or_not1_b32 s3, vcc_lo, exec_lo
.LBB5_246:
	s_or_b32 exec_lo, exec_lo, s2
	s_delay_alu instid0(SALU_CYCLE_1) | instskip(SKIP_1) | instid1(SALU_CYCLE_1)
	s_and_not1_b32 s0, s0, exec_lo
	s_and_b32 s2, s3, exec_lo
	s_or_b32 s0, s0, s2
.LBB5_247:
	s_or_b32 exec_lo, exec_lo, s1
	s_and_saveexec_b32 s1, s0
	s_cbranch_execz .LBB5_250
; %bb.248:
	s_mov_b32 s0, 0
.LBB5_249:                              ; =>This Inner Loop Header: Depth=1
	ds_load_u8 v1, v22
	v_readfirstlane_b32 s2, v20
	v_readfirstlane_b32 s3, v21
	s_wait_dscnt 0x0
	global_store_b8 v22, v1, s[2:3]
	s_wait_xcnt 0x0
	v_add_nc_u32_e32 v22, 0x100, v22
	s_delay_alu instid0(VALU_DEP_1) | instskip(SKIP_1) | instid1(SALU_CYCLE_1)
	v_cmp_ge_u32_e32 vcc_lo, v22, v16
	s_or_b32 s0, vcc_lo, s0
	s_and_not1_b32 exec_lo, exec_lo, s0
	s_cbranch_execnz .LBB5_249
.LBB5_250:
	s_or_b32 exec_lo, exec_lo, s1
	v_cmp_eq_u32_e32 vcc_lo, 0, v0
	s_and_b32 s0, vcc_lo, s29
	s_delay_alu instid0(SALU_CYCLE_1)
	s_and_saveexec_b32 s1, s0
	s_cbranch_execz .LBB5_123
.LBB5_251:
	v_mov_b32_e32 v17, 0
	s_delay_alu instid0(VALU_DEP_1) | instskip(SKIP_1) | instid1(VALU_DEP_1)
	v_add_nc_u64_e32 v[0:1], s[30:31], v[16:17]
	v_mov_b32_e32 v19, v17
	v_add_nc_u64_e32 v[0:1], v[0:1], v[18:19]
	global_store_b64 v17, v[0:1], s[36:37]
	s_sendmsg sendmsg(MSG_DEALLOC_VGPRS)
	s_endpgm
	.section	.rodata,"a",@progbits
	.p2align	6, 0x0
	.amdhsa_kernel _ZN7rocprim17ROCPRIM_400000_NS6detail17trampoline_kernelINS0_14default_configENS1_25partition_config_selectorILNS1_17partition_subalgoE8EbNS0_10empty_typeEbEEZZNS1_14partition_implILS5_8ELb0ES3_jN6hipcub16HIPCUB_304000_NS22TransformInputIteratorIbN2at6native8internal12_GLOBAL__N_110LoadBoolOpEPKhlEEPS6_PKS6_NS0_5tupleIJPbS6_EEENSN_IJSK_SK_EEENS0_18inequality_wrapperINSA_8EqualityEEEPlJS6_EEE10hipError_tPvRmT3_T4_T5_T6_T7_T9_mT8_P12ihipStream_tbDpT10_ENKUlT_T0_E_clISt17integral_constantIbLb0EES1E_EEDaS19_S1A_EUlS19_E_NS1_11comp_targetILNS1_3genE0ELNS1_11target_archE4294967295ELNS1_3gpuE0ELNS1_3repE0EEENS1_30default_config_static_selectorELNS0_4arch9wavefront6targetE0EEEvT1_
		.amdhsa_group_segment_fixed_size 7176
		.amdhsa_private_segment_fixed_size 0
		.amdhsa_kernarg_size 120
		.amdhsa_user_sgpr_count 2
		.amdhsa_user_sgpr_dispatch_ptr 0
		.amdhsa_user_sgpr_queue_ptr 0
		.amdhsa_user_sgpr_kernarg_segment_ptr 1
		.amdhsa_user_sgpr_dispatch_id 0
		.amdhsa_user_sgpr_kernarg_preload_length 0
		.amdhsa_user_sgpr_kernarg_preload_offset 0
		.amdhsa_user_sgpr_private_segment_size 0
		.amdhsa_wavefront_size32 1
		.amdhsa_uses_dynamic_stack 0
		.amdhsa_enable_private_segment 0
		.amdhsa_system_sgpr_workgroup_id_x 1
		.amdhsa_system_sgpr_workgroup_id_y 0
		.amdhsa_system_sgpr_workgroup_id_z 0
		.amdhsa_system_sgpr_workgroup_info 0
		.amdhsa_system_vgpr_workitem_id 0
		.amdhsa_next_free_vgpr 109
		.amdhsa_next_free_sgpr 47
		.amdhsa_named_barrier_count 0
		.amdhsa_reserve_vcc 1
		.amdhsa_float_round_mode_32 0
		.amdhsa_float_round_mode_16_64 0
		.amdhsa_float_denorm_mode_32 3
		.amdhsa_float_denorm_mode_16_64 3
		.amdhsa_fp16_overflow 0
		.amdhsa_memory_ordered 1
		.amdhsa_forward_progress 1
		.amdhsa_inst_pref_size 119
		.amdhsa_round_robin_scheduling 0
		.amdhsa_exception_fp_ieee_invalid_op 0
		.amdhsa_exception_fp_denorm_src 0
		.amdhsa_exception_fp_ieee_div_zero 0
		.amdhsa_exception_fp_ieee_overflow 0
		.amdhsa_exception_fp_ieee_underflow 0
		.amdhsa_exception_fp_ieee_inexact 0
		.amdhsa_exception_int_div_zero 0
	.end_amdhsa_kernel
	.section	.text._ZN7rocprim17ROCPRIM_400000_NS6detail17trampoline_kernelINS0_14default_configENS1_25partition_config_selectorILNS1_17partition_subalgoE8EbNS0_10empty_typeEbEEZZNS1_14partition_implILS5_8ELb0ES3_jN6hipcub16HIPCUB_304000_NS22TransformInputIteratorIbN2at6native8internal12_GLOBAL__N_110LoadBoolOpEPKhlEEPS6_PKS6_NS0_5tupleIJPbS6_EEENSN_IJSK_SK_EEENS0_18inequality_wrapperINSA_8EqualityEEEPlJS6_EEE10hipError_tPvRmT3_T4_T5_T6_T7_T9_mT8_P12ihipStream_tbDpT10_ENKUlT_T0_E_clISt17integral_constantIbLb0EES1E_EEDaS19_S1A_EUlS19_E_NS1_11comp_targetILNS1_3genE0ELNS1_11target_archE4294967295ELNS1_3gpuE0ELNS1_3repE0EEENS1_30default_config_static_selectorELNS0_4arch9wavefront6targetE0EEEvT1_,"axG",@progbits,_ZN7rocprim17ROCPRIM_400000_NS6detail17trampoline_kernelINS0_14default_configENS1_25partition_config_selectorILNS1_17partition_subalgoE8EbNS0_10empty_typeEbEEZZNS1_14partition_implILS5_8ELb0ES3_jN6hipcub16HIPCUB_304000_NS22TransformInputIteratorIbN2at6native8internal12_GLOBAL__N_110LoadBoolOpEPKhlEEPS6_PKS6_NS0_5tupleIJPbS6_EEENSN_IJSK_SK_EEENS0_18inequality_wrapperINSA_8EqualityEEEPlJS6_EEE10hipError_tPvRmT3_T4_T5_T6_T7_T9_mT8_P12ihipStream_tbDpT10_ENKUlT_T0_E_clISt17integral_constantIbLb0EES1E_EEDaS19_S1A_EUlS19_E_NS1_11comp_targetILNS1_3genE0ELNS1_11target_archE4294967295ELNS1_3gpuE0ELNS1_3repE0EEENS1_30default_config_static_selectorELNS0_4arch9wavefront6targetE0EEEvT1_,comdat
.Lfunc_end5:
	.size	_ZN7rocprim17ROCPRIM_400000_NS6detail17trampoline_kernelINS0_14default_configENS1_25partition_config_selectorILNS1_17partition_subalgoE8EbNS0_10empty_typeEbEEZZNS1_14partition_implILS5_8ELb0ES3_jN6hipcub16HIPCUB_304000_NS22TransformInputIteratorIbN2at6native8internal12_GLOBAL__N_110LoadBoolOpEPKhlEEPS6_PKS6_NS0_5tupleIJPbS6_EEENSN_IJSK_SK_EEENS0_18inequality_wrapperINSA_8EqualityEEEPlJS6_EEE10hipError_tPvRmT3_T4_T5_T6_T7_T9_mT8_P12ihipStream_tbDpT10_ENKUlT_T0_E_clISt17integral_constantIbLb0EES1E_EEDaS19_S1A_EUlS19_E_NS1_11comp_targetILNS1_3genE0ELNS1_11target_archE4294967295ELNS1_3gpuE0ELNS1_3repE0EEENS1_30default_config_static_selectorELNS0_4arch9wavefront6targetE0EEEvT1_, .Lfunc_end5-_ZN7rocprim17ROCPRIM_400000_NS6detail17trampoline_kernelINS0_14default_configENS1_25partition_config_selectorILNS1_17partition_subalgoE8EbNS0_10empty_typeEbEEZZNS1_14partition_implILS5_8ELb0ES3_jN6hipcub16HIPCUB_304000_NS22TransformInputIteratorIbN2at6native8internal12_GLOBAL__N_110LoadBoolOpEPKhlEEPS6_PKS6_NS0_5tupleIJPbS6_EEENSN_IJSK_SK_EEENS0_18inequality_wrapperINSA_8EqualityEEEPlJS6_EEE10hipError_tPvRmT3_T4_T5_T6_T7_T9_mT8_P12ihipStream_tbDpT10_ENKUlT_T0_E_clISt17integral_constantIbLb0EES1E_EEDaS19_S1A_EUlS19_E_NS1_11comp_targetILNS1_3genE0ELNS1_11target_archE4294967295ELNS1_3gpuE0ELNS1_3repE0EEENS1_30default_config_static_selectorELNS0_4arch9wavefront6targetE0EEEvT1_
                                        ; -- End function
	.set _ZN7rocprim17ROCPRIM_400000_NS6detail17trampoline_kernelINS0_14default_configENS1_25partition_config_selectorILNS1_17partition_subalgoE8EbNS0_10empty_typeEbEEZZNS1_14partition_implILS5_8ELb0ES3_jN6hipcub16HIPCUB_304000_NS22TransformInputIteratorIbN2at6native8internal12_GLOBAL__N_110LoadBoolOpEPKhlEEPS6_PKS6_NS0_5tupleIJPbS6_EEENSN_IJSK_SK_EEENS0_18inequality_wrapperINSA_8EqualityEEEPlJS6_EEE10hipError_tPvRmT3_T4_T5_T6_T7_T9_mT8_P12ihipStream_tbDpT10_ENKUlT_T0_E_clISt17integral_constantIbLb0EES1E_EEDaS19_S1A_EUlS19_E_NS1_11comp_targetILNS1_3genE0ELNS1_11target_archE4294967295ELNS1_3gpuE0ELNS1_3repE0EEENS1_30default_config_static_selectorELNS0_4arch9wavefront6targetE0EEEvT1_.num_vgpr, 109
	.set _ZN7rocprim17ROCPRIM_400000_NS6detail17trampoline_kernelINS0_14default_configENS1_25partition_config_selectorILNS1_17partition_subalgoE8EbNS0_10empty_typeEbEEZZNS1_14partition_implILS5_8ELb0ES3_jN6hipcub16HIPCUB_304000_NS22TransformInputIteratorIbN2at6native8internal12_GLOBAL__N_110LoadBoolOpEPKhlEEPS6_PKS6_NS0_5tupleIJPbS6_EEENSN_IJSK_SK_EEENS0_18inequality_wrapperINSA_8EqualityEEEPlJS6_EEE10hipError_tPvRmT3_T4_T5_T6_T7_T9_mT8_P12ihipStream_tbDpT10_ENKUlT_T0_E_clISt17integral_constantIbLb0EES1E_EEDaS19_S1A_EUlS19_E_NS1_11comp_targetILNS1_3genE0ELNS1_11target_archE4294967295ELNS1_3gpuE0ELNS1_3repE0EEENS1_30default_config_static_selectorELNS0_4arch9wavefront6targetE0EEEvT1_.num_agpr, 0
	.set _ZN7rocprim17ROCPRIM_400000_NS6detail17trampoline_kernelINS0_14default_configENS1_25partition_config_selectorILNS1_17partition_subalgoE8EbNS0_10empty_typeEbEEZZNS1_14partition_implILS5_8ELb0ES3_jN6hipcub16HIPCUB_304000_NS22TransformInputIteratorIbN2at6native8internal12_GLOBAL__N_110LoadBoolOpEPKhlEEPS6_PKS6_NS0_5tupleIJPbS6_EEENSN_IJSK_SK_EEENS0_18inequality_wrapperINSA_8EqualityEEEPlJS6_EEE10hipError_tPvRmT3_T4_T5_T6_T7_T9_mT8_P12ihipStream_tbDpT10_ENKUlT_T0_E_clISt17integral_constantIbLb0EES1E_EEDaS19_S1A_EUlS19_E_NS1_11comp_targetILNS1_3genE0ELNS1_11target_archE4294967295ELNS1_3gpuE0ELNS1_3repE0EEENS1_30default_config_static_selectorELNS0_4arch9wavefront6targetE0EEEvT1_.numbered_sgpr, 47
	.set _ZN7rocprim17ROCPRIM_400000_NS6detail17trampoline_kernelINS0_14default_configENS1_25partition_config_selectorILNS1_17partition_subalgoE8EbNS0_10empty_typeEbEEZZNS1_14partition_implILS5_8ELb0ES3_jN6hipcub16HIPCUB_304000_NS22TransformInputIteratorIbN2at6native8internal12_GLOBAL__N_110LoadBoolOpEPKhlEEPS6_PKS6_NS0_5tupleIJPbS6_EEENSN_IJSK_SK_EEENS0_18inequality_wrapperINSA_8EqualityEEEPlJS6_EEE10hipError_tPvRmT3_T4_T5_T6_T7_T9_mT8_P12ihipStream_tbDpT10_ENKUlT_T0_E_clISt17integral_constantIbLb0EES1E_EEDaS19_S1A_EUlS19_E_NS1_11comp_targetILNS1_3genE0ELNS1_11target_archE4294967295ELNS1_3gpuE0ELNS1_3repE0EEENS1_30default_config_static_selectorELNS0_4arch9wavefront6targetE0EEEvT1_.num_named_barrier, 0
	.set _ZN7rocprim17ROCPRIM_400000_NS6detail17trampoline_kernelINS0_14default_configENS1_25partition_config_selectorILNS1_17partition_subalgoE8EbNS0_10empty_typeEbEEZZNS1_14partition_implILS5_8ELb0ES3_jN6hipcub16HIPCUB_304000_NS22TransformInputIteratorIbN2at6native8internal12_GLOBAL__N_110LoadBoolOpEPKhlEEPS6_PKS6_NS0_5tupleIJPbS6_EEENSN_IJSK_SK_EEENS0_18inequality_wrapperINSA_8EqualityEEEPlJS6_EEE10hipError_tPvRmT3_T4_T5_T6_T7_T9_mT8_P12ihipStream_tbDpT10_ENKUlT_T0_E_clISt17integral_constantIbLb0EES1E_EEDaS19_S1A_EUlS19_E_NS1_11comp_targetILNS1_3genE0ELNS1_11target_archE4294967295ELNS1_3gpuE0ELNS1_3repE0EEENS1_30default_config_static_selectorELNS0_4arch9wavefront6targetE0EEEvT1_.private_seg_size, 0
	.set _ZN7rocprim17ROCPRIM_400000_NS6detail17trampoline_kernelINS0_14default_configENS1_25partition_config_selectorILNS1_17partition_subalgoE8EbNS0_10empty_typeEbEEZZNS1_14partition_implILS5_8ELb0ES3_jN6hipcub16HIPCUB_304000_NS22TransformInputIteratorIbN2at6native8internal12_GLOBAL__N_110LoadBoolOpEPKhlEEPS6_PKS6_NS0_5tupleIJPbS6_EEENSN_IJSK_SK_EEENS0_18inequality_wrapperINSA_8EqualityEEEPlJS6_EEE10hipError_tPvRmT3_T4_T5_T6_T7_T9_mT8_P12ihipStream_tbDpT10_ENKUlT_T0_E_clISt17integral_constantIbLb0EES1E_EEDaS19_S1A_EUlS19_E_NS1_11comp_targetILNS1_3genE0ELNS1_11target_archE4294967295ELNS1_3gpuE0ELNS1_3repE0EEENS1_30default_config_static_selectorELNS0_4arch9wavefront6targetE0EEEvT1_.uses_vcc, 1
	.set _ZN7rocprim17ROCPRIM_400000_NS6detail17trampoline_kernelINS0_14default_configENS1_25partition_config_selectorILNS1_17partition_subalgoE8EbNS0_10empty_typeEbEEZZNS1_14partition_implILS5_8ELb0ES3_jN6hipcub16HIPCUB_304000_NS22TransformInputIteratorIbN2at6native8internal12_GLOBAL__N_110LoadBoolOpEPKhlEEPS6_PKS6_NS0_5tupleIJPbS6_EEENSN_IJSK_SK_EEENS0_18inequality_wrapperINSA_8EqualityEEEPlJS6_EEE10hipError_tPvRmT3_T4_T5_T6_T7_T9_mT8_P12ihipStream_tbDpT10_ENKUlT_T0_E_clISt17integral_constantIbLb0EES1E_EEDaS19_S1A_EUlS19_E_NS1_11comp_targetILNS1_3genE0ELNS1_11target_archE4294967295ELNS1_3gpuE0ELNS1_3repE0EEENS1_30default_config_static_selectorELNS0_4arch9wavefront6targetE0EEEvT1_.uses_flat_scratch, 0
	.set _ZN7rocprim17ROCPRIM_400000_NS6detail17trampoline_kernelINS0_14default_configENS1_25partition_config_selectorILNS1_17partition_subalgoE8EbNS0_10empty_typeEbEEZZNS1_14partition_implILS5_8ELb0ES3_jN6hipcub16HIPCUB_304000_NS22TransformInputIteratorIbN2at6native8internal12_GLOBAL__N_110LoadBoolOpEPKhlEEPS6_PKS6_NS0_5tupleIJPbS6_EEENSN_IJSK_SK_EEENS0_18inequality_wrapperINSA_8EqualityEEEPlJS6_EEE10hipError_tPvRmT3_T4_T5_T6_T7_T9_mT8_P12ihipStream_tbDpT10_ENKUlT_T0_E_clISt17integral_constantIbLb0EES1E_EEDaS19_S1A_EUlS19_E_NS1_11comp_targetILNS1_3genE0ELNS1_11target_archE4294967295ELNS1_3gpuE0ELNS1_3repE0EEENS1_30default_config_static_selectorELNS0_4arch9wavefront6targetE0EEEvT1_.has_dyn_sized_stack, 0
	.set _ZN7rocprim17ROCPRIM_400000_NS6detail17trampoline_kernelINS0_14default_configENS1_25partition_config_selectorILNS1_17partition_subalgoE8EbNS0_10empty_typeEbEEZZNS1_14partition_implILS5_8ELb0ES3_jN6hipcub16HIPCUB_304000_NS22TransformInputIteratorIbN2at6native8internal12_GLOBAL__N_110LoadBoolOpEPKhlEEPS6_PKS6_NS0_5tupleIJPbS6_EEENSN_IJSK_SK_EEENS0_18inequality_wrapperINSA_8EqualityEEEPlJS6_EEE10hipError_tPvRmT3_T4_T5_T6_T7_T9_mT8_P12ihipStream_tbDpT10_ENKUlT_T0_E_clISt17integral_constantIbLb0EES1E_EEDaS19_S1A_EUlS19_E_NS1_11comp_targetILNS1_3genE0ELNS1_11target_archE4294967295ELNS1_3gpuE0ELNS1_3repE0EEENS1_30default_config_static_selectorELNS0_4arch9wavefront6targetE0EEEvT1_.has_recursion, 0
	.set _ZN7rocprim17ROCPRIM_400000_NS6detail17trampoline_kernelINS0_14default_configENS1_25partition_config_selectorILNS1_17partition_subalgoE8EbNS0_10empty_typeEbEEZZNS1_14partition_implILS5_8ELb0ES3_jN6hipcub16HIPCUB_304000_NS22TransformInputIteratorIbN2at6native8internal12_GLOBAL__N_110LoadBoolOpEPKhlEEPS6_PKS6_NS0_5tupleIJPbS6_EEENSN_IJSK_SK_EEENS0_18inequality_wrapperINSA_8EqualityEEEPlJS6_EEE10hipError_tPvRmT3_T4_T5_T6_T7_T9_mT8_P12ihipStream_tbDpT10_ENKUlT_T0_E_clISt17integral_constantIbLb0EES1E_EEDaS19_S1A_EUlS19_E_NS1_11comp_targetILNS1_3genE0ELNS1_11target_archE4294967295ELNS1_3gpuE0ELNS1_3repE0EEENS1_30default_config_static_selectorELNS0_4arch9wavefront6targetE0EEEvT1_.has_indirect_call, 0
	.section	.AMDGPU.csdata,"",@progbits
; Kernel info:
; codeLenInByte = 15168
; TotalNumSgprs: 49
; NumVgprs: 109
; ScratchSize: 0
; MemoryBound: 0
; FloatMode: 240
; IeeeMode: 1
; LDSByteSize: 7176 bytes/workgroup (compile time only)
; SGPRBlocks: 0
; VGPRBlocks: 6
; NumSGPRsForWavesPerEU: 49
; NumVGPRsForWavesPerEU: 109
; NamedBarCnt: 0
; Occupancy: 9
; WaveLimiterHint : 1
; COMPUTE_PGM_RSRC2:SCRATCH_EN: 0
; COMPUTE_PGM_RSRC2:USER_SGPR: 2
; COMPUTE_PGM_RSRC2:TRAP_HANDLER: 0
; COMPUTE_PGM_RSRC2:TGID_X_EN: 1
; COMPUTE_PGM_RSRC2:TGID_Y_EN: 0
; COMPUTE_PGM_RSRC2:TGID_Z_EN: 0
; COMPUTE_PGM_RSRC2:TIDIG_COMP_CNT: 0
	.section	.text._ZN7rocprim17ROCPRIM_400000_NS6detail17trampoline_kernelINS0_14default_configENS1_25partition_config_selectorILNS1_17partition_subalgoE8EbNS0_10empty_typeEbEEZZNS1_14partition_implILS5_8ELb0ES3_jN6hipcub16HIPCUB_304000_NS22TransformInputIteratorIbN2at6native8internal12_GLOBAL__N_110LoadBoolOpEPKhlEEPS6_PKS6_NS0_5tupleIJPbS6_EEENSN_IJSK_SK_EEENS0_18inequality_wrapperINSA_8EqualityEEEPlJS6_EEE10hipError_tPvRmT3_T4_T5_T6_T7_T9_mT8_P12ihipStream_tbDpT10_ENKUlT_T0_E_clISt17integral_constantIbLb0EES1E_EEDaS19_S1A_EUlS19_E_NS1_11comp_targetILNS1_3genE5ELNS1_11target_archE942ELNS1_3gpuE9ELNS1_3repE0EEENS1_30default_config_static_selectorELNS0_4arch9wavefront6targetE0EEEvT1_,"axG",@progbits,_ZN7rocprim17ROCPRIM_400000_NS6detail17trampoline_kernelINS0_14default_configENS1_25partition_config_selectorILNS1_17partition_subalgoE8EbNS0_10empty_typeEbEEZZNS1_14partition_implILS5_8ELb0ES3_jN6hipcub16HIPCUB_304000_NS22TransformInputIteratorIbN2at6native8internal12_GLOBAL__N_110LoadBoolOpEPKhlEEPS6_PKS6_NS0_5tupleIJPbS6_EEENSN_IJSK_SK_EEENS0_18inequality_wrapperINSA_8EqualityEEEPlJS6_EEE10hipError_tPvRmT3_T4_T5_T6_T7_T9_mT8_P12ihipStream_tbDpT10_ENKUlT_T0_E_clISt17integral_constantIbLb0EES1E_EEDaS19_S1A_EUlS19_E_NS1_11comp_targetILNS1_3genE5ELNS1_11target_archE942ELNS1_3gpuE9ELNS1_3repE0EEENS1_30default_config_static_selectorELNS0_4arch9wavefront6targetE0EEEvT1_,comdat
	.globl	_ZN7rocprim17ROCPRIM_400000_NS6detail17trampoline_kernelINS0_14default_configENS1_25partition_config_selectorILNS1_17partition_subalgoE8EbNS0_10empty_typeEbEEZZNS1_14partition_implILS5_8ELb0ES3_jN6hipcub16HIPCUB_304000_NS22TransformInputIteratorIbN2at6native8internal12_GLOBAL__N_110LoadBoolOpEPKhlEEPS6_PKS6_NS0_5tupleIJPbS6_EEENSN_IJSK_SK_EEENS0_18inequality_wrapperINSA_8EqualityEEEPlJS6_EEE10hipError_tPvRmT3_T4_T5_T6_T7_T9_mT8_P12ihipStream_tbDpT10_ENKUlT_T0_E_clISt17integral_constantIbLb0EES1E_EEDaS19_S1A_EUlS19_E_NS1_11comp_targetILNS1_3genE5ELNS1_11target_archE942ELNS1_3gpuE9ELNS1_3repE0EEENS1_30default_config_static_selectorELNS0_4arch9wavefront6targetE0EEEvT1_ ; -- Begin function _ZN7rocprim17ROCPRIM_400000_NS6detail17trampoline_kernelINS0_14default_configENS1_25partition_config_selectorILNS1_17partition_subalgoE8EbNS0_10empty_typeEbEEZZNS1_14partition_implILS5_8ELb0ES3_jN6hipcub16HIPCUB_304000_NS22TransformInputIteratorIbN2at6native8internal12_GLOBAL__N_110LoadBoolOpEPKhlEEPS6_PKS6_NS0_5tupleIJPbS6_EEENSN_IJSK_SK_EEENS0_18inequality_wrapperINSA_8EqualityEEEPlJS6_EEE10hipError_tPvRmT3_T4_T5_T6_T7_T9_mT8_P12ihipStream_tbDpT10_ENKUlT_T0_E_clISt17integral_constantIbLb0EES1E_EEDaS19_S1A_EUlS19_E_NS1_11comp_targetILNS1_3genE5ELNS1_11target_archE942ELNS1_3gpuE9ELNS1_3repE0EEENS1_30default_config_static_selectorELNS0_4arch9wavefront6targetE0EEEvT1_
	.p2align	8
	.type	_ZN7rocprim17ROCPRIM_400000_NS6detail17trampoline_kernelINS0_14default_configENS1_25partition_config_selectorILNS1_17partition_subalgoE8EbNS0_10empty_typeEbEEZZNS1_14partition_implILS5_8ELb0ES3_jN6hipcub16HIPCUB_304000_NS22TransformInputIteratorIbN2at6native8internal12_GLOBAL__N_110LoadBoolOpEPKhlEEPS6_PKS6_NS0_5tupleIJPbS6_EEENSN_IJSK_SK_EEENS0_18inequality_wrapperINSA_8EqualityEEEPlJS6_EEE10hipError_tPvRmT3_T4_T5_T6_T7_T9_mT8_P12ihipStream_tbDpT10_ENKUlT_T0_E_clISt17integral_constantIbLb0EES1E_EEDaS19_S1A_EUlS19_E_NS1_11comp_targetILNS1_3genE5ELNS1_11target_archE942ELNS1_3gpuE9ELNS1_3repE0EEENS1_30default_config_static_selectorELNS0_4arch9wavefront6targetE0EEEvT1_,@function
_ZN7rocprim17ROCPRIM_400000_NS6detail17trampoline_kernelINS0_14default_configENS1_25partition_config_selectorILNS1_17partition_subalgoE8EbNS0_10empty_typeEbEEZZNS1_14partition_implILS5_8ELb0ES3_jN6hipcub16HIPCUB_304000_NS22TransformInputIteratorIbN2at6native8internal12_GLOBAL__N_110LoadBoolOpEPKhlEEPS6_PKS6_NS0_5tupleIJPbS6_EEENSN_IJSK_SK_EEENS0_18inequality_wrapperINSA_8EqualityEEEPlJS6_EEE10hipError_tPvRmT3_T4_T5_T6_T7_T9_mT8_P12ihipStream_tbDpT10_ENKUlT_T0_E_clISt17integral_constantIbLb0EES1E_EEDaS19_S1A_EUlS19_E_NS1_11comp_targetILNS1_3genE5ELNS1_11target_archE942ELNS1_3gpuE9ELNS1_3repE0EEENS1_30default_config_static_selectorELNS0_4arch9wavefront6targetE0EEEvT1_: ; @_ZN7rocprim17ROCPRIM_400000_NS6detail17trampoline_kernelINS0_14default_configENS1_25partition_config_selectorILNS1_17partition_subalgoE8EbNS0_10empty_typeEbEEZZNS1_14partition_implILS5_8ELb0ES3_jN6hipcub16HIPCUB_304000_NS22TransformInputIteratorIbN2at6native8internal12_GLOBAL__N_110LoadBoolOpEPKhlEEPS6_PKS6_NS0_5tupleIJPbS6_EEENSN_IJSK_SK_EEENS0_18inequality_wrapperINSA_8EqualityEEEPlJS6_EEE10hipError_tPvRmT3_T4_T5_T6_T7_T9_mT8_P12ihipStream_tbDpT10_ENKUlT_T0_E_clISt17integral_constantIbLb0EES1E_EEDaS19_S1A_EUlS19_E_NS1_11comp_targetILNS1_3genE5ELNS1_11target_archE942ELNS1_3gpuE9ELNS1_3repE0EEENS1_30default_config_static_selectorELNS0_4arch9wavefront6targetE0EEEvT1_
; %bb.0:
	.section	.rodata,"a",@progbits
	.p2align	6, 0x0
	.amdhsa_kernel _ZN7rocprim17ROCPRIM_400000_NS6detail17trampoline_kernelINS0_14default_configENS1_25partition_config_selectorILNS1_17partition_subalgoE8EbNS0_10empty_typeEbEEZZNS1_14partition_implILS5_8ELb0ES3_jN6hipcub16HIPCUB_304000_NS22TransformInputIteratorIbN2at6native8internal12_GLOBAL__N_110LoadBoolOpEPKhlEEPS6_PKS6_NS0_5tupleIJPbS6_EEENSN_IJSK_SK_EEENS0_18inequality_wrapperINSA_8EqualityEEEPlJS6_EEE10hipError_tPvRmT3_T4_T5_T6_T7_T9_mT8_P12ihipStream_tbDpT10_ENKUlT_T0_E_clISt17integral_constantIbLb0EES1E_EEDaS19_S1A_EUlS19_E_NS1_11comp_targetILNS1_3genE5ELNS1_11target_archE942ELNS1_3gpuE9ELNS1_3repE0EEENS1_30default_config_static_selectorELNS0_4arch9wavefront6targetE0EEEvT1_
		.amdhsa_group_segment_fixed_size 0
		.amdhsa_private_segment_fixed_size 0
		.amdhsa_kernarg_size 120
		.amdhsa_user_sgpr_count 2
		.amdhsa_user_sgpr_dispatch_ptr 0
		.amdhsa_user_sgpr_queue_ptr 0
		.amdhsa_user_sgpr_kernarg_segment_ptr 1
		.amdhsa_user_sgpr_dispatch_id 0
		.amdhsa_user_sgpr_kernarg_preload_length 0
		.amdhsa_user_sgpr_kernarg_preload_offset 0
		.amdhsa_user_sgpr_private_segment_size 0
		.amdhsa_wavefront_size32 1
		.amdhsa_uses_dynamic_stack 0
		.amdhsa_enable_private_segment 0
		.amdhsa_system_sgpr_workgroup_id_x 1
		.amdhsa_system_sgpr_workgroup_id_y 0
		.amdhsa_system_sgpr_workgroup_id_z 0
		.amdhsa_system_sgpr_workgroup_info 0
		.amdhsa_system_vgpr_workitem_id 0
		.amdhsa_next_free_vgpr 1
		.amdhsa_next_free_sgpr 1
		.amdhsa_named_barrier_count 0
		.amdhsa_reserve_vcc 0
		.amdhsa_float_round_mode_32 0
		.amdhsa_float_round_mode_16_64 0
		.amdhsa_float_denorm_mode_32 3
		.amdhsa_float_denorm_mode_16_64 3
		.amdhsa_fp16_overflow 0
		.amdhsa_memory_ordered 1
		.amdhsa_forward_progress 1
		.amdhsa_inst_pref_size 0
		.amdhsa_round_robin_scheduling 0
		.amdhsa_exception_fp_ieee_invalid_op 0
		.amdhsa_exception_fp_denorm_src 0
		.amdhsa_exception_fp_ieee_div_zero 0
		.amdhsa_exception_fp_ieee_overflow 0
		.amdhsa_exception_fp_ieee_underflow 0
		.amdhsa_exception_fp_ieee_inexact 0
		.amdhsa_exception_int_div_zero 0
	.end_amdhsa_kernel
	.section	.text._ZN7rocprim17ROCPRIM_400000_NS6detail17trampoline_kernelINS0_14default_configENS1_25partition_config_selectorILNS1_17partition_subalgoE8EbNS0_10empty_typeEbEEZZNS1_14partition_implILS5_8ELb0ES3_jN6hipcub16HIPCUB_304000_NS22TransformInputIteratorIbN2at6native8internal12_GLOBAL__N_110LoadBoolOpEPKhlEEPS6_PKS6_NS0_5tupleIJPbS6_EEENSN_IJSK_SK_EEENS0_18inequality_wrapperINSA_8EqualityEEEPlJS6_EEE10hipError_tPvRmT3_T4_T5_T6_T7_T9_mT8_P12ihipStream_tbDpT10_ENKUlT_T0_E_clISt17integral_constantIbLb0EES1E_EEDaS19_S1A_EUlS19_E_NS1_11comp_targetILNS1_3genE5ELNS1_11target_archE942ELNS1_3gpuE9ELNS1_3repE0EEENS1_30default_config_static_selectorELNS0_4arch9wavefront6targetE0EEEvT1_,"axG",@progbits,_ZN7rocprim17ROCPRIM_400000_NS6detail17trampoline_kernelINS0_14default_configENS1_25partition_config_selectorILNS1_17partition_subalgoE8EbNS0_10empty_typeEbEEZZNS1_14partition_implILS5_8ELb0ES3_jN6hipcub16HIPCUB_304000_NS22TransformInputIteratorIbN2at6native8internal12_GLOBAL__N_110LoadBoolOpEPKhlEEPS6_PKS6_NS0_5tupleIJPbS6_EEENSN_IJSK_SK_EEENS0_18inequality_wrapperINSA_8EqualityEEEPlJS6_EEE10hipError_tPvRmT3_T4_T5_T6_T7_T9_mT8_P12ihipStream_tbDpT10_ENKUlT_T0_E_clISt17integral_constantIbLb0EES1E_EEDaS19_S1A_EUlS19_E_NS1_11comp_targetILNS1_3genE5ELNS1_11target_archE942ELNS1_3gpuE9ELNS1_3repE0EEENS1_30default_config_static_selectorELNS0_4arch9wavefront6targetE0EEEvT1_,comdat
.Lfunc_end6:
	.size	_ZN7rocprim17ROCPRIM_400000_NS6detail17trampoline_kernelINS0_14default_configENS1_25partition_config_selectorILNS1_17partition_subalgoE8EbNS0_10empty_typeEbEEZZNS1_14partition_implILS5_8ELb0ES3_jN6hipcub16HIPCUB_304000_NS22TransformInputIteratorIbN2at6native8internal12_GLOBAL__N_110LoadBoolOpEPKhlEEPS6_PKS6_NS0_5tupleIJPbS6_EEENSN_IJSK_SK_EEENS0_18inequality_wrapperINSA_8EqualityEEEPlJS6_EEE10hipError_tPvRmT3_T4_T5_T6_T7_T9_mT8_P12ihipStream_tbDpT10_ENKUlT_T0_E_clISt17integral_constantIbLb0EES1E_EEDaS19_S1A_EUlS19_E_NS1_11comp_targetILNS1_3genE5ELNS1_11target_archE942ELNS1_3gpuE9ELNS1_3repE0EEENS1_30default_config_static_selectorELNS0_4arch9wavefront6targetE0EEEvT1_, .Lfunc_end6-_ZN7rocprim17ROCPRIM_400000_NS6detail17trampoline_kernelINS0_14default_configENS1_25partition_config_selectorILNS1_17partition_subalgoE8EbNS0_10empty_typeEbEEZZNS1_14partition_implILS5_8ELb0ES3_jN6hipcub16HIPCUB_304000_NS22TransformInputIteratorIbN2at6native8internal12_GLOBAL__N_110LoadBoolOpEPKhlEEPS6_PKS6_NS0_5tupleIJPbS6_EEENSN_IJSK_SK_EEENS0_18inequality_wrapperINSA_8EqualityEEEPlJS6_EEE10hipError_tPvRmT3_T4_T5_T6_T7_T9_mT8_P12ihipStream_tbDpT10_ENKUlT_T0_E_clISt17integral_constantIbLb0EES1E_EEDaS19_S1A_EUlS19_E_NS1_11comp_targetILNS1_3genE5ELNS1_11target_archE942ELNS1_3gpuE9ELNS1_3repE0EEENS1_30default_config_static_selectorELNS0_4arch9wavefront6targetE0EEEvT1_
                                        ; -- End function
	.set _ZN7rocprim17ROCPRIM_400000_NS6detail17trampoline_kernelINS0_14default_configENS1_25partition_config_selectorILNS1_17partition_subalgoE8EbNS0_10empty_typeEbEEZZNS1_14partition_implILS5_8ELb0ES3_jN6hipcub16HIPCUB_304000_NS22TransformInputIteratorIbN2at6native8internal12_GLOBAL__N_110LoadBoolOpEPKhlEEPS6_PKS6_NS0_5tupleIJPbS6_EEENSN_IJSK_SK_EEENS0_18inequality_wrapperINSA_8EqualityEEEPlJS6_EEE10hipError_tPvRmT3_T4_T5_T6_T7_T9_mT8_P12ihipStream_tbDpT10_ENKUlT_T0_E_clISt17integral_constantIbLb0EES1E_EEDaS19_S1A_EUlS19_E_NS1_11comp_targetILNS1_3genE5ELNS1_11target_archE942ELNS1_3gpuE9ELNS1_3repE0EEENS1_30default_config_static_selectorELNS0_4arch9wavefront6targetE0EEEvT1_.num_vgpr, 0
	.set _ZN7rocprim17ROCPRIM_400000_NS6detail17trampoline_kernelINS0_14default_configENS1_25partition_config_selectorILNS1_17partition_subalgoE8EbNS0_10empty_typeEbEEZZNS1_14partition_implILS5_8ELb0ES3_jN6hipcub16HIPCUB_304000_NS22TransformInputIteratorIbN2at6native8internal12_GLOBAL__N_110LoadBoolOpEPKhlEEPS6_PKS6_NS0_5tupleIJPbS6_EEENSN_IJSK_SK_EEENS0_18inequality_wrapperINSA_8EqualityEEEPlJS6_EEE10hipError_tPvRmT3_T4_T5_T6_T7_T9_mT8_P12ihipStream_tbDpT10_ENKUlT_T0_E_clISt17integral_constantIbLb0EES1E_EEDaS19_S1A_EUlS19_E_NS1_11comp_targetILNS1_3genE5ELNS1_11target_archE942ELNS1_3gpuE9ELNS1_3repE0EEENS1_30default_config_static_selectorELNS0_4arch9wavefront6targetE0EEEvT1_.num_agpr, 0
	.set _ZN7rocprim17ROCPRIM_400000_NS6detail17trampoline_kernelINS0_14default_configENS1_25partition_config_selectorILNS1_17partition_subalgoE8EbNS0_10empty_typeEbEEZZNS1_14partition_implILS5_8ELb0ES3_jN6hipcub16HIPCUB_304000_NS22TransformInputIteratorIbN2at6native8internal12_GLOBAL__N_110LoadBoolOpEPKhlEEPS6_PKS6_NS0_5tupleIJPbS6_EEENSN_IJSK_SK_EEENS0_18inequality_wrapperINSA_8EqualityEEEPlJS6_EEE10hipError_tPvRmT3_T4_T5_T6_T7_T9_mT8_P12ihipStream_tbDpT10_ENKUlT_T0_E_clISt17integral_constantIbLb0EES1E_EEDaS19_S1A_EUlS19_E_NS1_11comp_targetILNS1_3genE5ELNS1_11target_archE942ELNS1_3gpuE9ELNS1_3repE0EEENS1_30default_config_static_selectorELNS0_4arch9wavefront6targetE0EEEvT1_.numbered_sgpr, 0
	.set _ZN7rocprim17ROCPRIM_400000_NS6detail17trampoline_kernelINS0_14default_configENS1_25partition_config_selectorILNS1_17partition_subalgoE8EbNS0_10empty_typeEbEEZZNS1_14partition_implILS5_8ELb0ES3_jN6hipcub16HIPCUB_304000_NS22TransformInputIteratorIbN2at6native8internal12_GLOBAL__N_110LoadBoolOpEPKhlEEPS6_PKS6_NS0_5tupleIJPbS6_EEENSN_IJSK_SK_EEENS0_18inequality_wrapperINSA_8EqualityEEEPlJS6_EEE10hipError_tPvRmT3_T4_T5_T6_T7_T9_mT8_P12ihipStream_tbDpT10_ENKUlT_T0_E_clISt17integral_constantIbLb0EES1E_EEDaS19_S1A_EUlS19_E_NS1_11comp_targetILNS1_3genE5ELNS1_11target_archE942ELNS1_3gpuE9ELNS1_3repE0EEENS1_30default_config_static_selectorELNS0_4arch9wavefront6targetE0EEEvT1_.num_named_barrier, 0
	.set _ZN7rocprim17ROCPRIM_400000_NS6detail17trampoline_kernelINS0_14default_configENS1_25partition_config_selectorILNS1_17partition_subalgoE8EbNS0_10empty_typeEbEEZZNS1_14partition_implILS5_8ELb0ES3_jN6hipcub16HIPCUB_304000_NS22TransformInputIteratorIbN2at6native8internal12_GLOBAL__N_110LoadBoolOpEPKhlEEPS6_PKS6_NS0_5tupleIJPbS6_EEENSN_IJSK_SK_EEENS0_18inequality_wrapperINSA_8EqualityEEEPlJS6_EEE10hipError_tPvRmT3_T4_T5_T6_T7_T9_mT8_P12ihipStream_tbDpT10_ENKUlT_T0_E_clISt17integral_constantIbLb0EES1E_EEDaS19_S1A_EUlS19_E_NS1_11comp_targetILNS1_3genE5ELNS1_11target_archE942ELNS1_3gpuE9ELNS1_3repE0EEENS1_30default_config_static_selectorELNS0_4arch9wavefront6targetE0EEEvT1_.private_seg_size, 0
	.set _ZN7rocprim17ROCPRIM_400000_NS6detail17trampoline_kernelINS0_14default_configENS1_25partition_config_selectorILNS1_17partition_subalgoE8EbNS0_10empty_typeEbEEZZNS1_14partition_implILS5_8ELb0ES3_jN6hipcub16HIPCUB_304000_NS22TransformInputIteratorIbN2at6native8internal12_GLOBAL__N_110LoadBoolOpEPKhlEEPS6_PKS6_NS0_5tupleIJPbS6_EEENSN_IJSK_SK_EEENS0_18inequality_wrapperINSA_8EqualityEEEPlJS6_EEE10hipError_tPvRmT3_T4_T5_T6_T7_T9_mT8_P12ihipStream_tbDpT10_ENKUlT_T0_E_clISt17integral_constantIbLb0EES1E_EEDaS19_S1A_EUlS19_E_NS1_11comp_targetILNS1_3genE5ELNS1_11target_archE942ELNS1_3gpuE9ELNS1_3repE0EEENS1_30default_config_static_selectorELNS0_4arch9wavefront6targetE0EEEvT1_.uses_vcc, 0
	.set _ZN7rocprim17ROCPRIM_400000_NS6detail17trampoline_kernelINS0_14default_configENS1_25partition_config_selectorILNS1_17partition_subalgoE8EbNS0_10empty_typeEbEEZZNS1_14partition_implILS5_8ELb0ES3_jN6hipcub16HIPCUB_304000_NS22TransformInputIteratorIbN2at6native8internal12_GLOBAL__N_110LoadBoolOpEPKhlEEPS6_PKS6_NS0_5tupleIJPbS6_EEENSN_IJSK_SK_EEENS0_18inequality_wrapperINSA_8EqualityEEEPlJS6_EEE10hipError_tPvRmT3_T4_T5_T6_T7_T9_mT8_P12ihipStream_tbDpT10_ENKUlT_T0_E_clISt17integral_constantIbLb0EES1E_EEDaS19_S1A_EUlS19_E_NS1_11comp_targetILNS1_3genE5ELNS1_11target_archE942ELNS1_3gpuE9ELNS1_3repE0EEENS1_30default_config_static_selectorELNS0_4arch9wavefront6targetE0EEEvT1_.uses_flat_scratch, 0
	.set _ZN7rocprim17ROCPRIM_400000_NS6detail17trampoline_kernelINS0_14default_configENS1_25partition_config_selectorILNS1_17partition_subalgoE8EbNS0_10empty_typeEbEEZZNS1_14partition_implILS5_8ELb0ES3_jN6hipcub16HIPCUB_304000_NS22TransformInputIteratorIbN2at6native8internal12_GLOBAL__N_110LoadBoolOpEPKhlEEPS6_PKS6_NS0_5tupleIJPbS6_EEENSN_IJSK_SK_EEENS0_18inequality_wrapperINSA_8EqualityEEEPlJS6_EEE10hipError_tPvRmT3_T4_T5_T6_T7_T9_mT8_P12ihipStream_tbDpT10_ENKUlT_T0_E_clISt17integral_constantIbLb0EES1E_EEDaS19_S1A_EUlS19_E_NS1_11comp_targetILNS1_3genE5ELNS1_11target_archE942ELNS1_3gpuE9ELNS1_3repE0EEENS1_30default_config_static_selectorELNS0_4arch9wavefront6targetE0EEEvT1_.has_dyn_sized_stack, 0
	.set _ZN7rocprim17ROCPRIM_400000_NS6detail17trampoline_kernelINS0_14default_configENS1_25partition_config_selectorILNS1_17partition_subalgoE8EbNS0_10empty_typeEbEEZZNS1_14partition_implILS5_8ELb0ES3_jN6hipcub16HIPCUB_304000_NS22TransformInputIteratorIbN2at6native8internal12_GLOBAL__N_110LoadBoolOpEPKhlEEPS6_PKS6_NS0_5tupleIJPbS6_EEENSN_IJSK_SK_EEENS0_18inequality_wrapperINSA_8EqualityEEEPlJS6_EEE10hipError_tPvRmT3_T4_T5_T6_T7_T9_mT8_P12ihipStream_tbDpT10_ENKUlT_T0_E_clISt17integral_constantIbLb0EES1E_EEDaS19_S1A_EUlS19_E_NS1_11comp_targetILNS1_3genE5ELNS1_11target_archE942ELNS1_3gpuE9ELNS1_3repE0EEENS1_30default_config_static_selectorELNS0_4arch9wavefront6targetE0EEEvT1_.has_recursion, 0
	.set _ZN7rocprim17ROCPRIM_400000_NS6detail17trampoline_kernelINS0_14default_configENS1_25partition_config_selectorILNS1_17partition_subalgoE8EbNS0_10empty_typeEbEEZZNS1_14partition_implILS5_8ELb0ES3_jN6hipcub16HIPCUB_304000_NS22TransformInputIteratorIbN2at6native8internal12_GLOBAL__N_110LoadBoolOpEPKhlEEPS6_PKS6_NS0_5tupleIJPbS6_EEENSN_IJSK_SK_EEENS0_18inequality_wrapperINSA_8EqualityEEEPlJS6_EEE10hipError_tPvRmT3_T4_T5_T6_T7_T9_mT8_P12ihipStream_tbDpT10_ENKUlT_T0_E_clISt17integral_constantIbLb0EES1E_EEDaS19_S1A_EUlS19_E_NS1_11comp_targetILNS1_3genE5ELNS1_11target_archE942ELNS1_3gpuE9ELNS1_3repE0EEENS1_30default_config_static_selectorELNS0_4arch9wavefront6targetE0EEEvT1_.has_indirect_call, 0
	.section	.AMDGPU.csdata,"",@progbits
; Kernel info:
; codeLenInByte = 0
; TotalNumSgprs: 0
; NumVgprs: 0
; ScratchSize: 0
; MemoryBound: 0
; FloatMode: 240
; IeeeMode: 1
; LDSByteSize: 0 bytes/workgroup (compile time only)
; SGPRBlocks: 0
; VGPRBlocks: 0
; NumSGPRsForWavesPerEU: 1
; NumVGPRsForWavesPerEU: 1
; NamedBarCnt: 0
; Occupancy: 16
; WaveLimiterHint : 0
; COMPUTE_PGM_RSRC2:SCRATCH_EN: 0
; COMPUTE_PGM_RSRC2:USER_SGPR: 2
; COMPUTE_PGM_RSRC2:TRAP_HANDLER: 0
; COMPUTE_PGM_RSRC2:TGID_X_EN: 1
; COMPUTE_PGM_RSRC2:TGID_Y_EN: 0
; COMPUTE_PGM_RSRC2:TGID_Z_EN: 0
; COMPUTE_PGM_RSRC2:TIDIG_COMP_CNT: 0
	.section	.text._ZN7rocprim17ROCPRIM_400000_NS6detail17trampoline_kernelINS0_14default_configENS1_25partition_config_selectorILNS1_17partition_subalgoE8EbNS0_10empty_typeEbEEZZNS1_14partition_implILS5_8ELb0ES3_jN6hipcub16HIPCUB_304000_NS22TransformInputIteratorIbN2at6native8internal12_GLOBAL__N_110LoadBoolOpEPKhlEEPS6_PKS6_NS0_5tupleIJPbS6_EEENSN_IJSK_SK_EEENS0_18inequality_wrapperINSA_8EqualityEEEPlJS6_EEE10hipError_tPvRmT3_T4_T5_T6_T7_T9_mT8_P12ihipStream_tbDpT10_ENKUlT_T0_E_clISt17integral_constantIbLb0EES1E_EEDaS19_S1A_EUlS19_E_NS1_11comp_targetILNS1_3genE4ELNS1_11target_archE910ELNS1_3gpuE8ELNS1_3repE0EEENS1_30default_config_static_selectorELNS0_4arch9wavefront6targetE0EEEvT1_,"axG",@progbits,_ZN7rocprim17ROCPRIM_400000_NS6detail17trampoline_kernelINS0_14default_configENS1_25partition_config_selectorILNS1_17partition_subalgoE8EbNS0_10empty_typeEbEEZZNS1_14partition_implILS5_8ELb0ES3_jN6hipcub16HIPCUB_304000_NS22TransformInputIteratorIbN2at6native8internal12_GLOBAL__N_110LoadBoolOpEPKhlEEPS6_PKS6_NS0_5tupleIJPbS6_EEENSN_IJSK_SK_EEENS0_18inequality_wrapperINSA_8EqualityEEEPlJS6_EEE10hipError_tPvRmT3_T4_T5_T6_T7_T9_mT8_P12ihipStream_tbDpT10_ENKUlT_T0_E_clISt17integral_constantIbLb0EES1E_EEDaS19_S1A_EUlS19_E_NS1_11comp_targetILNS1_3genE4ELNS1_11target_archE910ELNS1_3gpuE8ELNS1_3repE0EEENS1_30default_config_static_selectorELNS0_4arch9wavefront6targetE0EEEvT1_,comdat
	.globl	_ZN7rocprim17ROCPRIM_400000_NS6detail17trampoline_kernelINS0_14default_configENS1_25partition_config_selectorILNS1_17partition_subalgoE8EbNS0_10empty_typeEbEEZZNS1_14partition_implILS5_8ELb0ES3_jN6hipcub16HIPCUB_304000_NS22TransformInputIteratorIbN2at6native8internal12_GLOBAL__N_110LoadBoolOpEPKhlEEPS6_PKS6_NS0_5tupleIJPbS6_EEENSN_IJSK_SK_EEENS0_18inequality_wrapperINSA_8EqualityEEEPlJS6_EEE10hipError_tPvRmT3_T4_T5_T6_T7_T9_mT8_P12ihipStream_tbDpT10_ENKUlT_T0_E_clISt17integral_constantIbLb0EES1E_EEDaS19_S1A_EUlS19_E_NS1_11comp_targetILNS1_3genE4ELNS1_11target_archE910ELNS1_3gpuE8ELNS1_3repE0EEENS1_30default_config_static_selectorELNS0_4arch9wavefront6targetE0EEEvT1_ ; -- Begin function _ZN7rocprim17ROCPRIM_400000_NS6detail17trampoline_kernelINS0_14default_configENS1_25partition_config_selectorILNS1_17partition_subalgoE8EbNS0_10empty_typeEbEEZZNS1_14partition_implILS5_8ELb0ES3_jN6hipcub16HIPCUB_304000_NS22TransformInputIteratorIbN2at6native8internal12_GLOBAL__N_110LoadBoolOpEPKhlEEPS6_PKS6_NS0_5tupleIJPbS6_EEENSN_IJSK_SK_EEENS0_18inequality_wrapperINSA_8EqualityEEEPlJS6_EEE10hipError_tPvRmT3_T4_T5_T6_T7_T9_mT8_P12ihipStream_tbDpT10_ENKUlT_T0_E_clISt17integral_constantIbLb0EES1E_EEDaS19_S1A_EUlS19_E_NS1_11comp_targetILNS1_3genE4ELNS1_11target_archE910ELNS1_3gpuE8ELNS1_3repE0EEENS1_30default_config_static_selectorELNS0_4arch9wavefront6targetE0EEEvT1_
	.p2align	8
	.type	_ZN7rocprim17ROCPRIM_400000_NS6detail17trampoline_kernelINS0_14default_configENS1_25partition_config_selectorILNS1_17partition_subalgoE8EbNS0_10empty_typeEbEEZZNS1_14partition_implILS5_8ELb0ES3_jN6hipcub16HIPCUB_304000_NS22TransformInputIteratorIbN2at6native8internal12_GLOBAL__N_110LoadBoolOpEPKhlEEPS6_PKS6_NS0_5tupleIJPbS6_EEENSN_IJSK_SK_EEENS0_18inequality_wrapperINSA_8EqualityEEEPlJS6_EEE10hipError_tPvRmT3_T4_T5_T6_T7_T9_mT8_P12ihipStream_tbDpT10_ENKUlT_T0_E_clISt17integral_constantIbLb0EES1E_EEDaS19_S1A_EUlS19_E_NS1_11comp_targetILNS1_3genE4ELNS1_11target_archE910ELNS1_3gpuE8ELNS1_3repE0EEENS1_30default_config_static_selectorELNS0_4arch9wavefront6targetE0EEEvT1_,@function
_ZN7rocprim17ROCPRIM_400000_NS6detail17trampoline_kernelINS0_14default_configENS1_25partition_config_selectorILNS1_17partition_subalgoE8EbNS0_10empty_typeEbEEZZNS1_14partition_implILS5_8ELb0ES3_jN6hipcub16HIPCUB_304000_NS22TransformInputIteratorIbN2at6native8internal12_GLOBAL__N_110LoadBoolOpEPKhlEEPS6_PKS6_NS0_5tupleIJPbS6_EEENSN_IJSK_SK_EEENS0_18inequality_wrapperINSA_8EqualityEEEPlJS6_EEE10hipError_tPvRmT3_T4_T5_T6_T7_T9_mT8_P12ihipStream_tbDpT10_ENKUlT_T0_E_clISt17integral_constantIbLb0EES1E_EEDaS19_S1A_EUlS19_E_NS1_11comp_targetILNS1_3genE4ELNS1_11target_archE910ELNS1_3gpuE8ELNS1_3repE0EEENS1_30default_config_static_selectorELNS0_4arch9wavefront6targetE0EEEvT1_: ; @_ZN7rocprim17ROCPRIM_400000_NS6detail17trampoline_kernelINS0_14default_configENS1_25partition_config_selectorILNS1_17partition_subalgoE8EbNS0_10empty_typeEbEEZZNS1_14partition_implILS5_8ELb0ES3_jN6hipcub16HIPCUB_304000_NS22TransformInputIteratorIbN2at6native8internal12_GLOBAL__N_110LoadBoolOpEPKhlEEPS6_PKS6_NS0_5tupleIJPbS6_EEENSN_IJSK_SK_EEENS0_18inequality_wrapperINSA_8EqualityEEEPlJS6_EEE10hipError_tPvRmT3_T4_T5_T6_T7_T9_mT8_P12ihipStream_tbDpT10_ENKUlT_T0_E_clISt17integral_constantIbLb0EES1E_EEDaS19_S1A_EUlS19_E_NS1_11comp_targetILNS1_3genE4ELNS1_11target_archE910ELNS1_3gpuE8ELNS1_3repE0EEENS1_30default_config_static_selectorELNS0_4arch9wavefront6targetE0EEEvT1_
; %bb.0:
	.section	.rodata,"a",@progbits
	.p2align	6, 0x0
	.amdhsa_kernel _ZN7rocprim17ROCPRIM_400000_NS6detail17trampoline_kernelINS0_14default_configENS1_25partition_config_selectorILNS1_17partition_subalgoE8EbNS0_10empty_typeEbEEZZNS1_14partition_implILS5_8ELb0ES3_jN6hipcub16HIPCUB_304000_NS22TransformInputIteratorIbN2at6native8internal12_GLOBAL__N_110LoadBoolOpEPKhlEEPS6_PKS6_NS0_5tupleIJPbS6_EEENSN_IJSK_SK_EEENS0_18inequality_wrapperINSA_8EqualityEEEPlJS6_EEE10hipError_tPvRmT3_T4_T5_T6_T7_T9_mT8_P12ihipStream_tbDpT10_ENKUlT_T0_E_clISt17integral_constantIbLb0EES1E_EEDaS19_S1A_EUlS19_E_NS1_11comp_targetILNS1_3genE4ELNS1_11target_archE910ELNS1_3gpuE8ELNS1_3repE0EEENS1_30default_config_static_selectorELNS0_4arch9wavefront6targetE0EEEvT1_
		.amdhsa_group_segment_fixed_size 0
		.amdhsa_private_segment_fixed_size 0
		.amdhsa_kernarg_size 120
		.amdhsa_user_sgpr_count 2
		.amdhsa_user_sgpr_dispatch_ptr 0
		.amdhsa_user_sgpr_queue_ptr 0
		.amdhsa_user_sgpr_kernarg_segment_ptr 1
		.amdhsa_user_sgpr_dispatch_id 0
		.amdhsa_user_sgpr_kernarg_preload_length 0
		.amdhsa_user_sgpr_kernarg_preload_offset 0
		.amdhsa_user_sgpr_private_segment_size 0
		.amdhsa_wavefront_size32 1
		.amdhsa_uses_dynamic_stack 0
		.amdhsa_enable_private_segment 0
		.amdhsa_system_sgpr_workgroup_id_x 1
		.amdhsa_system_sgpr_workgroup_id_y 0
		.amdhsa_system_sgpr_workgroup_id_z 0
		.amdhsa_system_sgpr_workgroup_info 0
		.amdhsa_system_vgpr_workitem_id 0
		.amdhsa_next_free_vgpr 1
		.amdhsa_next_free_sgpr 1
		.amdhsa_named_barrier_count 0
		.amdhsa_reserve_vcc 0
		.amdhsa_float_round_mode_32 0
		.amdhsa_float_round_mode_16_64 0
		.amdhsa_float_denorm_mode_32 3
		.amdhsa_float_denorm_mode_16_64 3
		.amdhsa_fp16_overflow 0
		.amdhsa_memory_ordered 1
		.amdhsa_forward_progress 1
		.amdhsa_inst_pref_size 0
		.amdhsa_round_robin_scheduling 0
		.amdhsa_exception_fp_ieee_invalid_op 0
		.amdhsa_exception_fp_denorm_src 0
		.amdhsa_exception_fp_ieee_div_zero 0
		.amdhsa_exception_fp_ieee_overflow 0
		.amdhsa_exception_fp_ieee_underflow 0
		.amdhsa_exception_fp_ieee_inexact 0
		.amdhsa_exception_int_div_zero 0
	.end_amdhsa_kernel
	.section	.text._ZN7rocprim17ROCPRIM_400000_NS6detail17trampoline_kernelINS0_14default_configENS1_25partition_config_selectorILNS1_17partition_subalgoE8EbNS0_10empty_typeEbEEZZNS1_14partition_implILS5_8ELb0ES3_jN6hipcub16HIPCUB_304000_NS22TransformInputIteratorIbN2at6native8internal12_GLOBAL__N_110LoadBoolOpEPKhlEEPS6_PKS6_NS0_5tupleIJPbS6_EEENSN_IJSK_SK_EEENS0_18inequality_wrapperINSA_8EqualityEEEPlJS6_EEE10hipError_tPvRmT3_T4_T5_T6_T7_T9_mT8_P12ihipStream_tbDpT10_ENKUlT_T0_E_clISt17integral_constantIbLb0EES1E_EEDaS19_S1A_EUlS19_E_NS1_11comp_targetILNS1_3genE4ELNS1_11target_archE910ELNS1_3gpuE8ELNS1_3repE0EEENS1_30default_config_static_selectorELNS0_4arch9wavefront6targetE0EEEvT1_,"axG",@progbits,_ZN7rocprim17ROCPRIM_400000_NS6detail17trampoline_kernelINS0_14default_configENS1_25partition_config_selectorILNS1_17partition_subalgoE8EbNS0_10empty_typeEbEEZZNS1_14partition_implILS5_8ELb0ES3_jN6hipcub16HIPCUB_304000_NS22TransformInputIteratorIbN2at6native8internal12_GLOBAL__N_110LoadBoolOpEPKhlEEPS6_PKS6_NS0_5tupleIJPbS6_EEENSN_IJSK_SK_EEENS0_18inequality_wrapperINSA_8EqualityEEEPlJS6_EEE10hipError_tPvRmT3_T4_T5_T6_T7_T9_mT8_P12ihipStream_tbDpT10_ENKUlT_T0_E_clISt17integral_constantIbLb0EES1E_EEDaS19_S1A_EUlS19_E_NS1_11comp_targetILNS1_3genE4ELNS1_11target_archE910ELNS1_3gpuE8ELNS1_3repE0EEENS1_30default_config_static_selectorELNS0_4arch9wavefront6targetE0EEEvT1_,comdat
.Lfunc_end7:
	.size	_ZN7rocprim17ROCPRIM_400000_NS6detail17trampoline_kernelINS0_14default_configENS1_25partition_config_selectorILNS1_17partition_subalgoE8EbNS0_10empty_typeEbEEZZNS1_14partition_implILS5_8ELb0ES3_jN6hipcub16HIPCUB_304000_NS22TransformInputIteratorIbN2at6native8internal12_GLOBAL__N_110LoadBoolOpEPKhlEEPS6_PKS6_NS0_5tupleIJPbS6_EEENSN_IJSK_SK_EEENS0_18inequality_wrapperINSA_8EqualityEEEPlJS6_EEE10hipError_tPvRmT3_T4_T5_T6_T7_T9_mT8_P12ihipStream_tbDpT10_ENKUlT_T0_E_clISt17integral_constantIbLb0EES1E_EEDaS19_S1A_EUlS19_E_NS1_11comp_targetILNS1_3genE4ELNS1_11target_archE910ELNS1_3gpuE8ELNS1_3repE0EEENS1_30default_config_static_selectorELNS0_4arch9wavefront6targetE0EEEvT1_, .Lfunc_end7-_ZN7rocprim17ROCPRIM_400000_NS6detail17trampoline_kernelINS0_14default_configENS1_25partition_config_selectorILNS1_17partition_subalgoE8EbNS0_10empty_typeEbEEZZNS1_14partition_implILS5_8ELb0ES3_jN6hipcub16HIPCUB_304000_NS22TransformInputIteratorIbN2at6native8internal12_GLOBAL__N_110LoadBoolOpEPKhlEEPS6_PKS6_NS0_5tupleIJPbS6_EEENSN_IJSK_SK_EEENS0_18inequality_wrapperINSA_8EqualityEEEPlJS6_EEE10hipError_tPvRmT3_T4_T5_T6_T7_T9_mT8_P12ihipStream_tbDpT10_ENKUlT_T0_E_clISt17integral_constantIbLb0EES1E_EEDaS19_S1A_EUlS19_E_NS1_11comp_targetILNS1_3genE4ELNS1_11target_archE910ELNS1_3gpuE8ELNS1_3repE0EEENS1_30default_config_static_selectorELNS0_4arch9wavefront6targetE0EEEvT1_
                                        ; -- End function
	.set _ZN7rocprim17ROCPRIM_400000_NS6detail17trampoline_kernelINS0_14default_configENS1_25partition_config_selectorILNS1_17partition_subalgoE8EbNS0_10empty_typeEbEEZZNS1_14partition_implILS5_8ELb0ES3_jN6hipcub16HIPCUB_304000_NS22TransformInputIteratorIbN2at6native8internal12_GLOBAL__N_110LoadBoolOpEPKhlEEPS6_PKS6_NS0_5tupleIJPbS6_EEENSN_IJSK_SK_EEENS0_18inequality_wrapperINSA_8EqualityEEEPlJS6_EEE10hipError_tPvRmT3_T4_T5_T6_T7_T9_mT8_P12ihipStream_tbDpT10_ENKUlT_T0_E_clISt17integral_constantIbLb0EES1E_EEDaS19_S1A_EUlS19_E_NS1_11comp_targetILNS1_3genE4ELNS1_11target_archE910ELNS1_3gpuE8ELNS1_3repE0EEENS1_30default_config_static_selectorELNS0_4arch9wavefront6targetE0EEEvT1_.num_vgpr, 0
	.set _ZN7rocprim17ROCPRIM_400000_NS6detail17trampoline_kernelINS0_14default_configENS1_25partition_config_selectorILNS1_17partition_subalgoE8EbNS0_10empty_typeEbEEZZNS1_14partition_implILS5_8ELb0ES3_jN6hipcub16HIPCUB_304000_NS22TransformInputIteratorIbN2at6native8internal12_GLOBAL__N_110LoadBoolOpEPKhlEEPS6_PKS6_NS0_5tupleIJPbS6_EEENSN_IJSK_SK_EEENS0_18inequality_wrapperINSA_8EqualityEEEPlJS6_EEE10hipError_tPvRmT3_T4_T5_T6_T7_T9_mT8_P12ihipStream_tbDpT10_ENKUlT_T0_E_clISt17integral_constantIbLb0EES1E_EEDaS19_S1A_EUlS19_E_NS1_11comp_targetILNS1_3genE4ELNS1_11target_archE910ELNS1_3gpuE8ELNS1_3repE0EEENS1_30default_config_static_selectorELNS0_4arch9wavefront6targetE0EEEvT1_.num_agpr, 0
	.set _ZN7rocprim17ROCPRIM_400000_NS6detail17trampoline_kernelINS0_14default_configENS1_25partition_config_selectorILNS1_17partition_subalgoE8EbNS0_10empty_typeEbEEZZNS1_14partition_implILS5_8ELb0ES3_jN6hipcub16HIPCUB_304000_NS22TransformInputIteratorIbN2at6native8internal12_GLOBAL__N_110LoadBoolOpEPKhlEEPS6_PKS6_NS0_5tupleIJPbS6_EEENSN_IJSK_SK_EEENS0_18inequality_wrapperINSA_8EqualityEEEPlJS6_EEE10hipError_tPvRmT3_T4_T5_T6_T7_T9_mT8_P12ihipStream_tbDpT10_ENKUlT_T0_E_clISt17integral_constantIbLb0EES1E_EEDaS19_S1A_EUlS19_E_NS1_11comp_targetILNS1_3genE4ELNS1_11target_archE910ELNS1_3gpuE8ELNS1_3repE0EEENS1_30default_config_static_selectorELNS0_4arch9wavefront6targetE0EEEvT1_.numbered_sgpr, 0
	.set _ZN7rocprim17ROCPRIM_400000_NS6detail17trampoline_kernelINS0_14default_configENS1_25partition_config_selectorILNS1_17partition_subalgoE8EbNS0_10empty_typeEbEEZZNS1_14partition_implILS5_8ELb0ES3_jN6hipcub16HIPCUB_304000_NS22TransformInputIteratorIbN2at6native8internal12_GLOBAL__N_110LoadBoolOpEPKhlEEPS6_PKS6_NS0_5tupleIJPbS6_EEENSN_IJSK_SK_EEENS0_18inequality_wrapperINSA_8EqualityEEEPlJS6_EEE10hipError_tPvRmT3_T4_T5_T6_T7_T9_mT8_P12ihipStream_tbDpT10_ENKUlT_T0_E_clISt17integral_constantIbLb0EES1E_EEDaS19_S1A_EUlS19_E_NS1_11comp_targetILNS1_3genE4ELNS1_11target_archE910ELNS1_3gpuE8ELNS1_3repE0EEENS1_30default_config_static_selectorELNS0_4arch9wavefront6targetE0EEEvT1_.num_named_barrier, 0
	.set _ZN7rocprim17ROCPRIM_400000_NS6detail17trampoline_kernelINS0_14default_configENS1_25partition_config_selectorILNS1_17partition_subalgoE8EbNS0_10empty_typeEbEEZZNS1_14partition_implILS5_8ELb0ES3_jN6hipcub16HIPCUB_304000_NS22TransformInputIteratorIbN2at6native8internal12_GLOBAL__N_110LoadBoolOpEPKhlEEPS6_PKS6_NS0_5tupleIJPbS6_EEENSN_IJSK_SK_EEENS0_18inequality_wrapperINSA_8EqualityEEEPlJS6_EEE10hipError_tPvRmT3_T4_T5_T6_T7_T9_mT8_P12ihipStream_tbDpT10_ENKUlT_T0_E_clISt17integral_constantIbLb0EES1E_EEDaS19_S1A_EUlS19_E_NS1_11comp_targetILNS1_3genE4ELNS1_11target_archE910ELNS1_3gpuE8ELNS1_3repE0EEENS1_30default_config_static_selectorELNS0_4arch9wavefront6targetE0EEEvT1_.private_seg_size, 0
	.set _ZN7rocprim17ROCPRIM_400000_NS6detail17trampoline_kernelINS0_14default_configENS1_25partition_config_selectorILNS1_17partition_subalgoE8EbNS0_10empty_typeEbEEZZNS1_14partition_implILS5_8ELb0ES3_jN6hipcub16HIPCUB_304000_NS22TransformInputIteratorIbN2at6native8internal12_GLOBAL__N_110LoadBoolOpEPKhlEEPS6_PKS6_NS0_5tupleIJPbS6_EEENSN_IJSK_SK_EEENS0_18inequality_wrapperINSA_8EqualityEEEPlJS6_EEE10hipError_tPvRmT3_T4_T5_T6_T7_T9_mT8_P12ihipStream_tbDpT10_ENKUlT_T0_E_clISt17integral_constantIbLb0EES1E_EEDaS19_S1A_EUlS19_E_NS1_11comp_targetILNS1_3genE4ELNS1_11target_archE910ELNS1_3gpuE8ELNS1_3repE0EEENS1_30default_config_static_selectorELNS0_4arch9wavefront6targetE0EEEvT1_.uses_vcc, 0
	.set _ZN7rocprim17ROCPRIM_400000_NS6detail17trampoline_kernelINS0_14default_configENS1_25partition_config_selectorILNS1_17partition_subalgoE8EbNS0_10empty_typeEbEEZZNS1_14partition_implILS5_8ELb0ES3_jN6hipcub16HIPCUB_304000_NS22TransformInputIteratorIbN2at6native8internal12_GLOBAL__N_110LoadBoolOpEPKhlEEPS6_PKS6_NS0_5tupleIJPbS6_EEENSN_IJSK_SK_EEENS0_18inequality_wrapperINSA_8EqualityEEEPlJS6_EEE10hipError_tPvRmT3_T4_T5_T6_T7_T9_mT8_P12ihipStream_tbDpT10_ENKUlT_T0_E_clISt17integral_constantIbLb0EES1E_EEDaS19_S1A_EUlS19_E_NS1_11comp_targetILNS1_3genE4ELNS1_11target_archE910ELNS1_3gpuE8ELNS1_3repE0EEENS1_30default_config_static_selectorELNS0_4arch9wavefront6targetE0EEEvT1_.uses_flat_scratch, 0
	.set _ZN7rocprim17ROCPRIM_400000_NS6detail17trampoline_kernelINS0_14default_configENS1_25partition_config_selectorILNS1_17partition_subalgoE8EbNS0_10empty_typeEbEEZZNS1_14partition_implILS5_8ELb0ES3_jN6hipcub16HIPCUB_304000_NS22TransformInputIteratorIbN2at6native8internal12_GLOBAL__N_110LoadBoolOpEPKhlEEPS6_PKS6_NS0_5tupleIJPbS6_EEENSN_IJSK_SK_EEENS0_18inequality_wrapperINSA_8EqualityEEEPlJS6_EEE10hipError_tPvRmT3_T4_T5_T6_T7_T9_mT8_P12ihipStream_tbDpT10_ENKUlT_T0_E_clISt17integral_constantIbLb0EES1E_EEDaS19_S1A_EUlS19_E_NS1_11comp_targetILNS1_3genE4ELNS1_11target_archE910ELNS1_3gpuE8ELNS1_3repE0EEENS1_30default_config_static_selectorELNS0_4arch9wavefront6targetE0EEEvT1_.has_dyn_sized_stack, 0
	.set _ZN7rocprim17ROCPRIM_400000_NS6detail17trampoline_kernelINS0_14default_configENS1_25partition_config_selectorILNS1_17partition_subalgoE8EbNS0_10empty_typeEbEEZZNS1_14partition_implILS5_8ELb0ES3_jN6hipcub16HIPCUB_304000_NS22TransformInputIteratorIbN2at6native8internal12_GLOBAL__N_110LoadBoolOpEPKhlEEPS6_PKS6_NS0_5tupleIJPbS6_EEENSN_IJSK_SK_EEENS0_18inequality_wrapperINSA_8EqualityEEEPlJS6_EEE10hipError_tPvRmT3_T4_T5_T6_T7_T9_mT8_P12ihipStream_tbDpT10_ENKUlT_T0_E_clISt17integral_constantIbLb0EES1E_EEDaS19_S1A_EUlS19_E_NS1_11comp_targetILNS1_3genE4ELNS1_11target_archE910ELNS1_3gpuE8ELNS1_3repE0EEENS1_30default_config_static_selectorELNS0_4arch9wavefront6targetE0EEEvT1_.has_recursion, 0
	.set _ZN7rocprim17ROCPRIM_400000_NS6detail17trampoline_kernelINS0_14default_configENS1_25partition_config_selectorILNS1_17partition_subalgoE8EbNS0_10empty_typeEbEEZZNS1_14partition_implILS5_8ELb0ES3_jN6hipcub16HIPCUB_304000_NS22TransformInputIteratorIbN2at6native8internal12_GLOBAL__N_110LoadBoolOpEPKhlEEPS6_PKS6_NS0_5tupleIJPbS6_EEENSN_IJSK_SK_EEENS0_18inequality_wrapperINSA_8EqualityEEEPlJS6_EEE10hipError_tPvRmT3_T4_T5_T6_T7_T9_mT8_P12ihipStream_tbDpT10_ENKUlT_T0_E_clISt17integral_constantIbLb0EES1E_EEDaS19_S1A_EUlS19_E_NS1_11comp_targetILNS1_3genE4ELNS1_11target_archE910ELNS1_3gpuE8ELNS1_3repE0EEENS1_30default_config_static_selectorELNS0_4arch9wavefront6targetE0EEEvT1_.has_indirect_call, 0
	.section	.AMDGPU.csdata,"",@progbits
; Kernel info:
; codeLenInByte = 0
; TotalNumSgprs: 0
; NumVgprs: 0
; ScratchSize: 0
; MemoryBound: 0
; FloatMode: 240
; IeeeMode: 1
; LDSByteSize: 0 bytes/workgroup (compile time only)
; SGPRBlocks: 0
; VGPRBlocks: 0
; NumSGPRsForWavesPerEU: 1
; NumVGPRsForWavesPerEU: 1
; NamedBarCnt: 0
; Occupancy: 16
; WaveLimiterHint : 0
; COMPUTE_PGM_RSRC2:SCRATCH_EN: 0
; COMPUTE_PGM_RSRC2:USER_SGPR: 2
; COMPUTE_PGM_RSRC2:TRAP_HANDLER: 0
; COMPUTE_PGM_RSRC2:TGID_X_EN: 1
; COMPUTE_PGM_RSRC2:TGID_Y_EN: 0
; COMPUTE_PGM_RSRC2:TGID_Z_EN: 0
; COMPUTE_PGM_RSRC2:TIDIG_COMP_CNT: 0
	.section	.text._ZN7rocprim17ROCPRIM_400000_NS6detail17trampoline_kernelINS0_14default_configENS1_25partition_config_selectorILNS1_17partition_subalgoE8EbNS0_10empty_typeEbEEZZNS1_14partition_implILS5_8ELb0ES3_jN6hipcub16HIPCUB_304000_NS22TransformInputIteratorIbN2at6native8internal12_GLOBAL__N_110LoadBoolOpEPKhlEEPS6_PKS6_NS0_5tupleIJPbS6_EEENSN_IJSK_SK_EEENS0_18inequality_wrapperINSA_8EqualityEEEPlJS6_EEE10hipError_tPvRmT3_T4_T5_T6_T7_T9_mT8_P12ihipStream_tbDpT10_ENKUlT_T0_E_clISt17integral_constantIbLb0EES1E_EEDaS19_S1A_EUlS19_E_NS1_11comp_targetILNS1_3genE3ELNS1_11target_archE908ELNS1_3gpuE7ELNS1_3repE0EEENS1_30default_config_static_selectorELNS0_4arch9wavefront6targetE0EEEvT1_,"axG",@progbits,_ZN7rocprim17ROCPRIM_400000_NS6detail17trampoline_kernelINS0_14default_configENS1_25partition_config_selectorILNS1_17partition_subalgoE8EbNS0_10empty_typeEbEEZZNS1_14partition_implILS5_8ELb0ES3_jN6hipcub16HIPCUB_304000_NS22TransformInputIteratorIbN2at6native8internal12_GLOBAL__N_110LoadBoolOpEPKhlEEPS6_PKS6_NS0_5tupleIJPbS6_EEENSN_IJSK_SK_EEENS0_18inequality_wrapperINSA_8EqualityEEEPlJS6_EEE10hipError_tPvRmT3_T4_T5_T6_T7_T9_mT8_P12ihipStream_tbDpT10_ENKUlT_T0_E_clISt17integral_constantIbLb0EES1E_EEDaS19_S1A_EUlS19_E_NS1_11comp_targetILNS1_3genE3ELNS1_11target_archE908ELNS1_3gpuE7ELNS1_3repE0EEENS1_30default_config_static_selectorELNS0_4arch9wavefront6targetE0EEEvT1_,comdat
	.globl	_ZN7rocprim17ROCPRIM_400000_NS6detail17trampoline_kernelINS0_14default_configENS1_25partition_config_selectorILNS1_17partition_subalgoE8EbNS0_10empty_typeEbEEZZNS1_14partition_implILS5_8ELb0ES3_jN6hipcub16HIPCUB_304000_NS22TransformInputIteratorIbN2at6native8internal12_GLOBAL__N_110LoadBoolOpEPKhlEEPS6_PKS6_NS0_5tupleIJPbS6_EEENSN_IJSK_SK_EEENS0_18inequality_wrapperINSA_8EqualityEEEPlJS6_EEE10hipError_tPvRmT3_T4_T5_T6_T7_T9_mT8_P12ihipStream_tbDpT10_ENKUlT_T0_E_clISt17integral_constantIbLb0EES1E_EEDaS19_S1A_EUlS19_E_NS1_11comp_targetILNS1_3genE3ELNS1_11target_archE908ELNS1_3gpuE7ELNS1_3repE0EEENS1_30default_config_static_selectorELNS0_4arch9wavefront6targetE0EEEvT1_ ; -- Begin function _ZN7rocprim17ROCPRIM_400000_NS6detail17trampoline_kernelINS0_14default_configENS1_25partition_config_selectorILNS1_17partition_subalgoE8EbNS0_10empty_typeEbEEZZNS1_14partition_implILS5_8ELb0ES3_jN6hipcub16HIPCUB_304000_NS22TransformInputIteratorIbN2at6native8internal12_GLOBAL__N_110LoadBoolOpEPKhlEEPS6_PKS6_NS0_5tupleIJPbS6_EEENSN_IJSK_SK_EEENS0_18inequality_wrapperINSA_8EqualityEEEPlJS6_EEE10hipError_tPvRmT3_T4_T5_T6_T7_T9_mT8_P12ihipStream_tbDpT10_ENKUlT_T0_E_clISt17integral_constantIbLb0EES1E_EEDaS19_S1A_EUlS19_E_NS1_11comp_targetILNS1_3genE3ELNS1_11target_archE908ELNS1_3gpuE7ELNS1_3repE0EEENS1_30default_config_static_selectorELNS0_4arch9wavefront6targetE0EEEvT1_
	.p2align	8
	.type	_ZN7rocprim17ROCPRIM_400000_NS6detail17trampoline_kernelINS0_14default_configENS1_25partition_config_selectorILNS1_17partition_subalgoE8EbNS0_10empty_typeEbEEZZNS1_14partition_implILS5_8ELb0ES3_jN6hipcub16HIPCUB_304000_NS22TransformInputIteratorIbN2at6native8internal12_GLOBAL__N_110LoadBoolOpEPKhlEEPS6_PKS6_NS0_5tupleIJPbS6_EEENSN_IJSK_SK_EEENS0_18inequality_wrapperINSA_8EqualityEEEPlJS6_EEE10hipError_tPvRmT3_T4_T5_T6_T7_T9_mT8_P12ihipStream_tbDpT10_ENKUlT_T0_E_clISt17integral_constantIbLb0EES1E_EEDaS19_S1A_EUlS19_E_NS1_11comp_targetILNS1_3genE3ELNS1_11target_archE908ELNS1_3gpuE7ELNS1_3repE0EEENS1_30default_config_static_selectorELNS0_4arch9wavefront6targetE0EEEvT1_,@function
_ZN7rocprim17ROCPRIM_400000_NS6detail17trampoline_kernelINS0_14default_configENS1_25partition_config_selectorILNS1_17partition_subalgoE8EbNS0_10empty_typeEbEEZZNS1_14partition_implILS5_8ELb0ES3_jN6hipcub16HIPCUB_304000_NS22TransformInputIteratorIbN2at6native8internal12_GLOBAL__N_110LoadBoolOpEPKhlEEPS6_PKS6_NS0_5tupleIJPbS6_EEENSN_IJSK_SK_EEENS0_18inequality_wrapperINSA_8EqualityEEEPlJS6_EEE10hipError_tPvRmT3_T4_T5_T6_T7_T9_mT8_P12ihipStream_tbDpT10_ENKUlT_T0_E_clISt17integral_constantIbLb0EES1E_EEDaS19_S1A_EUlS19_E_NS1_11comp_targetILNS1_3genE3ELNS1_11target_archE908ELNS1_3gpuE7ELNS1_3repE0EEENS1_30default_config_static_selectorELNS0_4arch9wavefront6targetE0EEEvT1_: ; @_ZN7rocprim17ROCPRIM_400000_NS6detail17trampoline_kernelINS0_14default_configENS1_25partition_config_selectorILNS1_17partition_subalgoE8EbNS0_10empty_typeEbEEZZNS1_14partition_implILS5_8ELb0ES3_jN6hipcub16HIPCUB_304000_NS22TransformInputIteratorIbN2at6native8internal12_GLOBAL__N_110LoadBoolOpEPKhlEEPS6_PKS6_NS0_5tupleIJPbS6_EEENSN_IJSK_SK_EEENS0_18inequality_wrapperINSA_8EqualityEEEPlJS6_EEE10hipError_tPvRmT3_T4_T5_T6_T7_T9_mT8_P12ihipStream_tbDpT10_ENKUlT_T0_E_clISt17integral_constantIbLb0EES1E_EEDaS19_S1A_EUlS19_E_NS1_11comp_targetILNS1_3genE3ELNS1_11target_archE908ELNS1_3gpuE7ELNS1_3repE0EEENS1_30default_config_static_selectorELNS0_4arch9wavefront6targetE0EEEvT1_
; %bb.0:
	.section	.rodata,"a",@progbits
	.p2align	6, 0x0
	.amdhsa_kernel _ZN7rocprim17ROCPRIM_400000_NS6detail17trampoline_kernelINS0_14default_configENS1_25partition_config_selectorILNS1_17partition_subalgoE8EbNS0_10empty_typeEbEEZZNS1_14partition_implILS5_8ELb0ES3_jN6hipcub16HIPCUB_304000_NS22TransformInputIteratorIbN2at6native8internal12_GLOBAL__N_110LoadBoolOpEPKhlEEPS6_PKS6_NS0_5tupleIJPbS6_EEENSN_IJSK_SK_EEENS0_18inequality_wrapperINSA_8EqualityEEEPlJS6_EEE10hipError_tPvRmT3_T4_T5_T6_T7_T9_mT8_P12ihipStream_tbDpT10_ENKUlT_T0_E_clISt17integral_constantIbLb0EES1E_EEDaS19_S1A_EUlS19_E_NS1_11comp_targetILNS1_3genE3ELNS1_11target_archE908ELNS1_3gpuE7ELNS1_3repE0EEENS1_30default_config_static_selectorELNS0_4arch9wavefront6targetE0EEEvT1_
		.amdhsa_group_segment_fixed_size 0
		.amdhsa_private_segment_fixed_size 0
		.amdhsa_kernarg_size 120
		.amdhsa_user_sgpr_count 2
		.amdhsa_user_sgpr_dispatch_ptr 0
		.amdhsa_user_sgpr_queue_ptr 0
		.amdhsa_user_sgpr_kernarg_segment_ptr 1
		.amdhsa_user_sgpr_dispatch_id 0
		.amdhsa_user_sgpr_kernarg_preload_length 0
		.amdhsa_user_sgpr_kernarg_preload_offset 0
		.amdhsa_user_sgpr_private_segment_size 0
		.amdhsa_wavefront_size32 1
		.amdhsa_uses_dynamic_stack 0
		.amdhsa_enable_private_segment 0
		.amdhsa_system_sgpr_workgroup_id_x 1
		.amdhsa_system_sgpr_workgroup_id_y 0
		.amdhsa_system_sgpr_workgroup_id_z 0
		.amdhsa_system_sgpr_workgroup_info 0
		.amdhsa_system_vgpr_workitem_id 0
		.amdhsa_next_free_vgpr 1
		.amdhsa_next_free_sgpr 1
		.amdhsa_named_barrier_count 0
		.amdhsa_reserve_vcc 0
		.amdhsa_float_round_mode_32 0
		.amdhsa_float_round_mode_16_64 0
		.amdhsa_float_denorm_mode_32 3
		.amdhsa_float_denorm_mode_16_64 3
		.amdhsa_fp16_overflow 0
		.amdhsa_memory_ordered 1
		.amdhsa_forward_progress 1
		.amdhsa_inst_pref_size 0
		.amdhsa_round_robin_scheduling 0
		.amdhsa_exception_fp_ieee_invalid_op 0
		.amdhsa_exception_fp_denorm_src 0
		.amdhsa_exception_fp_ieee_div_zero 0
		.amdhsa_exception_fp_ieee_overflow 0
		.amdhsa_exception_fp_ieee_underflow 0
		.amdhsa_exception_fp_ieee_inexact 0
		.amdhsa_exception_int_div_zero 0
	.end_amdhsa_kernel
	.section	.text._ZN7rocprim17ROCPRIM_400000_NS6detail17trampoline_kernelINS0_14default_configENS1_25partition_config_selectorILNS1_17partition_subalgoE8EbNS0_10empty_typeEbEEZZNS1_14partition_implILS5_8ELb0ES3_jN6hipcub16HIPCUB_304000_NS22TransformInputIteratorIbN2at6native8internal12_GLOBAL__N_110LoadBoolOpEPKhlEEPS6_PKS6_NS0_5tupleIJPbS6_EEENSN_IJSK_SK_EEENS0_18inequality_wrapperINSA_8EqualityEEEPlJS6_EEE10hipError_tPvRmT3_T4_T5_T6_T7_T9_mT8_P12ihipStream_tbDpT10_ENKUlT_T0_E_clISt17integral_constantIbLb0EES1E_EEDaS19_S1A_EUlS19_E_NS1_11comp_targetILNS1_3genE3ELNS1_11target_archE908ELNS1_3gpuE7ELNS1_3repE0EEENS1_30default_config_static_selectorELNS0_4arch9wavefront6targetE0EEEvT1_,"axG",@progbits,_ZN7rocprim17ROCPRIM_400000_NS6detail17trampoline_kernelINS0_14default_configENS1_25partition_config_selectorILNS1_17partition_subalgoE8EbNS0_10empty_typeEbEEZZNS1_14partition_implILS5_8ELb0ES3_jN6hipcub16HIPCUB_304000_NS22TransformInputIteratorIbN2at6native8internal12_GLOBAL__N_110LoadBoolOpEPKhlEEPS6_PKS6_NS0_5tupleIJPbS6_EEENSN_IJSK_SK_EEENS0_18inequality_wrapperINSA_8EqualityEEEPlJS6_EEE10hipError_tPvRmT3_T4_T5_T6_T7_T9_mT8_P12ihipStream_tbDpT10_ENKUlT_T0_E_clISt17integral_constantIbLb0EES1E_EEDaS19_S1A_EUlS19_E_NS1_11comp_targetILNS1_3genE3ELNS1_11target_archE908ELNS1_3gpuE7ELNS1_3repE0EEENS1_30default_config_static_selectorELNS0_4arch9wavefront6targetE0EEEvT1_,comdat
.Lfunc_end8:
	.size	_ZN7rocprim17ROCPRIM_400000_NS6detail17trampoline_kernelINS0_14default_configENS1_25partition_config_selectorILNS1_17partition_subalgoE8EbNS0_10empty_typeEbEEZZNS1_14partition_implILS5_8ELb0ES3_jN6hipcub16HIPCUB_304000_NS22TransformInputIteratorIbN2at6native8internal12_GLOBAL__N_110LoadBoolOpEPKhlEEPS6_PKS6_NS0_5tupleIJPbS6_EEENSN_IJSK_SK_EEENS0_18inequality_wrapperINSA_8EqualityEEEPlJS6_EEE10hipError_tPvRmT3_T4_T5_T6_T7_T9_mT8_P12ihipStream_tbDpT10_ENKUlT_T0_E_clISt17integral_constantIbLb0EES1E_EEDaS19_S1A_EUlS19_E_NS1_11comp_targetILNS1_3genE3ELNS1_11target_archE908ELNS1_3gpuE7ELNS1_3repE0EEENS1_30default_config_static_selectorELNS0_4arch9wavefront6targetE0EEEvT1_, .Lfunc_end8-_ZN7rocprim17ROCPRIM_400000_NS6detail17trampoline_kernelINS0_14default_configENS1_25partition_config_selectorILNS1_17partition_subalgoE8EbNS0_10empty_typeEbEEZZNS1_14partition_implILS5_8ELb0ES3_jN6hipcub16HIPCUB_304000_NS22TransformInputIteratorIbN2at6native8internal12_GLOBAL__N_110LoadBoolOpEPKhlEEPS6_PKS6_NS0_5tupleIJPbS6_EEENSN_IJSK_SK_EEENS0_18inequality_wrapperINSA_8EqualityEEEPlJS6_EEE10hipError_tPvRmT3_T4_T5_T6_T7_T9_mT8_P12ihipStream_tbDpT10_ENKUlT_T0_E_clISt17integral_constantIbLb0EES1E_EEDaS19_S1A_EUlS19_E_NS1_11comp_targetILNS1_3genE3ELNS1_11target_archE908ELNS1_3gpuE7ELNS1_3repE0EEENS1_30default_config_static_selectorELNS0_4arch9wavefront6targetE0EEEvT1_
                                        ; -- End function
	.set _ZN7rocprim17ROCPRIM_400000_NS6detail17trampoline_kernelINS0_14default_configENS1_25partition_config_selectorILNS1_17partition_subalgoE8EbNS0_10empty_typeEbEEZZNS1_14partition_implILS5_8ELb0ES3_jN6hipcub16HIPCUB_304000_NS22TransformInputIteratorIbN2at6native8internal12_GLOBAL__N_110LoadBoolOpEPKhlEEPS6_PKS6_NS0_5tupleIJPbS6_EEENSN_IJSK_SK_EEENS0_18inequality_wrapperINSA_8EqualityEEEPlJS6_EEE10hipError_tPvRmT3_T4_T5_T6_T7_T9_mT8_P12ihipStream_tbDpT10_ENKUlT_T0_E_clISt17integral_constantIbLb0EES1E_EEDaS19_S1A_EUlS19_E_NS1_11comp_targetILNS1_3genE3ELNS1_11target_archE908ELNS1_3gpuE7ELNS1_3repE0EEENS1_30default_config_static_selectorELNS0_4arch9wavefront6targetE0EEEvT1_.num_vgpr, 0
	.set _ZN7rocprim17ROCPRIM_400000_NS6detail17trampoline_kernelINS0_14default_configENS1_25partition_config_selectorILNS1_17partition_subalgoE8EbNS0_10empty_typeEbEEZZNS1_14partition_implILS5_8ELb0ES3_jN6hipcub16HIPCUB_304000_NS22TransformInputIteratorIbN2at6native8internal12_GLOBAL__N_110LoadBoolOpEPKhlEEPS6_PKS6_NS0_5tupleIJPbS6_EEENSN_IJSK_SK_EEENS0_18inequality_wrapperINSA_8EqualityEEEPlJS6_EEE10hipError_tPvRmT3_T4_T5_T6_T7_T9_mT8_P12ihipStream_tbDpT10_ENKUlT_T0_E_clISt17integral_constantIbLb0EES1E_EEDaS19_S1A_EUlS19_E_NS1_11comp_targetILNS1_3genE3ELNS1_11target_archE908ELNS1_3gpuE7ELNS1_3repE0EEENS1_30default_config_static_selectorELNS0_4arch9wavefront6targetE0EEEvT1_.num_agpr, 0
	.set _ZN7rocprim17ROCPRIM_400000_NS6detail17trampoline_kernelINS0_14default_configENS1_25partition_config_selectorILNS1_17partition_subalgoE8EbNS0_10empty_typeEbEEZZNS1_14partition_implILS5_8ELb0ES3_jN6hipcub16HIPCUB_304000_NS22TransformInputIteratorIbN2at6native8internal12_GLOBAL__N_110LoadBoolOpEPKhlEEPS6_PKS6_NS0_5tupleIJPbS6_EEENSN_IJSK_SK_EEENS0_18inequality_wrapperINSA_8EqualityEEEPlJS6_EEE10hipError_tPvRmT3_T4_T5_T6_T7_T9_mT8_P12ihipStream_tbDpT10_ENKUlT_T0_E_clISt17integral_constantIbLb0EES1E_EEDaS19_S1A_EUlS19_E_NS1_11comp_targetILNS1_3genE3ELNS1_11target_archE908ELNS1_3gpuE7ELNS1_3repE0EEENS1_30default_config_static_selectorELNS0_4arch9wavefront6targetE0EEEvT1_.numbered_sgpr, 0
	.set _ZN7rocprim17ROCPRIM_400000_NS6detail17trampoline_kernelINS0_14default_configENS1_25partition_config_selectorILNS1_17partition_subalgoE8EbNS0_10empty_typeEbEEZZNS1_14partition_implILS5_8ELb0ES3_jN6hipcub16HIPCUB_304000_NS22TransformInputIteratorIbN2at6native8internal12_GLOBAL__N_110LoadBoolOpEPKhlEEPS6_PKS6_NS0_5tupleIJPbS6_EEENSN_IJSK_SK_EEENS0_18inequality_wrapperINSA_8EqualityEEEPlJS6_EEE10hipError_tPvRmT3_T4_T5_T6_T7_T9_mT8_P12ihipStream_tbDpT10_ENKUlT_T0_E_clISt17integral_constantIbLb0EES1E_EEDaS19_S1A_EUlS19_E_NS1_11comp_targetILNS1_3genE3ELNS1_11target_archE908ELNS1_3gpuE7ELNS1_3repE0EEENS1_30default_config_static_selectorELNS0_4arch9wavefront6targetE0EEEvT1_.num_named_barrier, 0
	.set _ZN7rocprim17ROCPRIM_400000_NS6detail17trampoline_kernelINS0_14default_configENS1_25partition_config_selectorILNS1_17partition_subalgoE8EbNS0_10empty_typeEbEEZZNS1_14partition_implILS5_8ELb0ES3_jN6hipcub16HIPCUB_304000_NS22TransformInputIteratorIbN2at6native8internal12_GLOBAL__N_110LoadBoolOpEPKhlEEPS6_PKS6_NS0_5tupleIJPbS6_EEENSN_IJSK_SK_EEENS0_18inequality_wrapperINSA_8EqualityEEEPlJS6_EEE10hipError_tPvRmT3_T4_T5_T6_T7_T9_mT8_P12ihipStream_tbDpT10_ENKUlT_T0_E_clISt17integral_constantIbLb0EES1E_EEDaS19_S1A_EUlS19_E_NS1_11comp_targetILNS1_3genE3ELNS1_11target_archE908ELNS1_3gpuE7ELNS1_3repE0EEENS1_30default_config_static_selectorELNS0_4arch9wavefront6targetE0EEEvT1_.private_seg_size, 0
	.set _ZN7rocprim17ROCPRIM_400000_NS6detail17trampoline_kernelINS0_14default_configENS1_25partition_config_selectorILNS1_17partition_subalgoE8EbNS0_10empty_typeEbEEZZNS1_14partition_implILS5_8ELb0ES3_jN6hipcub16HIPCUB_304000_NS22TransformInputIteratorIbN2at6native8internal12_GLOBAL__N_110LoadBoolOpEPKhlEEPS6_PKS6_NS0_5tupleIJPbS6_EEENSN_IJSK_SK_EEENS0_18inequality_wrapperINSA_8EqualityEEEPlJS6_EEE10hipError_tPvRmT3_T4_T5_T6_T7_T9_mT8_P12ihipStream_tbDpT10_ENKUlT_T0_E_clISt17integral_constantIbLb0EES1E_EEDaS19_S1A_EUlS19_E_NS1_11comp_targetILNS1_3genE3ELNS1_11target_archE908ELNS1_3gpuE7ELNS1_3repE0EEENS1_30default_config_static_selectorELNS0_4arch9wavefront6targetE0EEEvT1_.uses_vcc, 0
	.set _ZN7rocprim17ROCPRIM_400000_NS6detail17trampoline_kernelINS0_14default_configENS1_25partition_config_selectorILNS1_17partition_subalgoE8EbNS0_10empty_typeEbEEZZNS1_14partition_implILS5_8ELb0ES3_jN6hipcub16HIPCUB_304000_NS22TransformInputIteratorIbN2at6native8internal12_GLOBAL__N_110LoadBoolOpEPKhlEEPS6_PKS6_NS0_5tupleIJPbS6_EEENSN_IJSK_SK_EEENS0_18inequality_wrapperINSA_8EqualityEEEPlJS6_EEE10hipError_tPvRmT3_T4_T5_T6_T7_T9_mT8_P12ihipStream_tbDpT10_ENKUlT_T0_E_clISt17integral_constantIbLb0EES1E_EEDaS19_S1A_EUlS19_E_NS1_11comp_targetILNS1_3genE3ELNS1_11target_archE908ELNS1_3gpuE7ELNS1_3repE0EEENS1_30default_config_static_selectorELNS0_4arch9wavefront6targetE0EEEvT1_.uses_flat_scratch, 0
	.set _ZN7rocprim17ROCPRIM_400000_NS6detail17trampoline_kernelINS0_14default_configENS1_25partition_config_selectorILNS1_17partition_subalgoE8EbNS0_10empty_typeEbEEZZNS1_14partition_implILS5_8ELb0ES3_jN6hipcub16HIPCUB_304000_NS22TransformInputIteratorIbN2at6native8internal12_GLOBAL__N_110LoadBoolOpEPKhlEEPS6_PKS6_NS0_5tupleIJPbS6_EEENSN_IJSK_SK_EEENS0_18inequality_wrapperINSA_8EqualityEEEPlJS6_EEE10hipError_tPvRmT3_T4_T5_T6_T7_T9_mT8_P12ihipStream_tbDpT10_ENKUlT_T0_E_clISt17integral_constantIbLb0EES1E_EEDaS19_S1A_EUlS19_E_NS1_11comp_targetILNS1_3genE3ELNS1_11target_archE908ELNS1_3gpuE7ELNS1_3repE0EEENS1_30default_config_static_selectorELNS0_4arch9wavefront6targetE0EEEvT1_.has_dyn_sized_stack, 0
	.set _ZN7rocprim17ROCPRIM_400000_NS6detail17trampoline_kernelINS0_14default_configENS1_25partition_config_selectorILNS1_17partition_subalgoE8EbNS0_10empty_typeEbEEZZNS1_14partition_implILS5_8ELb0ES3_jN6hipcub16HIPCUB_304000_NS22TransformInputIteratorIbN2at6native8internal12_GLOBAL__N_110LoadBoolOpEPKhlEEPS6_PKS6_NS0_5tupleIJPbS6_EEENSN_IJSK_SK_EEENS0_18inequality_wrapperINSA_8EqualityEEEPlJS6_EEE10hipError_tPvRmT3_T4_T5_T6_T7_T9_mT8_P12ihipStream_tbDpT10_ENKUlT_T0_E_clISt17integral_constantIbLb0EES1E_EEDaS19_S1A_EUlS19_E_NS1_11comp_targetILNS1_3genE3ELNS1_11target_archE908ELNS1_3gpuE7ELNS1_3repE0EEENS1_30default_config_static_selectorELNS0_4arch9wavefront6targetE0EEEvT1_.has_recursion, 0
	.set _ZN7rocprim17ROCPRIM_400000_NS6detail17trampoline_kernelINS0_14default_configENS1_25partition_config_selectorILNS1_17partition_subalgoE8EbNS0_10empty_typeEbEEZZNS1_14partition_implILS5_8ELb0ES3_jN6hipcub16HIPCUB_304000_NS22TransformInputIteratorIbN2at6native8internal12_GLOBAL__N_110LoadBoolOpEPKhlEEPS6_PKS6_NS0_5tupleIJPbS6_EEENSN_IJSK_SK_EEENS0_18inequality_wrapperINSA_8EqualityEEEPlJS6_EEE10hipError_tPvRmT3_T4_T5_T6_T7_T9_mT8_P12ihipStream_tbDpT10_ENKUlT_T0_E_clISt17integral_constantIbLb0EES1E_EEDaS19_S1A_EUlS19_E_NS1_11comp_targetILNS1_3genE3ELNS1_11target_archE908ELNS1_3gpuE7ELNS1_3repE0EEENS1_30default_config_static_selectorELNS0_4arch9wavefront6targetE0EEEvT1_.has_indirect_call, 0
	.section	.AMDGPU.csdata,"",@progbits
; Kernel info:
; codeLenInByte = 0
; TotalNumSgprs: 0
; NumVgprs: 0
; ScratchSize: 0
; MemoryBound: 0
; FloatMode: 240
; IeeeMode: 1
; LDSByteSize: 0 bytes/workgroup (compile time only)
; SGPRBlocks: 0
; VGPRBlocks: 0
; NumSGPRsForWavesPerEU: 1
; NumVGPRsForWavesPerEU: 1
; NamedBarCnt: 0
; Occupancy: 16
; WaveLimiterHint : 0
; COMPUTE_PGM_RSRC2:SCRATCH_EN: 0
; COMPUTE_PGM_RSRC2:USER_SGPR: 2
; COMPUTE_PGM_RSRC2:TRAP_HANDLER: 0
; COMPUTE_PGM_RSRC2:TGID_X_EN: 1
; COMPUTE_PGM_RSRC2:TGID_Y_EN: 0
; COMPUTE_PGM_RSRC2:TGID_Z_EN: 0
; COMPUTE_PGM_RSRC2:TIDIG_COMP_CNT: 0
	.section	.text._ZN7rocprim17ROCPRIM_400000_NS6detail17trampoline_kernelINS0_14default_configENS1_25partition_config_selectorILNS1_17partition_subalgoE8EbNS0_10empty_typeEbEEZZNS1_14partition_implILS5_8ELb0ES3_jN6hipcub16HIPCUB_304000_NS22TransformInputIteratorIbN2at6native8internal12_GLOBAL__N_110LoadBoolOpEPKhlEEPS6_PKS6_NS0_5tupleIJPbS6_EEENSN_IJSK_SK_EEENS0_18inequality_wrapperINSA_8EqualityEEEPlJS6_EEE10hipError_tPvRmT3_T4_T5_T6_T7_T9_mT8_P12ihipStream_tbDpT10_ENKUlT_T0_E_clISt17integral_constantIbLb0EES1E_EEDaS19_S1A_EUlS19_E_NS1_11comp_targetILNS1_3genE2ELNS1_11target_archE906ELNS1_3gpuE6ELNS1_3repE0EEENS1_30default_config_static_selectorELNS0_4arch9wavefront6targetE0EEEvT1_,"axG",@progbits,_ZN7rocprim17ROCPRIM_400000_NS6detail17trampoline_kernelINS0_14default_configENS1_25partition_config_selectorILNS1_17partition_subalgoE8EbNS0_10empty_typeEbEEZZNS1_14partition_implILS5_8ELb0ES3_jN6hipcub16HIPCUB_304000_NS22TransformInputIteratorIbN2at6native8internal12_GLOBAL__N_110LoadBoolOpEPKhlEEPS6_PKS6_NS0_5tupleIJPbS6_EEENSN_IJSK_SK_EEENS0_18inequality_wrapperINSA_8EqualityEEEPlJS6_EEE10hipError_tPvRmT3_T4_T5_T6_T7_T9_mT8_P12ihipStream_tbDpT10_ENKUlT_T0_E_clISt17integral_constantIbLb0EES1E_EEDaS19_S1A_EUlS19_E_NS1_11comp_targetILNS1_3genE2ELNS1_11target_archE906ELNS1_3gpuE6ELNS1_3repE0EEENS1_30default_config_static_selectorELNS0_4arch9wavefront6targetE0EEEvT1_,comdat
	.globl	_ZN7rocprim17ROCPRIM_400000_NS6detail17trampoline_kernelINS0_14default_configENS1_25partition_config_selectorILNS1_17partition_subalgoE8EbNS0_10empty_typeEbEEZZNS1_14partition_implILS5_8ELb0ES3_jN6hipcub16HIPCUB_304000_NS22TransformInputIteratorIbN2at6native8internal12_GLOBAL__N_110LoadBoolOpEPKhlEEPS6_PKS6_NS0_5tupleIJPbS6_EEENSN_IJSK_SK_EEENS0_18inequality_wrapperINSA_8EqualityEEEPlJS6_EEE10hipError_tPvRmT3_T4_T5_T6_T7_T9_mT8_P12ihipStream_tbDpT10_ENKUlT_T0_E_clISt17integral_constantIbLb0EES1E_EEDaS19_S1A_EUlS19_E_NS1_11comp_targetILNS1_3genE2ELNS1_11target_archE906ELNS1_3gpuE6ELNS1_3repE0EEENS1_30default_config_static_selectorELNS0_4arch9wavefront6targetE0EEEvT1_ ; -- Begin function _ZN7rocprim17ROCPRIM_400000_NS6detail17trampoline_kernelINS0_14default_configENS1_25partition_config_selectorILNS1_17partition_subalgoE8EbNS0_10empty_typeEbEEZZNS1_14partition_implILS5_8ELb0ES3_jN6hipcub16HIPCUB_304000_NS22TransformInputIteratorIbN2at6native8internal12_GLOBAL__N_110LoadBoolOpEPKhlEEPS6_PKS6_NS0_5tupleIJPbS6_EEENSN_IJSK_SK_EEENS0_18inequality_wrapperINSA_8EqualityEEEPlJS6_EEE10hipError_tPvRmT3_T4_T5_T6_T7_T9_mT8_P12ihipStream_tbDpT10_ENKUlT_T0_E_clISt17integral_constantIbLb0EES1E_EEDaS19_S1A_EUlS19_E_NS1_11comp_targetILNS1_3genE2ELNS1_11target_archE906ELNS1_3gpuE6ELNS1_3repE0EEENS1_30default_config_static_selectorELNS0_4arch9wavefront6targetE0EEEvT1_
	.p2align	8
	.type	_ZN7rocprim17ROCPRIM_400000_NS6detail17trampoline_kernelINS0_14default_configENS1_25partition_config_selectorILNS1_17partition_subalgoE8EbNS0_10empty_typeEbEEZZNS1_14partition_implILS5_8ELb0ES3_jN6hipcub16HIPCUB_304000_NS22TransformInputIteratorIbN2at6native8internal12_GLOBAL__N_110LoadBoolOpEPKhlEEPS6_PKS6_NS0_5tupleIJPbS6_EEENSN_IJSK_SK_EEENS0_18inequality_wrapperINSA_8EqualityEEEPlJS6_EEE10hipError_tPvRmT3_T4_T5_T6_T7_T9_mT8_P12ihipStream_tbDpT10_ENKUlT_T0_E_clISt17integral_constantIbLb0EES1E_EEDaS19_S1A_EUlS19_E_NS1_11comp_targetILNS1_3genE2ELNS1_11target_archE906ELNS1_3gpuE6ELNS1_3repE0EEENS1_30default_config_static_selectorELNS0_4arch9wavefront6targetE0EEEvT1_,@function
_ZN7rocprim17ROCPRIM_400000_NS6detail17trampoline_kernelINS0_14default_configENS1_25partition_config_selectorILNS1_17partition_subalgoE8EbNS0_10empty_typeEbEEZZNS1_14partition_implILS5_8ELb0ES3_jN6hipcub16HIPCUB_304000_NS22TransformInputIteratorIbN2at6native8internal12_GLOBAL__N_110LoadBoolOpEPKhlEEPS6_PKS6_NS0_5tupleIJPbS6_EEENSN_IJSK_SK_EEENS0_18inequality_wrapperINSA_8EqualityEEEPlJS6_EEE10hipError_tPvRmT3_T4_T5_T6_T7_T9_mT8_P12ihipStream_tbDpT10_ENKUlT_T0_E_clISt17integral_constantIbLb0EES1E_EEDaS19_S1A_EUlS19_E_NS1_11comp_targetILNS1_3genE2ELNS1_11target_archE906ELNS1_3gpuE6ELNS1_3repE0EEENS1_30default_config_static_selectorELNS0_4arch9wavefront6targetE0EEEvT1_: ; @_ZN7rocprim17ROCPRIM_400000_NS6detail17trampoline_kernelINS0_14default_configENS1_25partition_config_selectorILNS1_17partition_subalgoE8EbNS0_10empty_typeEbEEZZNS1_14partition_implILS5_8ELb0ES3_jN6hipcub16HIPCUB_304000_NS22TransformInputIteratorIbN2at6native8internal12_GLOBAL__N_110LoadBoolOpEPKhlEEPS6_PKS6_NS0_5tupleIJPbS6_EEENSN_IJSK_SK_EEENS0_18inequality_wrapperINSA_8EqualityEEEPlJS6_EEE10hipError_tPvRmT3_T4_T5_T6_T7_T9_mT8_P12ihipStream_tbDpT10_ENKUlT_T0_E_clISt17integral_constantIbLb0EES1E_EEDaS19_S1A_EUlS19_E_NS1_11comp_targetILNS1_3genE2ELNS1_11target_archE906ELNS1_3gpuE6ELNS1_3repE0EEENS1_30default_config_static_selectorELNS0_4arch9wavefront6targetE0EEEvT1_
; %bb.0:
	.section	.rodata,"a",@progbits
	.p2align	6, 0x0
	.amdhsa_kernel _ZN7rocprim17ROCPRIM_400000_NS6detail17trampoline_kernelINS0_14default_configENS1_25partition_config_selectorILNS1_17partition_subalgoE8EbNS0_10empty_typeEbEEZZNS1_14partition_implILS5_8ELb0ES3_jN6hipcub16HIPCUB_304000_NS22TransformInputIteratorIbN2at6native8internal12_GLOBAL__N_110LoadBoolOpEPKhlEEPS6_PKS6_NS0_5tupleIJPbS6_EEENSN_IJSK_SK_EEENS0_18inequality_wrapperINSA_8EqualityEEEPlJS6_EEE10hipError_tPvRmT3_T4_T5_T6_T7_T9_mT8_P12ihipStream_tbDpT10_ENKUlT_T0_E_clISt17integral_constantIbLb0EES1E_EEDaS19_S1A_EUlS19_E_NS1_11comp_targetILNS1_3genE2ELNS1_11target_archE906ELNS1_3gpuE6ELNS1_3repE0EEENS1_30default_config_static_selectorELNS0_4arch9wavefront6targetE0EEEvT1_
		.amdhsa_group_segment_fixed_size 0
		.amdhsa_private_segment_fixed_size 0
		.amdhsa_kernarg_size 120
		.amdhsa_user_sgpr_count 2
		.amdhsa_user_sgpr_dispatch_ptr 0
		.amdhsa_user_sgpr_queue_ptr 0
		.amdhsa_user_sgpr_kernarg_segment_ptr 1
		.amdhsa_user_sgpr_dispatch_id 0
		.amdhsa_user_sgpr_kernarg_preload_length 0
		.amdhsa_user_sgpr_kernarg_preload_offset 0
		.amdhsa_user_sgpr_private_segment_size 0
		.amdhsa_wavefront_size32 1
		.amdhsa_uses_dynamic_stack 0
		.amdhsa_enable_private_segment 0
		.amdhsa_system_sgpr_workgroup_id_x 1
		.amdhsa_system_sgpr_workgroup_id_y 0
		.amdhsa_system_sgpr_workgroup_id_z 0
		.amdhsa_system_sgpr_workgroup_info 0
		.amdhsa_system_vgpr_workitem_id 0
		.amdhsa_next_free_vgpr 1
		.amdhsa_next_free_sgpr 1
		.amdhsa_named_barrier_count 0
		.amdhsa_reserve_vcc 0
		.amdhsa_float_round_mode_32 0
		.amdhsa_float_round_mode_16_64 0
		.amdhsa_float_denorm_mode_32 3
		.amdhsa_float_denorm_mode_16_64 3
		.amdhsa_fp16_overflow 0
		.amdhsa_memory_ordered 1
		.amdhsa_forward_progress 1
		.amdhsa_inst_pref_size 0
		.amdhsa_round_robin_scheduling 0
		.amdhsa_exception_fp_ieee_invalid_op 0
		.amdhsa_exception_fp_denorm_src 0
		.amdhsa_exception_fp_ieee_div_zero 0
		.amdhsa_exception_fp_ieee_overflow 0
		.amdhsa_exception_fp_ieee_underflow 0
		.amdhsa_exception_fp_ieee_inexact 0
		.amdhsa_exception_int_div_zero 0
	.end_amdhsa_kernel
	.section	.text._ZN7rocprim17ROCPRIM_400000_NS6detail17trampoline_kernelINS0_14default_configENS1_25partition_config_selectorILNS1_17partition_subalgoE8EbNS0_10empty_typeEbEEZZNS1_14partition_implILS5_8ELb0ES3_jN6hipcub16HIPCUB_304000_NS22TransformInputIteratorIbN2at6native8internal12_GLOBAL__N_110LoadBoolOpEPKhlEEPS6_PKS6_NS0_5tupleIJPbS6_EEENSN_IJSK_SK_EEENS0_18inequality_wrapperINSA_8EqualityEEEPlJS6_EEE10hipError_tPvRmT3_T4_T5_T6_T7_T9_mT8_P12ihipStream_tbDpT10_ENKUlT_T0_E_clISt17integral_constantIbLb0EES1E_EEDaS19_S1A_EUlS19_E_NS1_11comp_targetILNS1_3genE2ELNS1_11target_archE906ELNS1_3gpuE6ELNS1_3repE0EEENS1_30default_config_static_selectorELNS0_4arch9wavefront6targetE0EEEvT1_,"axG",@progbits,_ZN7rocprim17ROCPRIM_400000_NS6detail17trampoline_kernelINS0_14default_configENS1_25partition_config_selectorILNS1_17partition_subalgoE8EbNS0_10empty_typeEbEEZZNS1_14partition_implILS5_8ELb0ES3_jN6hipcub16HIPCUB_304000_NS22TransformInputIteratorIbN2at6native8internal12_GLOBAL__N_110LoadBoolOpEPKhlEEPS6_PKS6_NS0_5tupleIJPbS6_EEENSN_IJSK_SK_EEENS0_18inequality_wrapperINSA_8EqualityEEEPlJS6_EEE10hipError_tPvRmT3_T4_T5_T6_T7_T9_mT8_P12ihipStream_tbDpT10_ENKUlT_T0_E_clISt17integral_constantIbLb0EES1E_EEDaS19_S1A_EUlS19_E_NS1_11comp_targetILNS1_3genE2ELNS1_11target_archE906ELNS1_3gpuE6ELNS1_3repE0EEENS1_30default_config_static_selectorELNS0_4arch9wavefront6targetE0EEEvT1_,comdat
.Lfunc_end9:
	.size	_ZN7rocprim17ROCPRIM_400000_NS6detail17trampoline_kernelINS0_14default_configENS1_25partition_config_selectorILNS1_17partition_subalgoE8EbNS0_10empty_typeEbEEZZNS1_14partition_implILS5_8ELb0ES3_jN6hipcub16HIPCUB_304000_NS22TransformInputIteratorIbN2at6native8internal12_GLOBAL__N_110LoadBoolOpEPKhlEEPS6_PKS6_NS0_5tupleIJPbS6_EEENSN_IJSK_SK_EEENS0_18inequality_wrapperINSA_8EqualityEEEPlJS6_EEE10hipError_tPvRmT3_T4_T5_T6_T7_T9_mT8_P12ihipStream_tbDpT10_ENKUlT_T0_E_clISt17integral_constantIbLb0EES1E_EEDaS19_S1A_EUlS19_E_NS1_11comp_targetILNS1_3genE2ELNS1_11target_archE906ELNS1_3gpuE6ELNS1_3repE0EEENS1_30default_config_static_selectorELNS0_4arch9wavefront6targetE0EEEvT1_, .Lfunc_end9-_ZN7rocprim17ROCPRIM_400000_NS6detail17trampoline_kernelINS0_14default_configENS1_25partition_config_selectorILNS1_17partition_subalgoE8EbNS0_10empty_typeEbEEZZNS1_14partition_implILS5_8ELb0ES3_jN6hipcub16HIPCUB_304000_NS22TransformInputIteratorIbN2at6native8internal12_GLOBAL__N_110LoadBoolOpEPKhlEEPS6_PKS6_NS0_5tupleIJPbS6_EEENSN_IJSK_SK_EEENS0_18inequality_wrapperINSA_8EqualityEEEPlJS6_EEE10hipError_tPvRmT3_T4_T5_T6_T7_T9_mT8_P12ihipStream_tbDpT10_ENKUlT_T0_E_clISt17integral_constantIbLb0EES1E_EEDaS19_S1A_EUlS19_E_NS1_11comp_targetILNS1_3genE2ELNS1_11target_archE906ELNS1_3gpuE6ELNS1_3repE0EEENS1_30default_config_static_selectorELNS0_4arch9wavefront6targetE0EEEvT1_
                                        ; -- End function
	.set _ZN7rocprim17ROCPRIM_400000_NS6detail17trampoline_kernelINS0_14default_configENS1_25partition_config_selectorILNS1_17partition_subalgoE8EbNS0_10empty_typeEbEEZZNS1_14partition_implILS5_8ELb0ES3_jN6hipcub16HIPCUB_304000_NS22TransformInputIteratorIbN2at6native8internal12_GLOBAL__N_110LoadBoolOpEPKhlEEPS6_PKS6_NS0_5tupleIJPbS6_EEENSN_IJSK_SK_EEENS0_18inequality_wrapperINSA_8EqualityEEEPlJS6_EEE10hipError_tPvRmT3_T4_T5_T6_T7_T9_mT8_P12ihipStream_tbDpT10_ENKUlT_T0_E_clISt17integral_constantIbLb0EES1E_EEDaS19_S1A_EUlS19_E_NS1_11comp_targetILNS1_3genE2ELNS1_11target_archE906ELNS1_3gpuE6ELNS1_3repE0EEENS1_30default_config_static_selectorELNS0_4arch9wavefront6targetE0EEEvT1_.num_vgpr, 0
	.set _ZN7rocprim17ROCPRIM_400000_NS6detail17trampoline_kernelINS0_14default_configENS1_25partition_config_selectorILNS1_17partition_subalgoE8EbNS0_10empty_typeEbEEZZNS1_14partition_implILS5_8ELb0ES3_jN6hipcub16HIPCUB_304000_NS22TransformInputIteratorIbN2at6native8internal12_GLOBAL__N_110LoadBoolOpEPKhlEEPS6_PKS6_NS0_5tupleIJPbS6_EEENSN_IJSK_SK_EEENS0_18inequality_wrapperINSA_8EqualityEEEPlJS6_EEE10hipError_tPvRmT3_T4_T5_T6_T7_T9_mT8_P12ihipStream_tbDpT10_ENKUlT_T0_E_clISt17integral_constantIbLb0EES1E_EEDaS19_S1A_EUlS19_E_NS1_11comp_targetILNS1_3genE2ELNS1_11target_archE906ELNS1_3gpuE6ELNS1_3repE0EEENS1_30default_config_static_selectorELNS0_4arch9wavefront6targetE0EEEvT1_.num_agpr, 0
	.set _ZN7rocprim17ROCPRIM_400000_NS6detail17trampoline_kernelINS0_14default_configENS1_25partition_config_selectorILNS1_17partition_subalgoE8EbNS0_10empty_typeEbEEZZNS1_14partition_implILS5_8ELb0ES3_jN6hipcub16HIPCUB_304000_NS22TransformInputIteratorIbN2at6native8internal12_GLOBAL__N_110LoadBoolOpEPKhlEEPS6_PKS6_NS0_5tupleIJPbS6_EEENSN_IJSK_SK_EEENS0_18inequality_wrapperINSA_8EqualityEEEPlJS6_EEE10hipError_tPvRmT3_T4_T5_T6_T7_T9_mT8_P12ihipStream_tbDpT10_ENKUlT_T0_E_clISt17integral_constantIbLb0EES1E_EEDaS19_S1A_EUlS19_E_NS1_11comp_targetILNS1_3genE2ELNS1_11target_archE906ELNS1_3gpuE6ELNS1_3repE0EEENS1_30default_config_static_selectorELNS0_4arch9wavefront6targetE0EEEvT1_.numbered_sgpr, 0
	.set _ZN7rocprim17ROCPRIM_400000_NS6detail17trampoline_kernelINS0_14default_configENS1_25partition_config_selectorILNS1_17partition_subalgoE8EbNS0_10empty_typeEbEEZZNS1_14partition_implILS5_8ELb0ES3_jN6hipcub16HIPCUB_304000_NS22TransformInputIteratorIbN2at6native8internal12_GLOBAL__N_110LoadBoolOpEPKhlEEPS6_PKS6_NS0_5tupleIJPbS6_EEENSN_IJSK_SK_EEENS0_18inequality_wrapperINSA_8EqualityEEEPlJS6_EEE10hipError_tPvRmT3_T4_T5_T6_T7_T9_mT8_P12ihipStream_tbDpT10_ENKUlT_T0_E_clISt17integral_constantIbLb0EES1E_EEDaS19_S1A_EUlS19_E_NS1_11comp_targetILNS1_3genE2ELNS1_11target_archE906ELNS1_3gpuE6ELNS1_3repE0EEENS1_30default_config_static_selectorELNS0_4arch9wavefront6targetE0EEEvT1_.num_named_barrier, 0
	.set _ZN7rocprim17ROCPRIM_400000_NS6detail17trampoline_kernelINS0_14default_configENS1_25partition_config_selectorILNS1_17partition_subalgoE8EbNS0_10empty_typeEbEEZZNS1_14partition_implILS5_8ELb0ES3_jN6hipcub16HIPCUB_304000_NS22TransformInputIteratorIbN2at6native8internal12_GLOBAL__N_110LoadBoolOpEPKhlEEPS6_PKS6_NS0_5tupleIJPbS6_EEENSN_IJSK_SK_EEENS0_18inequality_wrapperINSA_8EqualityEEEPlJS6_EEE10hipError_tPvRmT3_T4_T5_T6_T7_T9_mT8_P12ihipStream_tbDpT10_ENKUlT_T0_E_clISt17integral_constantIbLb0EES1E_EEDaS19_S1A_EUlS19_E_NS1_11comp_targetILNS1_3genE2ELNS1_11target_archE906ELNS1_3gpuE6ELNS1_3repE0EEENS1_30default_config_static_selectorELNS0_4arch9wavefront6targetE0EEEvT1_.private_seg_size, 0
	.set _ZN7rocprim17ROCPRIM_400000_NS6detail17trampoline_kernelINS0_14default_configENS1_25partition_config_selectorILNS1_17partition_subalgoE8EbNS0_10empty_typeEbEEZZNS1_14partition_implILS5_8ELb0ES3_jN6hipcub16HIPCUB_304000_NS22TransformInputIteratorIbN2at6native8internal12_GLOBAL__N_110LoadBoolOpEPKhlEEPS6_PKS6_NS0_5tupleIJPbS6_EEENSN_IJSK_SK_EEENS0_18inequality_wrapperINSA_8EqualityEEEPlJS6_EEE10hipError_tPvRmT3_T4_T5_T6_T7_T9_mT8_P12ihipStream_tbDpT10_ENKUlT_T0_E_clISt17integral_constantIbLb0EES1E_EEDaS19_S1A_EUlS19_E_NS1_11comp_targetILNS1_3genE2ELNS1_11target_archE906ELNS1_3gpuE6ELNS1_3repE0EEENS1_30default_config_static_selectorELNS0_4arch9wavefront6targetE0EEEvT1_.uses_vcc, 0
	.set _ZN7rocprim17ROCPRIM_400000_NS6detail17trampoline_kernelINS0_14default_configENS1_25partition_config_selectorILNS1_17partition_subalgoE8EbNS0_10empty_typeEbEEZZNS1_14partition_implILS5_8ELb0ES3_jN6hipcub16HIPCUB_304000_NS22TransformInputIteratorIbN2at6native8internal12_GLOBAL__N_110LoadBoolOpEPKhlEEPS6_PKS6_NS0_5tupleIJPbS6_EEENSN_IJSK_SK_EEENS0_18inequality_wrapperINSA_8EqualityEEEPlJS6_EEE10hipError_tPvRmT3_T4_T5_T6_T7_T9_mT8_P12ihipStream_tbDpT10_ENKUlT_T0_E_clISt17integral_constantIbLb0EES1E_EEDaS19_S1A_EUlS19_E_NS1_11comp_targetILNS1_3genE2ELNS1_11target_archE906ELNS1_3gpuE6ELNS1_3repE0EEENS1_30default_config_static_selectorELNS0_4arch9wavefront6targetE0EEEvT1_.uses_flat_scratch, 0
	.set _ZN7rocprim17ROCPRIM_400000_NS6detail17trampoline_kernelINS0_14default_configENS1_25partition_config_selectorILNS1_17partition_subalgoE8EbNS0_10empty_typeEbEEZZNS1_14partition_implILS5_8ELb0ES3_jN6hipcub16HIPCUB_304000_NS22TransformInputIteratorIbN2at6native8internal12_GLOBAL__N_110LoadBoolOpEPKhlEEPS6_PKS6_NS0_5tupleIJPbS6_EEENSN_IJSK_SK_EEENS0_18inequality_wrapperINSA_8EqualityEEEPlJS6_EEE10hipError_tPvRmT3_T4_T5_T6_T7_T9_mT8_P12ihipStream_tbDpT10_ENKUlT_T0_E_clISt17integral_constantIbLb0EES1E_EEDaS19_S1A_EUlS19_E_NS1_11comp_targetILNS1_3genE2ELNS1_11target_archE906ELNS1_3gpuE6ELNS1_3repE0EEENS1_30default_config_static_selectorELNS0_4arch9wavefront6targetE0EEEvT1_.has_dyn_sized_stack, 0
	.set _ZN7rocprim17ROCPRIM_400000_NS6detail17trampoline_kernelINS0_14default_configENS1_25partition_config_selectorILNS1_17partition_subalgoE8EbNS0_10empty_typeEbEEZZNS1_14partition_implILS5_8ELb0ES3_jN6hipcub16HIPCUB_304000_NS22TransformInputIteratorIbN2at6native8internal12_GLOBAL__N_110LoadBoolOpEPKhlEEPS6_PKS6_NS0_5tupleIJPbS6_EEENSN_IJSK_SK_EEENS0_18inequality_wrapperINSA_8EqualityEEEPlJS6_EEE10hipError_tPvRmT3_T4_T5_T6_T7_T9_mT8_P12ihipStream_tbDpT10_ENKUlT_T0_E_clISt17integral_constantIbLb0EES1E_EEDaS19_S1A_EUlS19_E_NS1_11comp_targetILNS1_3genE2ELNS1_11target_archE906ELNS1_3gpuE6ELNS1_3repE0EEENS1_30default_config_static_selectorELNS0_4arch9wavefront6targetE0EEEvT1_.has_recursion, 0
	.set _ZN7rocprim17ROCPRIM_400000_NS6detail17trampoline_kernelINS0_14default_configENS1_25partition_config_selectorILNS1_17partition_subalgoE8EbNS0_10empty_typeEbEEZZNS1_14partition_implILS5_8ELb0ES3_jN6hipcub16HIPCUB_304000_NS22TransformInputIteratorIbN2at6native8internal12_GLOBAL__N_110LoadBoolOpEPKhlEEPS6_PKS6_NS0_5tupleIJPbS6_EEENSN_IJSK_SK_EEENS0_18inequality_wrapperINSA_8EqualityEEEPlJS6_EEE10hipError_tPvRmT3_T4_T5_T6_T7_T9_mT8_P12ihipStream_tbDpT10_ENKUlT_T0_E_clISt17integral_constantIbLb0EES1E_EEDaS19_S1A_EUlS19_E_NS1_11comp_targetILNS1_3genE2ELNS1_11target_archE906ELNS1_3gpuE6ELNS1_3repE0EEENS1_30default_config_static_selectorELNS0_4arch9wavefront6targetE0EEEvT1_.has_indirect_call, 0
	.section	.AMDGPU.csdata,"",@progbits
; Kernel info:
; codeLenInByte = 0
; TotalNumSgprs: 0
; NumVgprs: 0
; ScratchSize: 0
; MemoryBound: 0
; FloatMode: 240
; IeeeMode: 1
; LDSByteSize: 0 bytes/workgroup (compile time only)
; SGPRBlocks: 0
; VGPRBlocks: 0
; NumSGPRsForWavesPerEU: 1
; NumVGPRsForWavesPerEU: 1
; NamedBarCnt: 0
; Occupancy: 16
; WaveLimiterHint : 0
; COMPUTE_PGM_RSRC2:SCRATCH_EN: 0
; COMPUTE_PGM_RSRC2:USER_SGPR: 2
; COMPUTE_PGM_RSRC2:TRAP_HANDLER: 0
; COMPUTE_PGM_RSRC2:TGID_X_EN: 1
; COMPUTE_PGM_RSRC2:TGID_Y_EN: 0
; COMPUTE_PGM_RSRC2:TGID_Z_EN: 0
; COMPUTE_PGM_RSRC2:TIDIG_COMP_CNT: 0
	.section	.text._ZN7rocprim17ROCPRIM_400000_NS6detail17trampoline_kernelINS0_14default_configENS1_25partition_config_selectorILNS1_17partition_subalgoE8EbNS0_10empty_typeEbEEZZNS1_14partition_implILS5_8ELb0ES3_jN6hipcub16HIPCUB_304000_NS22TransformInputIteratorIbN2at6native8internal12_GLOBAL__N_110LoadBoolOpEPKhlEEPS6_PKS6_NS0_5tupleIJPbS6_EEENSN_IJSK_SK_EEENS0_18inequality_wrapperINSA_8EqualityEEEPlJS6_EEE10hipError_tPvRmT3_T4_T5_T6_T7_T9_mT8_P12ihipStream_tbDpT10_ENKUlT_T0_E_clISt17integral_constantIbLb0EES1E_EEDaS19_S1A_EUlS19_E_NS1_11comp_targetILNS1_3genE10ELNS1_11target_archE1200ELNS1_3gpuE4ELNS1_3repE0EEENS1_30default_config_static_selectorELNS0_4arch9wavefront6targetE0EEEvT1_,"axG",@progbits,_ZN7rocprim17ROCPRIM_400000_NS6detail17trampoline_kernelINS0_14default_configENS1_25partition_config_selectorILNS1_17partition_subalgoE8EbNS0_10empty_typeEbEEZZNS1_14partition_implILS5_8ELb0ES3_jN6hipcub16HIPCUB_304000_NS22TransformInputIteratorIbN2at6native8internal12_GLOBAL__N_110LoadBoolOpEPKhlEEPS6_PKS6_NS0_5tupleIJPbS6_EEENSN_IJSK_SK_EEENS0_18inequality_wrapperINSA_8EqualityEEEPlJS6_EEE10hipError_tPvRmT3_T4_T5_T6_T7_T9_mT8_P12ihipStream_tbDpT10_ENKUlT_T0_E_clISt17integral_constantIbLb0EES1E_EEDaS19_S1A_EUlS19_E_NS1_11comp_targetILNS1_3genE10ELNS1_11target_archE1200ELNS1_3gpuE4ELNS1_3repE0EEENS1_30default_config_static_selectorELNS0_4arch9wavefront6targetE0EEEvT1_,comdat
	.globl	_ZN7rocprim17ROCPRIM_400000_NS6detail17trampoline_kernelINS0_14default_configENS1_25partition_config_selectorILNS1_17partition_subalgoE8EbNS0_10empty_typeEbEEZZNS1_14partition_implILS5_8ELb0ES3_jN6hipcub16HIPCUB_304000_NS22TransformInputIteratorIbN2at6native8internal12_GLOBAL__N_110LoadBoolOpEPKhlEEPS6_PKS6_NS0_5tupleIJPbS6_EEENSN_IJSK_SK_EEENS0_18inequality_wrapperINSA_8EqualityEEEPlJS6_EEE10hipError_tPvRmT3_T4_T5_T6_T7_T9_mT8_P12ihipStream_tbDpT10_ENKUlT_T0_E_clISt17integral_constantIbLb0EES1E_EEDaS19_S1A_EUlS19_E_NS1_11comp_targetILNS1_3genE10ELNS1_11target_archE1200ELNS1_3gpuE4ELNS1_3repE0EEENS1_30default_config_static_selectorELNS0_4arch9wavefront6targetE0EEEvT1_ ; -- Begin function _ZN7rocprim17ROCPRIM_400000_NS6detail17trampoline_kernelINS0_14default_configENS1_25partition_config_selectorILNS1_17partition_subalgoE8EbNS0_10empty_typeEbEEZZNS1_14partition_implILS5_8ELb0ES3_jN6hipcub16HIPCUB_304000_NS22TransformInputIteratorIbN2at6native8internal12_GLOBAL__N_110LoadBoolOpEPKhlEEPS6_PKS6_NS0_5tupleIJPbS6_EEENSN_IJSK_SK_EEENS0_18inequality_wrapperINSA_8EqualityEEEPlJS6_EEE10hipError_tPvRmT3_T4_T5_T6_T7_T9_mT8_P12ihipStream_tbDpT10_ENKUlT_T0_E_clISt17integral_constantIbLb0EES1E_EEDaS19_S1A_EUlS19_E_NS1_11comp_targetILNS1_3genE10ELNS1_11target_archE1200ELNS1_3gpuE4ELNS1_3repE0EEENS1_30default_config_static_selectorELNS0_4arch9wavefront6targetE0EEEvT1_
	.p2align	8
	.type	_ZN7rocprim17ROCPRIM_400000_NS6detail17trampoline_kernelINS0_14default_configENS1_25partition_config_selectorILNS1_17partition_subalgoE8EbNS0_10empty_typeEbEEZZNS1_14partition_implILS5_8ELb0ES3_jN6hipcub16HIPCUB_304000_NS22TransformInputIteratorIbN2at6native8internal12_GLOBAL__N_110LoadBoolOpEPKhlEEPS6_PKS6_NS0_5tupleIJPbS6_EEENSN_IJSK_SK_EEENS0_18inequality_wrapperINSA_8EqualityEEEPlJS6_EEE10hipError_tPvRmT3_T4_T5_T6_T7_T9_mT8_P12ihipStream_tbDpT10_ENKUlT_T0_E_clISt17integral_constantIbLb0EES1E_EEDaS19_S1A_EUlS19_E_NS1_11comp_targetILNS1_3genE10ELNS1_11target_archE1200ELNS1_3gpuE4ELNS1_3repE0EEENS1_30default_config_static_selectorELNS0_4arch9wavefront6targetE0EEEvT1_,@function
_ZN7rocprim17ROCPRIM_400000_NS6detail17trampoline_kernelINS0_14default_configENS1_25partition_config_selectorILNS1_17partition_subalgoE8EbNS0_10empty_typeEbEEZZNS1_14partition_implILS5_8ELb0ES3_jN6hipcub16HIPCUB_304000_NS22TransformInputIteratorIbN2at6native8internal12_GLOBAL__N_110LoadBoolOpEPKhlEEPS6_PKS6_NS0_5tupleIJPbS6_EEENSN_IJSK_SK_EEENS0_18inequality_wrapperINSA_8EqualityEEEPlJS6_EEE10hipError_tPvRmT3_T4_T5_T6_T7_T9_mT8_P12ihipStream_tbDpT10_ENKUlT_T0_E_clISt17integral_constantIbLb0EES1E_EEDaS19_S1A_EUlS19_E_NS1_11comp_targetILNS1_3genE10ELNS1_11target_archE1200ELNS1_3gpuE4ELNS1_3repE0EEENS1_30default_config_static_selectorELNS0_4arch9wavefront6targetE0EEEvT1_: ; @_ZN7rocprim17ROCPRIM_400000_NS6detail17trampoline_kernelINS0_14default_configENS1_25partition_config_selectorILNS1_17partition_subalgoE8EbNS0_10empty_typeEbEEZZNS1_14partition_implILS5_8ELb0ES3_jN6hipcub16HIPCUB_304000_NS22TransformInputIteratorIbN2at6native8internal12_GLOBAL__N_110LoadBoolOpEPKhlEEPS6_PKS6_NS0_5tupleIJPbS6_EEENSN_IJSK_SK_EEENS0_18inequality_wrapperINSA_8EqualityEEEPlJS6_EEE10hipError_tPvRmT3_T4_T5_T6_T7_T9_mT8_P12ihipStream_tbDpT10_ENKUlT_T0_E_clISt17integral_constantIbLb0EES1E_EEDaS19_S1A_EUlS19_E_NS1_11comp_targetILNS1_3genE10ELNS1_11target_archE1200ELNS1_3gpuE4ELNS1_3repE0EEENS1_30default_config_static_selectorELNS0_4arch9wavefront6targetE0EEEvT1_
; %bb.0:
	.section	.rodata,"a",@progbits
	.p2align	6, 0x0
	.amdhsa_kernel _ZN7rocprim17ROCPRIM_400000_NS6detail17trampoline_kernelINS0_14default_configENS1_25partition_config_selectorILNS1_17partition_subalgoE8EbNS0_10empty_typeEbEEZZNS1_14partition_implILS5_8ELb0ES3_jN6hipcub16HIPCUB_304000_NS22TransformInputIteratorIbN2at6native8internal12_GLOBAL__N_110LoadBoolOpEPKhlEEPS6_PKS6_NS0_5tupleIJPbS6_EEENSN_IJSK_SK_EEENS0_18inequality_wrapperINSA_8EqualityEEEPlJS6_EEE10hipError_tPvRmT3_T4_T5_T6_T7_T9_mT8_P12ihipStream_tbDpT10_ENKUlT_T0_E_clISt17integral_constantIbLb0EES1E_EEDaS19_S1A_EUlS19_E_NS1_11comp_targetILNS1_3genE10ELNS1_11target_archE1200ELNS1_3gpuE4ELNS1_3repE0EEENS1_30default_config_static_selectorELNS0_4arch9wavefront6targetE0EEEvT1_
		.amdhsa_group_segment_fixed_size 0
		.amdhsa_private_segment_fixed_size 0
		.amdhsa_kernarg_size 120
		.amdhsa_user_sgpr_count 2
		.amdhsa_user_sgpr_dispatch_ptr 0
		.amdhsa_user_sgpr_queue_ptr 0
		.amdhsa_user_sgpr_kernarg_segment_ptr 1
		.amdhsa_user_sgpr_dispatch_id 0
		.amdhsa_user_sgpr_kernarg_preload_length 0
		.amdhsa_user_sgpr_kernarg_preload_offset 0
		.amdhsa_user_sgpr_private_segment_size 0
		.amdhsa_wavefront_size32 1
		.amdhsa_uses_dynamic_stack 0
		.amdhsa_enable_private_segment 0
		.amdhsa_system_sgpr_workgroup_id_x 1
		.amdhsa_system_sgpr_workgroup_id_y 0
		.amdhsa_system_sgpr_workgroup_id_z 0
		.amdhsa_system_sgpr_workgroup_info 0
		.amdhsa_system_vgpr_workitem_id 0
		.amdhsa_next_free_vgpr 1
		.amdhsa_next_free_sgpr 1
		.amdhsa_named_barrier_count 0
		.amdhsa_reserve_vcc 0
		.amdhsa_float_round_mode_32 0
		.amdhsa_float_round_mode_16_64 0
		.amdhsa_float_denorm_mode_32 3
		.amdhsa_float_denorm_mode_16_64 3
		.amdhsa_fp16_overflow 0
		.amdhsa_memory_ordered 1
		.amdhsa_forward_progress 1
		.amdhsa_inst_pref_size 0
		.amdhsa_round_robin_scheduling 0
		.amdhsa_exception_fp_ieee_invalid_op 0
		.amdhsa_exception_fp_denorm_src 0
		.amdhsa_exception_fp_ieee_div_zero 0
		.amdhsa_exception_fp_ieee_overflow 0
		.amdhsa_exception_fp_ieee_underflow 0
		.amdhsa_exception_fp_ieee_inexact 0
		.amdhsa_exception_int_div_zero 0
	.end_amdhsa_kernel
	.section	.text._ZN7rocprim17ROCPRIM_400000_NS6detail17trampoline_kernelINS0_14default_configENS1_25partition_config_selectorILNS1_17partition_subalgoE8EbNS0_10empty_typeEbEEZZNS1_14partition_implILS5_8ELb0ES3_jN6hipcub16HIPCUB_304000_NS22TransformInputIteratorIbN2at6native8internal12_GLOBAL__N_110LoadBoolOpEPKhlEEPS6_PKS6_NS0_5tupleIJPbS6_EEENSN_IJSK_SK_EEENS0_18inequality_wrapperINSA_8EqualityEEEPlJS6_EEE10hipError_tPvRmT3_T4_T5_T6_T7_T9_mT8_P12ihipStream_tbDpT10_ENKUlT_T0_E_clISt17integral_constantIbLb0EES1E_EEDaS19_S1A_EUlS19_E_NS1_11comp_targetILNS1_3genE10ELNS1_11target_archE1200ELNS1_3gpuE4ELNS1_3repE0EEENS1_30default_config_static_selectorELNS0_4arch9wavefront6targetE0EEEvT1_,"axG",@progbits,_ZN7rocprim17ROCPRIM_400000_NS6detail17trampoline_kernelINS0_14default_configENS1_25partition_config_selectorILNS1_17partition_subalgoE8EbNS0_10empty_typeEbEEZZNS1_14partition_implILS5_8ELb0ES3_jN6hipcub16HIPCUB_304000_NS22TransformInputIteratorIbN2at6native8internal12_GLOBAL__N_110LoadBoolOpEPKhlEEPS6_PKS6_NS0_5tupleIJPbS6_EEENSN_IJSK_SK_EEENS0_18inequality_wrapperINSA_8EqualityEEEPlJS6_EEE10hipError_tPvRmT3_T4_T5_T6_T7_T9_mT8_P12ihipStream_tbDpT10_ENKUlT_T0_E_clISt17integral_constantIbLb0EES1E_EEDaS19_S1A_EUlS19_E_NS1_11comp_targetILNS1_3genE10ELNS1_11target_archE1200ELNS1_3gpuE4ELNS1_3repE0EEENS1_30default_config_static_selectorELNS0_4arch9wavefront6targetE0EEEvT1_,comdat
.Lfunc_end10:
	.size	_ZN7rocprim17ROCPRIM_400000_NS6detail17trampoline_kernelINS0_14default_configENS1_25partition_config_selectorILNS1_17partition_subalgoE8EbNS0_10empty_typeEbEEZZNS1_14partition_implILS5_8ELb0ES3_jN6hipcub16HIPCUB_304000_NS22TransformInputIteratorIbN2at6native8internal12_GLOBAL__N_110LoadBoolOpEPKhlEEPS6_PKS6_NS0_5tupleIJPbS6_EEENSN_IJSK_SK_EEENS0_18inequality_wrapperINSA_8EqualityEEEPlJS6_EEE10hipError_tPvRmT3_T4_T5_T6_T7_T9_mT8_P12ihipStream_tbDpT10_ENKUlT_T0_E_clISt17integral_constantIbLb0EES1E_EEDaS19_S1A_EUlS19_E_NS1_11comp_targetILNS1_3genE10ELNS1_11target_archE1200ELNS1_3gpuE4ELNS1_3repE0EEENS1_30default_config_static_selectorELNS0_4arch9wavefront6targetE0EEEvT1_, .Lfunc_end10-_ZN7rocprim17ROCPRIM_400000_NS6detail17trampoline_kernelINS0_14default_configENS1_25partition_config_selectorILNS1_17partition_subalgoE8EbNS0_10empty_typeEbEEZZNS1_14partition_implILS5_8ELb0ES3_jN6hipcub16HIPCUB_304000_NS22TransformInputIteratorIbN2at6native8internal12_GLOBAL__N_110LoadBoolOpEPKhlEEPS6_PKS6_NS0_5tupleIJPbS6_EEENSN_IJSK_SK_EEENS0_18inequality_wrapperINSA_8EqualityEEEPlJS6_EEE10hipError_tPvRmT3_T4_T5_T6_T7_T9_mT8_P12ihipStream_tbDpT10_ENKUlT_T0_E_clISt17integral_constantIbLb0EES1E_EEDaS19_S1A_EUlS19_E_NS1_11comp_targetILNS1_3genE10ELNS1_11target_archE1200ELNS1_3gpuE4ELNS1_3repE0EEENS1_30default_config_static_selectorELNS0_4arch9wavefront6targetE0EEEvT1_
                                        ; -- End function
	.set _ZN7rocprim17ROCPRIM_400000_NS6detail17trampoline_kernelINS0_14default_configENS1_25partition_config_selectorILNS1_17partition_subalgoE8EbNS0_10empty_typeEbEEZZNS1_14partition_implILS5_8ELb0ES3_jN6hipcub16HIPCUB_304000_NS22TransformInputIteratorIbN2at6native8internal12_GLOBAL__N_110LoadBoolOpEPKhlEEPS6_PKS6_NS0_5tupleIJPbS6_EEENSN_IJSK_SK_EEENS0_18inequality_wrapperINSA_8EqualityEEEPlJS6_EEE10hipError_tPvRmT3_T4_T5_T6_T7_T9_mT8_P12ihipStream_tbDpT10_ENKUlT_T0_E_clISt17integral_constantIbLb0EES1E_EEDaS19_S1A_EUlS19_E_NS1_11comp_targetILNS1_3genE10ELNS1_11target_archE1200ELNS1_3gpuE4ELNS1_3repE0EEENS1_30default_config_static_selectorELNS0_4arch9wavefront6targetE0EEEvT1_.num_vgpr, 0
	.set _ZN7rocprim17ROCPRIM_400000_NS6detail17trampoline_kernelINS0_14default_configENS1_25partition_config_selectorILNS1_17partition_subalgoE8EbNS0_10empty_typeEbEEZZNS1_14partition_implILS5_8ELb0ES3_jN6hipcub16HIPCUB_304000_NS22TransformInputIteratorIbN2at6native8internal12_GLOBAL__N_110LoadBoolOpEPKhlEEPS6_PKS6_NS0_5tupleIJPbS6_EEENSN_IJSK_SK_EEENS0_18inequality_wrapperINSA_8EqualityEEEPlJS6_EEE10hipError_tPvRmT3_T4_T5_T6_T7_T9_mT8_P12ihipStream_tbDpT10_ENKUlT_T0_E_clISt17integral_constantIbLb0EES1E_EEDaS19_S1A_EUlS19_E_NS1_11comp_targetILNS1_3genE10ELNS1_11target_archE1200ELNS1_3gpuE4ELNS1_3repE0EEENS1_30default_config_static_selectorELNS0_4arch9wavefront6targetE0EEEvT1_.num_agpr, 0
	.set _ZN7rocprim17ROCPRIM_400000_NS6detail17trampoline_kernelINS0_14default_configENS1_25partition_config_selectorILNS1_17partition_subalgoE8EbNS0_10empty_typeEbEEZZNS1_14partition_implILS5_8ELb0ES3_jN6hipcub16HIPCUB_304000_NS22TransformInputIteratorIbN2at6native8internal12_GLOBAL__N_110LoadBoolOpEPKhlEEPS6_PKS6_NS0_5tupleIJPbS6_EEENSN_IJSK_SK_EEENS0_18inequality_wrapperINSA_8EqualityEEEPlJS6_EEE10hipError_tPvRmT3_T4_T5_T6_T7_T9_mT8_P12ihipStream_tbDpT10_ENKUlT_T0_E_clISt17integral_constantIbLb0EES1E_EEDaS19_S1A_EUlS19_E_NS1_11comp_targetILNS1_3genE10ELNS1_11target_archE1200ELNS1_3gpuE4ELNS1_3repE0EEENS1_30default_config_static_selectorELNS0_4arch9wavefront6targetE0EEEvT1_.numbered_sgpr, 0
	.set _ZN7rocprim17ROCPRIM_400000_NS6detail17trampoline_kernelINS0_14default_configENS1_25partition_config_selectorILNS1_17partition_subalgoE8EbNS0_10empty_typeEbEEZZNS1_14partition_implILS5_8ELb0ES3_jN6hipcub16HIPCUB_304000_NS22TransformInputIteratorIbN2at6native8internal12_GLOBAL__N_110LoadBoolOpEPKhlEEPS6_PKS6_NS0_5tupleIJPbS6_EEENSN_IJSK_SK_EEENS0_18inequality_wrapperINSA_8EqualityEEEPlJS6_EEE10hipError_tPvRmT3_T4_T5_T6_T7_T9_mT8_P12ihipStream_tbDpT10_ENKUlT_T0_E_clISt17integral_constantIbLb0EES1E_EEDaS19_S1A_EUlS19_E_NS1_11comp_targetILNS1_3genE10ELNS1_11target_archE1200ELNS1_3gpuE4ELNS1_3repE0EEENS1_30default_config_static_selectorELNS0_4arch9wavefront6targetE0EEEvT1_.num_named_barrier, 0
	.set _ZN7rocprim17ROCPRIM_400000_NS6detail17trampoline_kernelINS0_14default_configENS1_25partition_config_selectorILNS1_17partition_subalgoE8EbNS0_10empty_typeEbEEZZNS1_14partition_implILS5_8ELb0ES3_jN6hipcub16HIPCUB_304000_NS22TransformInputIteratorIbN2at6native8internal12_GLOBAL__N_110LoadBoolOpEPKhlEEPS6_PKS6_NS0_5tupleIJPbS6_EEENSN_IJSK_SK_EEENS0_18inequality_wrapperINSA_8EqualityEEEPlJS6_EEE10hipError_tPvRmT3_T4_T5_T6_T7_T9_mT8_P12ihipStream_tbDpT10_ENKUlT_T0_E_clISt17integral_constantIbLb0EES1E_EEDaS19_S1A_EUlS19_E_NS1_11comp_targetILNS1_3genE10ELNS1_11target_archE1200ELNS1_3gpuE4ELNS1_3repE0EEENS1_30default_config_static_selectorELNS0_4arch9wavefront6targetE0EEEvT1_.private_seg_size, 0
	.set _ZN7rocprim17ROCPRIM_400000_NS6detail17trampoline_kernelINS0_14default_configENS1_25partition_config_selectorILNS1_17partition_subalgoE8EbNS0_10empty_typeEbEEZZNS1_14partition_implILS5_8ELb0ES3_jN6hipcub16HIPCUB_304000_NS22TransformInputIteratorIbN2at6native8internal12_GLOBAL__N_110LoadBoolOpEPKhlEEPS6_PKS6_NS0_5tupleIJPbS6_EEENSN_IJSK_SK_EEENS0_18inequality_wrapperINSA_8EqualityEEEPlJS6_EEE10hipError_tPvRmT3_T4_T5_T6_T7_T9_mT8_P12ihipStream_tbDpT10_ENKUlT_T0_E_clISt17integral_constantIbLb0EES1E_EEDaS19_S1A_EUlS19_E_NS1_11comp_targetILNS1_3genE10ELNS1_11target_archE1200ELNS1_3gpuE4ELNS1_3repE0EEENS1_30default_config_static_selectorELNS0_4arch9wavefront6targetE0EEEvT1_.uses_vcc, 0
	.set _ZN7rocprim17ROCPRIM_400000_NS6detail17trampoline_kernelINS0_14default_configENS1_25partition_config_selectorILNS1_17partition_subalgoE8EbNS0_10empty_typeEbEEZZNS1_14partition_implILS5_8ELb0ES3_jN6hipcub16HIPCUB_304000_NS22TransformInputIteratorIbN2at6native8internal12_GLOBAL__N_110LoadBoolOpEPKhlEEPS6_PKS6_NS0_5tupleIJPbS6_EEENSN_IJSK_SK_EEENS0_18inequality_wrapperINSA_8EqualityEEEPlJS6_EEE10hipError_tPvRmT3_T4_T5_T6_T7_T9_mT8_P12ihipStream_tbDpT10_ENKUlT_T0_E_clISt17integral_constantIbLb0EES1E_EEDaS19_S1A_EUlS19_E_NS1_11comp_targetILNS1_3genE10ELNS1_11target_archE1200ELNS1_3gpuE4ELNS1_3repE0EEENS1_30default_config_static_selectorELNS0_4arch9wavefront6targetE0EEEvT1_.uses_flat_scratch, 0
	.set _ZN7rocprim17ROCPRIM_400000_NS6detail17trampoline_kernelINS0_14default_configENS1_25partition_config_selectorILNS1_17partition_subalgoE8EbNS0_10empty_typeEbEEZZNS1_14partition_implILS5_8ELb0ES3_jN6hipcub16HIPCUB_304000_NS22TransformInputIteratorIbN2at6native8internal12_GLOBAL__N_110LoadBoolOpEPKhlEEPS6_PKS6_NS0_5tupleIJPbS6_EEENSN_IJSK_SK_EEENS0_18inequality_wrapperINSA_8EqualityEEEPlJS6_EEE10hipError_tPvRmT3_T4_T5_T6_T7_T9_mT8_P12ihipStream_tbDpT10_ENKUlT_T0_E_clISt17integral_constantIbLb0EES1E_EEDaS19_S1A_EUlS19_E_NS1_11comp_targetILNS1_3genE10ELNS1_11target_archE1200ELNS1_3gpuE4ELNS1_3repE0EEENS1_30default_config_static_selectorELNS0_4arch9wavefront6targetE0EEEvT1_.has_dyn_sized_stack, 0
	.set _ZN7rocprim17ROCPRIM_400000_NS6detail17trampoline_kernelINS0_14default_configENS1_25partition_config_selectorILNS1_17partition_subalgoE8EbNS0_10empty_typeEbEEZZNS1_14partition_implILS5_8ELb0ES3_jN6hipcub16HIPCUB_304000_NS22TransformInputIteratorIbN2at6native8internal12_GLOBAL__N_110LoadBoolOpEPKhlEEPS6_PKS6_NS0_5tupleIJPbS6_EEENSN_IJSK_SK_EEENS0_18inequality_wrapperINSA_8EqualityEEEPlJS6_EEE10hipError_tPvRmT3_T4_T5_T6_T7_T9_mT8_P12ihipStream_tbDpT10_ENKUlT_T0_E_clISt17integral_constantIbLb0EES1E_EEDaS19_S1A_EUlS19_E_NS1_11comp_targetILNS1_3genE10ELNS1_11target_archE1200ELNS1_3gpuE4ELNS1_3repE0EEENS1_30default_config_static_selectorELNS0_4arch9wavefront6targetE0EEEvT1_.has_recursion, 0
	.set _ZN7rocprim17ROCPRIM_400000_NS6detail17trampoline_kernelINS0_14default_configENS1_25partition_config_selectorILNS1_17partition_subalgoE8EbNS0_10empty_typeEbEEZZNS1_14partition_implILS5_8ELb0ES3_jN6hipcub16HIPCUB_304000_NS22TransformInputIteratorIbN2at6native8internal12_GLOBAL__N_110LoadBoolOpEPKhlEEPS6_PKS6_NS0_5tupleIJPbS6_EEENSN_IJSK_SK_EEENS0_18inequality_wrapperINSA_8EqualityEEEPlJS6_EEE10hipError_tPvRmT3_T4_T5_T6_T7_T9_mT8_P12ihipStream_tbDpT10_ENKUlT_T0_E_clISt17integral_constantIbLb0EES1E_EEDaS19_S1A_EUlS19_E_NS1_11comp_targetILNS1_3genE10ELNS1_11target_archE1200ELNS1_3gpuE4ELNS1_3repE0EEENS1_30default_config_static_selectorELNS0_4arch9wavefront6targetE0EEEvT1_.has_indirect_call, 0
	.section	.AMDGPU.csdata,"",@progbits
; Kernel info:
; codeLenInByte = 0
; TotalNumSgprs: 0
; NumVgprs: 0
; ScratchSize: 0
; MemoryBound: 0
; FloatMode: 240
; IeeeMode: 1
; LDSByteSize: 0 bytes/workgroup (compile time only)
; SGPRBlocks: 0
; VGPRBlocks: 0
; NumSGPRsForWavesPerEU: 1
; NumVGPRsForWavesPerEU: 1
; NamedBarCnt: 0
; Occupancy: 16
; WaveLimiterHint : 0
; COMPUTE_PGM_RSRC2:SCRATCH_EN: 0
; COMPUTE_PGM_RSRC2:USER_SGPR: 2
; COMPUTE_PGM_RSRC2:TRAP_HANDLER: 0
; COMPUTE_PGM_RSRC2:TGID_X_EN: 1
; COMPUTE_PGM_RSRC2:TGID_Y_EN: 0
; COMPUTE_PGM_RSRC2:TGID_Z_EN: 0
; COMPUTE_PGM_RSRC2:TIDIG_COMP_CNT: 0
	.section	.text._ZN7rocprim17ROCPRIM_400000_NS6detail17trampoline_kernelINS0_14default_configENS1_25partition_config_selectorILNS1_17partition_subalgoE8EbNS0_10empty_typeEbEEZZNS1_14partition_implILS5_8ELb0ES3_jN6hipcub16HIPCUB_304000_NS22TransformInputIteratorIbN2at6native8internal12_GLOBAL__N_110LoadBoolOpEPKhlEEPS6_PKS6_NS0_5tupleIJPbS6_EEENSN_IJSK_SK_EEENS0_18inequality_wrapperINSA_8EqualityEEEPlJS6_EEE10hipError_tPvRmT3_T4_T5_T6_T7_T9_mT8_P12ihipStream_tbDpT10_ENKUlT_T0_E_clISt17integral_constantIbLb0EES1E_EEDaS19_S1A_EUlS19_E_NS1_11comp_targetILNS1_3genE9ELNS1_11target_archE1100ELNS1_3gpuE3ELNS1_3repE0EEENS1_30default_config_static_selectorELNS0_4arch9wavefront6targetE0EEEvT1_,"axG",@progbits,_ZN7rocprim17ROCPRIM_400000_NS6detail17trampoline_kernelINS0_14default_configENS1_25partition_config_selectorILNS1_17partition_subalgoE8EbNS0_10empty_typeEbEEZZNS1_14partition_implILS5_8ELb0ES3_jN6hipcub16HIPCUB_304000_NS22TransformInputIteratorIbN2at6native8internal12_GLOBAL__N_110LoadBoolOpEPKhlEEPS6_PKS6_NS0_5tupleIJPbS6_EEENSN_IJSK_SK_EEENS0_18inequality_wrapperINSA_8EqualityEEEPlJS6_EEE10hipError_tPvRmT3_T4_T5_T6_T7_T9_mT8_P12ihipStream_tbDpT10_ENKUlT_T0_E_clISt17integral_constantIbLb0EES1E_EEDaS19_S1A_EUlS19_E_NS1_11comp_targetILNS1_3genE9ELNS1_11target_archE1100ELNS1_3gpuE3ELNS1_3repE0EEENS1_30default_config_static_selectorELNS0_4arch9wavefront6targetE0EEEvT1_,comdat
	.globl	_ZN7rocprim17ROCPRIM_400000_NS6detail17trampoline_kernelINS0_14default_configENS1_25partition_config_selectorILNS1_17partition_subalgoE8EbNS0_10empty_typeEbEEZZNS1_14partition_implILS5_8ELb0ES3_jN6hipcub16HIPCUB_304000_NS22TransformInputIteratorIbN2at6native8internal12_GLOBAL__N_110LoadBoolOpEPKhlEEPS6_PKS6_NS0_5tupleIJPbS6_EEENSN_IJSK_SK_EEENS0_18inequality_wrapperINSA_8EqualityEEEPlJS6_EEE10hipError_tPvRmT3_T4_T5_T6_T7_T9_mT8_P12ihipStream_tbDpT10_ENKUlT_T0_E_clISt17integral_constantIbLb0EES1E_EEDaS19_S1A_EUlS19_E_NS1_11comp_targetILNS1_3genE9ELNS1_11target_archE1100ELNS1_3gpuE3ELNS1_3repE0EEENS1_30default_config_static_selectorELNS0_4arch9wavefront6targetE0EEEvT1_ ; -- Begin function _ZN7rocprim17ROCPRIM_400000_NS6detail17trampoline_kernelINS0_14default_configENS1_25partition_config_selectorILNS1_17partition_subalgoE8EbNS0_10empty_typeEbEEZZNS1_14partition_implILS5_8ELb0ES3_jN6hipcub16HIPCUB_304000_NS22TransformInputIteratorIbN2at6native8internal12_GLOBAL__N_110LoadBoolOpEPKhlEEPS6_PKS6_NS0_5tupleIJPbS6_EEENSN_IJSK_SK_EEENS0_18inequality_wrapperINSA_8EqualityEEEPlJS6_EEE10hipError_tPvRmT3_T4_T5_T6_T7_T9_mT8_P12ihipStream_tbDpT10_ENKUlT_T0_E_clISt17integral_constantIbLb0EES1E_EEDaS19_S1A_EUlS19_E_NS1_11comp_targetILNS1_3genE9ELNS1_11target_archE1100ELNS1_3gpuE3ELNS1_3repE0EEENS1_30default_config_static_selectorELNS0_4arch9wavefront6targetE0EEEvT1_
	.p2align	8
	.type	_ZN7rocprim17ROCPRIM_400000_NS6detail17trampoline_kernelINS0_14default_configENS1_25partition_config_selectorILNS1_17partition_subalgoE8EbNS0_10empty_typeEbEEZZNS1_14partition_implILS5_8ELb0ES3_jN6hipcub16HIPCUB_304000_NS22TransformInputIteratorIbN2at6native8internal12_GLOBAL__N_110LoadBoolOpEPKhlEEPS6_PKS6_NS0_5tupleIJPbS6_EEENSN_IJSK_SK_EEENS0_18inequality_wrapperINSA_8EqualityEEEPlJS6_EEE10hipError_tPvRmT3_T4_T5_T6_T7_T9_mT8_P12ihipStream_tbDpT10_ENKUlT_T0_E_clISt17integral_constantIbLb0EES1E_EEDaS19_S1A_EUlS19_E_NS1_11comp_targetILNS1_3genE9ELNS1_11target_archE1100ELNS1_3gpuE3ELNS1_3repE0EEENS1_30default_config_static_selectorELNS0_4arch9wavefront6targetE0EEEvT1_,@function
_ZN7rocprim17ROCPRIM_400000_NS6detail17trampoline_kernelINS0_14default_configENS1_25partition_config_selectorILNS1_17partition_subalgoE8EbNS0_10empty_typeEbEEZZNS1_14partition_implILS5_8ELb0ES3_jN6hipcub16HIPCUB_304000_NS22TransformInputIteratorIbN2at6native8internal12_GLOBAL__N_110LoadBoolOpEPKhlEEPS6_PKS6_NS0_5tupleIJPbS6_EEENSN_IJSK_SK_EEENS0_18inequality_wrapperINSA_8EqualityEEEPlJS6_EEE10hipError_tPvRmT3_T4_T5_T6_T7_T9_mT8_P12ihipStream_tbDpT10_ENKUlT_T0_E_clISt17integral_constantIbLb0EES1E_EEDaS19_S1A_EUlS19_E_NS1_11comp_targetILNS1_3genE9ELNS1_11target_archE1100ELNS1_3gpuE3ELNS1_3repE0EEENS1_30default_config_static_selectorELNS0_4arch9wavefront6targetE0EEEvT1_: ; @_ZN7rocprim17ROCPRIM_400000_NS6detail17trampoline_kernelINS0_14default_configENS1_25partition_config_selectorILNS1_17partition_subalgoE8EbNS0_10empty_typeEbEEZZNS1_14partition_implILS5_8ELb0ES3_jN6hipcub16HIPCUB_304000_NS22TransformInputIteratorIbN2at6native8internal12_GLOBAL__N_110LoadBoolOpEPKhlEEPS6_PKS6_NS0_5tupleIJPbS6_EEENSN_IJSK_SK_EEENS0_18inequality_wrapperINSA_8EqualityEEEPlJS6_EEE10hipError_tPvRmT3_T4_T5_T6_T7_T9_mT8_P12ihipStream_tbDpT10_ENKUlT_T0_E_clISt17integral_constantIbLb0EES1E_EEDaS19_S1A_EUlS19_E_NS1_11comp_targetILNS1_3genE9ELNS1_11target_archE1100ELNS1_3gpuE3ELNS1_3repE0EEENS1_30default_config_static_selectorELNS0_4arch9wavefront6targetE0EEEvT1_
; %bb.0:
	.section	.rodata,"a",@progbits
	.p2align	6, 0x0
	.amdhsa_kernel _ZN7rocprim17ROCPRIM_400000_NS6detail17trampoline_kernelINS0_14default_configENS1_25partition_config_selectorILNS1_17partition_subalgoE8EbNS0_10empty_typeEbEEZZNS1_14partition_implILS5_8ELb0ES3_jN6hipcub16HIPCUB_304000_NS22TransformInputIteratorIbN2at6native8internal12_GLOBAL__N_110LoadBoolOpEPKhlEEPS6_PKS6_NS0_5tupleIJPbS6_EEENSN_IJSK_SK_EEENS0_18inequality_wrapperINSA_8EqualityEEEPlJS6_EEE10hipError_tPvRmT3_T4_T5_T6_T7_T9_mT8_P12ihipStream_tbDpT10_ENKUlT_T0_E_clISt17integral_constantIbLb0EES1E_EEDaS19_S1A_EUlS19_E_NS1_11comp_targetILNS1_3genE9ELNS1_11target_archE1100ELNS1_3gpuE3ELNS1_3repE0EEENS1_30default_config_static_selectorELNS0_4arch9wavefront6targetE0EEEvT1_
		.amdhsa_group_segment_fixed_size 0
		.amdhsa_private_segment_fixed_size 0
		.amdhsa_kernarg_size 120
		.amdhsa_user_sgpr_count 2
		.amdhsa_user_sgpr_dispatch_ptr 0
		.amdhsa_user_sgpr_queue_ptr 0
		.amdhsa_user_sgpr_kernarg_segment_ptr 1
		.amdhsa_user_sgpr_dispatch_id 0
		.amdhsa_user_sgpr_kernarg_preload_length 0
		.amdhsa_user_sgpr_kernarg_preload_offset 0
		.amdhsa_user_sgpr_private_segment_size 0
		.amdhsa_wavefront_size32 1
		.amdhsa_uses_dynamic_stack 0
		.amdhsa_enable_private_segment 0
		.amdhsa_system_sgpr_workgroup_id_x 1
		.amdhsa_system_sgpr_workgroup_id_y 0
		.amdhsa_system_sgpr_workgroup_id_z 0
		.amdhsa_system_sgpr_workgroup_info 0
		.amdhsa_system_vgpr_workitem_id 0
		.amdhsa_next_free_vgpr 1
		.amdhsa_next_free_sgpr 1
		.amdhsa_named_barrier_count 0
		.amdhsa_reserve_vcc 0
		.amdhsa_float_round_mode_32 0
		.amdhsa_float_round_mode_16_64 0
		.amdhsa_float_denorm_mode_32 3
		.amdhsa_float_denorm_mode_16_64 3
		.amdhsa_fp16_overflow 0
		.amdhsa_memory_ordered 1
		.amdhsa_forward_progress 1
		.amdhsa_inst_pref_size 0
		.amdhsa_round_robin_scheduling 0
		.amdhsa_exception_fp_ieee_invalid_op 0
		.amdhsa_exception_fp_denorm_src 0
		.amdhsa_exception_fp_ieee_div_zero 0
		.amdhsa_exception_fp_ieee_overflow 0
		.amdhsa_exception_fp_ieee_underflow 0
		.amdhsa_exception_fp_ieee_inexact 0
		.amdhsa_exception_int_div_zero 0
	.end_amdhsa_kernel
	.section	.text._ZN7rocprim17ROCPRIM_400000_NS6detail17trampoline_kernelINS0_14default_configENS1_25partition_config_selectorILNS1_17partition_subalgoE8EbNS0_10empty_typeEbEEZZNS1_14partition_implILS5_8ELb0ES3_jN6hipcub16HIPCUB_304000_NS22TransformInputIteratorIbN2at6native8internal12_GLOBAL__N_110LoadBoolOpEPKhlEEPS6_PKS6_NS0_5tupleIJPbS6_EEENSN_IJSK_SK_EEENS0_18inequality_wrapperINSA_8EqualityEEEPlJS6_EEE10hipError_tPvRmT3_T4_T5_T6_T7_T9_mT8_P12ihipStream_tbDpT10_ENKUlT_T0_E_clISt17integral_constantIbLb0EES1E_EEDaS19_S1A_EUlS19_E_NS1_11comp_targetILNS1_3genE9ELNS1_11target_archE1100ELNS1_3gpuE3ELNS1_3repE0EEENS1_30default_config_static_selectorELNS0_4arch9wavefront6targetE0EEEvT1_,"axG",@progbits,_ZN7rocprim17ROCPRIM_400000_NS6detail17trampoline_kernelINS0_14default_configENS1_25partition_config_selectorILNS1_17partition_subalgoE8EbNS0_10empty_typeEbEEZZNS1_14partition_implILS5_8ELb0ES3_jN6hipcub16HIPCUB_304000_NS22TransformInputIteratorIbN2at6native8internal12_GLOBAL__N_110LoadBoolOpEPKhlEEPS6_PKS6_NS0_5tupleIJPbS6_EEENSN_IJSK_SK_EEENS0_18inequality_wrapperINSA_8EqualityEEEPlJS6_EEE10hipError_tPvRmT3_T4_T5_T6_T7_T9_mT8_P12ihipStream_tbDpT10_ENKUlT_T0_E_clISt17integral_constantIbLb0EES1E_EEDaS19_S1A_EUlS19_E_NS1_11comp_targetILNS1_3genE9ELNS1_11target_archE1100ELNS1_3gpuE3ELNS1_3repE0EEENS1_30default_config_static_selectorELNS0_4arch9wavefront6targetE0EEEvT1_,comdat
.Lfunc_end11:
	.size	_ZN7rocprim17ROCPRIM_400000_NS6detail17trampoline_kernelINS0_14default_configENS1_25partition_config_selectorILNS1_17partition_subalgoE8EbNS0_10empty_typeEbEEZZNS1_14partition_implILS5_8ELb0ES3_jN6hipcub16HIPCUB_304000_NS22TransformInputIteratorIbN2at6native8internal12_GLOBAL__N_110LoadBoolOpEPKhlEEPS6_PKS6_NS0_5tupleIJPbS6_EEENSN_IJSK_SK_EEENS0_18inequality_wrapperINSA_8EqualityEEEPlJS6_EEE10hipError_tPvRmT3_T4_T5_T6_T7_T9_mT8_P12ihipStream_tbDpT10_ENKUlT_T0_E_clISt17integral_constantIbLb0EES1E_EEDaS19_S1A_EUlS19_E_NS1_11comp_targetILNS1_3genE9ELNS1_11target_archE1100ELNS1_3gpuE3ELNS1_3repE0EEENS1_30default_config_static_selectorELNS0_4arch9wavefront6targetE0EEEvT1_, .Lfunc_end11-_ZN7rocprim17ROCPRIM_400000_NS6detail17trampoline_kernelINS0_14default_configENS1_25partition_config_selectorILNS1_17partition_subalgoE8EbNS0_10empty_typeEbEEZZNS1_14partition_implILS5_8ELb0ES3_jN6hipcub16HIPCUB_304000_NS22TransformInputIteratorIbN2at6native8internal12_GLOBAL__N_110LoadBoolOpEPKhlEEPS6_PKS6_NS0_5tupleIJPbS6_EEENSN_IJSK_SK_EEENS0_18inequality_wrapperINSA_8EqualityEEEPlJS6_EEE10hipError_tPvRmT3_T4_T5_T6_T7_T9_mT8_P12ihipStream_tbDpT10_ENKUlT_T0_E_clISt17integral_constantIbLb0EES1E_EEDaS19_S1A_EUlS19_E_NS1_11comp_targetILNS1_3genE9ELNS1_11target_archE1100ELNS1_3gpuE3ELNS1_3repE0EEENS1_30default_config_static_selectorELNS0_4arch9wavefront6targetE0EEEvT1_
                                        ; -- End function
	.set _ZN7rocprim17ROCPRIM_400000_NS6detail17trampoline_kernelINS0_14default_configENS1_25partition_config_selectorILNS1_17partition_subalgoE8EbNS0_10empty_typeEbEEZZNS1_14partition_implILS5_8ELb0ES3_jN6hipcub16HIPCUB_304000_NS22TransformInputIteratorIbN2at6native8internal12_GLOBAL__N_110LoadBoolOpEPKhlEEPS6_PKS6_NS0_5tupleIJPbS6_EEENSN_IJSK_SK_EEENS0_18inequality_wrapperINSA_8EqualityEEEPlJS6_EEE10hipError_tPvRmT3_T4_T5_T6_T7_T9_mT8_P12ihipStream_tbDpT10_ENKUlT_T0_E_clISt17integral_constantIbLb0EES1E_EEDaS19_S1A_EUlS19_E_NS1_11comp_targetILNS1_3genE9ELNS1_11target_archE1100ELNS1_3gpuE3ELNS1_3repE0EEENS1_30default_config_static_selectorELNS0_4arch9wavefront6targetE0EEEvT1_.num_vgpr, 0
	.set _ZN7rocprim17ROCPRIM_400000_NS6detail17trampoline_kernelINS0_14default_configENS1_25partition_config_selectorILNS1_17partition_subalgoE8EbNS0_10empty_typeEbEEZZNS1_14partition_implILS5_8ELb0ES3_jN6hipcub16HIPCUB_304000_NS22TransformInputIteratorIbN2at6native8internal12_GLOBAL__N_110LoadBoolOpEPKhlEEPS6_PKS6_NS0_5tupleIJPbS6_EEENSN_IJSK_SK_EEENS0_18inequality_wrapperINSA_8EqualityEEEPlJS6_EEE10hipError_tPvRmT3_T4_T5_T6_T7_T9_mT8_P12ihipStream_tbDpT10_ENKUlT_T0_E_clISt17integral_constantIbLb0EES1E_EEDaS19_S1A_EUlS19_E_NS1_11comp_targetILNS1_3genE9ELNS1_11target_archE1100ELNS1_3gpuE3ELNS1_3repE0EEENS1_30default_config_static_selectorELNS0_4arch9wavefront6targetE0EEEvT1_.num_agpr, 0
	.set _ZN7rocprim17ROCPRIM_400000_NS6detail17trampoline_kernelINS0_14default_configENS1_25partition_config_selectorILNS1_17partition_subalgoE8EbNS0_10empty_typeEbEEZZNS1_14partition_implILS5_8ELb0ES3_jN6hipcub16HIPCUB_304000_NS22TransformInputIteratorIbN2at6native8internal12_GLOBAL__N_110LoadBoolOpEPKhlEEPS6_PKS6_NS0_5tupleIJPbS6_EEENSN_IJSK_SK_EEENS0_18inequality_wrapperINSA_8EqualityEEEPlJS6_EEE10hipError_tPvRmT3_T4_T5_T6_T7_T9_mT8_P12ihipStream_tbDpT10_ENKUlT_T0_E_clISt17integral_constantIbLb0EES1E_EEDaS19_S1A_EUlS19_E_NS1_11comp_targetILNS1_3genE9ELNS1_11target_archE1100ELNS1_3gpuE3ELNS1_3repE0EEENS1_30default_config_static_selectorELNS0_4arch9wavefront6targetE0EEEvT1_.numbered_sgpr, 0
	.set _ZN7rocprim17ROCPRIM_400000_NS6detail17trampoline_kernelINS0_14default_configENS1_25partition_config_selectorILNS1_17partition_subalgoE8EbNS0_10empty_typeEbEEZZNS1_14partition_implILS5_8ELb0ES3_jN6hipcub16HIPCUB_304000_NS22TransformInputIteratorIbN2at6native8internal12_GLOBAL__N_110LoadBoolOpEPKhlEEPS6_PKS6_NS0_5tupleIJPbS6_EEENSN_IJSK_SK_EEENS0_18inequality_wrapperINSA_8EqualityEEEPlJS6_EEE10hipError_tPvRmT3_T4_T5_T6_T7_T9_mT8_P12ihipStream_tbDpT10_ENKUlT_T0_E_clISt17integral_constantIbLb0EES1E_EEDaS19_S1A_EUlS19_E_NS1_11comp_targetILNS1_3genE9ELNS1_11target_archE1100ELNS1_3gpuE3ELNS1_3repE0EEENS1_30default_config_static_selectorELNS0_4arch9wavefront6targetE0EEEvT1_.num_named_barrier, 0
	.set _ZN7rocprim17ROCPRIM_400000_NS6detail17trampoline_kernelINS0_14default_configENS1_25partition_config_selectorILNS1_17partition_subalgoE8EbNS0_10empty_typeEbEEZZNS1_14partition_implILS5_8ELb0ES3_jN6hipcub16HIPCUB_304000_NS22TransformInputIteratorIbN2at6native8internal12_GLOBAL__N_110LoadBoolOpEPKhlEEPS6_PKS6_NS0_5tupleIJPbS6_EEENSN_IJSK_SK_EEENS0_18inequality_wrapperINSA_8EqualityEEEPlJS6_EEE10hipError_tPvRmT3_T4_T5_T6_T7_T9_mT8_P12ihipStream_tbDpT10_ENKUlT_T0_E_clISt17integral_constantIbLb0EES1E_EEDaS19_S1A_EUlS19_E_NS1_11comp_targetILNS1_3genE9ELNS1_11target_archE1100ELNS1_3gpuE3ELNS1_3repE0EEENS1_30default_config_static_selectorELNS0_4arch9wavefront6targetE0EEEvT1_.private_seg_size, 0
	.set _ZN7rocprim17ROCPRIM_400000_NS6detail17trampoline_kernelINS0_14default_configENS1_25partition_config_selectorILNS1_17partition_subalgoE8EbNS0_10empty_typeEbEEZZNS1_14partition_implILS5_8ELb0ES3_jN6hipcub16HIPCUB_304000_NS22TransformInputIteratorIbN2at6native8internal12_GLOBAL__N_110LoadBoolOpEPKhlEEPS6_PKS6_NS0_5tupleIJPbS6_EEENSN_IJSK_SK_EEENS0_18inequality_wrapperINSA_8EqualityEEEPlJS6_EEE10hipError_tPvRmT3_T4_T5_T6_T7_T9_mT8_P12ihipStream_tbDpT10_ENKUlT_T0_E_clISt17integral_constantIbLb0EES1E_EEDaS19_S1A_EUlS19_E_NS1_11comp_targetILNS1_3genE9ELNS1_11target_archE1100ELNS1_3gpuE3ELNS1_3repE0EEENS1_30default_config_static_selectorELNS0_4arch9wavefront6targetE0EEEvT1_.uses_vcc, 0
	.set _ZN7rocprim17ROCPRIM_400000_NS6detail17trampoline_kernelINS0_14default_configENS1_25partition_config_selectorILNS1_17partition_subalgoE8EbNS0_10empty_typeEbEEZZNS1_14partition_implILS5_8ELb0ES3_jN6hipcub16HIPCUB_304000_NS22TransformInputIteratorIbN2at6native8internal12_GLOBAL__N_110LoadBoolOpEPKhlEEPS6_PKS6_NS0_5tupleIJPbS6_EEENSN_IJSK_SK_EEENS0_18inequality_wrapperINSA_8EqualityEEEPlJS6_EEE10hipError_tPvRmT3_T4_T5_T6_T7_T9_mT8_P12ihipStream_tbDpT10_ENKUlT_T0_E_clISt17integral_constantIbLb0EES1E_EEDaS19_S1A_EUlS19_E_NS1_11comp_targetILNS1_3genE9ELNS1_11target_archE1100ELNS1_3gpuE3ELNS1_3repE0EEENS1_30default_config_static_selectorELNS0_4arch9wavefront6targetE0EEEvT1_.uses_flat_scratch, 0
	.set _ZN7rocprim17ROCPRIM_400000_NS6detail17trampoline_kernelINS0_14default_configENS1_25partition_config_selectorILNS1_17partition_subalgoE8EbNS0_10empty_typeEbEEZZNS1_14partition_implILS5_8ELb0ES3_jN6hipcub16HIPCUB_304000_NS22TransformInputIteratorIbN2at6native8internal12_GLOBAL__N_110LoadBoolOpEPKhlEEPS6_PKS6_NS0_5tupleIJPbS6_EEENSN_IJSK_SK_EEENS0_18inequality_wrapperINSA_8EqualityEEEPlJS6_EEE10hipError_tPvRmT3_T4_T5_T6_T7_T9_mT8_P12ihipStream_tbDpT10_ENKUlT_T0_E_clISt17integral_constantIbLb0EES1E_EEDaS19_S1A_EUlS19_E_NS1_11comp_targetILNS1_3genE9ELNS1_11target_archE1100ELNS1_3gpuE3ELNS1_3repE0EEENS1_30default_config_static_selectorELNS0_4arch9wavefront6targetE0EEEvT1_.has_dyn_sized_stack, 0
	.set _ZN7rocprim17ROCPRIM_400000_NS6detail17trampoline_kernelINS0_14default_configENS1_25partition_config_selectorILNS1_17partition_subalgoE8EbNS0_10empty_typeEbEEZZNS1_14partition_implILS5_8ELb0ES3_jN6hipcub16HIPCUB_304000_NS22TransformInputIteratorIbN2at6native8internal12_GLOBAL__N_110LoadBoolOpEPKhlEEPS6_PKS6_NS0_5tupleIJPbS6_EEENSN_IJSK_SK_EEENS0_18inequality_wrapperINSA_8EqualityEEEPlJS6_EEE10hipError_tPvRmT3_T4_T5_T6_T7_T9_mT8_P12ihipStream_tbDpT10_ENKUlT_T0_E_clISt17integral_constantIbLb0EES1E_EEDaS19_S1A_EUlS19_E_NS1_11comp_targetILNS1_3genE9ELNS1_11target_archE1100ELNS1_3gpuE3ELNS1_3repE0EEENS1_30default_config_static_selectorELNS0_4arch9wavefront6targetE0EEEvT1_.has_recursion, 0
	.set _ZN7rocprim17ROCPRIM_400000_NS6detail17trampoline_kernelINS0_14default_configENS1_25partition_config_selectorILNS1_17partition_subalgoE8EbNS0_10empty_typeEbEEZZNS1_14partition_implILS5_8ELb0ES3_jN6hipcub16HIPCUB_304000_NS22TransformInputIteratorIbN2at6native8internal12_GLOBAL__N_110LoadBoolOpEPKhlEEPS6_PKS6_NS0_5tupleIJPbS6_EEENSN_IJSK_SK_EEENS0_18inequality_wrapperINSA_8EqualityEEEPlJS6_EEE10hipError_tPvRmT3_T4_T5_T6_T7_T9_mT8_P12ihipStream_tbDpT10_ENKUlT_T0_E_clISt17integral_constantIbLb0EES1E_EEDaS19_S1A_EUlS19_E_NS1_11comp_targetILNS1_3genE9ELNS1_11target_archE1100ELNS1_3gpuE3ELNS1_3repE0EEENS1_30default_config_static_selectorELNS0_4arch9wavefront6targetE0EEEvT1_.has_indirect_call, 0
	.section	.AMDGPU.csdata,"",@progbits
; Kernel info:
; codeLenInByte = 0
; TotalNumSgprs: 0
; NumVgprs: 0
; ScratchSize: 0
; MemoryBound: 0
; FloatMode: 240
; IeeeMode: 1
; LDSByteSize: 0 bytes/workgroup (compile time only)
; SGPRBlocks: 0
; VGPRBlocks: 0
; NumSGPRsForWavesPerEU: 1
; NumVGPRsForWavesPerEU: 1
; NamedBarCnt: 0
; Occupancy: 16
; WaveLimiterHint : 0
; COMPUTE_PGM_RSRC2:SCRATCH_EN: 0
; COMPUTE_PGM_RSRC2:USER_SGPR: 2
; COMPUTE_PGM_RSRC2:TRAP_HANDLER: 0
; COMPUTE_PGM_RSRC2:TGID_X_EN: 1
; COMPUTE_PGM_RSRC2:TGID_Y_EN: 0
; COMPUTE_PGM_RSRC2:TGID_Z_EN: 0
; COMPUTE_PGM_RSRC2:TIDIG_COMP_CNT: 0
	.section	.text._ZN7rocprim17ROCPRIM_400000_NS6detail17trampoline_kernelINS0_14default_configENS1_25partition_config_selectorILNS1_17partition_subalgoE8EbNS0_10empty_typeEbEEZZNS1_14partition_implILS5_8ELb0ES3_jN6hipcub16HIPCUB_304000_NS22TransformInputIteratorIbN2at6native8internal12_GLOBAL__N_110LoadBoolOpEPKhlEEPS6_PKS6_NS0_5tupleIJPbS6_EEENSN_IJSK_SK_EEENS0_18inequality_wrapperINSA_8EqualityEEEPlJS6_EEE10hipError_tPvRmT3_T4_T5_T6_T7_T9_mT8_P12ihipStream_tbDpT10_ENKUlT_T0_E_clISt17integral_constantIbLb0EES1E_EEDaS19_S1A_EUlS19_E_NS1_11comp_targetILNS1_3genE8ELNS1_11target_archE1030ELNS1_3gpuE2ELNS1_3repE0EEENS1_30default_config_static_selectorELNS0_4arch9wavefront6targetE0EEEvT1_,"axG",@progbits,_ZN7rocprim17ROCPRIM_400000_NS6detail17trampoline_kernelINS0_14default_configENS1_25partition_config_selectorILNS1_17partition_subalgoE8EbNS0_10empty_typeEbEEZZNS1_14partition_implILS5_8ELb0ES3_jN6hipcub16HIPCUB_304000_NS22TransformInputIteratorIbN2at6native8internal12_GLOBAL__N_110LoadBoolOpEPKhlEEPS6_PKS6_NS0_5tupleIJPbS6_EEENSN_IJSK_SK_EEENS0_18inequality_wrapperINSA_8EqualityEEEPlJS6_EEE10hipError_tPvRmT3_T4_T5_T6_T7_T9_mT8_P12ihipStream_tbDpT10_ENKUlT_T0_E_clISt17integral_constantIbLb0EES1E_EEDaS19_S1A_EUlS19_E_NS1_11comp_targetILNS1_3genE8ELNS1_11target_archE1030ELNS1_3gpuE2ELNS1_3repE0EEENS1_30default_config_static_selectorELNS0_4arch9wavefront6targetE0EEEvT1_,comdat
	.globl	_ZN7rocprim17ROCPRIM_400000_NS6detail17trampoline_kernelINS0_14default_configENS1_25partition_config_selectorILNS1_17partition_subalgoE8EbNS0_10empty_typeEbEEZZNS1_14partition_implILS5_8ELb0ES3_jN6hipcub16HIPCUB_304000_NS22TransformInputIteratorIbN2at6native8internal12_GLOBAL__N_110LoadBoolOpEPKhlEEPS6_PKS6_NS0_5tupleIJPbS6_EEENSN_IJSK_SK_EEENS0_18inequality_wrapperINSA_8EqualityEEEPlJS6_EEE10hipError_tPvRmT3_T4_T5_T6_T7_T9_mT8_P12ihipStream_tbDpT10_ENKUlT_T0_E_clISt17integral_constantIbLb0EES1E_EEDaS19_S1A_EUlS19_E_NS1_11comp_targetILNS1_3genE8ELNS1_11target_archE1030ELNS1_3gpuE2ELNS1_3repE0EEENS1_30default_config_static_selectorELNS0_4arch9wavefront6targetE0EEEvT1_ ; -- Begin function _ZN7rocprim17ROCPRIM_400000_NS6detail17trampoline_kernelINS0_14default_configENS1_25partition_config_selectorILNS1_17partition_subalgoE8EbNS0_10empty_typeEbEEZZNS1_14partition_implILS5_8ELb0ES3_jN6hipcub16HIPCUB_304000_NS22TransformInputIteratorIbN2at6native8internal12_GLOBAL__N_110LoadBoolOpEPKhlEEPS6_PKS6_NS0_5tupleIJPbS6_EEENSN_IJSK_SK_EEENS0_18inequality_wrapperINSA_8EqualityEEEPlJS6_EEE10hipError_tPvRmT3_T4_T5_T6_T7_T9_mT8_P12ihipStream_tbDpT10_ENKUlT_T0_E_clISt17integral_constantIbLb0EES1E_EEDaS19_S1A_EUlS19_E_NS1_11comp_targetILNS1_3genE8ELNS1_11target_archE1030ELNS1_3gpuE2ELNS1_3repE0EEENS1_30default_config_static_selectorELNS0_4arch9wavefront6targetE0EEEvT1_
	.p2align	8
	.type	_ZN7rocprim17ROCPRIM_400000_NS6detail17trampoline_kernelINS0_14default_configENS1_25partition_config_selectorILNS1_17partition_subalgoE8EbNS0_10empty_typeEbEEZZNS1_14partition_implILS5_8ELb0ES3_jN6hipcub16HIPCUB_304000_NS22TransformInputIteratorIbN2at6native8internal12_GLOBAL__N_110LoadBoolOpEPKhlEEPS6_PKS6_NS0_5tupleIJPbS6_EEENSN_IJSK_SK_EEENS0_18inequality_wrapperINSA_8EqualityEEEPlJS6_EEE10hipError_tPvRmT3_T4_T5_T6_T7_T9_mT8_P12ihipStream_tbDpT10_ENKUlT_T0_E_clISt17integral_constantIbLb0EES1E_EEDaS19_S1A_EUlS19_E_NS1_11comp_targetILNS1_3genE8ELNS1_11target_archE1030ELNS1_3gpuE2ELNS1_3repE0EEENS1_30default_config_static_selectorELNS0_4arch9wavefront6targetE0EEEvT1_,@function
_ZN7rocprim17ROCPRIM_400000_NS6detail17trampoline_kernelINS0_14default_configENS1_25partition_config_selectorILNS1_17partition_subalgoE8EbNS0_10empty_typeEbEEZZNS1_14partition_implILS5_8ELb0ES3_jN6hipcub16HIPCUB_304000_NS22TransformInputIteratorIbN2at6native8internal12_GLOBAL__N_110LoadBoolOpEPKhlEEPS6_PKS6_NS0_5tupleIJPbS6_EEENSN_IJSK_SK_EEENS0_18inequality_wrapperINSA_8EqualityEEEPlJS6_EEE10hipError_tPvRmT3_T4_T5_T6_T7_T9_mT8_P12ihipStream_tbDpT10_ENKUlT_T0_E_clISt17integral_constantIbLb0EES1E_EEDaS19_S1A_EUlS19_E_NS1_11comp_targetILNS1_3genE8ELNS1_11target_archE1030ELNS1_3gpuE2ELNS1_3repE0EEENS1_30default_config_static_selectorELNS0_4arch9wavefront6targetE0EEEvT1_: ; @_ZN7rocprim17ROCPRIM_400000_NS6detail17trampoline_kernelINS0_14default_configENS1_25partition_config_selectorILNS1_17partition_subalgoE8EbNS0_10empty_typeEbEEZZNS1_14partition_implILS5_8ELb0ES3_jN6hipcub16HIPCUB_304000_NS22TransformInputIteratorIbN2at6native8internal12_GLOBAL__N_110LoadBoolOpEPKhlEEPS6_PKS6_NS0_5tupleIJPbS6_EEENSN_IJSK_SK_EEENS0_18inequality_wrapperINSA_8EqualityEEEPlJS6_EEE10hipError_tPvRmT3_T4_T5_T6_T7_T9_mT8_P12ihipStream_tbDpT10_ENKUlT_T0_E_clISt17integral_constantIbLb0EES1E_EEDaS19_S1A_EUlS19_E_NS1_11comp_targetILNS1_3genE8ELNS1_11target_archE1030ELNS1_3gpuE2ELNS1_3repE0EEENS1_30default_config_static_selectorELNS0_4arch9wavefront6targetE0EEEvT1_
; %bb.0:
	.section	.rodata,"a",@progbits
	.p2align	6, 0x0
	.amdhsa_kernel _ZN7rocprim17ROCPRIM_400000_NS6detail17trampoline_kernelINS0_14default_configENS1_25partition_config_selectorILNS1_17partition_subalgoE8EbNS0_10empty_typeEbEEZZNS1_14partition_implILS5_8ELb0ES3_jN6hipcub16HIPCUB_304000_NS22TransformInputIteratorIbN2at6native8internal12_GLOBAL__N_110LoadBoolOpEPKhlEEPS6_PKS6_NS0_5tupleIJPbS6_EEENSN_IJSK_SK_EEENS0_18inequality_wrapperINSA_8EqualityEEEPlJS6_EEE10hipError_tPvRmT3_T4_T5_T6_T7_T9_mT8_P12ihipStream_tbDpT10_ENKUlT_T0_E_clISt17integral_constantIbLb0EES1E_EEDaS19_S1A_EUlS19_E_NS1_11comp_targetILNS1_3genE8ELNS1_11target_archE1030ELNS1_3gpuE2ELNS1_3repE0EEENS1_30default_config_static_selectorELNS0_4arch9wavefront6targetE0EEEvT1_
		.amdhsa_group_segment_fixed_size 0
		.amdhsa_private_segment_fixed_size 0
		.amdhsa_kernarg_size 120
		.amdhsa_user_sgpr_count 2
		.amdhsa_user_sgpr_dispatch_ptr 0
		.amdhsa_user_sgpr_queue_ptr 0
		.amdhsa_user_sgpr_kernarg_segment_ptr 1
		.amdhsa_user_sgpr_dispatch_id 0
		.amdhsa_user_sgpr_kernarg_preload_length 0
		.amdhsa_user_sgpr_kernarg_preload_offset 0
		.amdhsa_user_sgpr_private_segment_size 0
		.amdhsa_wavefront_size32 1
		.amdhsa_uses_dynamic_stack 0
		.amdhsa_enable_private_segment 0
		.amdhsa_system_sgpr_workgroup_id_x 1
		.amdhsa_system_sgpr_workgroup_id_y 0
		.amdhsa_system_sgpr_workgroup_id_z 0
		.amdhsa_system_sgpr_workgroup_info 0
		.amdhsa_system_vgpr_workitem_id 0
		.amdhsa_next_free_vgpr 1
		.amdhsa_next_free_sgpr 1
		.amdhsa_named_barrier_count 0
		.amdhsa_reserve_vcc 0
		.amdhsa_float_round_mode_32 0
		.amdhsa_float_round_mode_16_64 0
		.amdhsa_float_denorm_mode_32 3
		.amdhsa_float_denorm_mode_16_64 3
		.amdhsa_fp16_overflow 0
		.amdhsa_memory_ordered 1
		.amdhsa_forward_progress 1
		.amdhsa_inst_pref_size 0
		.amdhsa_round_robin_scheduling 0
		.amdhsa_exception_fp_ieee_invalid_op 0
		.amdhsa_exception_fp_denorm_src 0
		.amdhsa_exception_fp_ieee_div_zero 0
		.amdhsa_exception_fp_ieee_overflow 0
		.amdhsa_exception_fp_ieee_underflow 0
		.amdhsa_exception_fp_ieee_inexact 0
		.amdhsa_exception_int_div_zero 0
	.end_amdhsa_kernel
	.section	.text._ZN7rocprim17ROCPRIM_400000_NS6detail17trampoline_kernelINS0_14default_configENS1_25partition_config_selectorILNS1_17partition_subalgoE8EbNS0_10empty_typeEbEEZZNS1_14partition_implILS5_8ELb0ES3_jN6hipcub16HIPCUB_304000_NS22TransformInputIteratorIbN2at6native8internal12_GLOBAL__N_110LoadBoolOpEPKhlEEPS6_PKS6_NS0_5tupleIJPbS6_EEENSN_IJSK_SK_EEENS0_18inequality_wrapperINSA_8EqualityEEEPlJS6_EEE10hipError_tPvRmT3_T4_T5_T6_T7_T9_mT8_P12ihipStream_tbDpT10_ENKUlT_T0_E_clISt17integral_constantIbLb0EES1E_EEDaS19_S1A_EUlS19_E_NS1_11comp_targetILNS1_3genE8ELNS1_11target_archE1030ELNS1_3gpuE2ELNS1_3repE0EEENS1_30default_config_static_selectorELNS0_4arch9wavefront6targetE0EEEvT1_,"axG",@progbits,_ZN7rocprim17ROCPRIM_400000_NS6detail17trampoline_kernelINS0_14default_configENS1_25partition_config_selectorILNS1_17partition_subalgoE8EbNS0_10empty_typeEbEEZZNS1_14partition_implILS5_8ELb0ES3_jN6hipcub16HIPCUB_304000_NS22TransformInputIteratorIbN2at6native8internal12_GLOBAL__N_110LoadBoolOpEPKhlEEPS6_PKS6_NS0_5tupleIJPbS6_EEENSN_IJSK_SK_EEENS0_18inequality_wrapperINSA_8EqualityEEEPlJS6_EEE10hipError_tPvRmT3_T4_T5_T6_T7_T9_mT8_P12ihipStream_tbDpT10_ENKUlT_T0_E_clISt17integral_constantIbLb0EES1E_EEDaS19_S1A_EUlS19_E_NS1_11comp_targetILNS1_3genE8ELNS1_11target_archE1030ELNS1_3gpuE2ELNS1_3repE0EEENS1_30default_config_static_selectorELNS0_4arch9wavefront6targetE0EEEvT1_,comdat
.Lfunc_end12:
	.size	_ZN7rocprim17ROCPRIM_400000_NS6detail17trampoline_kernelINS0_14default_configENS1_25partition_config_selectorILNS1_17partition_subalgoE8EbNS0_10empty_typeEbEEZZNS1_14partition_implILS5_8ELb0ES3_jN6hipcub16HIPCUB_304000_NS22TransformInputIteratorIbN2at6native8internal12_GLOBAL__N_110LoadBoolOpEPKhlEEPS6_PKS6_NS0_5tupleIJPbS6_EEENSN_IJSK_SK_EEENS0_18inequality_wrapperINSA_8EqualityEEEPlJS6_EEE10hipError_tPvRmT3_T4_T5_T6_T7_T9_mT8_P12ihipStream_tbDpT10_ENKUlT_T0_E_clISt17integral_constantIbLb0EES1E_EEDaS19_S1A_EUlS19_E_NS1_11comp_targetILNS1_3genE8ELNS1_11target_archE1030ELNS1_3gpuE2ELNS1_3repE0EEENS1_30default_config_static_selectorELNS0_4arch9wavefront6targetE0EEEvT1_, .Lfunc_end12-_ZN7rocprim17ROCPRIM_400000_NS6detail17trampoline_kernelINS0_14default_configENS1_25partition_config_selectorILNS1_17partition_subalgoE8EbNS0_10empty_typeEbEEZZNS1_14partition_implILS5_8ELb0ES3_jN6hipcub16HIPCUB_304000_NS22TransformInputIteratorIbN2at6native8internal12_GLOBAL__N_110LoadBoolOpEPKhlEEPS6_PKS6_NS0_5tupleIJPbS6_EEENSN_IJSK_SK_EEENS0_18inequality_wrapperINSA_8EqualityEEEPlJS6_EEE10hipError_tPvRmT3_T4_T5_T6_T7_T9_mT8_P12ihipStream_tbDpT10_ENKUlT_T0_E_clISt17integral_constantIbLb0EES1E_EEDaS19_S1A_EUlS19_E_NS1_11comp_targetILNS1_3genE8ELNS1_11target_archE1030ELNS1_3gpuE2ELNS1_3repE0EEENS1_30default_config_static_selectorELNS0_4arch9wavefront6targetE0EEEvT1_
                                        ; -- End function
	.set _ZN7rocprim17ROCPRIM_400000_NS6detail17trampoline_kernelINS0_14default_configENS1_25partition_config_selectorILNS1_17partition_subalgoE8EbNS0_10empty_typeEbEEZZNS1_14partition_implILS5_8ELb0ES3_jN6hipcub16HIPCUB_304000_NS22TransformInputIteratorIbN2at6native8internal12_GLOBAL__N_110LoadBoolOpEPKhlEEPS6_PKS6_NS0_5tupleIJPbS6_EEENSN_IJSK_SK_EEENS0_18inequality_wrapperINSA_8EqualityEEEPlJS6_EEE10hipError_tPvRmT3_T4_T5_T6_T7_T9_mT8_P12ihipStream_tbDpT10_ENKUlT_T0_E_clISt17integral_constantIbLb0EES1E_EEDaS19_S1A_EUlS19_E_NS1_11comp_targetILNS1_3genE8ELNS1_11target_archE1030ELNS1_3gpuE2ELNS1_3repE0EEENS1_30default_config_static_selectorELNS0_4arch9wavefront6targetE0EEEvT1_.num_vgpr, 0
	.set _ZN7rocprim17ROCPRIM_400000_NS6detail17trampoline_kernelINS0_14default_configENS1_25partition_config_selectorILNS1_17partition_subalgoE8EbNS0_10empty_typeEbEEZZNS1_14partition_implILS5_8ELb0ES3_jN6hipcub16HIPCUB_304000_NS22TransformInputIteratorIbN2at6native8internal12_GLOBAL__N_110LoadBoolOpEPKhlEEPS6_PKS6_NS0_5tupleIJPbS6_EEENSN_IJSK_SK_EEENS0_18inequality_wrapperINSA_8EqualityEEEPlJS6_EEE10hipError_tPvRmT3_T4_T5_T6_T7_T9_mT8_P12ihipStream_tbDpT10_ENKUlT_T0_E_clISt17integral_constantIbLb0EES1E_EEDaS19_S1A_EUlS19_E_NS1_11comp_targetILNS1_3genE8ELNS1_11target_archE1030ELNS1_3gpuE2ELNS1_3repE0EEENS1_30default_config_static_selectorELNS0_4arch9wavefront6targetE0EEEvT1_.num_agpr, 0
	.set _ZN7rocprim17ROCPRIM_400000_NS6detail17trampoline_kernelINS0_14default_configENS1_25partition_config_selectorILNS1_17partition_subalgoE8EbNS0_10empty_typeEbEEZZNS1_14partition_implILS5_8ELb0ES3_jN6hipcub16HIPCUB_304000_NS22TransformInputIteratorIbN2at6native8internal12_GLOBAL__N_110LoadBoolOpEPKhlEEPS6_PKS6_NS0_5tupleIJPbS6_EEENSN_IJSK_SK_EEENS0_18inequality_wrapperINSA_8EqualityEEEPlJS6_EEE10hipError_tPvRmT3_T4_T5_T6_T7_T9_mT8_P12ihipStream_tbDpT10_ENKUlT_T0_E_clISt17integral_constantIbLb0EES1E_EEDaS19_S1A_EUlS19_E_NS1_11comp_targetILNS1_3genE8ELNS1_11target_archE1030ELNS1_3gpuE2ELNS1_3repE0EEENS1_30default_config_static_selectorELNS0_4arch9wavefront6targetE0EEEvT1_.numbered_sgpr, 0
	.set _ZN7rocprim17ROCPRIM_400000_NS6detail17trampoline_kernelINS0_14default_configENS1_25partition_config_selectorILNS1_17partition_subalgoE8EbNS0_10empty_typeEbEEZZNS1_14partition_implILS5_8ELb0ES3_jN6hipcub16HIPCUB_304000_NS22TransformInputIteratorIbN2at6native8internal12_GLOBAL__N_110LoadBoolOpEPKhlEEPS6_PKS6_NS0_5tupleIJPbS6_EEENSN_IJSK_SK_EEENS0_18inequality_wrapperINSA_8EqualityEEEPlJS6_EEE10hipError_tPvRmT3_T4_T5_T6_T7_T9_mT8_P12ihipStream_tbDpT10_ENKUlT_T0_E_clISt17integral_constantIbLb0EES1E_EEDaS19_S1A_EUlS19_E_NS1_11comp_targetILNS1_3genE8ELNS1_11target_archE1030ELNS1_3gpuE2ELNS1_3repE0EEENS1_30default_config_static_selectorELNS0_4arch9wavefront6targetE0EEEvT1_.num_named_barrier, 0
	.set _ZN7rocprim17ROCPRIM_400000_NS6detail17trampoline_kernelINS0_14default_configENS1_25partition_config_selectorILNS1_17partition_subalgoE8EbNS0_10empty_typeEbEEZZNS1_14partition_implILS5_8ELb0ES3_jN6hipcub16HIPCUB_304000_NS22TransformInputIteratorIbN2at6native8internal12_GLOBAL__N_110LoadBoolOpEPKhlEEPS6_PKS6_NS0_5tupleIJPbS6_EEENSN_IJSK_SK_EEENS0_18inequality_wrapperINSA_8EqualityEEEPlJS6_EEE10hipError_tPvRmT3_T4_T5_T6_T7_T9_mT8_P12ihipStream_tbDpT10_ENKUlT_T0_E_clISt17integral_constantIbLb0EES1E_EEDaS19_S1A_EUlS19_E_NS1_11comp_targetILNS1_3genE8ELNS1_11target_archE1030ELNS1_3gpuE2ELNS1_3repE0EEENS1_30default_config_static_selectorELNS0_4arch9wavefront6targetE0EEEvT1_.private_seg_size, 0
	.set _ZN7rocprim17ROCPRIM_400000_NS6detail17trampoline_kernelINS0_14default_configENS1_25partition_config_selectorILNS1_17partition_subalgoE8EbNS0_10empty_typeEbEEZZNS1_14partition_implILS5_8ELb0ES3_jN6hipcub16HIPCUB_304000_NS22TransformInputIteratorIbN2at6native8internal12_GLOBAL__N_110LoadBoolOpEPKhlEEPS6_PKS6_NS0_5tupleIJPbS6_EEENSN_IJSK_SK_EEENS0_18inequality_wrapperINSA_8EqualityEEEPlJS6_EEE10hipError_tPvRmT3_T4_T5_T6_T7_T9_mT8_P12ihipStream_tbDpT10_ENKUlT_T0_E_clISt17integral_constantIbLb0EES1E_EEDaS19_S1A_EUlS19_E_NS1_11comp_targetILNS1_3genE8ELNS1_11target_archE1030ELNS1_3gpuE2ELNS1_3repE0EEENS1_30default_config_static_selectorELNS0_4arch9wavefront6targetE0EEEvT1_.uses_vcc, 0
	.set _ZN7rocprim17ROCPRIM_400000_NS6detail17trampoline_kernelINS0_14default_configENS1_25partition_config_selectorILNS1_17partition_subalgoE8EbNS0_10empty_typeEbEEZZNS1_14partition_implILS5_8ELb0ES3_jN6hipcub16HIPCUB_304000_NS22TransformInputIteratorIbN2at6native8internal12_GLOBAL__N_110LoadBoolOpEPKhlEEPS6_PKS6_NS0_5tupleIJPbS6_EEENSN_IJSK_SK_EEENS0_18inequality_wrapperINSA_8EqualityEEEPlJS6_EEE10hipError_tPvRmT3_T4_T5_T6_T7_T9_mT8_P12ihipStream_tbDpT10_ENKUlT_T0_E_clISt17integral_constantIbLb0EES1E_EEDaS19_S1A_EUlS19_E_NS1_11comp_targetILNS1_3genE8ELNS1_11target_archE1030ELNS1_3gpuE2ELNS1_3repE0EEENS1_30default_config_static_selectorELNS0_4arch9wavefront6targetE0EEEvT1_.uses_flat_scratch, 0
	.set _ZN7rocprim17ROCPRIM_400000_NS6detail17trampoline_kernelINS0_14default_configENS1_25partition_config_selectorILNS1_17partition_subalgoE8EbNS0_10empty_typeEbEEZZNS1_14partition_implILS5_8ELb0ES3_jN6hipcub16HIPCUB_304000_NS22TransformInputIteratorIbN2at6native8internal12_GLOBAL__N_110LoadBoolOpEPKhlEEPS6_PKS6_NS0_5tupleIJPbS6_EEENSN_IJSK_SK_EEENS0_18inequality_wrapperINSA_8EqualityEEEPlJS6_EEE10hipError_tPvRmT3_T4_T5_T6_T7_T9_mT8_P12ihipStream_tbDpT10_ENKUlT_T0_E_clISt17integral_constantIbLb0EES1E_EEDaS19_S1A_EUlS19_E_NS1_11comp_targetILNS1_3genE8ELNS1_11target_archE1030ELNS1_3gpuE2ELNS1_3repE0EEENS1_30default_config_static_selectorELNS0_4arch9wavefront6targetE0EEEvT1_.has_dyn_sized_stack, 0
	.set _ZN7rocprim17ROCPRIM_400000_NS6detail17trampoline_kernelINS0_14default_configENS1_25partition_config_selectorILNS1_17partition_subalgoE8EbNS0_10empty_typeEbEEZZNS1_14partition_implILS5_8ELb0ES3_jN6hipcub16HIPCUB_304000_NS22TransformInputIteratorIbN2at6native8internal12_GLOBAL__N_110LoadBoolOpEPKhlEEPS6_PKS6_NS0_5tupleIJPbS6_EEENSN_IJSK_SK_EEENS0_18inequality_wrapperINSA_8EqualityEEEPlJS6_EEE10hipError_tPvRmT3_T4_T5_T6_T7_T9_mT8_P12ihipStream_tbDpT10_ENKUlT_T0_E_clISt17integral_constantIbLb0EES1E_EEDaS19_S1A_EUlS19_E_NS1_11comp_targetILNS1_3genE8ELNS1_11target_archE1030ELNS1_3gpuE2ELNS1_3repE0EEENS1_30default_config_static_selectorELNS0_4arch9wavefront6targetE0EEEvT1_.has_recursion, 0
	.set _ZN7rocprim17ROCPRIM_400000_NS6detail17trampoline_kernelINS0_14default_configENS1_25partition_config_selectorILNS1_17partition_subalgoE8EbNS0_10empty_typeEbEEZZNS1_14partition_implILS5_8ELb0ES3_jN6hipcub16HIPCUB_304000_NS22TransformInputIteratorIbN2at6native8internal12_GLOBAL__N_110LoadBoolOpEPKhlEEPS6_PKS6_NS0_5tupleIJPbS6_EEENSN_IJSK_SK_EEENS0_18inequality_wrapperINSA_8EqualityEEEPlJS6_EEE10hipError_tPvRmT3_T4_T5_T6_T7_T9_mT8_P12ihipStream_tbDpT10_ENKUlT_T0_E_clISt17integral_constantIbLb0EES1E_EEDaS19_S1A_EUlS19_E_NS1_11comp_targetILNS1_3genE8ELNS1_11target_archE1030ELNS1_3gpuE2ELNS1_3repE0EEENS1_30default_config_static_selectorELNS0_4arch9wavefront6targetE0EEEvT1_.has_indirect_call, 0
	.section	.AMDGPU.csdata,"",@progbits
; Kernel info:
; codeLenInByte = 0
; TotalNumSgprs: 0
; NumVgprs: 0
; ScratchSize: 0
; MemoryBound: 0
; FloatMode: 240
; IeeeMode: 1
; LDSByteSize: 0 bytes/workgroup (compile time only)
; SGPRBlocks: 0
; VGPRBlocks: 0
; NumSGPRsForWavesPerEU: 1
; NumVGPRsForWavesPerEU: 1
; NamedBarCnt: 0
; Occupancy: 16
; WaveLimiterHint : 0
; COMPUTE_PGM_RSRC2:SCRATCH_EN: 0
; COMPUTE_PGM_RSRC2:USER_SGPR: 2
; COMPUTE_PGM_RSRC2:TRAP_HANDLER: 0
; COMPUTE_PGM_RSRC2:TGID_X_EN: 1
; COMPUTE_PGM_RSRC2:TGID_Y_EN: 0
; COMPUTE_PGM_RSRC2:TGID_Z_EN: 0
; COMPUTE_PGM_RSRC2:TIDIG_COMP_CNT: 0
	.section	.text._ZN7rocprim17ROCPRIM_400000_NS6detail17trampoline_kernelINS0_14default_configENS1_25transform_config_selectorImLb1EEEZNS1_14transform_implILb1ES3_S5_PmPlNS0_8identityIvEEEE10hipError_tT2_T3_mT4_P12ihipStream_tbEUlT_E_NS1_11comp_targetILNS1_3genE0ELNS1_11target_archE4294967295ELNS1_3gpuE0ELNS1_3repE0EEENS1_30default_config_static_selectorELNS0_4arch9wavefront6targetE0EEEvT1_,"axG",@progbits,_ZN7rocprim17ROCPRIM_400000_NS6detail17trampoline_kernelINS0_14default_configENS1_25transform_config_selectorImLb1EEEZNS1_14transform_implILb1ES3_S5_PmPlNS0_8identityIvEEEE10hipError_tT2_T3_mT4_P12ihipStream_tbEUlT_E_NS1_11comp_targetILNS1_3genE0ELNS1_11target_archE4294967295ELNS1_3gpuE0ELNS1_3repE0EEENS1_30default_config_static_selectorELNS0_4arch9wavefront6targetE0EEEvT1_,comdat
	.protected	_ZN7rocprim17ROCPRIM_400000_NS6detail17trampoline_kernelINS0_14default_configENS1_25transform_config_selectorImLb1EEEZNS1_14transform_implILb1ES3_S5_PmPlNS0_8identityIvEEEE10hipError_tT2_T3_mT4_P12ihipStream_tbEUlT_E_NS1_11comp_targetILNS1_3genE0ELNS1_11target_archE4294967295ELNS1_3gpuE0ELNS1_3repE0EEENS1_30default_config_static_selectorELNS0_4arch9wavefront6targetE0EEEvT1_ ; -- Begin function _ZN7rocprim17ROCPRIM_400000_NS6detail17trampoline_kernelINS0_14default_configENS1_25transform_config_selectorImLb1EEEZNS1_14transform_implILb1ES3_S5_PmPlNS0_8identityIvEEEE10hipError_tT2_T3_mT4_P12ihipStream_tbEUlT_E_NS1_11comp_targetILNS1_3genE0ELNS1_11target_archE4294967295ELNS1_3gpuE0ELNS1_3repE0EEENS1_30default_config_static_selectorELNS0_4arch9wavefront6targetE0EEEvT1_
	.globl	_ZN7rocprim17ROCPRIM_400000_NS6detail17trampoline_kernelINS0_14default_configENS1_25transform_config_selectorImLb1EEEZNS1_14transform_implILb1ES3_S5_PmPlNS0_8identityIvEEEE10hipError_tT2_T3_mT4_P12ihipStream_tbEUlT_E_NS1_11comp_targetILNS1_3genE0ELNS1_11target_archE4294967295ELNS1_3gpuE0ELNS1_3repE0EEENS1_30default_config_static_selectorELNS0_4arch9wavefront6targetE0EEEvT1_
	.p2align	8
	.type	_ZN7rocprim17ROCPRIM_400000_NS6detail17trampoline_kernelINS0_14default_configENS1_25transform_config_selectorImLb1EEEZNS1_14transform_implILb1ES3_S5_PmPlNS0_8identityIvEEEE10hipError_tT2_T3_mT4_P12ihipStream_tbEUlT_E_NS1_11comp_targetILNS1_3genE0ELNS1_11target_archE4294967295ELNS1_3gpuE0ELNS1_3repE0EEENS1_30default_config_static_selectorELNS0_4arch9wavefront6targetE0EEEvT1_,@function
_ZN7rocprim17ROCPRIM_400000_NS6detail17trampoline_kernelINS0_14default_configENS1_25transform_config_selectorImLb1EEEZNS1_14transform_implILb1ES3_S5_PmPlNS0_8identityIvEEEE10hipError_tT2_T3_mT4_P12ihipStream_tbEUlT_E_NS1_11comp_targetILNS1_3genE0ELNS1_11target_archE4294967295ELNS1_3gpuE0ELNS1_3repE0EEENS1_30default_config_static_selectorELNS0_4arch9wavefront6targetE0EEEvT1_: ; @_ZN7rocprim17ROCPRIM_400000_NS6detail17trampoline_kernelINS0_14default_configENS1_25transform_config_selectorImLb1EEEZNS1_14transform_implILb1ES3_S5_PmPlNS0_8identityIvEEEE10hipError_tT2_T3_mT4_P12ihipStream_tbEUlT_E_NS1_11comp_targetILNS1_3genE0ELNS1_11target_archE4294967295ELNS1_3gpuE0ELNS1_3repE0EEENS1_30default_config_static_selectorELNS0_4arch9wavefront6targetE0EEEvT1_
; %bb.0:
	s_clause 0x1
	s_load_b32 s2, s[0:1], 0x28
	s_load_b32 s3, s[0:1], 0x10
	s_bfe_u32 s4, ttmp6, 0x4000c
	s_and_b32 s5, ttmp6, 15
	s_add_co_i32 s4, s4, 1
	s_getreg_b32 s6, hwreg(HW_REG_IB_STS2, 6, 4)
	s_mul_i32 s4, ttmp9, s4
	s_delay_alu instid0(SALU_CYCLE_1)
	s_add_co_i32 s5, s5, s4
	s_cmp_eq_u32 s6, 0
	s_cselect_b32 s4, ttmp9, s5
	s_wait_kmcnt 0x0
	s_add_co_i32 s5, s2, -1
	s_lshl_b32 s2, s4, 7
	s_cmp_lg_u32 s4, s5
	s_cselect_b32 s4, -1, 0
	s_sub_co_i32 s3, s3, s2
	s_delay_alu instid0(SALU_CYCLE_1) | instskip(SKIP_2) | instid1(SALU_CYCLE_1)
	v_cmp_gt_u32_e32 vcc_lo, s3, v0
	s_mov_b32 s3, 0
	s_or_b32 s4, vcc_lo, s4
	s_and_saveexec_b32 s5, s4
	s_cbranch_execz .LBB13_2
; %bb.1:
	s_clause 0x1
	s_load_b128 s[4:7], s[0:1], 0x0
	s_load_b64 s[8:9], s[0:1], 0x18
	s_lshl_b64 s[2:3], s[2:3], 3
	s_wait_kmcnt 0x0
	s_lshl_b64 s[0:1], s[6:7], 3
	s_delay_alu instid0(SALU_CYCLE_1)
	s_add_nc_u64 s[4:5], s[4:5], s[0:1]
	s_add_nc_u64 s[0:1], s[8:9], s[0:1]
	;; [unrolled: 1-line block ×4, first 2 shown]
	global_load_b64 v[2:3], v0, s[4:5] scale_offset
	s_wait_loadcnt 0x0
	global_store_b64 v0, v[2:3], s[0:1] scale_offset
.LBB13_2:
	s_endpgm
	.section	.rodata,"a",@progbits
	.p2align	6, 0x0
	.amdhsa_kernel _ZN7rocprim17ROCPRIM_400000_NS6detail17trampoline_kernelINS0_14default_configENS1_25transform_config_selectorImLb1EEEZNS1_14transform_implILb1ES3_S5_PmPlNS0_8identityIvEEEE10hipError_tT2_T3_mT4_P12ihipStream_tbEUlT_E_NS1_11comp_targetILNS1_3genE0ELNS1_11target_archE4294967295ELNS1_3gpuE0ELNS1_3repE0EEENS1_30default_config_static_selectorELNS0_4arch9wavefront6targetE0EEEvT1_
		.amdhsa_group_segment_fixed_size 0
		.amdhsa_private_segment_fixed_size 0
		.amdhsa_kernarg_size 296
		.amdhsa_user_sgpr_count 2
		.amdhsa_user_sgpr_dispatch_ptr 0
		.amdhsa_user_sgpr_queue_ptr 0
		.amdhsa_user_sgpr_kernarg_segment_ptr 1
		.amdhsa_user_sgpr_dispatch_id 0
		.amdhsa_user_sgpr_kernarg_preload_length 0
		.amdhsa_user_sgpr_kernarg_preload_offset 0
		.amdhsa_user_sgpr_private_segment_size 0
		.amdhsa_wavefront_size32 1
		.amdhsa_uses_dynamic_stack 0
		.amdhsa_enable_private_segment 0
		.amdhsa_system_sgpr_workgroup_id_x 1
		.amdhsa_system_sgpr_workgroup_id_y 0
		.amdhsa_system_sgpr_workgroup_id_z 0
		.amdhsa_system_sgpr_workgroup_info 0
		.amdhsa_system_vgpr_workitem_id 0
		.amdhsa_next_free_vgpr 4
		.amdhsa_next_free_sgpr 10
		.amdhsa_named_barrier_count 0
		.amdhsa_reserve_vcc 1
		.amdhsa_float_round_mode_32 0
		.amdhsa_float_round_mode_16_64 0
		.amdhsa_float_denorm_mode_32 3
		.amdhsa_float_denorm_mode_16_64 3
		.amdhsa_fp16_overflow 0
		.amdhsa_memory_ordered 1
		.amdhsa_forward_progress 1
		.amdhsa_inst_pref_size 2
		.amdhsa_round_robin_scheduling 0
		.amdhsa_exception_fp_ieee_invalid_op 0
		.amdhsa_exception_fp_denorm_src 0
		.amdhsa_exception_fp_ieee_div_zero 0
		.amdhsa_exception_fp_ieee_overflow 0
		.amdhsa_exception_fp_ieee_underflow 0
		.amdhsa_exception_fp_ieee_inexact 0
		.amdhsa_exception_int_div_zero 0
	.end_amdhsa_kernel
	.section	.text._ZN7rocprim17ROCPRIM_400000_NS6detail17trampoline_kernelINS0_14default_configENS1_25transform_config_selectorImLb1EEEZNS1_14transform_implILb1ES3_S5_PmPlNS0_8identityIvEEEE10hipError_tT2_T3_mT4_P12ihipStream_tbEUlT_E_NS1_11comp_targetILNS1_3genE0ELNS1_11target_archE4294967295ELNS1_3gpuE0ELNS1_3repE0EEENS1_30default_config_static_selectorELNS0_4arch9wavefront6targetE0EEEvT1_,"axG",@progbits,_ZN7rocprim17ROCPRIM_400000_NS6detail17trampoline_kernelINS0_14default_configENS1_25transform_config_selectorImLb1EEEZNS1_14transform_implILb1ES3_S5_PmPlNS0_8identityIvEEEE10hipError_tT2_T3_mT4_P12ihipStream_tbEUlT_E_NS1_11comp_targetILNS1_3genE0ELNS1_11target_archE4294967295ELNS1_3gpuE0ELNS1_3repE0EEENS1_30default_config_static_selectorELNS0_4arch9wavefront6targetE0EEEvT1_,comdat
.Lfunc_end13:
	.size	_ZN7rocprim17ROCPRIM_400000_NS6detail17trampoline_kernelINS0_14default_configENS1_25transform_config_selectorImLb1EEEZNS1_14transform_implILb1ES3_S5_PmPlNS0_8identityIvEEEE10hipError_tT2_T3_mT4_P12ihipStream_tbEUlT_E_NS1_11comp_targetILNS1_3genE0ELNS1_11target_archE4294967295ELNS1_3gpuE0ELNS1_3repE0EEENS1_30default_config_static_selectorELNS0_4arch9wavefront6targetE0EEEvT1_, .Lfunc_end13-_ZN7rocprim17ROCPRIM_400000_NS6detail17trampoline_kernelINS0_14default_configENS1_25transform_config_selectorImLb1EEEZNS1_14transform_implILb1ES3_S5_PmPlNS0_8identityIvEEEE10hipError_tT2_T3_mT4_P12ihipStream_tbEUlT_E_NS1_11comp_targetILNS1_3genE0ELNS1_11target_archE4294967295ELNS1_3gpuE0ELNS1_3repE0EEENS1_30default_config_static_selectorELNS0_4arch9wavefront6targetE0EEEvT1_
                                        ; -- End function
	.set _ZN7rocprim17ROCPRIM_400000_NS6detail17trampoline_kernelINS0_14default_configENS1_25transform_config_selectorImLb1EEEZNS1_14transform_implILb1ES3_S5_PmPlNS0_8identityIvEEEE10hipError_tT2_T3_mT4_P12ihipStream_tbEUlT_E_NS1_11comp_targetILNS1_3genE0ELNS1_11target_archE4294967295ELNS1_3gpuE0ELNS1_3repE0EEENS1_30default_config_static_selectorELNS0_4arch9wavefront6targetE0EEEvT1_.num_vgpr, 4
	.set _ZN7rocprim17ROCPRIM_400000_NS6detail17trampoline_kernelINS0_14default_configENS1_25transform_config_selectorImLb1EEEZNS1_14transform_implILb1ES3_S5_PmPlNS0_8identityIvEEEE10hipError_tT2_T3_mT4_P12ihipStream_tbEUlT_E_NS1_11comp_targetILNS1_3genE0ELNS1_11target_archE4294967295ELNS1_3gpuE0ELNS1_3repE0EEENS1_30default_config_static_selectorELNS0_4arch9wavefront6targetE0EEEvT1_.num_agpr, 0
	.set _ZN7rocprim17ROCPRIM_400000_NS6detail17trampoline_kernelINS0_14default_configENS1_25transform_config_selectorImLb1EEEZNS1_14transform_implILb1ES3_S5_PmPlNS0_8identityIvEEEE10hipError_tT2_T3_mT4_P12ihipStream_tbEUlT_E_NS1_11comp_targetILNS1_3genE0ELNS1_11target_archE4294967295ELNS1_3gpuE0ELNS1_3repE0EEENS1_30default_config_static_selectorELNS0_4arch9wavefront6targetE0EEEvT1_.numbered_sgpr, 10
	.set _ZN7rocprim17ROCPRIM_400000_NS6detail17trampoline_kernelINS0_14default_configENS1_25transform_config_selectorImLb1EEEZNS1_14transform_implILb1ES3_S5_PmPlNS0_8identityIvEEEE10hipError_tT2_T3_mT4_P12ihipStream_tbEUlT_E_NS1_11comp_targetILNS1_3genE0ELNS1_11target_archE4294967295ELNS1_3gpuE0ELNS1_3repE0EEENS1_30default_config_static_selectorELNS0_4arch9wavefront6targetE0EEEvT1_.num_named_barrier, 0
	.set _ZN7rocprim17ROCPRIM_400000_NS6detail17trampoline_kernelINS0_14default_configENS1_25transform_config_selectorImLb1EEEZNS1_14transform_implILb1ES3_S5_PmPlNS0_8identityIvEEEE10hipError_tT2_T3_mT4_P12ihipStream_tbEUlT_E_NS1_11comp_targetILNS1_3genE0ELNS1_11target_archE4294967295ELNS1_3gpuE0ELNS1_3repE0EEENS1_30default_config_static_selectorELNS0_4arch9wavefront6targetE0EEEvT1_.private_seg_size, 0
	.set _ZN7rocprim17ROCPRIM_400000_NS6detail17trampoline_kernelINS0_14default_configENS1_25transform_config_selectorImLb1EEEZNS1_14transform_implILb1ES3_S5_PmPlNS0_8identityIvEEEE10hipError_tT2_T3_mT4_P12ihipStream_tbEUlT_E_NS1_11comp_targetILNS1_3genE0ELNS1_11target_archE4294967295ELNS1_3gpuE0ELNS1_3repE0EEENS1_30default_config_static_selectorELNS0_4arch9wavefront6targetE0EEEvT1_.uses_vcc, 1
	.set _ZN7rocprim17ROCPRIM_400000_NS6detail17trampoline_kernelINS0_14default_configENS1_25transform_config_selectorImLb1EEEZNS1_14transform_implILb1ES3_S5_PmPlNS0_8identityIvEEEE10hipError_tT2_T3_mT4_P12ihipStream_tbEUlT_E_NS1_11comp_targetILNS1_3genE0ELNS1_11target_archE4294967295ELNS1_3gpuE0ELNS1_3repE0EEENS1_30default_config_static_selectorELNS0_4arch9wavefront6targetE0EEEvT1_.uses_flat_scratch, 0
	.set _ZN7rocprim17ROCPRIM_400000_NS6detail17trampoline_kernelINS0_14default_configENS1_25transform_config_selectorImLb1EEEZNS1_14transform_implILb1ES3_S5_PmPlNS0_8identityIvEEEE10hipError_tT2_T3_mT4_P12ihipStream_tbEUlT_E_NS1_11comp_targetILNS1_3genE0ELNS1_11target_archE4294967295ELNS1_3gpuE0ELNS1_3repE0EEENS1_30default_config_static_selectorELNS0_4arch9wavefront6targetE0EEEvT1_.has_dyn_sized_stack, 0
	.set _ZN7rocprim17ROCPRIM_400000_NS6detail17trampoline_kernelINS0_14default_configENS1_25transform_config_selectorImLb1EEEZNS1_14transform_implILb1ES3_S5_PmPlNS0_8identityIvEEEE10hipError_tT2_T3_mT4_P12ihipStream_tbEUlT_E_NS1_11comp_targetILNS1_3genE0ELNS1_11target_archE4294967295ELNS1_3gpuE0ELNS1_3repE0EEENS1_30default_config_static_selectorELNS0_4arch9wavefront6targetE0EEEvT1_.has_recursion, 0
	.set _ZN7rocprim17ROCPRIM_400000_NS6detail17trampoline_kernelINS0_14default_configENS1_25transform_config_selectorImLb1EEEZNS1_14transform_implILb1ES3_S5_PmPlNS0_8identityIvEEEE10hipError_tT2_T3_mT4_P12ihipStream_tbEUlT_E_NS1_11comp_targetILNS1_3genE0ELNS1_11target_archE4294967295ELNS1_3gpuE0ELNS1_3repE0EEENS1_30default_config_static_selectorELNS0_4arch9wavefront6targetE0EEEvT1_.has_indirect_call, 0
	.section	.AMDGPU.csdata,"",@progbits
; Kernel info:
; codeLenInByte = 192
; TotalNumSgprs: 12
; NumVgprs: 4
; ScratchSize: 0
; MemoryBound: 0
; FloatMode: 240
; IeeeMode: 1
; LDSByteSize: 0 bytes/workgroup (compile time only)
; SGPRBlocks: 0
; VGPRBlocks: 0
; NumSGPRsForWavesPerEU: 12
; NumVGPRsForWavesPerEU: 4
; NamedBarCnt: 0
; Occupancy: 16
; WaveLimiterHint : 0
; COMPUTE_PGM_RSRC2:SCRATCH_EN: 0
; COMPUTE_PGM_RSRC2:USER_SGPR: 2
; COMPUTE_PGM_RSRC2:TRAP_HANDLER: 0
; COMPUTE_PGM_RSRC2:TGID_X_EN: 1
; COMPUTE_PGM_RSRC2:TGID_Y_EN: 0
; COMPUTE_PGM_RSRC2:TGID_Z_EN: 0
; COMPUTE_PGM_RSRC2:TIDIG_COMP_CNT: 0
	.section	.text._ZN7rocprim17ROCPRIM_400000_NS6detail17trampoline_kernelINS0_14default_configENS1_25transform_config_selectorImLb1EEEZNS1_14transform_implILb1ES3_S5_PmPlNS0_8identityIvEEEE10hipError_tT2_T3_mT4_P12ihipStream_tbEUlT_E_NS1_11comp_targetILNS1_3genE10ELNS1_11target_archE1201ELNS1_3gpuE5ELNS1_3repE0EEENS1_30default_config_static_selectorELNS0_4arch9wavefront6targetE0EEEvT1_,"axG",@progbits,_ZN7rocprim17ROCPRIM_400000_NS6detail17trampoline_kernelINS0_14default_configENS1_25transform_config_selectorImLb1EEEZNS1_14transform_implILb1ES3_S5_PmPlNS0_8identityIvEEEE10hipError_tT2_T3_mT4_P12ihipStream_tbEUlT_E_NS1_11comp_targetILNS1_3genE10ELNS1_11target_archE1201ELNS1_3gpuE5ELNS1_3repE0EEENS1_30default_config_static_selectorELNS0_4arch9wavefront6targetE0EEEvT1_,comdat
	.protected	_ZN7rocprim17ROCPRIM_400000_NS6detail17trampoline_kernelINS0_14default_configENS1_25transform_config_selectorImLb1EEEZNS1_14transform_implILb1ES3_S5_PmPlNS0_8identityIvEEEE10hipError_tT2_T3_mT4_P12ihipStream_tbEUlT_E_NS1_11comp_targetILNS1_3genE10ELNS1_11target_archE1201ELNS1_3gpuE5ELNS1_3repE0EEENS1_30default_config_static_selectorELNS0_4arch9wavefront6targetE0EEEvT1_ ; -- Begin function _ZN7rocprim17ROCPRIM_400000_NS6detail17trampoline_kernelINS0_14default_configENS1_25transform_config_selectorImLb1EEEZNS1_14transform_implILb1ES3_S5_PmPlNS0_8identityIvEEEE10hipError_tT2_T3_mT4_P12ihipStream_tbEUlT_E_NS1_11comp_targetILNS1_3genE10ELNS1_11target_archE1201ELNS1_3gpuE5ELNS1_3repE0EEENS1_30default_config_static_selectorELNS0_4arch9wavefront6targetE0EEEvT1_
	.globl	_ZN7rocprim17ROCPRIM_400000_NS6detail17trampoline_kernelINS0_14default_configENS1_25transform_config_selectorImLb1EEEZNS1_14transform_implILb1ES3_S5_PmPlNS0_8identityIvEEEE10hipError_tT2_T3_mT4_P12ihipStream_tbEUlT_E_NS1_11comp_targetILNS1_3genE10ELNS1_11target_archE1201ELNS1_3gpuE5ELNS1_3repE0EEENS1_30default_config_static_selectorELNS0_4arch9wavefront6targetE0EEEvT1_
	.p2align	8
	.type	_ZN7rocprim17ROCPRIM_400000_NS6detail17trampoline_kernelINS0_14default_configENS1_25transform_config_selectorImLb1EEEZNS1_14transform_implILb1ES3_S5_PmPlNS0_8identityIvEEEE10hipError_tT2_T3_mT4_P12ihipStream_tbEUlT_E_NS1_11comp_targetILNS1_3genE10ELNS1_11target_archE1201ELNS1_3gpuE5ELNS1_3repE0EEENS1_30default_config_static_selectorELNS0_4arch9wavefront6targetE0EEEvT1_,@function
_ZN7rocprim17ROCPRIM_400000_NS6detail17trampoline_kernelINS0_14default_configENS1_25transform_config_selectorImLb1EEEZNS1_14transform_implILb1ES3_S5_PmPlNS0_8identityIvEEEE10hipError_tT2_T3_mT4_P12ihipStream_tbEUlT_E_NS1_11comp_targetILNS1_3genE10ELNS1_11target_archE1201ELNS1_3gpuE5ELNS1_3repE0EEENS1_30default_config_static_selectorELNS0_4arch9wavefront6targetE0EEEvT1_: ; @_ZN7rocprim17ROCPRIM_400000_NS6detail17trampoline_kernelINS0_14default_configENS1_25transform_config_selectorImLb1EEEZNS1_14transform_implILb1ES3_S5_PmPlNS0_8identityIvEEEE10hipError_tT2_T3_mT4_P12ihipStream_tbEUlT_E_NS1_11comp_targetILNS1_3genE10ELNS1_11target_archE1201ELNS1_3gpuE5ELNS1_3repE0EEENS1_30default_config_static_selectorELNS0_4arch9wavefront6targetE0EEEvT1_
; %bb.0:
	.section	.rodata,"a",@progbits
	.p2align	6, 0x0
	.amdhsa_kernel _ZN7rocprim17ROCPRIM_400000_NS6detail17trampoline_kernelINS0_14default_configENS1_25transform_config_selectorImLb1EEEZNS1_14transform_implILb1ES3_S5_PmPlNS0_8identityIvEEEE10hipError_tT2_T3_mT4_P12ihipStream_tbEUlT_E_NS1_11comp_targetILNS1_3genE10ELNS1_11target_archE1201ELNS1_3gpuE5ELNS1_3repE0EEENS1_30default_config_static_selectorELNS0_4arch9wavefront6targetE0EEEvT1_
		.amdhsa_group_segment_fixed_size 0
		.amdhsa_private_segment_fixed_size 0
		.amdhsa_kernarg_size 40
		.amdhsa_user_sgpr_count 2
		.amdhsa_user_sgpr_dispatch_ptr 0
		.amdhsa_user_sgpr_queue_ptr 0
		.amdhsa_user_sgpr_kernarg_segment_ptr 1
		.amdhsa_user_sgpr_dispatch_id 0
		.amdhsa_user_sgpr_kernarg_preload_length 0
		.amdhsa_user_sgpr_kernarg_preload_offset 0
		.amdhsa_user_sgpr_private_segment_size 0
		.amdhsa_wavefront_size32 1
		.amdhsa_uses_dynamic_stack 0
		.amdhsa_enable_private_segment 0
		.amdhsa_system_sgpr_workgroup_id_x 1
		.amdhsa_system_sgpr_workgroup_id_y 0
		.amdhsa_system_sgpr_workgroup_id_z 0
		.amdhsa_system_sgpr_workgroup_info 0
		.amdhsa_system_vgpr_workitem_id 0
		.amdhsa_next_free_vgpr 1
		.amdhsa_next_free_sgpr 1
		.amdhsa_named_barrier_count 0
		.amdhsa_reserve_vcc 0
		.amdhsa_float_round_mode_32 0
		.amdhsa_float_round_mode_16_64 0
		.amdhsa_float_denorm_mode_32 3
		.amdhsa_float_denorm_mode_16_64 3
		.amdhsa_fp16_overflow 0
		.amdhsa_memory_ordered 1
		.amdhsa_forward_progress 1
		.amdhsa_inst_pref_size 0
		.amdhsa_round_robin_scheduling 0
		.amdhsa_exception_fp_ieee_invalid_op 0
		.amdhsa_exception_fp_denorm_src 0
		.amdhsa_exception_fp_ieee_div_zero 0
		.amdhsa_exception_fp_ieee_overflow 0
		.amdhsa_exception_fp_ieee_underflow 0
		.amdhsa_exception_fp_ieee_inexact 0
		.amdhsa_exception_int_div_zero 0
	.end_amdhsa_kernel
	.section	.text._ZN7rocprim17ROCPRIM_400000_NS6detail17trampoline_kernelINS0_14default_configENS1_25transform_config_selectorImLb1EEEZNS1_14transform_implILb1ES3_S5_PmPlNS0_8identityIvEEEE10hipError_tT2_T3_mT4_P12ihipStream_tbEUlT_E_NS1_11comp_targetILNS1_3genE10ELNS1_11target_archE1201ELNS1_3gpuE5ELNS1_3repE0EEENS1_30default_config_static_selectorELNS0_4arch9wavefront6targetE0EEEvT1_,"axG",@progbits,_ZN7rocprim17ROCPRIM_400000_NS6detail17trampoline_kernelINS0_14default_configENS1_25transform_config_selectorImLb1EEEZNS1_14transform_implILb1ES3_S5_PmPlNS0_8identityIvEEEE10hipError_tT2_T3_mT4_P12ihipStream_tbEUlT_E_NS1_11comp_targetILNS1_3genE10ELNS1_11target_archE1201ELNS1_3gpuE5ELNS1_3repE0EEENS1_30default_config_static_selectorELNS0_4arch9wavefront6targetE0EEEvT1_,comdat
.Lfunc_end14:
	.size	_ZN7rocprim17ROCPRIM_400000_NS6detail17trampoline_kernelINS0_14default_configENS1_25transform_config_selectorImLb1EEEZNS1_14transform_implILb1ES3_S5_PmPlNS0_8identityIvEEEE10hipError_tT2_T3_mT4_P12ihipStream_tbEUlT_E_NS1_11comp_targetILNS1_3genE10ELNS1_11target_archE1201ELNS1_3gpuE5ELNS1_3repE0EEENS1_30default_config_static_selectorELNS0_4arch9wavefront6targetE0EEEvT1_, .Lfunc_end14-_ZN7rocprim17ROCPRIM_400000_NS6detail17trampoline_kernelINS0_14default_configENS1_25transform_config_selectorImLb1EEEZNS1_14transform_implILb1ES3_S5_PmPlNS0_8identityIvEEEE10hipError_tT2_T3_mT4_P12ihipStream_tbEUlT_E_NS1_11comp_targetILNS1_3genE10ELNS1_11target_archE1201ELNS1_3gpuE5ELNS1_3repE0EEENS1_30default_config_static_selectorELNS0_4arch9wavefront6targetE0EEEvT1_
                                        ; -- End function
	.set _ZN7rocprim17ROCPRIM_400000_NS6detail17trampoline_kernelINS0_14default_configENS1_25transform_config_selectorImLb1EEEZNS1_14transform_implILb1ES3_S5_PmPlNS0_8identityIvEEEE10hipError_tT2_T3_mT4_P12ihipStream_tbEUlT_E_NS1_11comp_targetILNS1_3genE10ELNS1_11target_archE1201ELNS1_3gpuE5ELNS1_3repE0EEENS1_30default_config_static_selectorELNS0_4arch9wavefront6targetE0EEEvT1_.num_vgpr, 0
	.set _ZN7rocprim17ROCPRIM_400000_NS6detail17trampoline_kernelINS0_14default_configENS1_25transform_config_selectorImLb1EEEZNS1_14transform_implILb1ES3_S5_PmPlNS0_8identityIvEEEE10hipError_tT2_T3_mT4_P12ihipStream_tbEUlT_E_NS1_11comp_targetILNS1_3genE10ELNS1_11target_archE1201ELNS1_3gpuE5ELNS1_3repE0EEENS1_30default_config_static_selectorELNS0_4arch9wavefront6targetE0EEEvT1_.num_agpr, 0
	.set _ZN7rocprim17ROCPRIM_400000_NS6detail17trampoline_kernelINS0_14default_configENS1_25transform_config_selectorImLb1EEEZNS1_14transform_implILb1ES3_S5_PmPlNS0_8identityIvEEEE10hipError_tT2_T3_mT4_P12ihipStream_tbEUlT_E_NS1_11comp_targetILNS1_3genE10ELNS1_11target_archE1201ELNS1_3gpuE5ELNS1_3repE0EEENS1_30default_config_static_selectorELNS0_4arch9wavefront6targetE0EEEvT1_.numbered_sgpr, 0
	.set _ZN7rocprim17ROCPRIM_400000_NS6detail17trampoline_kernelINS0_14default_configENS1_25transform_config_selectorImLb1EEEZNS1_14transform_implILb1ES3_S5_PmPlNS0_8identityIvEEEE10hipError_tT2_T3_mT4_P12ihipStream_tbEUlT_E_NS1_11comp_targetILNS1_3genE10ELNS1_11target_archE1201ELNS1_3gpuE5ELNS1_3repE0EEENS1_30default_config_static_selectorELNS0_4arch9wavefront6targetE0EEEvT1_.num_named_barrier, 0
	.set _ZN7rocprim17ROCPRIM_400000_NS6detail17trampoline_kernelINS0_14default_configENS1_25transform_config_selectorImLb1EEEZNS1_14transform_implILb1ES3_S5_PmPlNS0_8identityIvEEEE10hipError_tT2_T3_mT4_P12ihipStream_tbEUlT_E_NS1_11comp_targetILNS1_3genE10ELNS1_11target_archE1201ELNS1_3gpuE5ELNS1_3repE0EEENS1_30default_config_static_selectorELNS0_4arch9wavefront6targetE0EEEvT1_.private_seg_size, 0
	.set _ZN7rocprim17ROCPRIM_400000_NS6detail17trampoline_kernelINS0_14default_configENS1_25transform_config_selectorImLb1EEEZNS1_14transform_implILb1ES3_S5_PmPlNS0_8identityIvEEEE10hipError_tT2_T3_mT4_P12ihipStream_tbEUlT_E_NS1_11comp_targetILNS1_3genE10ELNS1_11target_archE1201ELNS1_3gpuE5ELNS1_3repE0EEENS1_30default_config_static_selectorELNS0_4arch9wavefront6targetE0EEEvT1_.uses_vcc, 0
	.set _ZN7rocprim17ROCPRIM_400000_NS6detail17trampoline_kernelINS0_14default_configENS1_25transform_config_selectorImLb1EEEZNS1_14transform_implILb1ES3_S5_PmPlNS0_8identityIvEEEE10hipError_tT2_T3_mT4_P12ihipStream_tbEUlT_E_NS1_11comp_targetILNS1_3genE10ELNS1_11target_archE1201ELNS1_3gpuE5ELNS1_3repE0EEENS1_30default_config_static_selectorELNS0_4arch9wavefront6targetE0EEEvT1_.uses_flat_scratch, 0
	.set _ZN7rocprim17ROCPRIM_400000_NS6detail17trampoline_kernelINS0_14default_configENS1_25transform_config_selectorImLb1EEEZNS1_14transform_implILb1ES3_S5_PmPlNS0_8identityIvEEEE10hipError_tT2_T3_mT4_P12ihipStream_tbEUlT_E_NS1_11comp_targetILNS1_3genE10ELNS1_11target_archE1201ELNS1_3gpuE5ELNS1_3repE0EEENS1_30default_config_static_selectorELNS0_4arch9wavefront6targetE0EEEvT1_.has_dyn_sized_stack, 0
	.set _ZN7rocprim17ROCPRIM_400000_NS6detail17trampoline_kernelINS0_14default_configENS1_25transform_config_selectorImLb1EEEZNS1_14transform_implILb1ES3_S5_PmPlNS0_8identityIvEEEE10hipError_tT2_T3_mT4_P12ihipStream_tbEUlT_E_NS1_11comp_targetILNS1_3genE10ELNS1_11target_archE1201ELNS1_3gpuE5ELNS1_3repE0EEENS1_30default_config_static_selectorELNS0_4arch9wavefront6targetE0EEEvT1_.has_recursion, 0
	.set _ZN7rocprim17ROCPRIM_400000_NS6detail17trampoline_kernelINS0_14default_configENS1_25transform_config_selectorImLb1EEEZNS1_14transform_implILb1ES3_S5_PmPlNS0_8identityIvEEEE10hipError_tT2_T3_mT4_P12ihipStream_tbEUlT_E_NS1_11comp_targetILNS1_3genE10ELNS1_11target_archE1201ELNS1_3gpuE5ELNS1_3repE0EEENS1_30default_config_static_selectorELNS0_4arch9wavefront6targetE0EEEvT1_.has_indirect_call, 0
	.section	.AMDGPU.csdata,"",@progbits
; Kernel info:
; codeLenInByte = 0
; TotalNumSgprs: 0
; NumVgprs: 0
; ScratchSize: 0
; MemoryBound: 0
; FloatMode: 240
; IeeeMode: 1
; LDSByteSize: 0 bytes/workgroup (compile time only)
; SGPRBlocks: 0
; VGPRBlocks: 0
; NumSGPRsForWavesPerEU: 1
; NumVGPRsForWavesPerEU: 1
; NamedBarCnt: 0
; Occupancy: 16
; WaveLimiterHint : 0
; COMPUTE_PGM_RSRC2:SCRATCH_EN: 0
; COMPUTE_PGM_RSRC2:USER_SGPR: 2
; COMPUTE_PGM_RSRC2:TRAP_HANDLER: 0
; COMPUTE_PGM_RSRC2:TGID_X_EN: 1
; COMPUTE_PGM_RSRC2:TGID_Y_EN: 0
; COMPUTE_PGM_RSRC2:TGID_Z_EN: 0
; COMPUTE_PGM_RSRC2:TIDIG_COMP_CNT: 0
	.section	.text._ZN7rocprim17ROCPRIM_400000_NS6detail17trampoline_kernelINS0_14default_configENS1_25transform_config_selectorImLb1EEEZNS1_14transform_implILb1ES3_S5_PmPlNS0_8identityIvEEEE10hipError_tT2_T3_mT4_P12ihipStream_tbEUlT_E_NS1_11comp_targetILNS1_3genE5ELNS1_11target_archE942ELNS1_3gpuE9ELNS1_3repE0EEENS1_30default_config_static_selectorELNS0_4arch9wavefront6targetE0EEEvT1_,"axG",@progbits,_ZN7rocprim17ROCPRIM_400000_NS6detail17trampoline_kernelINS0_14default_configENS1_25transform_config_selectorImLb1EEEZNS1_14transform_implILb1ES3_S5_PmPlNS0_8identityIvEEEE10hipError_tT2_T3_mT4_P12ihipStream_tbEUlT_E_NS1_11comp_targetILNS1_3genE5ELNS1_11target_archE942ELNS1_3gpuE9ELNS1_3repE0EEENS1_30default_config_static_selectorELNS0_4arch9wavefront6targetE0EEEvT1_,comdat
	.protected	_ZN7rocprim17ROCPRIM_400000_NS6detail17trampoline_kernelINS0_14default_configENS1_25transform_config_selectorImLb1EEEZNS1_14transform_implILb1ES3_S5_PmPlNS0_8identityIvEEEE10hipError_tT2_T3_mT4_P12ihipStream_tbEUlT_E_NS1_11comp_targetILNS1_3genE5ELNS1_11target_archE942ELNS1_3gpuE9ELNS1_3repE0EEENS1_30default_config_static_selectorELNS0_4arch9wavefront6targetE0EEEvT1_ ; -- Begin function _ZN7rocprim17ROCPRIM_400000_NS6detail17trampoline_kernelINS0_14default_configENS1_25transform_config_selectorImLb1EEEZNS1_14transform_implILb1ES3_S5_PmPlNS0_8identityIvEEEE10hipError_tT2_T3_mT4_P12ihipStream_tbEUlT_E_NS1_11comp_targetILNS1_3genE5ELNS1_11target_archE942ELNS1_3gpuE9ELNS1_3repE0EEENS1_30default_config_static_selectorELNS0_4arch9wavefront6targetE0EEEvT1_
	.globl	_ZN7rocprim17ROCPRIM_400000_NS6detail17trampoline_kernelINS0_14default_configENS1_25transform_config_selectorImLb1EEEZNS1_14transform_implILb1ES3_S5_PmPlNS0_8identityIvEEEE10hipError_tT2_T3_mT4_P12ihipStream_tbEUlT_E_NS1_11comp_targetILNS1_3genE5ELNS1_11target_archE942ELNS1_3gpuE9ELNS1_3repE0EEENS1_30default_config_static_selectorELNS0_4arch9wavefront6targetE0EEEvT1_
	.p2align	8
	.type	_ZN7rocprim17ROCPRIM_400000_NS6detail17trampoline_kernelINS0_14default_configENS1_25transform_config_selectorImLb1EEEZNS1_14transform_implILb1ES3_S5_PmPlNS0_8identityIvEEEE10hipError_tT2_T3_mT4_P12ihipStream_tbEUlT_E_NS1_11comp_targetILNS1_3genE5ELNS1_11target_archE942ELNS1_3gpuE9ELNS1_3repE0EEENS1_30default_config_static_selectorELNS0_4arch9wavefront6targetE0EEEvT1_,@function
_ZN7rocprim17ROCPRIM_400000_NS6detail17trampoline_kernelINS0_14default_configENS1_25transform_config_selectorImLb1EEEZNS1_14transform_implILb1ES3_S5_PmPlNS0_8identityIvEEEE10hipError_tT2_T3_mT4_P12ihipStream_tbEUlT_E_NS1_11comp_targetILNS1_3genE5ELNS1_11target_archE942ELNS1_3gpuE9ELNS1_3repE0EEENS1_30default_config_static_selectorELNS0_4arch9wavefront6targetE0EEEvT1_: ; @_ZN7rocprim17ROCPRIM_400000_NS6detail17trampoline_kernelINS0_14default_configENS1_25transform_config_selectorImLb1EEEZNS1_14transform_implILb1ES3_S5_PmPlNS0_8identityIvEEEE10hipError_tT2_T3_mT4_P12ihipStream_tbEUlT_E_NS1_11comp_targetILNS1_3genE5ELNS1_11target_archE942ELNS1_3gpuE9ELNS1_3repE0EEENS1_30default_config_static_selectorELNS0_4arch9wavefront6targetE0EEEvT1_
; %bb.0:
	.section	.rodata,"a",@progbits
	.p2align	6, 0x0
	.amdhsa_kernel _ZN7rocprim17ROCPRIM_400000_NS6detail17trampoline_kernelINS0_14default_configENS1_25transform_config_selectorImLb1EEEZNS1_14transform_implILb1ES3_S5_PmPlNS0_8identityIvEEEE10hipError_tT2_T3_mT4_P12ihipStream_tbEUlT_E_NS1_11comp_targetILNS1_3genE5ELNS1_11target_archE942ELNS1_3gpuE9ELNS1_3repE0EEENS1_30default_config_static_selectorELNS0_4arch9wavefront6targetE0EEEvT1_
		.amdhsa_group_segment_fixed_size 0
		.amdhsa_private_segment_fixed_size 0
		.amdhsa_kernarg_size 40
		.amdhsa_user_sgpr_count 2
		.amdhsa_user_sgpr_dispatch_ptr 0
		.amdhsa_user_sgpr_queue_ptr 0
		.amdhsa_user_sgpr_kernarg_segment_ptr 1
		.amdhsa_user_sgpr_dispatch_id 0
		.amdhsa_user_sgpr_kernarg_preload_length 0
		.amdhsa_user_sgpr_kernarg_preload_offset 0
		.amdhsa_user_sgpr_private_segment_size 0
		.amdhsa_wavefront_size32 1
		.amdhsa_uses_dynamic_stack 0
		.amdhsa_enable_private_segment 0
		.amdhsa_system_sgpr_workgroup_id_x 1
		.amdhsa_system_sgpr_workgroup_id_y 0
		.amdhsa_system_sgpr_workgroup_id_z 0
		.amdhsa_system_sgpr_workgroup_info 0
		.amdhsa_system_vgpr_workitem_id 0
		.amdhsa_next_free_vgpr 1
		.amdhsa_next_free_sgpr 1
		.amdhsa_named_barrier_count 0
		.amdhsa_reserve_vcc 0
		.amdhsa_float_round_mode_32 0
		.amdhsa_float_round_mode_16_64 0
		.amdhsa_float_denorm_mode_32 3
		.amdhsa_float_denorm_mode_16_64 3
		.amdhsa_fp16_overflow 0
		.amdhsa_memory_ordered 1
		.amdhsa_forward_progress 1
		.amdhsa_inst_pref_size 0
		.amdhsa_round_robin_scheduling 0
		.amdhsa_exception_fp_ieee_invalid_op 0
		.amdhsa_exception_fp_denorm_src 0
		.amdhsa_exception_fp_ieee_div_zero 0
		.amdhsa_exception_fp_ieee_overflow 0
		.amdhsa_exception_fp_ieee_underflow 0
		.amdhsa_exception_fp_ieee_inexact 0
		.amdhsa_exception_int_div_zero 0
	.end_amdhsa_kernel
	.section	.text._ZN7rocprim17ROCPRIM_400000_NS6detail17trampoline_kernelINS0_14default_configENS1_25transform_config_selectorImLb1EEEZNS1_14transform_implILb1ES3_S5_PmPlNS0_8identityIvEEEE10hipError_tT2_T3_mT4_P12ihipStream_tbEUlT_E_NS1_11comp_targetILNS1_3genE5ELNS1_11target_archE942ELNS1_3gpuE9ELNS1_3repE0EEENS1_30default_config_static_selectorELNS0_4arch9wavefront6targetE0EEEvT1_,"axG",@progbits,_ZN7rocprim17ROCPRIM_400000_NS6detail17trampoline_kernelINS0_14default_configENS1_25transform_config_selectorImLb1EEEZNS1_14transform_implILb1ES3_S5_PmPlNS0_8identityIvEEEE10hipError_tT2_T3_mT4_P12ihipStream_tbEUlT_E_NS1_11comp_targetILNS1_3genE5ELNS1_11target_archE942ELNS1_3gpuE9ELNS1_3repE0EEENS1_30default_config_static_selectorELNS0_4arch9wavefront6targetE0EEEvT1_,comdat
.Lfunc_end15:
	.size	_ZN7rocprim17ROCPRIM_400000_NS6detail17trampoline_kernelINS0_14default_configENS1_25transform_config_selectorImLb1EEEZNS1_14transform_implILb1ES3_S5_PmPlNS0_8identityIvEEEE10hipError_tT2_T3_mT4_P12ihipStream_tbEUlT_E_NS1_11comp_targetILNS1_3genE5ELNS1_11target_archE942ELNS1_3gpuE9ELNS1_3repE0EEENS1_30default_config_static_selectorELNS0_4arch9wavefront6targetE0EEEvT1_, .Lfunc_end15-_ZN7rocprim17ROCPRIM_400000_NS6detail17trampoline_kernelINS0_14default_configENS1_25transform_config_selectorImLb1EEEZNS1_14transform_implILb1ES3_S5_PmPlNS0_8identityIvEEEE10hipError_tT2_T3_mT4_P12ihipStream_tbEUlT_E_NS1_11comp_targetILNS1_3genE5ELNS1_11target_archE942ELNS1_3gpuE9ELNS1_3repE0EEENS1_30default_config_static_selectorELNS0_4arch9wavefront6targetE0EEEvT1_
                                        ; -- End function
	.set _ZN7rocprim17ROCPRIM_400000_NS6detail17trampoline_kernelINS0_14default_configENS1_25transform_config_selectorImLb1EEEZNS1_14transform_implILb1ES3_S5_PmPlNS0_8identityIvEEEE10hipError_tT2_T3_mT4_P12ihipStream_tbEUlT_E_NS1_11comp_targetILNS1_3genE5ELNS1_11target_archE942ELNS1_3gpuE9ELNS1_3repE0EEENS1_30default_config_static_selectorELNS0_4arch9wavefront6targetE0EEEvT1_.num_vgpr, 0
	.set _ZN7rocprim17ROCPRIM_400000_NS6detail17trampoline_kernelINS0_14default_configENS1_25transform_config_selectorImLb1EEEZNS1_14transform_implILb1ES3_S5_PmPlNS0_8identityIvEEEE10hipError_tT2_T3_mT4_P12ihipStream_tbEUlT_E_NS1_11comp_targetILNS1_3genE5ELNS1_11target_archE942ELNS1_3gpuE9ELNS1_3repE0EEENS1_30default_config_static_selectorELNS0_4arch9wavefront6targetE0EEEvT1_.num_agpr, 0
	.set _ZN7rocprim17ROCPRIM_400000_NS6detail17trampoline_kernelINS0_14default_configENS1_25transform_config_selectorImLb1EEEZNS1_14transform_implILb1ES3_S5_PmPlNS0_8identityIvEEEE10hipError_tT2_T3_mT4_P12ihipStream_tbEUlT_E_NS1_11comp_targetILNS1_3genE5ELNS1_11target_archE942ELNS1_3gpuE9ELNS1_3repE0EEENS1_30default_config_static_selectorELNS0_4arch9wavefront6targetE0EEEvT1_.numbered_sgpr, 0
	.set _ZN7rocprim17ROCPRIM_400000_NS6detail17trampoline_kernelINS0_14default_configENS1_25transform_config_selectorImLb1EEEZNS1_14transform_implILb1ES3_S5_PmPlNS0_8identityIvEEEE10hipError_tT2_T3_mT4_P12ihipStream_tbEUlT_E_NS1_11comp_targetILNS1_3genE5ELNS1_11target_archE942ELNS1_3gpuE9ELNS1_3repE0EEENS1_30default_config_static_selectorELNS0_4arch9wavefront6targetE0EEEvT1_.num_named_barrier, 0
	.set _ZN7rocprim17ROCPRIM_400000_NS6detail17trampoline_kernelINS0_14default_configENS1_25transform_config_selectorImLb1EEEZNS1_14transform_implILb1ES3_S5_PmPlNS0_8identityIvEEEE10hipError_tT2_T3_mT4_P12ihipStream_tbEUlT_E_NS1_11comp_targetILNS1_3genE5ELNS1_11target_archE942ELNS1_3gpuE9ELNS1_3repE0EEENS1_30default_config_static_selectorELNS0_4arch9wavefront6targetE0EEEvT1_.private_seg_size, 0
	.set _ZN7rocprim17ROCPRIM_400000_NS6detail17trampoline_kernelINS0_14default_configENS1_25transform_config_selectorImLb1EEEZNS1_14transform_implILb1ES3_S5_PmPlNS0_8identityIvEEEE10hipError_tT2_T3_mT4_P12ihipStream_tbEUlT_E_NS1_11comp_targetILNS1_3genE5ELNS1_11target_archE942ELNS1_3gpuE9ELNS1_3repE0EEENS1_30default_config_static_selectorELNS0_4arch9wavefront6targetE0EEEvT1_.uses_vcc, 0
	.set _ZN7rocprim17ROCPRIM_400000_NS6detail17trampoline_kernelINS0_14default_configENS1_25transform_config_selectorImLb1EEEZNS1_14transform_implILb1ES3_S5_PmPlNS0_8identityIvEEEE10hipError_tT2_T3_mT4_P12ihipStream_tbEUlT_E_NS1_11comp_targetILNS1_3genE5ELNS1_11target_archE942ELNS1_3gpuE9ELNS1_3repE0EEENS1_30default_config_static_selectorELNS0_4arch9wavefront6targetE0EEEvT1_.uses_flat_scratch, 0
	.set _ZN7rocprim17ROCPRIM_400000_NS6detail17trampoline_kernelINS0_14default_configENS1_25transform_config_selectorImLb1EEEZNS1_14transform_implILb1ES3_S5_PmPlNS0_8identityIvEEEE10hipError_tT2_T3_mT4_P12ihipStream_tbEUlT_E_NS1_11comp_targetILNS1_3genE5ELNS1_11target_archE942ELNS1_3gpuE9ELNS1_3repE0EEENS1_30default_config_static_selectorELNS0_4arch9wavefront6targetE0EEEvT1_.has_dyn_sized_stack, 0
	.set _ZN7rocprim17ROCPRIM_400000_NS6detail17trampoline_kernelINS0_14default_configENS1_25transform_config_selectorImLb1EEEZNS1_14transform_implILb1ES3_S5_PmPlNS0_8identityIvEEEE10hipError_tT2_T3_mT4_P12ihipStream_tbEUlT_E_NS1_11comp_targetILNS1_3genE5ELNS1_11target_archE942ELNS1_3gpuE9ELNS1_3repE0EEENS1_30default_config_static_selectorELNS0_4arch9wavefront6targetE0EEEvT1_.has_recursion, 0
	.set _ZN7rocprim17ROCPRIM_400000_NS6detail17trampoline_kernelINS0_14default_configENS1_25transform_config_selectorImLb1EEEZNS1_14transform_implILb1ES3_S5_PmPlNS0_8identityIvEEEE10hipError_tT2_T3_mT4_P12ihipStream_tbEUlT_E_NS1_11comp_targetILNS1_3genE5ELNS1_11target_archE942ELNS1_3gpuE9ELNS1_3repE0EEENS1_30default_config_static_selectorELNS0_4arch9wavefront6targetE0EEEvT1_.has_indirect_call, 0
	.section	.AMDGPU.csdata,"",@progbits
; Kernel info:
; codeLenInByte = 0
; TotalNumSgprs: 0
; NumVgprs: 0
; ScratchSize: 0
; MemoryBound: 0
; FloatMode: 240
; IeeeMode: 1
; LDSByteSize: 0 bytes/workgroup (compile time only)
; SGPRBlocks: 0
; VGPRBlocks: 0
; NumSGPRsForWavesPerEU: 1
; NumVGPRsForWavesPerEU: 1
; NamedBarCnt: 0
; Occupancy: 16
; WaveLimiterHint : 0
; COMPUTE_PGM_RSRC2:SCRATCH_EN: 0
; COMPUTE_PGM_RSRC2:USER_SGPR: 2
; COMPUTE_PGM_RSRC2:TRAP_HANDLER: 0
; COMPUTE_PGM_RSRC2:TGID_X_EN: 1
; COMPUTE_PGM_RSRC2:TGID_Y_EN: 0
; COMPUTE_PGM_RSRC2:TGID_Z_EN: 0
; COMPUTE_PGM_RSRC2:TIDIG_COMP_CNT: 0
	.section	.text._ZN7rocprim17ROCPRIM_400000_NS6detail17trampoline_kernelINS0_14default_configENS1_25transform_config_selectorImLb1EEEZNS1_14transform_implILb1ES3_S5_PmPlNS0_8identityIvEEEE10hipError_tT2_T3_mT4_P12ihipStream_tbEUlT_E_NS1_11comp_targetILNS1_3genE4ELNS1_11target_archE910ELNS1_3gpuE8ELNS1_3repE0EEENS1_30default_config_static_selectorELNS0_4arch9wavefront6targetE0EEEvT1_,"axG",@progbits,_ZN7rocprim17ROCPRIM_400000_NS6detail17trampoline_kernelINS0_14default_configENS1_25transform_config_selectorImLb1EEEZNS1_14transform_implILb1ES3_S5_PmPlNS0_8identityIvEEEE10hipError_tT2_T3_mT4_P12ihipStream_tbEUlT_E_NS1_11comp_targetILNS1_3genE4ELNS1_11target_archE910ELNS1_3gpuE8ELNS1_3repE0EEENS1_30default_config_static_selectorELNS0_4arch9wavefront6targetE0EEEvT1_,comdat
	.protected	_ZN7rocprim17ROCPRIM_400000_NS6detail17trampoline_kernelINS0_14default_configENS1_25transform_config_selectorImLb1EEEZNS1_14transform_implILb1ES3_S5_PmPlNS0_8identityIvEEEE10hipError_tT2_T3_mT4_P12ihipStream_tbEUlT_E_NS1_11comp_targetILNS1_3genE4ELNS1_11target_archE910ELNS1_3gpuE8ELNS1_3repE0EEENS1_30default_config_static_selectorELNS0_4arch9wavefront6targetE0EEEvT1_ ; -- Begin function _ZN7rocprim17ROCPRIM_400000_NS6detail17trampoline_kernelINS0_14default_configENS1_25transform_config_selectorImLb1EEEZNS1_14transform_implILb1ES3_S5_PmPlNS0_8identityIvEEEE10hipError_tT2_T3_mT4_P12ihipStream_tbEUlT_E_NS1_11comp_targetILNS1_3genE4ELNS1_11target_archE910ELNS1_3gpuE8ELNS1_3repE0EEENS1_30default_config_static_selectorELNS0_4arch9wavefront6targetE0EEEvT1_
	.globl	_ZN7rocprim17ROCPRIM_400000_NS6detail17trampoline_kernelINS0_14default_configENS1_25transform_config_selectorImLb1EEEZNS1_14transform_implILb1ES3_S5_PmPlNS0_8identityIvEEEE10hipError_tT2_T3_mT4_P12ihipStream_tbEUlT_E_NS1_11comp_targetILNS1_3genE4ELNS1_11target_archE910ELNS1_3gpuE8ELNS1_3repE0EEENS1_30default_config_static_selectorELNS0_4arch9wavefront6targetE0EEEvT1_
	.p2align	8
	.type	_ZN7rocprim17ROCPRIM_400000_NS6detail17trampoline_kernelINS0_14default_configENS1_25transform_config_selectorImLb1EEEZNS1_14transform_implILb1ES3_S5_PmPlNS0_8identityIvEEEE10hipError_tT2_T3_mT4_P12ihipStream_tbEUlT_E_NS1_11comp_targetILNS1_3genE4ELNS1_11target_archE910ELNS1_3gpuE8ELNS1_3repE0EEENS1_30default_config_static_selectorELNS0_4arch9wavefront6targetE0EEEvT1_,@function
_ZN7rocprim17ROCPRIM_400000_NS6detail17trampoline_kernelINS0_14default_configENS1_25transform_config_selectorImLb1EEEZNS1_14transform_implILb1ES3_S5_PmPlNS0_8identityIvEEEE10hipError_tT2_T3_mT4_P12ihipStream_tbEUlT_E_NS1_11comp_targetILNS1_3genE4ELNS1_11target_archE910ELNS1_3gpuE8ELNS1_3repE0EEENS1_30default_config_static_selectorELNS0_4arch9wavefront6targetE0EEEvT1_: ; @_ZN7rocprim17ROCPRIM_400000_NS6detail17trampoline_kernelINS0_14default_configENS1_25transform_config_selectorImLb1EEEZNS1_14transform_implILb1ES3_S5_PmPlNS0_8identityIvEEEE10hipError_tT2_T3_mT4_P12ihipStream_tbEUlT_E_NS1_11comp_targetILNS1_3genE4ELNS1_11target_archE910ELNS1_3gpuE8ELNS1_3repE0EEENS1_30default_config_static_selectorELNS0_4arch9wavefront6targetE0EEEvT1_
; %bb.0:
	.section	.rodata,"a",@progbits
	.p2align	6, 0x0
	.amdhsa_kernel _ZN7rocprim17ROCPRIM_400000_NS6detail17trampoline_kernelINS0_14default_configENS1_25transform_config_selectorImLb1EEEZNS1_14transform_implILb1ES3_S5_PmPlNS0_8identityIvEEEE10hipError_tT2_T3_mT4_P12ihipStream_tbEUlT_E_NS1_11comp_targetILNS1_3genE4ELNS1_11target_archE910ELNS1_3gpuE8ELNS1_3repE0EEENS1_30default_config_static_selectorELNS0_4arch9wavefront6targetE0EEEvT1_
		.amdhsa_group_segment_fixed_size 0
		.amdhsa_private_segment_fixed_size 0
		.amdhsa_kernarg_size 40
		.amdhsa_user_sgpr_count 2
		.amdhsa_user_sgpr_dispatch_ptr 0
		.amdhsa_user_sgpr_queue_ptr 0
		.amdhsa_user_sgpr_kernarg_segment_ptr 1
		.amdhsa_user_sgpr_dispatch_id 0
		.amdhsa_user_sgpr_kernarg_preload_length 0
		.amdhsa_user_sgpr_kernarg_preload_offset 0
		.amdhsa_user_sgpr_private_segment_size 0
		.amdhsa_wavefront_size32 1
		.amdhsa_uses_dynamic_stack 0
		.amdhsa_enable_private_segment 0
		.amdhsa_system_sgpr_workgroup_id_x 1
		.amdhsa_system_sgpr_workgroup_id_y 0
		.amdhsa_system_sgpr_workgroup_id_z 0
		.amdhsa_system_sgpr_workgroup_info 0
		.amdhsa_system_vgpr_workitem_id 0
		.amdhsa_next_free_vgpr 1
		.amdhsa_next_free_sgpr 1
		.amdhsa_named_barrier_count 0
		.amdhsa_reserve_vcc 0
		.amdhsa_float_round_mode_32 0
		.amdhsa_float_round_mode_16_64 0
		.amdhsa_float_denorm_mode_32 3
		.amdhsa_float_denorm_mode_16_64 3
		.amdhsa_fp16_overflow 0
		.amdhsa_memory_ordered 1
		.amdhsa_forward_progress 1
		.amdhsa_inst_pref_size 0
		.amdhsa_round_robin_scheduling 0
		.amdhsa_exception_fp_ieee_invalid_op 0
		.amdhsa_exception_fp_denorm_src 0
		.amdhsa_exception_fp_ieee_div_zero 0
		.amdhsa_exception_fp_ieee_overflow 0
		.amdhsa_exception_fp_ieee_underflow 0
		.amdhsa_exception_fp_ieee_inexact 0
		.amdhsa_exception_int_div_zero 0
	.end_amdhsa_kernel
	.section	.text._ZN7rocprim17ROCPRIM_400000_NS6detail17trampoline_kernelINS0_14default_configENS1_25transform_config_selectorImLb1EEEZNS1_14transform_implILb1ES3_S5_PmPlNS0_8identityIvEEEE10hipError_tT2_T3_mT4_P12ihipStream_tbEUlT_E_NS1_11comp_targetILNS1_3genE4ELNS1_11target_archE910ELNS1_3gpuE8ELNS1_3repE0EEENS1_30default_config_static_selectorELNS0_4arch9wavefront6targetE0EEEvT1_,"axG",@progbits,_ZN7rocprim17ROCPRIM_400000_NS6detail17trampoline_kernelINS0_14default_configENS1_25transform_config_selectorImLb1EEEZNS1_14transform_implILb1ES3_S5_PmPlNS0_8identityIvEEEE10hipError_tT2_T3_mT4_P12ihipStream_tbEUlT_E_NS1_11comp_targetILNS1_3genE4ELNS1_11target_archE910ELNS1_3gpuE8ELNS1_3repE0EEENS1_30default_config_static_selectorELNS0_4arch9wavefront6targetE0EEEvT1_,comdat
.Lfunc_end16:
	.size	_ZN7rocprim17ROCPRIM_400000_NS6detail17trampoline_kernelINS0_14default_configENS1_25transform_config_selectorImLb1EEEZNS1_14transform_implILb1ES3_S5_PmPlNS0_8identityIvEEEE10hipError_tT2_T3_mT4_P12ihipStream_tbEUlT_E_NS1_11comp_targetILNS1_3genE4ELNS1_11target_archE910ELNS1_3gpuE8ELNS1_3repE0EEENS1_30default_config_static_selectorELNS0_4arch9wavefront6targetE0EEEvT1_, .Lfunc_end16-_ZN7rocprim17ROCPRIM_400000_NS6detail17trampoline_kernelINS0_14default_configENS1_25transform_config_selectorImLb1EEEZNS1_14transform_implILb1ES3_S5_PmPlNS0_8identityIvEEEE10hipError_tT2_T3_mT4_P12ihipStream_tbEUlT_E_NS1_11comp_targetILNS1_3genE4ELNS1_11target_archE910ELNS1_3gpuE8ELNS1_3repE0EEENS1_30default_config_static_selectorELNS0_4arch9wavefront6targetE0EEEvT1_
                                        ; -- End function
	.set _ZN7rocprim17ROCPRIM_400000_NS6detail17trampoline_kernelINS0_14default_configENS1_25transform_config_selectorImLb1EEEZNS1_14transform_implILb1ES3_S5_PmPlNS0_8identityIvEEEE10hipError_tT2_T3_mT4_P12ihipStream_tbEUlT_E_NS1_11comp_targetILNS1_3genE4ELNS1_11target_archE910ELNS1_3gpuE8ELNS1_3repE0EEENS1_30default_config_static_selectorELNS0_4arch9wavefront6targetE0EEEvT1_.num_vgpr, 0
	.set _ZN7rocprim17ROCPRIM_400000_NS6detail17trampoline_kernelINS0_14default_configENS1_25transform_config_selectorImLb1EEEZNS1_14transform_implILb1ES3_S5_PmPlNS0_8identityIvEEEE10hipError_tT2_T3_mT4_P12ihipStream_tbEUlT_E_NS1_11comp_targetILNS1_3genE4ELNS1_11target_archE910ELNS1_3gpuE8ELNS1_3repE0EEENS1_30default_config_static_selectorELNS0_4arch9wavefront6targetE0EEEvT1_.num_agpr, 0
	.set _ZN7rocprim17ROCPRIM_400000_NS6detail17trampoline_kernelINS0_14default_configENS1_25transform_config_selectorImLb1EEEZNS1_14transform_implILb1ES3_S5_PmPlNS0_8identityIvEEEE10hipError_tT2_T3_mT4_P12ihipStream_tbEUlT_E_NS1_11comp_targetILNS1_3genE4ELNS1_11target_archE910ELNS1_3gpuE8ELNS1_3repE0EEENS1_30default_config_static_selectorELNS0_4arch9wavefront6targetE0EEEvT1_.numbered_sgpr, 0
	.set _ZN7rocprim17ROCPRIM_400000_NS6detail17trampoline_kernelINS0_14default_configENS1_25transform_config_selectorImLb1EEEZNS1_14transform_implILb1ES3_S5_PmPlNS0_8identityIvEEEE10hipError_tT2_T3_mT4_P12ihipStream_tbEUlT_E_NS1_11comp_targetILNS1_3genE4ELNS1_11target_archE910ELNS1_3gpuE8ELNS1_3repE0EEENS1_30default_config_static_selectorELNS0_4arch9wavefront6targetE0EEEvT1_.num_named_barrier, 0
	.set _ZN7rocprim17ROCPRIM_400000_NS6detail17trampoline_kernelINS0_14default_configENS1_25transform_config_selectorImLb1EEEZNS1_14transform_implILb1ES3_S5_PmPlNS0_8identityIvEEEE10hipError_tT2_T3_mT4_P12ihipStream_tbEUlT_E_NS1_11comp_targetILNS1_3genE4ELNS1_11target_archE910ELNS1_3gpuE8ELNS1_3repE0EEENS1_30default_config_static_selectorELNS0_4arch9wavefront6targetE0EEEvT1_.private_seg_size, 0
	.set _ZN7rocprim17ROCPRIM_400000_NS6detail17trampoline_kernelINS0_14default_configENS1_25transform_config_selectorImLb1EEEZNS1_14transform_implILb1ES3_S5_PmPlNS0_8identityIvEEEE10hipError_tT2_T3_mT4_P12ihipStream_tbEUlT_E_NS1_11comp_targetILNS1_3genE4ELNS1_11target_archE910ELNS1_3gpuE8ELNS1_3repE0EEENS1_30default_config_static_selectorELNS0_4arch9wavefront6targetE0EEEvT1_.uses_vcc, 0
	.set _ZN7rocprim17ROCPRIM_400000_NS6detail17trampoline_kernelINS0_14default_configENS1_25transform_config_selectorImLb1EEEZNS1_14transform_implILb1ES3_S5_PmPlNS0_8identityIvEEEE10hipError_tT2_T3_mT4_P12ihipStream_tbEUlT_E_NS1_11comp_targetILNS1_3genE4ELNS1_11target_archE910ELNS1_3gpuE8ELNS1_3repE0EEENS1_30default_config_static_selectorELNS0_4arch9wavefront6targetE0EEEvT1_.uses_flat_scratch, 0
	.set _ZN7rocprim17ROCPRIM_400000_NS6detail17trampoline_kernelINS0_14default_configENS1_25transform_config_selectorImLb1EEEZNS1_14transform_implILb1ES3_S5_PmPlNS0_8identityIvEEEE10hipError_tT2_T3_mT4_P12ihipStream_tbEUlT_E_NS1_11comp_targetILNS1_3genE4ELNS1_11target_archE910ELNS1_3gpuE8ELNS1_3repE0EEENS1_30default_config_static_selectorELNS0_4arch9wavefront6targetE0EEEvT1_.has_dyn_sized_stack, 0
	.set _ZN7rocprim17ROCPRIM_400000_NS6detail17trampoline_kernelINS0_14default_configENS1_25transform_config_selectorImLb1EEEZNS1_14transform_implILb1ES3_S5_PmPlNS0_8identityIvEEEE10hipError_tT2_T3_mT4_P12ihipStream_tbEUlT_E_NS1_11comp_targetILNS1_3genE4ELNS1_11target_archE910ELNS1_3gpuE8ELNS1_3repE0EEENS1_30default_config_static_selectorELNS0_4arch9wavefront6targetE0EEEvT1_.has_recursion, 0
	.set _ZN7rocprim17ROCPRIM_400000_NS6detail17trampoline_kernelINS0_14default_configENS1_25transform_config_selectorImLb1EEEZNS1_14transform_implILb1ES3_S5_PmPlNS0_8identityIvEEEE10hipError_tT2_T3_mT4_P12ihipStream_tbEUlT_E_NS1_11comp_targetILNS1_3genE4ELNS1_11target_archE910ELNS1_3gpuE8ELNS1_3repE0EEENS1_30default_config_static_selectorELNS0_4arch9wavefront6targetE0EEEvT1_.has_indirect_call, 0
	.section	.AMDGPU.csdata,"",@progbits
; Kernel info:
; codeLenInByte = 0
; TotalNumSgprs: 0
; NumVgprs: 0
; ScratchSize: 0
; MemoryBound: 0
; FloatMode: 240
; IeeeMode: 1
; LDSByteSize: 0 bytes/workgroup (compile time only)
; SGPRBlocks: 0
; VGPRBlocks: 0
; NumSGPRsForWavesPerEU: 1
; NumVGPRsForWavesPerEU: 1
; NamedBarCnt: 0
; Occupancy: 16
; WaveLimiterHint : 0
; COMPUTE_PGM_RSRC2:SCRATCH_EN: 0
; COMPUTE_PGM_RSRC2:USER_SGPR: 2
; COMPUTE_PGM_RSRC2:TRAP_HANDLER: 0
; COMPUTE_PGM_RSRC2:TGID_X_EN: 1
; COMPUTE_PGM_RSRC2:TGID_Y_EN: 0
; COMPUTE_PGM_RSRC2:TGID_Z_EN: 0
; COMPUTE_PGM_RSRC2:TIDIG_COMP_CNT: 0
	.section	.text._ZN7rocprim17ROCPRIM_400000_NS6detail17trampoline_kernelINS0_14default_configENS1_25transform_config_selectorImLb1EEEZNS1_14transform_implILb1ES3_S5_PmPlNS0_8identityIvEEEE10hipError_tT2_T3_mT4_P12ihipStream_tbEUlT_E_NS1_11comp_targetILNS1_3genE3ELNS1_11target_archE908ELNS1_3gpuE7ELNS1_3repE0EEENS1_30default_config_static_selectorELNS0_4arch9wavefront6targetE0EEEvT1_,"axG",@progbits,_ZN7rocprim17ROCPRIM_400000_NS6detail17trampoline_kernelINS0_14default_configENS1_25transform_config_selectorImLb1EEEZNS1_14transform_implILb1ES3_S5_PmPlNS0_8identityIvEEEE10hipError_tT2_T3_mT4_P12ihipStream_tbEUlT_E_NS1_11comp_targetILNS1_3genE3ELNS1_11target_archE908ELNS1_3gpuE7ELNS1_3repE0EEENS1_30default_config_static_selectorELNS0_4arch9wavefront6targetE0EEEvT1_,comdat
	.protected	_ZN7rocprim17ROCPRIM_400000_NS6detail17trampoline_kernelINS0_14default_configENS1_25transform_config_selectorImLb1EEEZNS1_14transform_implILb1ES3_S5_PmPlNS0_8identityIvEEEE10hipError_tT2_T3_mT4_P12ihipStream_tbEUlT_E_NS1_11comp_targetILNS1_3genE3ELNS1_11target_archE908ELNS1_3gpuE7ELNS1_3repE0EEENS1_30default_config_static_selectorELNS0_4arch9wavefront6targetE0EEEvT1_ ; -- Begin function _ZN7rocprim17ROCPRIM_400000_NS6detail17trampoline_kernelINS0_14default_configENS1_25transform_config_selectorImLb1EEEZNS1_14transform_implILb1ES3_S5_PmPlNS0_8identityIvEEEE10hipError_tT2_T3_mT4_P12ihipStream_tbEUlT_E_NS1_11comp_targetILNS1_3genE3ELNS1_11target_archE908ELNS1_3gpuE7ELNS1_3repE0EEENS1_30default_config_static_selectorELNS0_4arch9wavefront6targetE0EEEvT1_
	.globl	_ZN7rocprim17ROCPRIM_400000_NS6detail17trampoline_kernelINS0_14default_configENS1_25transform_config_selectorImLb1EEEZNS1_14transform_implILb1ES3_S5_PmPlNS0_8identityIvEEEE10hipError_tT2_T3_mT4_P12ihipStream_tbEUlT_E_NS1_11comp_targetILNS1_3genE3ELNS1_11target_archE908ELNS1_3gpuE7ELNS1_3repE0EEENS1_30default_config_static_selectorELNS0_4arch9wavefront6targetE0EEEvT1_
	.p2align	8
	.type	_ZN7rocprim17ROCPRIM_400000_NS6detail17trampoline_kernelINS0_14default_configENS1_25transform_config_selectorImLb1EEEZNS1_14transform_implILb1ES3_S5_PmPlNS0_8identityIvEEEE10hipError_tT2_T3_mT4_P12ihipStream_tbEUlT_E_NS1_11comp_targetILNS1_3genE3ELNS1_11target_archE908ELNS1_3gpuE7ELNS1_3repE0EEENS1_30default_config_static_selectorELNS0_4arch9wavefront6targetE0EEEvT1_,@function
_ZN7rocprim17ROCPRIM_400000_NS6detail17trampoline_kernelINS0_14default_configENS1_25transform_config_selectorImLb1EEEZNS1_14transform_implILb1ES3_S5_PmPlNS0_8identityIvEEEE10hipError_tT2_T3_mT4_P12ihipStream_tbEUlT_E_NS1_11comp_targetILNS1_3genE3ELNS1_11target_archE908ELNS1_3gpuE7ELNS1_3repE0EEENS1_30default_config_static_selectorELNS0_4arch9wavefront6targetE0EEEvT1_: ; @_ZN7rocprim17ROCPRIM_400000_NS6detail17trampoline_kernelINS0_14default_configENS1_25transform_config_selectorImLb1EEEZNS1_14transform_implILb1ES3_S5_PmPlNS0_8identityIvEEEE10hipError_tT2_T3_mT4_P12ihipStream_tbEUlT_E_NS1_11comp_targetILNS1_3genE3ELNS1_11target_archE908ELNS1_3gpuE7ELNS1_3repE0EEENS1_30default_config_static_selectorELNS0_4arch9wavefront6targetE0EEEvT1_
; %bb.0:
	.section	.rodata,"a",@progbits
	.p2align	6, 0x0
	.amdhsa_kernel _ZN7rocprim17ROCPRIM_400000_NS6detail17trampoline_kernelINS0_14default_configENS1_25transform_config_selectorImLb1EEEZNS1_14transform_implILb1ES3_S5_PmPlNS0_8identityIvEEEE10hipError_tT2_T3_mT4_P12ihipStream_tbEUlT_E_NS1_11comp_targetILNS1_3genE3ELNS1_11target_archE908ELNS1_3gpuE7ELNS1_3repE0EEENS1_30default_config_static_selectorELNS0_4arch9wavefront6targetE0EEEvT1_
		.amdhsa_group_segment_fixed_size 0
		.amdhsa_private_segment_fixed_size 0
		.amdhsa_kernarg_size 40
		.amdhsa_user_sgpr_count 2
		.amdhsa_user_sgpr_dispatch_ptr 0
		.amdhsa_user_sgpr_queue_ptr 0
		.amdhsa_user_sgpr_kernarg_segment_ptr 1
		.amdhsa_user_sgpr_dispatch_id 0
		.amdhsa_user_sgpr_kernarg_preload_length 0
		.amdhsa_user_sgpr_kernarg_preload_offset 0
		.amdhsa_user_sgpr_private_segment_size 0
		.amdhsa_wavefront_size32 1
		.amdhsa_uses_dynamic_stack 0
		.amdhsa_enable_private_segment 0
		.amdhsa_system_sgpr_workgroup_id_x 1
		.amdhsa_system_sgpr_workgroup_id_y 0
		.amdhsa_system_sgpr_workgroup_id_z 0
		.amdhsa_system_sgpr_workgroup_info 0
		.amdhsa_system_vgpr_workitem_id 0
		.amdhsa_next_free_vgpr 1
		.amdhsa_next_free_sgpr 1
		.amdhsa_named_barrier_count 0
		.amdhsa_reserve_vcc 0
		.amdhsa_float_round_mode_32 0
		.amdhsa_float_round_mode_16_64 0
		.amdhsa_float_denorm_mode_32 3
		.amdhsa_float_denorm_mode_16_64 3
		.amdhsa_fp16_overflow 0
		.amdhsa_memory_ordered 1
		.amdhsa_forward_progress 1
		.amdhsa_inst_pref_size 0
		.amdhsa_round_robin_scheduling 0
		.amdhsa_exception_fp_ieee_invalid_op 0
		.amdhsa_exception_fp_denorm_src 0
		.amdhsa_exception_fp_ieee_div_zero 0
		.amdhsa_exception_fp_ieee_overflow 0
		.amdhsa_exception_fp_ieee_underflow 0
		.amdhsa_exception_fp_ieee_inexact 0
		.amdhsa_exception_int_div_zero 0
	.end_amdhsa_kernel
	.section	.text._ZN7rocprim17ROCPRIM_400000_NS6detail17trampoline_kernelINS0_14default_configENS1_25transform_config_selectorImLb1EEEZNS1_14transform_implILb1ES3_S5_PmPlNS0_8identityIvEEEE10hipError_tT2_T3_mT4_P12ihipStream_tbEUlT_E_NS1_11comp_targetILNS1_3genE3ELNS1_11target_archE908ELNS1_3gpuE7ELNS1_3repE0EEENS1_30default_config_static_selectorELNS0_4arch9wavefront6targetE0EEEvT1_,"axG",@progbits,_ZN7rocprim17ROCPRIM_400000_NS6detail17trampoline_kernelINS0_14default_configENS1_25transform_config_selectorImLb1EEEZNS1_14transform_implILb1ES3_S5_PmPlNS0_8identityIvEEEE10hipError_tT2_T3_mT4_P12ihipStream_tbEUlT_E_NS1_11comp_targetILNS1_3genE3ELNS1_11target_archE908ELNS1_3gpuE7ELNS1_3repE0EEENS1_30default_config_static_selectorELNS0_4arch9wavefront6targetE0EEEvT1_,comdat
.Lfunc_end17:
	.size	_ZN7rocprim17ROCPRIM_400000_NS6detail17trampoline_kernelINS0_14default_configENS1_25transform_config_selectorImLb1EEEZNS1_14transform_implILb1ES3_S5_PmPlNS0_8identityIvEEEE10hipError_tT2_T3_mT4_P12ihipStream_tbEUlT_E_NS1_11comp_targetILNS1_3genE3ELNS1_11target_archE908ELNS1_3gpuE7ELNS1_3repE0EEENS1_30default_config_static_selectorELNS0_4arch9wavefront6targetE0EEEvT1_, .Lfunc_end17-_ZN7rocprim17ROCPRIM_400000_NS6detail17trampoline_kernelINS0_14default_configENS1_25transform_config_selectorImLb1EEEZNS1_14transform_implILb1ES3_S5_PmPlNS0_8identityIvEEEE10hipError_tT2_T3_mT4_P12ihipStream_tbEUlT_E_NS1_11comp_targetILNS1_3genE3ELNS1_11target_archE908ELNS1_3gpuE7ELNS1_3repE0EEENS1_30default_config_static_selectorELNS0_4arch9wavefront6targetE0EEEvT1_
                                        ; -- End function
	.set _ZN7rocprim17ROCPRIM_400000_NS6detail17trampoline_kernelINS0_14default_configENS1_25transform_config_selectorImLb1EEEZNS1_14transform_implILb1ES3_S5_PmPlNS0_8identityIvEEEE10hipError_tT2_T3_mT4_P12ihipStream_tbEUlT_E_NS1_11comp_targetILNS1_3genE3ELNS1_11target_archE908ELNS1_3gpuE7ELNS1_3repE0EEENS1_30default_config_static_selectorELNS0_4arch9wavefront6targetE0EEEvT1_.num_vgpr, 0
	.set _ZN7rocprim17ROCPRIM_400000_NS6detail17trampoline_kernelINS0_14default_configENS1_25transform_config_selectorImLb1EEEZNS1_14transform_implILb1ES3_S5_PmPlNS0_8identityIvEEEE10hipError_tT2_T3_mT4_P12ihipStream_tbEUlT_E_NS1_11comp_targetILNS1_3genE3ELNS1_11target_archE908ELNS1_3gpuE7ELNS1_3repE0EEENS1_30default_config_static_selectorELNS0_4arch9wavefront6targetE0EEEvT1_.num_agpr, 0
	.set _ZN7rocprim17ROCPRIM_400000_NS6detail17trampoline_kernelINS0_14default_configENS1_25transform_config_selectorImLb1EEEZNS1_14transform_implILb1ES3_S5_PmPlNS0_8identityIvEEEE10hipError_tT2_T3_mT4_P12ihipStream_tbEUlT_E_NS1_11comp_targetILNS1_3genE3ELNS1_11target_archE908ELNS1_3gpuE7ELNS1_3repE0EEENS1_30default_config_static_selectorELNS0_4arch9wavefront6targetE0EEEvT1_.numbered_sgpr, 0
	.set _ZN7rocprim17ROCPRIM_400000_NS6detail17trampoline_kernelINS0_14default_configENS1_25transform_config_selectorImLb1EEEZNS1_14transform_implILb1ES3_S5_PmPlNS0_8identityIvEEEE10hipError_tT2_T3_mT4_P12ihipStream_tbEUlT_E_NS1_11comp_targetILNS1_3genE3ELNS1_11target_archE908ELNS1_3gpuE7ELNS1_3repE0EEENS1_30default_config_static_selectorELNS0_4arch9wavefront6targetE0EEEvT1_.num_named_barrier, 0
	.set _ZN7rocprim17ROCPRIM_400000_NS6detail17trampoline_kernelINS0_14default_configENS1_25transform_config_selectorImLb1EEEZNS1_14transform_implILb1ES3_S5_PmPlNS0_8identityIvEEEE10hipError_tT2_T3_mT4_P12ihipStream_tbEUlT_E_NS1_11comp_targetILNS1_3genE3ELNS1_11target_archE908ELNS1_3gpuE7ELNS1_3repE0EEENS1_30default_config_static_selectorELNS0_4arch9wavefront6targetE0EEEvT1_.private_seg_size, 0
	.set _ZN7rocprim17ROCPRIM_400000_NS6detail17trampoline_kernelINS0_14default_configENS1_25transform_config_selectorImLb1EEEZNS1_14transform_implILb1ES3_S5_PmPlNS0_8identityIvEEEE10hipError_tT2_T3_mT4_P12ihipStream_tbEUlT_E_NS1_11comp_targetILNS1_3genE3ELNS1_11target_archE908ELNS1_3gpuE7ELNS1_3repE0EEENS1_30default_config_static_selectorELNS0_4arch9wavefront6targetE0EEEvT1_.uses_vcc, 0
	.set _ZN7rocprim17ROCPRIM_400000_NS6detail17trampoline_kernelINS0_14default_configENS1_25transform_config_selectorImLb1EEEZNS1_14transform_implILb1ES3_S5_PmPlNS0_8identityIvEEEE10hipError_tT2_T3_mT4_P12ihipStream_tbEUlT_E_NS1_11comp_targetILNS1_3genE3ELNS1_11target_archE908ELNS1_3gpuE7ELNS1_3repE0EEENS1_30default_config_static_selectorELNS0_4arch9wavefront6targetE0EEEvT1_.uses_flat_scratch, 0
	.set _ZN7rocprim17ROCPRIM_400000_NS6detail17trampoline_kernelINS0_14default_configENS1_25transform_config_selectorImLb1EEEZNS1_14transform_implILb1ES3_S5_PmPlNS0_8identityIvEEEE10hipError_tT2_T3_mT4_P12ihipStream_tbEUlT_E_NS1_11comp_targetILNS1_3genE3ELNS1_11target_archE908ELNS1_3gpuE7ELNS1_3repE0EEENS1_30default_config_static_selectorELNS0_4arch9wavefront6targetE0EEEvT1_.has_dyn_sized_stack, 0
	.set _ZN7rocprim17ROCPRIM_400000_NS6detail17trampoline_kernelINS0_14default_configENS1_25transform_config_selectorImLb1EEEZNS1_14transform_implILb1ES3_S5_PmPlNS0_8identityIvEEEE10hipError_tT2_T3_mT4_P12ihipStream_tbEUlT_E_NS1_11comp_targetILNS1_3genE3ELNS1_11target_archE908ELNS1_3gpuE7ELNS1_3repE0EEENS1_30default_config_static_selectorELNS0_4arch9wavefront6targetE0EEEvT1_.has_recursion, 0
	.set _ZN7rocprim17ROCPRIM_400000_NS6detail17trampoline_kernelINS0_14default_configENS1_25transform_config_selectorImLb1EEEZNS1_14transform_implILb1ES3_S5_PmPlNS0_8identityIvEEEE10hipError_tT2_T3_mT4_P12ihipStream_tbEUlT_E_NS1_11comp_targetILNS1_3genE3ELNS1_11target_archE908ELNS1_3gpuE7ELNS1_3repE0EEENS1_30default_config_static_selectorELNS0_4arch9wavefront6targetE0EEEvT1_.has_indirect_call, 0
	.section	.AMDGPU.csdata,"",@progbits
; Kernel info:
; codeLenInByte = 0
; TotalNumSgprs: 0
; NumVgprs: 0
; ScratchSize: 0
; MemoryBound: 0
; FloatMode: 240
; IeeeMode: 1
; LDSByteSize: 0 bytes/workgroup (compile time only)
; SGPRBlocks: 0
; VGPRBlocks: 0
; NumSGPRsForWavesPerEU: 1
; NumVGPRsForWavesPerEU: 1
; NamedBarCnt: 0
; Occupancy: 16
; WaveLimiterHint : 0
; COMPUTE_PGM_RSRC2:SCRATCH_EN: 0
; COMPUTE_PGM_RSRC2:USER_SGPR: 2
; COMPUTE_PGM_RSRC2:TRAP_HANDLER: 0
; COMPUTE_PGM_RSRC2:TGID_X_EN: 1
; COMPUTE_PGM_RSRC2:TGID_Y_EN: 0
; COMPUTE_PGM_RSRC2:TGID_Z_EN: 0
; COMPUTE_PGM_RSRC2:TIDIG_COMP_CNT: 0
	.section	.text._ZN7rocprim17ROCPRIM_400000_NS6detail17trampoline_kernelINS0_14default_configENS1_25transform_config_selectorImLb1EEEZNS1_14transform_implILb1ES3_S5_PmPlNS0_8identityIvEEEE10hipError_tT2_T3_mT4_P12ihipStream_tbEUlT_E_NS1_11comp_targetILNS1_3genE2ELNS1_11target_archE906ELNS1_3gpuE6ELNS1_3repE0EEENS1_30default_config_static_selectorELNS0_4arch9wavefront6targetE0EEEvT1_,"axG",@progbits,_ZN7rocprim17ROCPRIM_400000_NS6detail17trampoline_kernelINS0_14default_configENS1_25transform_config_selectorImLb1EEEZNS1_14transform_implILb1ES3_S5_PmPlNS0_8identityIvEEEE10hipError_tT2_T3_mT4_P12ihipStream_tbEUlT_E_NS1_11comp_targetILNS1_3genE2ELNS1_11target_archE906ELNS1_3gpuE6ELNS1_3repE0EEENS1_30default_config_static_selectorELNS0_4arch9wavefront6targetE0EEEvT1_,comdat
	.protected	_ZN7rocprim17ROCPRIM_400000_NS6detail17trampoline_kernelINS0_14default_configENS1_25transform_config_selectorImLb1EEEZNS1_14transform_implILb1ES3_S5_PmPlNS0_8identityIvEEEE10hipError_tT2_T3_mT4_P12ihipStream_tbEUlT_E_NS1_11comp_targetILNS1_3genE2ELNS1_11target_archE906ELNS1_3gpuE6ELNS1_3repE0EEENS1_30default_config_static_selectorELNS0_4arch9wavefront6targetE0EEEvT1_ ; -- Begin function _ZN7rocprim17ROCPRIM_400000_NS6detail17trampoline_kernelINS0_14default_configENS1_25transform_config_selectorImLb1EEEZNS1_14transform_implILb1ES3_S5_PmPlNS0_8identityIvEEEE10hipError_tT2_T3_mT4_P12ihipStream_tbEUlT_E_NS1_11comp_targetILNS1_3genE2ELNS1_11target_archE906ELNS1_3gpuE6ELNS1_3repE0EEENS1_30default_config_static_selectorELNS0_4arch9wavefront6targetE0EEEvT1_
	.globl	_ZN7rocprim17ROCPRIM_400000_NS6detail17trampoline_kernelINS0_14default_configENS1_25transform_config_selectorImLb1EEEZNS1_14transform_implILb1ES3_S5_PmPlNS0_8identityIvEEEE10hipError_tT2_T3_mT4_P12ihipStream_tbEUlT_E_NS1_11comp_targetILNS1_3genE2ELNS1_11target_archE906ELNS1_3gpuE6ELNS1_3repE0EEENS1_30default_config_static_selectorELNS0_4arch9wavefront6targetE0EEEvT1_
	.p2align	8
	.type	_ZN7rocprim17ROCPRIM_400000_NS6detail17trampoline_kernelINS0_14default_configENS1_25transform_config_selectorImLb1EEEZNS1_14transform_implILb1ES3_S5_PmPlNS0_8identityIvEEEE10hipError_tT2_T3_mT4_P12ihipStream_tbEUlT_E_NS1_11comp_targetILNS1_3genE2ELNS1_11target_archE906ELNS1_3gpuE6ELNS1_3repE0EEENS1_30default_config_static_selectorELNS0_4arch9wavefront6targetE0EEEvT1_,@function
_ZN7rocprim17ROCPRIM_400000_NS6detail17trampoline_kernelINS0_14default_configENS1_25transform_config_selectorImLb1EEEZNS1_14transform_implILb1ES3_S5_PmPlNS0_8identityIvEEEE10hipError_tT2_T3_mT4_P12ihipStream_tbEUlT_E_NS1_11comp_targetILNS1_3genE2ELNS1_11target_archE906ELNS1_3gpuE6ELNS1_3repE0EEENS1_30default_config_static_selectorELNS0_4arch9wavefront6targetE0EEEvT1_: ; @_ZN7rocprim17ROCPRIM_400000_NS6detail17trampoline_kernelINS0_14default_configENS1_25transform_config_selectorImLb1EEEZNS1_14transform_implILb1ES3_S5_PmPlNS0_8identityIvEEEE10hipError_tT2_T3_mT4_P12ihipStream_tbEUlT_E_NS1_11comp_targetILNS1_3genE2ELNS1_11target_archE906ELNS1_3gpuE6ELNS1_3repE0EEENS1_30default_config_static_selectorELNS0_4arch9wavefront6targetE0EEEvT1_
; %bb.0:
	.section	.rodata,"a",@progbits
	.p2align	6, 0x0
	.amdhsa_kernel _ZN7rocprim17ROCPRIM_400000_NS6detail17trampoline_kernelINS0_14default_configENS1_25transform_config_selectorImLb1EEEZNS1_14transform_implILb1ES3_S5_PmPlNS0_8identityIvEEEE10hipError_tT2_T3_mT4_P12ihipStream_tbEUlT_E_NS1_11comp_targetILNS1_3genE2ELNS1_11target_archE906ELNS1_3gpuE6ELNS1_3repE0EEENS1_30default_config_static_selectorELNS0_4arch9wavefront6targetE0EEEvT1_
		.amdhsa_group_segment_fixed_size 0
		.amdhsa_private_segment_fixed_size 0
		.amdhsa_kernarg_size 40
		.amdhsa_user_sgpr_count 2
		.amdhsa_user_sgpr_dispatch_ptr 0
		.amdhsa_user_sgpr_queue_ptr 0
		.amdhsa_user_sgpr_kernarg_segment_ptr 1
		.amdhsa_user_sgpr_dispatch_id 0
		.amdhsa_user_sgpr_kernarg_preload_length 0
		.amdhsa_user_sgpr_kernarg_preload_offset 0
		.amdhsa_user_sgpr_private_segment_size 0
		.amdhsa_wavefront_size32 1
		.amdhsa_uses_dynamic_stack 0
		.amdhsa_enable_private_segment 0
		.amdhsa_system_sgpr_workgroup_id_x 1
		.amdhsa_system_sgpr_workgroup_id_y 0
		.amdhsa_system_sgpr_workgroup_id_z 0
		.amdhsa_system_sgpr_workgroup_info 0
		.amdhsa_system_vgpr_workitem_id 0
		.amdhsa_next_free_vgpr 1
		.amdhsa_next_free_sgpr 1
		.amdhsa_named_barrier_count 0
		.amdhsa_reserve_vcc 0
		.amdhsa_float_round_mode_32 0
		.amdhsa_float_round_mode_16_64 0
		.amdhsa_float_denorm_mode_32 3
		.amdhsa_float_denorm_mode_16_64 3
		.amdhsa_fp16_overflow 0
		.amdhsa_memory_ordered 1
		.amdhsa_forward_progress 1
		.amdhsa_inst_pref_size 0
		.amdhsa_round_robin_scheduling 0
		.amdhsa_exception_fp_ieee_invalid_op 0
		.amdhsa_exception_fp_denorm_src 0
		.amdhsa_exception_fp_ieee_div_zero 0
		.amdhsa_exception_fp_ieee_overflow 0
		.amdhsa_exception_fp_ieee_underflow 0
		.amdhsa_exception_fp_ieee_inexact 0
		.amdhsa_exception_int_div_zero 0
	.end_amdhsa_kernel
	.section	.text._ZN7rocprim17ROCPRIM_400000_NS6detail17trampoline_kernelINS0_14default_configENS1_25transform_config_selectorImLb1EEEZNS1_14transform_implILb1ES3_S5_PmPlNS0_8identityIvEEEE10hipError_tT2_T3_mT4_P12ihipStream_tbEUlT_E_NS1_11comp_targetILNS1_3genE2ELNS1_11target_archE906ELNS1_3gpuE6ELNS1_3repE0EEENS1_30default_config_static_selectorELNS0_4arch9wavefront6targetE0EEEvT1_,"axG",@progbits,_ZN7rocprim17ROCPRIM_400000_NS6detail17trampoline_kernelINS0_14default_configENS1_25transform_config_selectorImLb1EEEZNS1_14transform_implILb1ES3_S5_PmPlNS0_8identityIvEEEE10hipError_tT2_T3_mT4_P12ihipStream_tbEUlT_E_NS1_11comp_targetILNS1_3genE2ELNS1_11target_archE906ELNS1_3gpuE6ELNS1_3repE0EEENS1_30default_config_static_selectorELNS0_4arch9wavefront6targetE0EEEvT1_,comdat
.Lfunc_end18:
	.size	_ZN7rocprim17ROCPRIM_400000_NS6detail17trampoline_kernelINS0_14default_configENS1_25transform_config_selectorImLb1EEEZNS1_14transform_implILb1ES3_S5_PmPlNS0_8identityIvEEEE10hipError_tT2_T3_mT4_P12ihipStream_tbEUlT_E_NS1_11comp_targetILNS1_3genE2ELNS1_11target_archE906ELNS1_3gpuE6ELNS1_3repE0EEENS1_30default_config_static_selectorELNS0_4arch9wavefront6targetE0EEEvT1_, .Lfunc_end18-_ZN7rocprim17ROCPRIM_400000_NS6detail17trampoline_kernelINS0_14default_configENS1_25transform_config_selectorImLb1EEEZNS1_14transform_implILb1ES3_S5_PmPlNS0_8identityIvEEEE10hipError_tT2_T3_mT4_P12ihipStream_tbEUlT_E_NS1_11comp_targetILNS1_3genE2ELNS1_11target_archE906ELNS1_3gpuE6ELNS1_3repE0EEENS1_30default_config_static_selectorELNS0_4arch9wavefront6targetE0EEEvT1_
                                        ; -- End function
	.set _ZN7rocprim17ROCPRIM_400000_NS6detail17trampoline_kernelINS0_14default_configENS1_25transform_config_selectorImLb1EEEZNS1_14transform_implILb1ES3_S5_PmPlNS0_8identityIvEEEE10hipError_tT2_T3_mT4_P12ihipStream_tbEUlT_E_NS1_11comp_targetILNS1_3genE2ELNS1_11target_archE906ELNS1_3gpuE6ELNS1_3repE0EEENS1_30default_config_static_selectorELNS0_4arch9wavefront6targetE0EEEvT1_.num_vgpr, 0
	.set _ZN7rocprim17ROCPRIM_400000_NS6detail17trampoline_kernelINS0_14default_configENS1_25transform_config_selectorImLb1EEEZNS1_14transform_implILb1ES3_S5_PmPlNS0_8identityIvEEEE10hipError_tT2_T3_mT4_P12ihipStream_tbEUlT_E_NS1_11comp_targetILNS1_3genE2ELNS1_11target_archE906ELNS1_3gpuE6ELNS1_3repE0EEENS1_30default_config_static_selectorELNS0_4arch9wavefront6targetE0EEEvT1_.num_agpr, 0
	.set _ZN7rocprim17ROCPRIM_400000_NS6detail17trampoline_kernelINS0_14default_configENS1_25transform_config_selectorImLb1EEEZNS1_14transform_implILb1ES3_S5_PmPlNS0_8identityIvEEEE10hipError_tT2_T3_mT4_P12ihipStream_tbEUlT_E_NS1_11comp_targetILNS1_3genE2ELNS1_11target_archE906ELNS1_3gpuE6ELNS1_3repE0EEENS1_30default_config_static_selectorELNS0_4arch9wavefront6targetE0EEEvT1_.numbered_sgpr, 0
	.set _ZN7rocprim17ROCPRIM_400000_NS6detail17trampoline_kernelINS0_14default_configENS1_25transform_config_selectorImLb1EEEZNS1_14transform_implILb1ES3_S5_PmPlNS0_8identityIvEEEE10hipError_tT2_T3_mT4_P12ihipStream_tbEUlT_E_NS1_11comp_targetILNS1_3genE2ELNS1_11target_archE906ELNS1_3gpuE6ELNS1_3repE0EEENS1_30default_config_static_selectorELNS0_4arch9wavefront6targetE0EEEvT1_.num_named_barrier, 0
	.set _ZN7rocprim17ROCPRIM_400000_NS6detail17trampoline_kernelINS0_14default_configENS1_25transform_config_selectorImLb1EEEZNS1_14transform_implILb1ES3_S5_PmPlNS0_8identityIvEEEE10hipError_tT2_T3_mT4_P12ihipStream_tbEUlT_E_NS1_11comp_targetILNS1_3genE2ELNS1_11target_archE906ELNS1_3gpuE6ELNS1_3repE0EEENS1_30default_config_static_selectorELNS0_4arch9wavefront6targetE0EEEvT1_.private_seg_size, 0
	.set _ZN7rocprim17ROCPRIM_400000_NS6detail17trampoline_kernelINS0_14default_configENS1_25transform_config_selectorImLb1EEEZNS1_14transform_implILb1ES3_S5_PmPlNS0_8identityIvEEEE10hipError_tT2_T3_mT4_P12ihipStream_tbEUlT_E_NS1_11comp_targetILNS1_3genE2ELNS1_11target_archE906ELNS1_3gpuE6ELNS1_3repE0EEENS1_30default_config_static_selectorELNS0_4arch9wavefront6targetE0EEEvT1_.uses_vcc, 0
	.set _ZN7rocprim17ROCPRIM_400000_NS6detail17trampoline_kernelINS0_14default_configENS1_25transform_config_selectorImLb1EEEZNS1_14transform_implILb1ES3_S5_PmPlNS0_8identityIvEEEE10hipError_tT2_T3_mT4_P12ihipStream_tbEUlT_E_NS1_11comp_targetILNS1_3genE2ELNS1_11target_archE906ELNS1_3gpuE6ELNS1_3repE0EEENS1_30default_config_static_selectorELNS0_4arch9wavefront6targetE0EEEvT1_.uses_flat_scratch, 0
	.set _ZN7rocprim17ROCPRIM_400000_NS6detail17trampoline_kernelINS0_14default_configENS1_25transform_config_selectorImLb1EEEZNS1_14transform_implILb1ES3_S5_PmPlNS0_8identityIvEEEE10hipError_tT2_T3_mT4_P12ihipStream_tbEUlT_E_NS1_11comp_targetILNS1_3genE2ELNS1_11target_archE906ELNS1_3gpuE6ELNS1_3repE0EEENS1_30default_config_static_selectorELNS0_4arch9wavefront6targetE0EEEvT1_.has_dyn_sized_stack, 0
	.set _ZN7rocprim17ROCPRIM_400000_NS6detail17trampoline_kernelINS0_14default_configENS1_25transform_config_selectorImLb1EEEZNS1_14transform_implILb1ES3_S5_PmPlNS0_8identityIvEEEE10hipError_tT2_T3_mT4_P12ihipStream_tbEUlT_E_NS1_11comp_targetILNS1_3genE2ELNS1_11target_archE906ELNS1_3gpuE6ELNS1_3repE0EEENS1_30default_config_static_selectorELNS0_4arch9wavefront6targetE0EEEvT1_.has_recursion, 0
	.set _ZN7rocprim17ROCPRIM_400000_NS6detail17trampoline_kernelINS0_14default_configENS1_25transform_config_selectorImLb1EEEZNS1_14transform_implILb1ES3_S5_PmPlNS0_8identityIvEEEE10hipError_tT2_T3_mT4_P12ihipStream_tbEUlT_E_NS1_11comp_targetILNS1_3genE2ELNS1_11target_archE906ELNS1_3gpuE6ELNS1_3repE0EEENS1_30default_config_static_selectorELNS0_4arch9wavefront6targetE0EEEvT1_.has_indirect_call, 0
	.section	.AMDGPU.csdata,"",@progbits
; Kernel info:
; codeLenInByte = 0
; TotalNumSgprs: 0
; NumVgprs: 0
; ScratchSize: 0
; MemoryBound: 0
; FloatMode: 240
; IeeeMode: 1
; LDSByteSize: 0 bytes/workgroup (compile time only)
; SGPRBlocks: 0
; VGPRBlocks: 0
; NumSGPRsForWavesPerEU: 1
; NumVGPRsForWavesPerEU: 1
; NamedBarCnt: 0
; Occupancy: 16
; WaveLimiterHint : 0
; COMPUTE_PGM_RSRC2:SCRATCH_EN: 0
; COMPUTE_PGM_RSRC2:USER_SGPR: 2
; COMPUTE_PGM_RSRC2:TRAP_HANDLER: 0
; COMPUTE_PGM_RSRC2:TGID_X_EN: 1
; COMPUTE_PGM_RSRC2:TGID_Y_EN: 0
; COMPUTE_PGM_RSRC2:TGID_Z_EN: 0
; COMPUTE_PGM_RSRC2:TIDIG_COMP_CNT: 0
	.section	.text._ZN7rocprim17ROCPRIM_400000_NS6detail17trampoline_kernelINS0_14default_configENS1_25transform_config_selectorImLb1EEEZNS1_14transform_implILb1ES3_S5_PmPlNS0_8identityIvEEEE10hipError_tT2_T3_mT4_P12ihipStream_tbEUlT_E_NS1_11comp_targetILNS1_3genE9ELNS1_11target_archE1100ELNS1_3gpuE3ELNS1_3repE0EEENS1_30default_config_static_selectorELNS0_4arch9wavefront6targetE0EEEvT1_,"axG",@progbits,_ZN7rocprim17ROCPRIM_400000_NS6detail17trampoline_kernelINS0_14default_configENS1_25transform_config_selectorImLb1EEEZNS1_14transform_implILb1ES3_S5_PmPlNS0_8identityIvEEEE10hipError_tT2_T3_mT4_P12ihipStream_tbEUlT_E_NS1_11comp_targetILNS1_3genE9ELNS1_11target_archE1100ELNS1_3gpuE3ELNS1_3repE0EEENS1_30default_config_static_selectorELNS0_4arch9wavefront6targetE0EEEvT1_,comdat
	.protected	_ZN7rocprim17ROCPRIM_400000_NS6detail17trampoline_kernelINS0_14default_configENS1_25transform_config_selectorImLb1EEEZNS1_14transform_implILb1ES3_S5_PmPlNS0_8identityIvEEEE10hipError_tT2_T3_mT4_P12ihipStream_tbEUlT_E_NS1_11comp_targetILNS1_3genE9ELNS1_11target_archE1100ELNS1_3gpuE3ELNS1_3repE0EEENS1_30default_config_static_selectorELNS0_4arch9wavefront6targetE0EEEvT1_ ; -- Begin function _ZN7rocprim17ROCPRIM_400000_NS6detail17trampoline_kernelINS0_14default_configENS1_25transform_config_selectorImLb1EEEZNS1_14transform_implILb1ES3_S5_PmPlNS0_8identityIvEEEE10hipError_tT2_T3_mT4_P12ihipStream_tbEUlT_E_NS1_11comp_targetILNS1_3genE9ELNS1_11target_archE1100ELNS1_3gpuE3ELNS1_3repE0EEENS1_30default_config_static_selectorELNS0_4arch9wavefront6targetE0EEEvT1_
	.globl	_ZN7rocprim17ROCPRIM_400000_NS6detail17trampoline_kernelINS0_14default_configENS1_25transform_config_selectorImLb1EEEZNS1_14transform_implILb1ES3_S5_PmPlNS0_8identityIvEEEE10hipError_tT2_T3_mT4_P12ihipStream_tbEUlT_E_NS1_11comp_targetILNS1_3genE9ELNS1_11target_archE1100ELNS1_3gpuE3ELNS1_3repE0EEENS1_30default_config_static_selectorELNS0_4arch9wavefront6targetE0EEEvT1_
	.p2align	8
	.type	_ZN7rocprim17ROCPRIM_400000_NS6detail17trampoline_kernelINS0_14default_configENS1_25transform_config_selectorImLb1EEEZNS1_14transform_implILb1ES3_S5_PmPlNS0_8identityIvEEEE10hipError_tT2_T3_mT4_P12ihipStream_tbEUlT_E_NS1_11comp_targetILNS1_3genE9ELNS1_11target_archE1100ELNS1_3gpuE3ELNS1_3repE0EEENS1_30default_config_static_selectorELNS0_4arch9wavefront6targetE0EEEvT1_,@function
_ZN7rocprim17ROCPRIM_400000_NS6detail17trampoline_kernelINS0_14default_configENS1_25transform_config_selectorImLb1EEEZNS1_14transform_implILb1ES3_S5_PmPlNS0_8identityIvEEEE10hipError_tT2_T3_mT4_P12ihipStream_tbEUlT_E_NS1_11comp_targetILNS1_3genE9ELNS1_11target_archE1100ELNS1_3gpuE3ELNS1_3repE0EEENS1_30default_config_static_selectorELNS0_4arch9wavefront6targetE0EEEvT1_: ; @_ZN7rocprim17ROCPRIM_400000_NS6detail17trampoline_kernelINS0_14default_configENS1_25transform_config_selectorImLb1EEEZNS1_14transform_implILb1ES3_S5_PmPlNS0_8identityIvEEEE10hipError_tT2_T3_mT4_P12ihipStream_tbEUlT_E_NS1_11comp_targetILNS1_3genE9ELNS1_11target_archE1100ELNS1_3gpuE3ELNS1_3repE0EEENS1_30default_config_static_selectorELNS0_4arch9wavefront6targetE0EEEvT1_
; %bb.0:
	.section	.rodata,"a",@progbits
	.p2align	6, 0x0
	.amdhsa_kernel _ZN7rocprim17ROCPRIM_400000_NS6detail17trampoline_kernelINS0_14default_configENS1_25transform_config_selectorImLb1EEEZNS1_14transform_implILb1ES3_S5_PmPlNS0_8identityIvEEEE10hipError_tT2_T3_mT4_P12ihipStream_tbEUlT_E_NS1_11comp_targetILNS1_3genE9ELNS1_11target_archE1100ELNS1_3gpuE3ELNS1_3repE0EEENS1_30default_config_static_selectorELNS0_4arch9wavefront6targetE0EEEvT1_
		.amdhsa_group_segment_fixed_size 0
		.amdhsa_private_segment_fixed_size 0
		.amdhsa_kernarg_size 40
		.amdhsa_user_sgpr_count 2
		.amdhsa_user_sgpr_dispatch_ptr 0
		.amdhsa_user_sgpr_queue_ptr 0
		.amdhsa_user_sgpr_kernarg_segment_ptr 1
		.amdhsa_user_sgpr_dispatch_id 0
		.amdhsa_user_sgpr_kernarg_preload_length 0
		.amdhsa_user_sgpr_kernarg_preload_offset 0
		.amdhsa_user_sgpr_private_segment_size 0
		.amdhsa_wavefront_size32 1
		.amdhsa_uses_dynamic_stack 0
		.amdhsa_enable_private_segment 0
		.amdhsa_system_sgpr_workgroup_id_x 1
		.amdhsa_system_sgpr_workgroup_id_y 0
		.amdhsa_system_sgpr_workgroup_id_z 0
		.amdhsa_system_sgpr_workgroup_info 0
		.amdhsa_system_vgpr_workitem_id 0
		.amdhsa_next_free_vgpr 1
		.amdhsa_next_free_sgpr 1
		.amdhsa_named_barrier_count 0
		.amdhsa_reserve_vcc 0
		.amdhsa_float_round_mode_32 0
		.amdhsa_float_round_mode_16_64 0
		.amdhsa_float_denorm_mode_32 3
		.amdhsa_float_denorm_mode_16_64 3
		.amdhsa_fp16_overflow 0
		.amdhsa_memory_ordered 1
		.amdhsa_forward_progress 1
		.amdhsa_inst_pref_size 0
		.amdhsa_round_robin_scheduling 0
		.amdhsa_exception_fp_ieee_invalid_op 0
		.amdhsa_exception_fp_denorm_src 0
		.amdhsa_exception_fp_ieee_div_zero 0
		.amdhsa_exception_fp_ieee_overflow 0
		.amdhsa_exception_fp_ieee_underflow 0
		.amdhsa_exception_fp_ieee_inexact 0
		.amdhsa_exception_int_div_zero 0
	.end_amdhsa_kernel
	.section	.text._ZN7rocprim17ROCPRIM_400000_NS6detail17trampoline_kernelINS0_14default_configENS1_25transform_config_selectorImLb1EEEZNS1_14transform_implILb1ES3_S5_PmPlNS0_8identityIvEEEE10hipError_tT2_T3_mT4_P12ihipStream_tbEUlT_E_NS1_11comp_targetILNS1_3genE9ELNS1_11target_archE1100ELNS1_3gpuE3ELNS1_3repE0EEENS1_30default_config_static_selectorELNS0_4arch9wavefront6targetE0EEEvT1_,"axG",@progbits,_ZN7rocprim17ROCPRIM_400000_NS6detail17trampoline_kernelINS0_14default_configENS1_25transform_config_selectorImLb1EEEZNS1_14transform_implILb1ES3_S5_PmPlNS0_8identityIvEEEE10hipError_tT2_T3_mT4_P12ihipStream_tbEUlT_E_NS1_11comp_targetILNS1_3genE9ELNS1_11target_archE1100ELNS1_3gpuE3ELNS1_3repE0EEENS1_30default_config_static_selectorELNS0_4arch9wavefront6targetE0EEEvT1_,comdat
.Lfunc_end19:
	.size	_ZN7rocprim17ROCPRIM_400000_NS6detail17trampoline_kernelINS0_14default_configENS1_25transform_config_selectorImLb1EEEZNS1_14transform_implILb1ES3_S5_PmPlNS0_8identityIvEEEE10hipError_tT2_T3_mT4_P12ihipStream_tbEUlT_E_NS1_11comp_targetILNS1_3genE9ELNS1_11target_archE1100ELNS1_3gpuE3ELNS1_3repE0EEENS1_30default_config_static_selectorELNS0_4arch9wavefront6targetE0EEEvT1_, .Lfunc_end19-_ZN7rocprim17ROCPRIM_400000_NS6detail17trampoline_kernelINS0_14default_configENS1_25transform_config_selectorImLb1EEEZNS1_14transform_implILb1ES3_S5_PmPlNS0_8identityIvEEEE10hipError_tT2_T3_mT4_P12ihipStream_tbEUlT_E_NS1_11comp_targetILNS1_3genE9ELNS1_11target_archE1100ELNS1_3gpuE3ELNS1_3repE0EEENS1_30default_config_static_selectorELNS0_4arch9wavefront6targetE0EEEvT1_
                                        ; -- End function
	.set _ZN7rocprim17ROCPRIM_400000_NS6detail17trampoline_kernelINS0_14default_configENS1_25transform_config_selectorImLb1EEEZNS1_14transform_implILb1ES3_S5_PmPlNS0_8identityIvEEEE10hipError_tT2_T3_mT4_P12ihipStream_tbEUlT_E_NS1_11comp_targetILNS1_3genE9ELNS1_11target_archE1100ELNS1_3gpuE3ELNS1_3repE0EEENS1_30default_config_static_selectorELNS0_4arch9wavefront6targetE0EEEvT1_.num_vgpr, 0
	.set _ZN7rocprim17ROCPRIM_400000_NS6detail17trampoline_kernelINS0_14default_configENS1_25transform_config_selectorImLb1EEEZNS1_14transform_implILb1ES3_S5_PmPlNS0_8identityIvEEEE10hipError_tT2_T3_mT4_P12ihipStream_tbEUlT_E_NS1_11comp_targetILNS1_3genE9ELNS1_11target_archE1100ELNS1_3gpuE3ELNS1_3repE0EEENS1_30default_config_static_selectorELNS0_4arch9wavefront6targetE0EEEvT1_.num_agpr, 0
	.set _ZN7rocprim17ROCPRIM_400000_NS6detail17trampoline_kernelINS0_14default_configENS1_25transform_config_selectorImLb1EEEZNS1_14transform_implILb1ES3_S5_PmPlNS0_8identityIvEEEE10hipError_tT2_T3_mT4_P12ihipStream_tbEUlT_E_NS1_11comp_targetILNS1_3genE9ELNS1_11target_archE1100ELNS1_3gpuE3ELNS1_3repE0EEENS1_30default_config_static_selectorELNS0_4arch9wavefront6targetE0EEEvT1_.numbered_sgpr, 0
	.set _ZN7rocprim17ROCPRIM_400000_NS6detail17trampoline_kernelINS0_14default_configENS1_25transform_config_selectorImLb1EEEZNS1_14transform_implILb1ES3_S5_PmPlNS0_8identityIvEEEE10hipError_tT2_T3_mT4_P12ihipStream_tbEUlT_E_NS1_11comp_targetILNS1_3genE9ELNS1_11target_archE1100ELNS1_3gpuE3ELNS1_3repE0EEENS1_30default_config_static_selectorELNS0_4arch9wavefront6targetE0EEEvT1_.num_named_barrier, 0
	.set _ZN7rocprim17ROCPRIM_400000_NS6detail17trampoline_kernelINS0_14default_configENS1_25transform_config_selectorImLb1EEEZNS1_14transform_implILb1ES3_S5_PmPlNS0_8identityIvEEEE10hipError_tT2_T3_mT4_P12ihipStream_tbEUlT_E_NS1_11comp_targetILNS1_3genE9ELNS1_11target_archE1100ELNS1_3gpuE3ELNS1_3repE0EEENS1_30default_config_static_selectorELNS0_4arch9wavefront6targetE0EEEvT1_.private_seg_size, 0
	.set _ZN7rocprim17ROCPRIM_400000_NS6detail17trampoline_kernelINS0_14default_configENS1_25transform_config_selectorImLb1EEEZNS1_14transform_implILb1ES3_S5_PmPlNS0_8identityIvEEEE10hipError_tT2_T3_mT4_P12ihipStream_tbEUlT_E_NS1_11comp_targetILNS1_3genE9ELNS1_11target_archE1100ELNS1_3gpuE3ELNS1_3repE0EEENS1_30default_config_static_selectorELNS0_4arch9wavefront6targetE0EEEvT1_.uses_vcc, 0
	.set _ZN7rocprim17ROCPRIM_400000_NS6detail17trampoline_kernelINS0_14default_configENS1_25transform_config_selectorImLb1EEEZNS1_14transform_implILb1ES3_S5_PmPlNS0_8identityIvEEEE10hipError_tT2_T3_mT4_P12ihipStream_tbEUlT_E_NS1_11comp_targetILNS1_3genE9ELNS1_11target_archE1100ELNS1_3gpuE3ELNS1_3repE0EEENS1_30default_config_static_selectorELNS0_4arch9wavefront6targetE0EEEvT1_.uses_flat_scratch, 0
	.set _ZN7rocprim17ROCPRIM_400000_NS6detail17trampoline_kernelINS0_14default_configENS1_25transform_config_selectorImLb1EEEZNS1_14transform_implILb1ES3_S5_PmPlNS0_8identityIvEEEE10hipError_tT2_T3_mT4_P12ihipStream_tbEUlT_E_NS1_11comp_targetILNS1_3genE9ELNS1_11target_archE1100ELNS1_3gpuE3ELNS1_3repE0EEENS1_30default_config_static_selectorELNS0_4arch9wavefront6targetE0EEEvT1_.has_dyn_sized_stack, 0
	.set _ZN7rocprim17ROCPRIM_400000_NS6detail17trampoline_kernelINS0_14default_configENS1_25transform_config_selectorImLb1EEEZNS1_14transform_implILb1ES3_S5_PmPlNS0_8identityIvEEEE10hipError_tT2_T3_mT4_P12ihipStream_tbEUlT_E_NS1_11comp_targetILNS1_3genE9ELNS1_11target_archE1100ELNS1_3gpuE3ELNS1_3repE0EEENS1_30default_config_static_selectorELNS0_4arch9wavefront6targetE0EEEvT1_.has_recursion, 0
	.set _ZN7rocprim17ROCPRIM_400000_NS6detail17trampoline_kernelINS0_14default_configENS1_25transform_config_selectorImLb1EEEZNS1_14transform_implILb1ES3_S5_PmPlNS0_8identityIvEEEE10hipError_tT2_T3_mT4_P12ihipStream_tbEUlT_E_NS1_11comp_targetILNS1_3genE9ELNS1_11target_archE1100ELNS1_3gpuE3ELNS1_3repE0EEENS1_30default_config_static_selectorELNS0_4arch9wavefront6targetE0EEEvT1_.has_indirect_call, 0
	.section	.AMDGPU.csdata,"",@progbits
; Kernel info:
; codeLenInByte = 0
; TotalNumSgprs: 0
; NumVgprs: 0
; ScratchSize: 0
; MemoryBound: 0
; FloatMode: 240
; IeeeMode: 1
; LDSByteSize: 0 bytes/workgroup (compile time only)
; SGPRBlocks: 0
; VGPRBlocks: 0
; NumSGPRsForWavesPerEU: 1
; NumVGPRsForWavesPerEU: 1
; NamedBarCnt: 0
; Occupancy: 16
; WaveLimiterHint : 0
; COMPUTE_PGM_RSRC2:SCRATCH_EN: 0
; COMPUTE_PGM_RSRC2:USER_SGPR: 2
; COMPUTE_PGM_RSRC2:TRAP_HANDLER: 0
; COMPUTE_PGM_RSRC2:TGID_X_EN: 1
; COMPUTE_PGM_RSRC2:TGID_Y_EN: 0
; COMPUTE_PGM_RSRC2:TGID_Z_EN: 0
; COMPUTE_PGM_RSRC2:TIDIG_COMP_CNT: 0
	.section	.text._ZN7rocprim17ROCPRIM_400000_NS6detail17trampoline_kernelINS0_14default_configENS1_25transform_config_selectorImLb1EEEZNS1_14transform_implILb1ES3_S5_PmPlNS0_8identityIvEEEE10hipError_tT2_T3_mT4_P12ihipStream_tbEUlT_E_NS1_11comp_targetILNS1_3genE8ELNS1_11target_archE1030ELNS1_3gpuE2ELNS1_3repE0EEENS1_30default_config_static_selectorELNS0_4arch9wavefront6targetE0EEEvT1_,"axG",@progbits,_ZN7rocprim17ROCPRIM_400000_NS6detail17trampoline_kernelINS0_14default_configENS1_25transform_config_selectorImLb1EEEZNS1_14transform_implILb1ES3_S5_PmPlNS0_8identityIvEEEE10hipError_tT2_T3_mT4_P12ihipStream_tbEUlT_E_NS1_11comp_targetILNS1_3genE8ELNS1_11target_archE1030ELNS1_3gpuE2ELNS1_3repE0EEENS1_30default_config_static_selectorELNS0_4arch9wavefront6targetE0EEEvT1_,comdat
	.protected	_ZN7rocprim17ROCPRIM_400000_NS6detail17trampoline_kernelINS0_14default_configENS1_25transform_config_selectorImLb1EEEZNS1_14transform_implILb1ES3_S5_PmPlNS0_8identityIvEEEE10hipError_tT2_T3_mT4_P12ihipStream_tbEUlT_E_NS1_11comp_targetILNS1_3genE8ELNS1_11target_archE1030ELNS1_3gpuE2ELNS1_3repE0EEENS1_30default_config_static_selectorELNS0_4arch9wavefront6targetE0EEEvT1_ ; -- Begin function _ZN7rocprim17ROCPRIM_400000_NS6detail17trampoline_kernelINS0_14default_configENS1_25transform_config_selectorImLb1EEEZNS1_14transform_implILb1ES3_S5_PmPlNS0_8identityIvEEEE10hipError_tT2_T3_mT4_P12ihipStream_tbEUlT_E_NS1_11comp_targetILNS1_3genE8ELNS1_11target_archE1030ELNS1_3gpuE2ELNS1_3repE0EEENS1_30default_config_static_selectorELNS0_4arch9wavefront6targetE0EEEvT1_
	.globl	_ZN7rocprim17ROCPRIM_400000_NS6detail17trampoline_kernelINS0_14default_configENS1_25transform_config_selectorImLb1EEEZNS1_14transform_implILb1ES3_S5_PmPlNS0_8identityIvEEEE10hipError_tT2_T3_mT4_P12ihipStream_tbEUlT_E_NS1_11comp_targetILNS1_3genE8ELNS1_11target_archE1030ELNS1_3gpuE2ELNS1_3repE0EEENS1_30default_config_static_selectorELNS0_4arch9wavefront6targetE0EEEvT1_
	.p2align	8
	.type	_ZN7rocprim17ROCPRIM_400000_NS6detail17trampoline_kernelINS0_14default_configENS1_25transform_config_selectorImLb1EEEZNS1_14transform_implILb1ES3_S5_PmPlNS0_8identityIvEEEE10hipError_tT2_T3_mT4_P12ihipStream_tbEUlT_E_NS1_11comp_targetILNS1_3genE8ELNS1_11target_archE1030ELNS1_3gpuE2ELNS1_3repE0EEENS1_30default_config_static_selectorELNS0_4arch9wavefront6targetE0EEEvT1_,@function
_ZN7rocprim17ROCPRIM_400000_NS6detail17trampoline_kernelINS0_14default_configENS1_25transform_config_selectorImLb1EEEZNS1_14transform_implILb1ES3_S5_PmPlNS0_8identityIvEEEE10hipError_tT2_T3_mT4_P12ihipStream_tbEUlT_E_NS1_11comp_targetILNS1_3genE8ELNS1_11target_archE1030ELNS1_3gpuE2ELNS1_3repE0EEENS1_30default_config_static_selectorELNS0_4arch9wavefront6targetE0EEEvT1_: ; @_ZN7rocprim17ROCPRIM_400000_NS6detail17trampoline_kernelINS0_14default_configENS1_25transform_config_selectorImLb1EEEZNS1_14transform_implILb1ES3_S5_PmPlNS0_8identityIvEEEE10hipError_tT2_T3_mT4_P12ihipStream_tbEUlT_E_NS1_11comp_targetILNS1_3genE8ELNS1_11target_archE1030ELNS1_3gpuE2ELNS1_3repE0EEENS1_30default_config_static_selectorELNS0_4arch9wavefront6targetE0EEEvT1_
; %bb.0:
	.section	.rodata,"a",@progbits
	.p2align	6, 0x0
	.amdhsa_kernel _ZN7rocprim17ROCPRIM_400000_NS6detail17trampoline_kernelINS0_14default_configENS1_25transform_config_selectorImLb1EEEZNS1_14transform_implILb1ES3_S5_PmPlNS0_8identityIvEEEE10hipError_tT2_T3_mT4_P12ihipStream_tbEUlT_E_NS1_11comp_targetILNS1_3genE8ELNS1_11target_archE1030ELNS1_3gpuE2ELNS1_3repE0EEENS1_30default_config_static_selectorELNS0_4arch9wavefront6targetE0EEEvT1_
		.amdhsa_group_segment_fixed_size 0
		.amdhsa_private_segment_fixed_size 0
		.amdhsa_kernarg_size 40
		.amdhsa_user_sgpr_count 2
		.amdhsa_user_sgpr_dispatch_ptr 0
		.amdhsa_user_sgpr_queue_ptr 0
		.amdhsa_user_sgpr_kernarg_segment_ptr 1
		.amdhsa_user_sgpr_dispatch_id 0
		.amdhsa_user_sgpr_kernarg_preload_length 0
		.amdhsa_user_sgpr_kernarg_preload_offset 0
		.amdhsa_user_sgpr_private_segment_size 0
		.amdhsa_wavefront_size32 1
		.amdhsa_uses_dynamic_stack 0
		.amdhsa_enable_private_segment 0
		.amdhsa_system_sgpr_workgroup_id_x 1
		.amdhsa_system_sgpr_workgroup_id_y 0
		.amdhsa_system_sgpr_workgroup_id_z 0
		.amdhsa_system_sgpr_workgroup_info 0
		.amdhsa_system_vgpr_workitem_id 0
		.amdhsa_next_free_vgpr 1
		.amdhsa_next_free_sgpr 1
		.amdhsa_named_barrier_count 0
		.amdhsa_reserve_vcc 0
		.amdhsa_float_round_mode_32 0
		.amdhsa_float_round_mode_16_64 0
		.amdhsa_float_denorm_mode_32 3
		.amdhsa_float_denorm_mode_16_64 3
		.amdhsa_fp16_overflow 0
		.amdhsa_memory_ordered 1
		.amdhsa_forward_progress 1
		.amdhsa_inst_pref_size 0
		.amdhsa_round_robin_scheduling 0
		.amdhsa_exception_fp_ieee_invalid_op 0
		.amdhsa_exception_fp_denorm_src 0
		.amdhsa_exception_fp_ieee_div_zero 0
		.amdhsa_exception_fp_ieee_overflow 0
		.amdhsa_exception_fp_ieee_underflow 0
		.amdhsa_exception_fp_ieee_inexact 0
		.amdhsa_exception_int_div_zero 0
	.end_amdhsa_kernel
	.section	.text._ZN7rocprim17ROCPRIM_400000_NS6detail17trampoline_kernelINS0_14default_configENS1_25transform_config_selectorImLb1EEEZNS1_14transform_implILb1ES3_S5_PmPlNS0_8identityIvEEEE10hipError_tT2_T3_mT4_P12ihipStream_tbEUlT_E_NS1_11comp_targetILNS1_3genE8ELNS1_11target_archE1030ELNS1_3gpuE2ELNS1_3repE0EEENS1_30default_config_static_selectorELNS0_4arch9wavefront6targetE0EEEvT1_,"axG",@progbits,_ZN7rocprim17ROCPRIM_400000_NS6detail17trampoline_kernelINS0_14default_configENS1_25transform_config_selectorImLb1EEEZNS1_14transform_implILb1ES3_S5_PmPlNS0_8identityIvEEEE10hipError_tT2_T3_mT4_P12ihipStream_tbEUlT_E_NS1_11comp_targetILNS1_3genE8ELNS1_11target_archE1030ELNS1_3gpuE2ELNS1_3repE0EEENS1_30default_config_static_selectorELNS0_4arch9wavefront6targetE0EEEvT1_,comdat
.Lfunc_end20:
	.size	_ZN7rocprim17ROCPRIM_400000_NS6detail17trampoline_kernelINS0_14default_configENS1_25transform_config_selectorImLb1EEEZNS1_14transform_implILb1ES3_S5_PmPlNS0_8identityIvEEEE10hipError_tT2_T3_mT4_P12ihipStream_tbEUlT_E_NS1_11comp_targetILNS1_3genE8ELNS1_11target_archE1030ELNS1_3gpuE2ELNS1_3repE0EEENS1_30default_config_static_selectorELNS0_4arch9wavefront6targetE0EEEvT1_, .Lfunc_end20-_ZN7rocprim17ROCPRIM_400000_NS6detail17trampoline_kernelINS0_14default_configENS1_25transform_config_selectorImLb1EEEZNS1_14transform_implILb1ES3_S5_PmPlNS0_8identityIvEEEE10hipError_tT2_T3_mT4_P12ihipStream_tbEUlT_E_NS1_11comp_targetILNS1_3genE8ELNS1_11target_archE1030ELNS1_3gpuE2ELNS1_3repE0EEENS1_30default_config_static_selectorELNS0_4arch9wavefront6targetE0EEEvT1_
                                        ; -- End function
	.set _ZN7rocprim17ROCPRIM_400000_NS6detail17trampoline_kernelINS0_14default_configENS1_25transform_config_selectorImLb1EEEZNS1_14transform_implILb1ES3_S5_PmPlNS0_8identityIvEEEE10hipError_tT2_T3_mT4_P12ihipStream_tbEUlT_E_NS1_11comp_targetILNS1_3genE8ELNS1_11target_archE1030ELNS1_3gpuE2ELNS1_3repE0EEENS1_30default_config_static_selectorELNS0_4arch9wavefront6targetE0EEEvT1_.num_vgpr, 0
	.set _ZN7rocprim17ROCPRIM_400000_NS6detail17trampoline_kernelINS0_14default_configENS1_25transform_config_selectorImLb1EEEZNS1_14transform_implILb1ES3_S5_PmPlNS0_8identityIvEEEE10hipError_tT2_T3_mT4_P12ihipStream_tbEUlT_E_NS1_11comp_targetILNS1_3genE8ELNS1_11target_archE1030ELNS1_3gpuE2ELNS1_3repE0EEENS1_30default_config_static_selectorELNS0_4arch9wavefront6targetE0EEEvT1_.num_agpr, 0
	.set _ZN7rocprim17ROCPRIM_400000_NS6detail17trampoline_kernelINS0_14default_configENS1_25transform_config_selectorImLb1EEEZNS1_14transform_implILb1ES3_S5_PmPlNS0_8identityIvEEEE10hipError_tT2_T3_mT4_P12ihipStream_tbEUlT_E_NS1_11comp_targetILNS1_3genE8ELNS1_11target_archE1030ELNS1_3gpuE2ELNS1_3repE0EEENS1_30default_config_static_selectorELNS0_4arch9wavefront6targetE0EEEvT1_.numbered_sgpr, 0
	.set _ZN7rocprim17ROCPRIM_400000_NS6detail17trampoline_kernelINS0_14default_configENS1_25transform_config_selectorImLb1EEEZNS1_14transform_implILb1ES3_S5_PmPlNS0_8identityIvEEEE10hipError_tT2_T3_mT4_P12ihipStream_tbEUlT_E_NS1_11comp_targetILNS1_3genE8ELNS1_11target_archE1030ELNS1_3gpuE2ELNS1_3repE0EEENS1_30default_config_static_selectorELNS0_4arch9wavefront6targetE0EEEvT1_.num_named_barrier, 0
	.set _ZN7rocprim17ROCPRIM_400000_NS6detail17trampoline_kernelINS0_14default_configENS1_25transform_config_selectorImLb1EEEZNS1_14transform_implILb1ES3_S5_PmPlNS0_8identityIvEEEE10hipError_tT2_T3_mT4_P12ihipStream_tbEUlT_E_NS1_11comp_targetILNS1_3genE8ELNS1_11target_archE1030ELNS1_3gpuE2ELNS1_3repE0EEENS1_30default_config_static_selectorELNS0_4arch9wavefront6targetE0EEEvT1_.private_seg_size, 0
	.set _ZN7rocprim17ROCPRIM_400000_NS6detail17trampoline_kernelINS0_14default_configENS1_25transform_config_selectorImLb1EEEZNS1_14transform_implILb1ES3_S5_PmPlNS0_8identityIvEEEE10hipError_tT2_T3_mT4_P12ihipStream_tbEUlT_E_NS1_11comp_targetILNS1_3genE8ELNS1_11target_archE1030ELNS1_3gpuE2ELNS1_3repE0EEENS1_30default_config_static_selectorELNS0_4arch9wavefront6targetE0EEEvT1_.uses_vcc, 0
	.set _ZN7rocprim17ROCPRIM_400000_NS6detail17trampoline_kernelINS0_14default_configENS1_25transform_config_selectorImLb1EEEZNS1_14transform_implILb1ES3_S5_PmPlNS0_8identityIvEEEE10hipError_tT2_T3_mT4_P12ihipStream_tbEUlT_E_NS1_11comp_targetILNS1_3genE8ELNS1_11target_archE1030ELNS1_3gpuE2ELNS1_3repE0EEENS1_30default_config_static_selectorELNS0_4arch9wavefront6targetE0EEEvT1_.uses_flat_scratch, 0
	.set _ZN7rocprim17ROCPRIM_400000_NS6detail17trampoline_kernelINS0_14default_configENS1_25transform_config_selectorImLb1EEEZNS1_14transform_implILb1ES3_S5_PmPlNS0_8identityIvEEEE10hipError_tT2_T3_mT4_P12ihipStream_tbEUlT_E_NS1_11comp_targetILNS1_3genE8ELNS1_11target_archE1030ELNS1_3gpuE2ELNS1_3repE0EEENS1_30default_config_static_selectorELNS0_4arch9wavefront6targetE0EEEvT1_.has_dyn_sized_stack, 0
	.set _ZN7rocprim17ROCPRIM_400000_NS6detail17trampoline_kernelINS0_14default_configENS1_25transform_config_selectorImLb1EEEZNS1_14transform_implILb1ES3_S5_PmPlNS0_8identityIvEEEE10hipError_tT2_T3_mT4_P12ihipStream_tbEUlT_E_NS1_11comp_targetILNS1_3genE8ELNS1_11target_archE1030ELNS1_3gpuE2ELNS1_3repE0EEENS1_30default_config_static_selectorELNS0_4arch9wavefront6targetE0EEEvT1_.has_recursion, 0
	.set _ZN7rocprim17ROCPRIM_400000_NS6detail17trampoline_kernelINS0_14default_configENS1_25transform_config_selectorImLb1EEEZNS1_14transform_implILb1ES3_S5_PmPlNS0_8identityIvEEEE10hipError_tT2_T3_mT4_P12ihipStream_tbEUlT_E_NS1_11comp_targetILNS1_3genE8ELNS1_11target_archE1030ELNS1_3gpuE2ELNS1_3repE0EEENS1_30default_config_static_selectorELNS0_4arch9wavefront6targetE0EEEvT1_.has_indirect_call, 0
	.section	.AMDGPU.csdata,"",@progbits
; Kernel info:
; codeLenInByte = 0
; TotalNumSgprs: 0
; NumVgprs: 0
; ScratchSize: 0
; MemoryBound: 0
; FloatMode: 240
; IeeeMode: 1
; LDSByteSize: 0 bytes/workgroup (compile time only)
; SGPRBlocks: 0
; VGPRBlocks: 0
; NumSGPRsForWavesPerEU: 1
; NumVGPRsForWavesPerEU: 1
; NamedBarCnt: 0
; Occupancy: 16
; WaveLimiterHint : 0
; COMPUTE_PGM_RSRC2:SCRATCH_EN: 0
; COMPUTE_PGM_RSRC2:USER_SGPR: 2
; COMPUTE_PGM_RSRC2:TRAP_HANDLER: 0
; COMPUTE_PGM_RSRC2:TGID_X_EN: 1
; COMPUTE_PGM_RSRC2:TGID_Y_EN: 0
; COMPUTE_PGM_RSRC2:TGID_Z_EN: 0
; COMPUTE_PGM_RSRC2:TIDIG_COMP_CNT: 0
	.section	.text._ZN7rocprim17ROCPRIM_400000_NS6detail31init_lookback_scan_state_kernelINS1_19lookback_scan_stateIjLb1ELb1EEENS1_16block_id_wrapperIjLb1EEEEEvT_jT0_jPNS7_10value_typeE,"axG",@progbits,_ZN7rocprim17ROCPRIM_400000_NS6detail31init_lookback_scan_state_kernelINS1_19lookback_scan_stateIjLb1ELb1EEENS1_16block_id_wrapperIjLb1EEEEEvT_jT0_jPNS7_10value_typeE,comdat
	.protected	_ZN7rocprim17ROCPRIM_400000_NS6detail31init_lookback_scan_state_kernelINS1_19lookback_scan_stateIjLb1ELb1EEENS1_16block_id_wrapperIjLb1EEEEEvT_jT0_jPNS7_10value_typeE ; -- Begin function _ZN7rocprim17ROCPRIM_400000_NS6detail31init_lookback_scan_state_kernelINS1_19lookback_scan_stateIjLb1ELb1EEENS1_16block_id_wrapperIjLb1EEEEEvT_jT0_jPNS7_10value_typeE
	.globl	_ZN7rocprim17ROCPRIM_400000_NS6detail31init_lookback_scan_state_kernelINS1_19lookback_scan_stateIjLb1ELb1EEENS1_16block_id_wrapperIjLb1EEEEEvT_jT0_jPNS7_10value_typeE
	.p2align	8
	.type	_ZN7rocprim17ROCPRIM_400000_NS6detail31init_lookback_scan_state_kernelINS1_19lookback_scan_stateIjLb1ELb1EEENS1_16block_id_wrapperIjLb1EEEEEvT_jT0_jPNS7_10value_typeE,@function
_ZN7rocprim17ROCPRIM_400000_NS6detail31init_lookback_scan_state_kernelINS1_19lookback_scan_stateIjLb1ELb1EEENS1_16block_id_wrapperIjLb1EEEEEvT_jT0_jPNS7_10value_typeE: ; @_ZN7rocprim17ROCPRIM_400000_NS6detail31init_lookback_scan_state_kernelINS1_19lookback_scan_stateIjLb1ELb1EEENS1_16block_id_wrapperIjLb1EEEEEvT_jT0_jPNS7_10value_typeE
; %bb.0:
	s_clause 0x2
	s_load_b32 s7, s[0:1], 0x34
	s_load_b96 s[4:6], s[0:1], 0x0
	s_load_b64 s[2:3], s[0:1], 0x20
	s_bfe_u32 s8, ttmp6, 0x4000c
	s_and_b32 s9, ttmp6, 15
	s_add_co_i32 s8, s8, 1
	s_getreg_b32 s10, hwreg(HW_REG_IB_STS2, 6, 4)
	s_mul_i32 s8, ttmp9, s8
	s_delay_alu instid0(SALU_CYCLE_1)
	s_add_co_i32 s9, s9, s8
	s_wait_kmcnt 0x0
	s_and_b32 s7, s7, 0xffff
	s_cmp_eq_u32 s10, 0
	s_cselect_b32 s8, ttmp9, s9
	s_cmp_eq_u64 s[2:3], 0
	v_mad_u32 v4, s8, s7, v0
	s_cbranch_scc1 .LBB21_9
; %bb.1:
	s_load_b32 s8, s[0:1], 0x18
	s_wait_kmcnt 0x0
	s_cmp_lt_u32 s8, s6
	s_cselect_b32 s7, s8, 0
	s_delay_alu instid0(VALU_DEP_1) | instid1(SALU_CYCLE_1)
	v_cmp_eq_u32_e32 vcc_lo, s7, v4
	s_and_saveexec_b32 s7, vcc_lo
	s_cbranch_execz .LBB21_8
; %bb.2:
	s_add_co_i32 s8, s8, 32
	s_delay_alu instid0(SALU_CYCLE_1)
	v_mov_b32_e32 v0, s8
	global_load_b64 v[2:3], v0, s[4:5] scale_offset scope:SCOPE_DEV
	s_wait_xcnt 0x0
	v_mov_b32_e32 v0, 0
	s_wait_loadcnt 0x0
	v_and_b32_e32 v1, 0xff, v3
	s_delay_alu instid0(VALU_DEP_1)
	v_cmp_ne_u64_e32 vcc_lo, 0, v[0:1]
	s_cbranch_vccnz .LBB21_7
; %bb.3:
	s_mov_b32 s9, 0
	s_mov_b32 s10, 1
	s_lshl_b64 s[8:9], s[8:9], 3
	s_delay_alu instid0(SALU_CYCLE_1)
	s_add_nc_u64 s[8:9], s[4:5], s[8:9]
.LBB21_4:                               ; =>This Loop Header: Depth=1
                                        ;     Child Loop BB21_5 Depth 2
	s_mov_b32 s11, s10
.LBB21_5:                               ;   Parent Loop BB21_4 Depth=1
                                        ; =>  This Inner Loop Header: Depth=2
	s_delay_alu instid0(SALU_CYCLE_1)
	s_add_co_i32 s11, s11, -1
	s_sleep 1
	s_cmp_eq_u32 s11, 0
	s_cbranch_scc0 .LBB21_5
; %bb.6:                                ;   in Loop: Header=BB21_4 Depth=1
	global_load_b64 v[2:3], v0, s[8:9] scope:SCOPE_DEV
	s_cmp_lt_u32 s10, 32
	s_cselect_b32 s11, -1, 0
	s_delay_alu instid0(SALU_CYCLE_1) | instskip(SKIP_3) | instid1(VALU_DEP_1)
	s_cmp_lg_u32 s11, 0
	s_add_co_ci_u32 s10, s10, 0
	s_wait_loadcnt 0x0
	v_and_b32_e32 v1, 0xff, v3
	v_cmp_ne_u64_e32 vcc_lo, 0, v[0:1]
	s_cbranch_vccz .LBB21_4
.LBB21_7:
	v_mov_b32_e32 v0, 0
	global_store_b32 v0, v2, s[2:3]
.LBB21_8:
	s_wait_xcnt 0x0
	s_or_b32 exec_lo, exec_lo, s7
.LBB21_9:
	s_delay_alu instid0(SALU_CYCLE_1) | instskip(NEXT) | instid1(VALU_DEP_1)
	s_mov_b32 s2, exec_lo
	v_cmpx_eq_u32_e32 0, v4
	s_cbranch_execz .LBB21_11
; %bb.10:
	s_load_b64 s[0:1], s[0:1], 0x10
	v_mov_b32_e32 v0, 0
	s_wait_kmcnt 0x0
	global_store_b32 v0, v0, s[0:1]
.LBB21_11:
	s_wait_xcnt 0x0
	s_or_b32 exec_lo, exec_lo, s2
	s_delay_alu instid0(SALU_CYCLE_1)
	s_mov_b32 s0, exec_lo
	v_cmpx_gt_u32_e64 s6, v4
	s_cbranch_execz .LBB21_13
; %bb.12:
	v_mov_b64_e32 v[0:1], 0
	v_add_nc_u32_e32 v2, 32, v4
	global_store_b64 v2, v[0:1], s[4:5] scale_offset
.LBB21_13:
	s_wait_xcnt 0x0
	s_or_b32 exec_lo, exec_lo, s0
	s_delay_alu instid0(SALU_CYCLE_1)
	s_mov_b32 s0, exec_lo
	v_cmpx_gt_u32_e32 32, v4
	s_cbranch_execz .LBB21_15
; %bb.14:
	v_mov_b64_e32 v[0:1], 0xff00000000
	global_store_b64 v4, v[0:1], s[4:5] scale_offset
.LBB21_15:
	s_endpgm
	.section	.rodata,"a",@progbits
	.p2align	6, 0x0
	.amdhsa_kernel _ZN7rocprim17ROCPRIM_400000_NS6detail31init_lookback_scan_state_kernelINS1_19lookback_scan_stateIjLb1ELb1EEENS1_16block_id_wrapperIjLb1EEEEEvT_jT0_jPNS7_10value_typeE
		.amdhsa_group_segment_fixed_size 0
		.amdhsa_private_segment_fixed_size 0
		.amdhsa_kernarg_size 296
		.amdhsa_user_sgpr_count 2
		.amdhsa_user_sgpr_dispatch_ptr 0
		.amdhsa_user_sgpr_queue_ptr 0
		.amdhsa_user_sgpr_kernarg_segment_ptr 1
		.amdhsa_user_sgpr_dispatch_id 0
		.amdhsa_user_sgpr_kernarg_preload_length 0
		.amdhsa_user_sgpr_kernarg_preload_offset 0
		.amdhsa_user_sgpr_private_segment_size 0
		.amdhsa_wavefront_size32 1
		.amdhsa_uses_dynamic_stack 0
		.amdhsa_enable_private_segment 0
		.amdhsa_system_sgpr_workgroup_id_x 1
		.amdhsa_system_sgpr_workgroup_id_y 0
		.amdhsa_system_sgpr_workgroup_id_z 0
		.amdhsa_system_sgpr_workgroup_info 0
		.amdhsa_system_vgpr_workitem_id 0
		.amdhsa_next_free_vgpr 5
		.amdhsa_next_free_sgpr 12
		.amdhsa_named_barrier_count 0
		.amdhsa_reserve_vcc 1
		.amdhsa_float_round_mode_32 0
		.amdhsa_float_round_mode_16_64 0
		.amdhsa_float_denorm_mode_32 3
		.amdhsa_float_denorm_mode_16_64 3
		.amdhsa_fp16_overflow 0
		.amdhsa_memory_ordered 1
		.amdhsa_forward_progress 1
		.amdhsa_inst_pref_size 4
		.amdhsa_round_robin_scheduling 0
		.amdhsa_exception_fp_ieee_invalid_op 0
		.amdhsa_exception_fp_denorm_src 0
		.amdhsa_exception_fp_ieee_div_zero 0
		.amdhsa_exception_fp_ieee_overflow 0
		.amdhsa_exception_fp_ieee_underflow 0
		.amdhsa_exception_fp_ieee_inexact 0
		.amdhsa_exception_int_div_zero 0
	.end_amdhsa_kernel
	.section	.text._ZN7rocprim17ROCPRIM_400000_NS6detail31init_lookback_scan_state_kernelINS1_19lookback_scan_stateIjLb1ELb1EEENS1_16block_id_wrapperIjLb1EEEEEvT_jT0_jPNS7_10value_typeE,"axG",@progbits,_ZN7rocprim17ROCPRIM_400000_NS6detail31init_lookback_scan_state_kernelINS1_19lookback_scan_stateIjLb1ELb1EEENS1_16block_id_wrapperIjLb1EEEEEvT_jT0_jPNS7_10value_typeE,comdat
.Lfunc_end21:
	.size	_ZN7rocprim17ROCPRIM_400000_NS6detail31init_lookback_scan_state_kernelINS1_19lookback_scan_stateIjLb1ELb1EEENS1_16block_id_wrapperIjLb1EEEEEvT_jT0_jPNS7_10value_typeE, .Lfunc_end21-_ZN7rocprim17ROCPRIM_400000_NS6detail31init_lookback_scan_state_kernelINS1_19lookback_scan_stateIjLb1ELb1EEENS1_16block_id_wrapperIjLb1EEEEEvT_jT0_jPNS7_10value_typeE
                                        ; -- End function
	.set _ZN7rocprim17ROCPRIM_400000_NS6detail31init_lookback_scan_state_kernelINS1_19lookback_scan_stateIjLb1ELb1EEENS1_16block_id_wrapperIjLb1EEEEEvT_jT0_jPNS7_10value_typeE.num_vgpr, 5
	.set _ZN7rocprim17ROCPRIM_400000_NS6detail31init_lookback_scan_state_kernelINS1_19lookback_scan_stateIjLb1ELb1EEENS1_16block_id_wrapperIjLb1EEEEEvT_jT0_jPNS7_10value_typeE.num_agpr, 0
	.set _ZN7rocprim17ROCPRIM_400000_NS6detail31init_lookback_scan_state_kernelINS1_19lookback_scan_stateIjLb1ELb1EEENS1_16block_id_wrapperIjLb1EEEEEvT_jT0_jPNS7_10value_typeE.numbered_sgpr, 12
	.set _ZN7rocprim17ROCPRIM_400000_NS6detail31init_lookback_scan_state_kernelINS1_19lookback_scan_stateIjLb1ELb1EEENS1_16block_id_wrapperIjLb1EEEEEvT_jT0_jPNS7_10value_typeE.num_named_barrier, 0
	.set _ZN7rocprim17ROCPRIM_400000_NS6detail31init_lookback_scan_state_kernelINS1_19lookback_scan_stateIjLb1ELb1EEENS1_16block_id_wrapperIjLb1EEEEEvT_jT0_jPNS7_10value_typeE.private_seg_size, 0
	.set _ZN7rocprim17ROCPRIM_400000_NS6detail31init_lookback_scan_state_kernelINS1_19lookback_scan_stateIjLb1ELb1EEENS1_16block_id_wrapperIjLb1EEEEEvT_jT0_jPNS7_10value_typeE.uses_vcc, 1
	.set _ZN7rocprim17ROCPRIM_400000_NS6detail31init_lookback_scan_state_kernelINS1_19lookback_scan_stateIjLb1ELb1EEENS1_16block_id_wrapperIjLb1EEEEEvT_jT0_jPNS7_10value_typeE.uses_flat_scratch, 0
	.set _ZN7rocprim17ROCPRIM_400000_NS6detail31init_lookback_scan_state_kernelINS1_19lookback_scan_stateIjLb1ELb1EEENS1_16block_id_wrapperIjLb1EEEEEvT_jT0_jPNS7_10value_typeE.has_dyn_sized_stack, 0
	.set _ZN7rocprim17ROCPRIM_400000_NS6detail31init_lookback_scan_state_kernelINS1_19lookback_scan_stateIjLb1ELb1EEENS1_16block_id_wrapperIjLb1EEEEEvT_jT0_jPNS7_10value_typeE.has_recursion, 0
	.set _ZN7rocprim17ROCPRIM_400000_NS6detail31init_lookback_scan_state_kernelINS1_19lookback_scan_stateIjLb1ELb1EEENS1_16block_id_wrapperIjLb1EEEEEvT_jT0_jPNS7_10value_typeE.has_indirect_call, 0
	.section	.AMDGPU.csdata,"",@progbits
; Kernel info:
; codeLenInByte = 452
; TotalNumSgprs: 14
; NumVgprs: 5
; ScratchSize: 0
; MemoryBound: 0
; FloatMode: 240
; IeeeMode: 1
; LDSByteSize: 0 bytes/workgroup (compile time only)
; SGPRBlocks: 0
; VGPRBlocks: 0
; NumSGPRsForWavesPerEU: 14
; NumVGPRsForWavesPerEU: 5
; NamedBarCnt: 0
; Occupancy: 16
; WaveLimiterHint : 0
; COMPUTE_PGM_RSRC2:SCRATCH_EN: 0
; COMPUTE_PGM_RSRC2:USER_SGPR: 2
; COMPUTE_PGM_RSRC2:TRAP_HANDLER: 0
; COMPUTE_PGM_RSRC2:TGID_X_EN: 1
; COMPUTE_PGM_RSRC2:TGID_Y_EN: 0
; COMPUTE_PGM_RSRC2:TGID_Z_EN: 0
; COMPUTE_PGM_RSRC2:TIDIG_COMP_CNT: 0
	.section	.text._ZN7rocprim17ROCPRIM_400000_NS6detail17trampoline_kernelINS0_14default_configENS1_25partition_config_selectorILNS1_17partition_subalgoE8EbNS0_10empty_typeEbEEZZNS1_14partition_implILS5_8ELb0ES3_jN6hipcub16HIPCUB_304000_NS22TransformInputIteratorIbN2at6native8internal12_GLOBAL__N_110LoadBoolOpEPKhlEEPS6_PKS6_NS0_5tupleIJPbS6_EEENSN_IJSK_SK_EEENS0_18inequality_wrapperINSA_8EqualityEEEPlJS6_EEE10hipError_tPvRmT3_T4_T5_T6_T7_T9_mT8_P12ihipStream_tbDpT10_ENKUlT_T0_E_clISt17integral_constantIbLb1EES1E_EEDaS19_S1A_EUlS19_E_NS1_11comp_targetILNS1_3genE0ELNS1_11target_archE4294967295ELNS1_3gpuE0ELNS1_3repE0EEENS1_30default_config_static_selectorELNS0_4arch9wavefront6targetE0EEEvT1_,"axG",@progbits,_ZN7rocprim17ROCPRIM_400000_NS6detail17trampoline_kernelINS0_14default_configENS1_25partition_config_selectorILNS1_17partition_subalgoE8EbNS0_10empty_typeEbEEZZNS1_14partition_implILS5_8ELb0ES3_jN6hipcub16HIPCUB_304000_NS22TransformInputIteratorIbN2at6native8internal12_GLOBAL__N_110LoadBoolOpEPKhlEEPS6_PKS6_NS0_5tupleIJPbS6_EEENSN_IJSK_SK_EEENS0_18inequality_wrapperINSA_8EqualityEEEPlJS6_EEE10hipError_tPvRmT3_T4_T5_T6_T7_T9_mT8_P12ihipStream_tbDpT10_ENKUlT_T0_E_clISt17integral_constantIbLb1EES1E_EEDaS19_S1A_EUlS19_E_NS1_11comp_targetILNS1_3genE0ELNS1_11target_archE4294967295ELNS1_3gpuE0ELNS1_3repE0EEENS1_30default_config_static_selectorELNS0_4arch9wavefront6targetE0EEEvT1_,comdat
	.globl	_ZN7rocprim17ROCPRIM_400000_NS6detail17trampoline_kernelINS0_14default_configENS1_25partition_config_selectorILNS1_17partition_subalgoE8EbNS0_10empty_typeEbEEZZNS1_14partition_implILS5_8ELb0ES3_jN6hipcub16HIPCUB_304000_NS22TransformInputIteratorIbN2at6native8internal12_GLOBAL__N_110LoadBoolOpEPKhlEEPS6_PKS6_NS0_5tupleIJPbS6_EEENSN_IJSK_SK_EEENS0_18inequality_wrapperINSA_8EqualityEEEPlJS6_EEE10hipError_tPvRmT3_T4_T5_T6_T7_T9_mT8_P12ihipStream_tbDpT10_ENKUlT_T0_E_clISt17integral_constantIbLb1EES1E_EEDaS19_S1A_EUlS19_E_NS1_11comp_targetILNS1_3genE0ELNS1_11target_archE4294967295ELNS1_3gpuE0ELNS1_3repE0EEENS1_30default_config_static_selectorELNS0_4arch9wavefront6targetE0EEEvT1_ ; -- Begin function _ZN7rocprim17ROCPRIM_400000_NS6detail17trampoline_kernelINS0_14default_configENS1_25partition_config_selectorILNS1_17partition_subalgoE8EbNS0_10empty_typeEbEEZZNS1_14partition_implILS5_8ELb0ES3_jN6hipcub16HIPCUB_304000_NS22TransformInputIteratorIbN2at6native8internal12_GLOBAL__N_110LoadBoolOpEPKhlEEPS6_PKS6_NS0_5tupleIJPbS6_EEENSN_IJSK_SK_EEENS0_18inequality_wrapperINSA_8EqualityEEEPlJS6_EEE10hipError_tPvRmT3_T4_T5_T6_T7_T9_mT8_P12ihipStream_tbDpT10_ENKUlT_T0_E_clISt17integral_constantIbLb1EES1E_EEDaS19_S1A_EUlS19_E_NS1_11comp_targetILNS1_3genE0ELNS1_11target_archE4294967295ELNS1_3gpuE0ELNS1_3repE0EEENS1_30default_config_static_selectorELNS0_4arch9wavefront6targetE0EEEvT1_
	.p2align	8
	.type	_ZN7rocprim17ROCPRIM_400000_NS6detail17trampoline_kernelINS0_14default_configENS1_25partition_config_selectorILNS1_17partition_subalgoE8EbNS0_10empty_typeEbEEZZNS1_14partition_implILS5_8ELb0ES3_jN6hipcub16HIPCUB_304000_NS22TransformInputIteratorIbN2at6native8internal12_GLOBAL__N_110LoadBoolOpEPKhlEEPS6_PKS6_NS0_5tupleIJPbS6_EEENSN_IJSK_SK_EEENS0_18inequality_wrapperINSA_8EqualityEEEPlJS6_EEE10hipError_tPvRmT3_T4_T5_T6_T7_T9_mT8_P12ihipStream_tbDpT10_ENKUlT_T0_E_clISt17integral_constantIbLb1EES1E_EEDaS19_S1A_EUlS19_E_NS1_11comp_targetILNS1_3genE0ELNS1_11target_archE4294967295ELNS1_3gpuE0ELNS1_3repE0EEENS1_30default_config_static_selectorELNS0_4arch9wavefront6targetE0EEEvT1_,@function
_ZN7rocprim17ROCPRIM_400000_NS6detail17trampoline_kernelINS0_14default_configENS1_25partition_config_selectorILNS1_17partition_subalgoE8EbNS0_10empty_typeEbEEZZNS1_14partition_implILS5_8ELb0ES3_jN6hipcub16HIPCUB_304000_NS22TransformInputIteratorIbN2at6native8internal12_GLOBAL__N_110LoadBoolOpEPKhlEEPS6_PKS6_NS0_5tupleIJPbS6_EEENSN_IJSK_SK_EEENS0_18inequality_wrapperINSA_8EqualityEEEPlJS6_EEE10hipError_tPvRmT3_T4_T5_T6_T7_T9_mT8_P12ihipStream_tbDpT10_ENKUlT_T0_E_clISt17integral_constantIbLb1EES1E_EEDaS19_S1A_EUlS19_E_NS1_11comp_targetILNS1_3genE0ELNS1_11target_archE4294967295ELNS1_3gpuE0ELNS1_3repE0EEENS1_30default_config_static_selectorELNS0_4arch9wavefront6targetE0EEEvT1_: ; @_ZN7rocprim17ROCPRIM_400000_NS6detail17trampoline_kernelINS0_14default_configENS1_25partition_config_selectorILNS1_17partition_subalgoE8EbNS0_10empty_typeEbEEZZNS1_14partition_implILS5_8ELb0ES3_jN6hipcub16HIPCUB_304000_NS22TransformInputIteratorIbN2at6native8internal12_GLOBAL__N_110LoadBoolOpEPKhlEEPS6_PKS6_NS0_5tupleIJPbS6_EEENSN_IJSK_SK_EEENS0_18inequality_wrapperINSA_8EqualityEEEPlJS6_EEE10hipError_tPvRmT3_T4_T5_T6_T7_T9_mT8_P12ihipStream_tbDpT10_ENKUlT_T0_E_clISt17integral_constantIbLb1EES1E_EEDaS19_S1A_EUlS19_E_NS1_11comp_targetILNS1_3genE0ELNS1_11target_archE4294967295ELNS1_3gpuE0ELNS1_3repE0EEENS1_30default_config_static_selectorELNS0_4arch9wavefront6targetE0EEEvT1_
; %bb.0:
	s_endpgm
	.section	.rodata,"a",@progbits
	.p2align	6, 0x0
	.amdhsa_kernel _ZN7rocprim17ROCPRIM_400000_NS6detail17trampoline_kernelINS0_14default_configENS1_25partition_config_selectorILNS1_17partition_subalgoE8EbNS0_10empty_typeEbEEZZNS1_14partition_implILS5_8ELb0ES3_jN6hipcub16HIPCUB_304000_NS22TransformInputIteratorIbN2at6native8internal12_GLOBAL__N_110LoadBoolOpEPKhlEEPS6_PKS6_NS0_5tupleIJPbS6_EEENSN_IJSK_SK_EEENS0_18inequality_wrapperINSA_8EqualityEEEPlJS6_EEE10hipError_tPvRmT3_T4_T5_T6_T7_T9_mT8_P12ihipStream_tbDpT10_ENKUlT_T0_E_clISt17integral_constantIbLb1EES1E_EEDaS19_S1A_EUlS19_E_NS1_11comp_targetILNS1_3genE0ELNS1_11target_archE4294967295ELNS1_3gpuE0ELNS1_3repE0EEENS1_30default_config_static_selectorELNS0_4arch9wavefront6targetE0EEEvT1_
		.amdhsa_group_segment_fixed_size 0
		.amdhsa_private_segment_fixed_size 0
		.amdhsa_kernarg_size 136
		.amdhsa_user_sgpr_count 2
		.amdhsa_user_sgpr_dispatch_ptr 0
		.amdhsa_user_sgpr_queue_ptr 0
		.amdhsa_user_sgpr_kernarg_segment_ptr 1
		.amdhsa_user_sgpr_dispatch_id 0
		.amdhsa_user_sgpr_kernarg_preload_length 0
		.amdhsa_user_sgpr_kernarg_preload_offset 0
		.amdhsa_user_sgpr_private_segment_size 0
		.amdhsa_wavefront_size32 1
		.amdhsa_uses_dynamic_stack 0
		.amdhsa_enable_private_segment 0
		.amdhsa_system_sgpr_workgroup_id_x 1
		.amdhsa_system_sgpr_workgroup_id_y 0
		.amdhsa_system_sgpr_workgroup_id_z 0
		.amdhsa_system_sgpr_workgroup_info 0
		.amdhsa_system_vgpr_workitem_id 0
		.amdhsa_next_free_vgpr 1
		.amdhsa_next_free_sgpr 1
		.amdhsa_named_barrier_count 0
		.amdhsa_reserve_vcc 0
		.amdhsa_float_round_mode_32 0
		.amdhsa_float_round_mode_16_64 0
		.amdhsa_float_denorm_mode_32 3
		.amdhsa_float_denorm_mode_16_64 3
		.amdhsa_fp16_overflow 0
		.amdhsa_memory_ordered 1
		.amdhsa_forward_progress 1
		.amdhsa_inst_pref_size 1
		.amdhsa_round_robin_scheduling 0
		.amdhsa_exception_fp_ieee_invalid_op 0
		.amdhsa_exception_fp_denorm_src 0
		.amdhsa_exception_fp_ieee_div_zero 0
		.amdhsa_exception_fp_ieee_overflow 0
		.amdhsa_exception_fp_ieee_underflow 0
		.amdhsa_exception_fp_ieee_inexact 0
		.amdhsa_exception_int_div_zero 0
	.end_amdhsa_kernel
	.section	.text._ZN7rocprim17ROCPRIM_400000_NS6detail17trampoline_kernelINS0_14default_configENS1_25partition_config_selectorILNS1_17partition_subalgoE8EbNS0_10empty_typeEbEEZZNS1_14partition_implILS5_8ELb0ES3_jN6hipcub16HIPCUB_304000_NS22TransformInputIteratorIbN2at6native8internal12_GLOBAL__N_110LoadBoolOpEPKhlEEPS6_PKS6_NS0_5tupleIJPbS6_EEENSN_IJSK_SK_EEENS0_18inequality_wrapperINSA_8EqualityEEEPlJS6_EEE10hipError_tPvRmT3_T4_T5_T6_T7_T9_mT8_P12ihipStream_tbDpT10_ENKUlT_T0_E_clISt17integral_constantIbLb1EES1E_EEDaS19_S1A_EUlS19_E_NS1_11comp_targetILNS1_3genE0ELNS1_11target_archE4294967295ELNS1_3gpuE0ELNS1_3repE0EEENS1_30default_config_static_selectorELNS0_4arch9wavefront6targetE0EEEvT1_,"axG",@progbits,_ZN7rocprim17ROCPRIM_400000_NS6detail17trampoline_kernelINS0_14default_configENS1_25partition_config_selectorILNS1_17partition_subalgoE8EbNS0_10empty_typeEbEEZZNS1_14partition_implILS5_8ELb0ES3_jN6hipcub16HIPCUB_304000_NS22TransformInputIteratorIbN2at6native8internal12_GLOBAL__N_110LoadBoolOpEPKhlEEPS6_PKS6_NS0_5tupleIJPbS6_EEENSN_IJSK_SK_EEENS0_18inequality_wrapperINSA_8EqualityEEEPlJS6_EEE10hipError_tPvRmT3_T4_T5_T6_T7_T9_mT8_P12ihipStream_tbDpT10_ENKUlT_T0_E_clISt17integral_constantIbLb1EES1E_EEDaS19_S1A_EUlS19_E_NS1_11comp_targetILNS1_3genE0ELNS1_11target_archE4294967295ELNS1_3gpuE0ELNS1_3repE0EEENS1_30default_config_static_selectorELNS0_4arch9wavefront6targetE0EEEvT1_,comdat
.Lfunc_end22:
	.size	_ZN7rocprim17ROCPRIM_400000_NS6detail17trampoline_kernelINS0_14default_configENS1_25partition_config_selectorILNS1_17partition_subalgoE8EbNS0_10empty_typeEbEEZZNS1_14partition_implILS5_8ELb0ES3_jN6hipcub16HIPCUB_304000_NS22TransformInputIteratorIbN2at6native8internal12_GLOBAL__N_110LoadBoolOpEPKhlEEPS6_PKS6_NS0_5tupleIJPbS6_EEENSN_IJSK_SK_EEENS0_18inequality_wrapperINSA_8EqualityEEEPlJS6_EEE10hipError_tPvRmT3_T4_T5_T6_T7_T9_mT8_P12ihipStream_tbDpT10_ENKUlT_T0_E_clISt17integral_constantIbLb1EES1E_EEDaS19_S1A_EUlS19_E_NS1_11comp_targetILNS1_3genE0ELNS1_11target_archE4294967295ELNS1_3gpuE0ELNS1_3repE0EEENS1_30default_config_static_selectorELNS0_4arch9wavefront6targetE0EEEvT1_, .Lfunc_end22-_ZN7rocprim17ROCPRIM_400000_NS6detail17trampoline_kernelINS0_14default_configENS1_25partition_config_selectorILNS1_17partition_subalgoE8EbNS0_10empty_typeEbEEZZNS1_14partition_implILS5_8ELb0ES3_jN6hipcub16HIPCUB_304000_NS22TransformInputIteratorIbN2at6native8internal12_GLOBAL__N_110LoadBoolOpEPKhlEEPS6_PKS6_NS0_5tupleIJPbS6_EEENSN_IJSK_SK_EEENS0_18inequality_wrapperINSA_8EqualityEEEPlJS6_EEE10hipError_tPvRmT3_T4_T5_T6_T7_T9_mT8_P12ihipStream_tbDpT10_ENKUlT_T0_E_clISt17integral_constantIbLb1EES1E_EEDaS19_S1A_EUlS19_E_NS1_11comp_targetILNS1_3genE0ELNS1_11target_archE4294967295ELNS1_3gpuE0ELNS1_3repE0EEENS1_30default_config_static_selectorELNS0_4arch9wavefront6targetE0EEEvT1_
                                        ; -- End function
	.set _ZN7rocprim17ROCPRIM_400000_NS6detail17trampoline_kernelINS0_14default_configENS1_25partition_config_selectorILNS1_17partition_subalgoE8EbNS0_10empty_typeEbEEZZNS1_14partition_implILS5_8ELb0ES3_jN6hipcub16HIPCUB_304000_NS22TransformInputIteratorIbN2at6native8internal12_GLOBAL__N_110LoadBoolOpEPKhlEEPS6_PKS6_NS0_5tupleIJPbS6_EEENSN_IJSK_SK_EEENS0_18inequality_wrapperINSA_8EqualityEEEPlJS6_EEE10hipError_tPvRmT3_T4_T5_T6_T7_T9_mT8_P12ihipStream_tbDpT10_ENKUlT_T0_E_clISt17integral_constantIbLb1EES1E_EEDaS19_S1A_EUlS19_E_NS1_11comp_targetILNS1_3genE0ELNS1_11target_archE4294967295ELNS1_3gpuE0ELNS1_3repE0EEENS1_30default_config_static_selectorELNS0_4arch9wavefront6targetE0EEEvT1_.num_vgpr, 0
	.set _ZN7rocprim17ROCPRIM_400000_NS6detail17trampoline_kernelINS0_14default_configENS1_25partition_config_selectorILNS1_17partition_subalgoE8EbNS0_10empty_typeEbEEZZNS1_14partition_implILS5_8ELb0ES3_jN6hipcub16HIPCUB_304000_NS22TransformInputIteratorIbN2at6native8internal12_GLOBAL__N_110LoadBoolOpEPKhlEEPS6_PKS6_NS0_5tupleIJPbS6_EEENSN_IJSK_SK_EEENS0_18inequality_wrapperINSA_8EqualityEEEPlJS6_EEE10hipError_tPvRmT3_T4_T5_T6_T7_T9_mT8_P12ihipStream_tbDpT10_ENKUlT_T0_E_clISt17integral_constantIbLb1EES1E_EEDaS19_S1A_EUlS19_E_NS1_11comp_targetILNS1_3genE0ELNS1_11target_archE4294967295ELNS1_3gpuE0ELNS1_3repE0EEENS1_30default_config_static_selectorELNS0_4arch9wavefront6targetE0EEEvT1_.num_agpr, 0
	.set _ZN7rocprim17ROCPRIM_400000_NS6detail17trampoline_kernelINS0_14default_configENS1_25partition_config_selectorILNS1_17partition_subalgoE8EbNS0_10empty_typeEbEEZZNS1_14partition_implILS5_8ELb0ES3_jN6hipcub16HIPCUB_304000_NS22TransformInputIteratorIbN2at6native8internal12_GLOBAL__N_110LoadBoolOpEPKhlEEPS6_PKS6_NS0_5tupleIJPbS6_EEENSN_IJSK_SK_EEENS0_18inequality_wrapperINSA_8EqualityEEEPlJS6_EEE10hipError_tPvRmT3_T4_T5_T6_T7_T9_mT8_P12ihipStream_tbDpT10_ENKUlT_T0_E_clISt17integral_constantIbLb1EES1E_EEDaS19_S1A_EUlS19_E_NS1_11comp_targetILNS1_3genE0ELNS1_11target_archE4294967295ELNS1_3gpuE0ELNS1_3repE0EEENS1_30default_config_static_selectorELNS0_4arch9wavefront6targetE0EEEvT1_.numbered_sgpr, 0
	.set _ZN7rocprim17ROCPRIM_400000_NS6detail17trampoline_kernelINS0_14default_configENS1_25partition_config_selectorILNS1_17partition_subalgoE8EbNS0_10empty_typeEbEEZZNS1_14partition_implILS5_8ELb0ES3_jN6hipcub16HIPCUB_304000_NS22TransformInputIteratorIbN2at6native8internal12_GLOBAL__N_110LoadBoolOpEPKhlEEPS6_PKS6_NS0_5tupleIJPbS6_EEENSN_IJSK_SK_EEENS0_18inequality_wrapperINSA_8EqualityEEEPlJS6_EEE10hipError_tPvRmT3_T4_T5_T6_T7_T9_mT8_P12ihipStream_tbDpT10_ENKUlT_T0_E_clISt17integral_constantIbLb1EES1E_EEDaS19_S1A_EUlS19_E_NS1_11comp_targetILNS1_3genE0ELNS1_11target_archE4294967295ELNS1_3gpuE0ELNS1_3repE0EEENS1_30default_config_static_selectorELNS0_4arch9wavefront6targetE0EEEvT1_.num_named_barrier, 0
	.set _ZN7rocprim17ROCPRIM_400000_NS6detail17trampoline_kernelINS0_14default_configENS1_25partition_config_selectorILNS1_17partition_subalgoE8EbNS0_10empty_typeEbEEZZNS1_14partition_implILS5_8ELb0ES3_jN6hipcub16HIPCUB_304000_NS22TransformInputIteratorIbN2at6native8internal12_GLOBAL__N_110LoadBoolOpEPKhlEEPS6_PKS6_NS0_5tupleIJPbS6_EEENSN_IJSK_SK_EEENS0_18inequality_wrapperINSA_8EqualityEEEPlJS6_EEE10hipError_tPvRmT3_T4_T5_T6_T7_T9_mT8_P12ihipStream_tbDpT10_ENKUlT_T0_E_clISt17integral_constantIbLb1EES1E_EEDaS19_S1A_EUlS19_E_NS1_11comp_targetILNS1_3genE0ELNS1_11target_archE4294967295ELNS1_3gpuE0ELNS1_3repE0EEENS1_30default_config_static_selectorELNS0_4arch9wavefront6targetE0EEEvT1_.private_seg_size, 0
	.set _ZN7rocprim17ROCPRIM_400000_NS6detail17trampoline_kernelINS0_14default_configENS1_25partition_config_selectorILNS1_17partition_subalgoE8EbNS0_10empty_typeEbEEZZNS1_14partition_implILS5_8ELb0ES3_jN6hipcub16HIPCUB_304000_NS22TransformInputIteratorIbN2at6native8internal12_GLOBAL__N_110LoadBoolOpEPKhlEEPS6_PKS6_NS0_5tupleIJPbS6_EEENSN_IJSK_SK_EEENS0_18inequality_wrapperINSA_8EqualityEEEPlJS6_EEE10hipError_tPvRmT3_T4_T5_T6_T7_T9_mT8_P12ihipStream_tbDpT10_ENKUlT_T0_E_clISt17integral_constantIbLb1EES1E_EEDaS19_S1A_EUlS19_E_NS1_11comp_targetILNS1_3genE0ELNS1_11target_archE4294967295ELNS1_3gpuE0ELNS1_3repE0EEENS1_30default_config_static_selectorELNS0_4arch9wavefront6targetE0EEEvT1_.uses_vcc, 0
	.set _ZN7rocprim17ROCPRIM_400000_NS6detail17trampoline_kernelINS0_14default_configENS1_25partition_config_selectorILNS1_17partition_subalgoE8EbNS0_10empty_typeEbEEZZNS1_14partition_implILS5_8ELb0ES3_jN6hipcub16HIPCUB_304000_NS22TransformInputIteratorIbN2at6native8internal12_GLOBAL__N_110LoadBoolOpEPKhlEEPS6_PKS6_NS0_5tupleIJPbS6_EEENSN_IJSK_SK_EEENS0_18inequality_wrapperINSA_8EqualityEEEPlJS6_EEE10hipError_tPvRmT3_T4_T5_T6_T7_T9_mT8_P12ihipStream_tbDpT10_ENKUlT_T0_E_clISt17integral_constantIbLb1EES1E_EEDaS19_S1A_EUlS19_E_NS1_11comp_targetILNS1_3genE0ELNS1_11target_archE4294967295ELNS1_3gpuE0ELNS1_3repE0EEENS1_30default_config_static_selectorELNS0_4arch9wavefront6targetE0EEEvT1_.uses_flat_scratch, 0
	.set _ZN7rocprim17ROCPRIM_400000_NS6detail17trampoline_kernelINS0_14default_configENS1_25partition_config_selectorILNS1_17partition_subalgoE8EbNS0_10empty_typeEbEEZZNS1_14partition_implILS5_8ELb0ES3_jN6hipcub16HIPCUB_304000_NS22TransformInputIteratorIbN2at6native8internal12_GLOBAL__N_110LoadBoolOpEPKhlEEPS6_PKS6_NS0_5tupleIJPbS6_EEENSN_IJSK_SK_EEENS0_18inequality_wrapperINSA_8EqualityEEEPlJS6_EEE10hipError_tPvRmT3_T4_T5_T6_T7_T9_mT8_P12ihipStream_tbDpT10_ENKUlT_T0_E_clISt17integral_constantIbLb1EES1E_EEDaS19_S1A_EUlS19_E_NS1_11comp_targetILNS1_3genE0ELNS1_11target_archE4294967295ELNS1_3gpuE0ELNS1_3repE0EEENS1_30default_config_static_selectorELNS0_4arch9wavefront6targetE0EEEvT1_.has_dyn_sized_stack, 0
	.set _ZN7rocprim17ROCPRIM_400000_NS6detail17trampoline_kernelINS0_14default_configENS1_25partition_config_selectorILNS1_17partition_subalgoE8EbNS0_10empty_typeEbEEZZNS1_14partition_implILS5_8ELb0ES3_jN6hipcub16HIPCUB_304000_NS22TransformInputIteratorIbN2at6native8internal12_GLOBAL__N_110LoadBoolOpEPKhlEEPS6_PKS6_NS0_5tupleIJPbS6_EEENSN_IJSK_SK_EEENS0_18inequality_wrapperINSA_8EqualityEEEPlJS6_EEE10hipError_tPvRmT3_T4_T5_T6_T7_T9_mT8_P12ihipStream_tbDpT10_ENKUlT_T0_E_clISt17integral_constantIbLb1EES1E_EEDaS19_S1A_EUlS19_E_NS1_11comp_targetILNS1_3genE0ELNS1_11target_archE4294967295ELNS1_3gpuE0ELNS1_3repE0EEENS1_30default_config_static_selectorELNS0_4arch9wavefront6targetE0EEEvT1_.has_recursion, 0
	.set _ZN7rocprim17ROCPRIM_400000_NS6detail17trampoline_kernelINS0_14default_configENS1_25partition_config_selectorILNS1_17partition_subalgoE8EbNS0_10empty_typeEbEEZZNS1_14partition_implILS5_8ELb0ES3_jN6hipcub16HIPCUB_304000_NS22TransformInputIteratorIbN2at6native8internal12_GLOBAL__N_110LoadBoolOpEPKhlEEPS6_PKS6_NS0_5tupleIJPbS6_EEENSN_IJSK_SK_EEENS0_18inequality_wrapperINSA_8EqualityEEEPlJS6_EEE10hipError_tPvRmT3_T4_T5_T6_T7_T9_mT8_P12ihipStream_tbDpT10_ENKUlT_T0_E_clISt17integral_constantIbLb1EES1E_EEDaS19_S1A_EUlS19_E_NS1_11comp_targetILNS1_3genE0ELNS1_11target_archE4294967295ELNS1_3gpuE0ELNS1_3repE0EEENS1_30default_config_static_selectorELNS0_4arch9wavefront6targetE0EEEvT1_.has_indirect_call, 0
	.section	.AMDGPU.csdata,"",@progbits
; Kernel info:
; codeLenInByte = 4
; TotalNumSgprs: 0
; NumVgprs: 0
; ScratchSize: 0
; MemoryBound: 0
; FloatMode: 240
; IeeeMode: 1
; LDSByteSize: 0 bytes/workgroup (compile time only)
; SGPRBlocks: 0
; VGPRBlocks: 0
; NumSGPRsForWavesPerEU: 1
; NumVGPRsForWavesPerEU: 1
; NamedBarCnt: 0
; Occupancy: 16
; WaveLimiterHint : 0
; COMPUTE_PGM_RSRC2:SCRATCH_EN: 0
; COMPUTE_PGM_RSRC2:USER_SGPR: 2
; COMPUTE_PGM_RSRC2:TRAP_HANDLER: 0
; COMPUTE_PGM_RSRC2:TGID_X_EN: 1
; COMPUTE_PGM_RSRC2:TGID_Y_EN: 0
; COMPUTE_PGM_RSRC2:TGID_Z_EN: 0
; COMPUTE_PGM_RSRC2:TIDIG_COMP_CNT: 0
	.section	.text._ZN7rocprim17ROCPRIM_400000_NS6detail17trampoline_kernelINS0_14default_configENS1_25partition_config_selectorILNS1_17partition_subalgoE8EbNS0_10empty_typeEbEEZZNS1_14partition_implILS5_8ELb0ES3_jN6hipcub16HIPCUB_304000_NS22TransformInputIteratorIbN2at6native8internal12_GLOBAL__N_110LoadBoolOpEPKhlEEPS6_PKS6_NS0_5tupleIJPbS6_EEENSN_IJSK_SK_EEENS0_18inequality_wrapperINSA_8EqualityEEEPlJS6_EEE10hipError_tPvRmT3_T4_T5_T6_T7_T9_mT8_P12ihipStream_tbDpT10_ENKUlT_T0_E_clISt17integral_constantIbLb1EES1E_EEDaS19_S1A_EUlS19_E_NS1_11comp_targetILNS1_3genE5ELNS1_11target_archE942ELNS1_3gpuE9ELNS1_3repE0EEENS1_30default_config_static_selectorELNS0_4arch9wavefront6targetE0EEEvT1_,"axG",@progbits,_ZN7rocprim17ROCPRIM_400000_NS6detail17trampoline_kernelINS0_14default_configENS1_25partition_config_selectorILNS1_17partition_subalgoE8EbNS0_10empty_typeEbEEZZNS1_14partition_implILS5_8ELb0ES3_jN6hipcub16HIPCUB_304000_NS22TransformInputIteratorIbN2at6native8internal12_GLOBAL__N_110LoadBoolOpEPKhlEEPS6_PKS6_NS0_5tupleIJPbS6_EEENSN_IJSK_SK_EEENS0_18inequality_wrapperINSA_8EqualityEEEPlJS6_EEE10hipError_tPvRmT3_T4_T5_T6_T7_T9_mT8_P12ihipStream_tbDpT10_ENKUlT_T0_E_clISt17integral_constantIbLb1EES1E_EEDaS19_S1A_EUlS19_E_NS1_11comp_targetILNS1_3genE5ELNS1_11target_archE942ELNS1_3gpuE9ELNS1_3repE0EEENS1_30default_config_static_selectorELNS0_4arch9wavefront6targetE0EEEvT1_,comdat
	.globl	_ZN7rocprim17ROCPRIM_400000_NS6detail17trampoline_kernelINS0_14default_configENS1_25partition_config_selectorILNS1_17partition_subalgoE8EbNS0_10empty_typeEbEEZZNS1_14partition_implILS5_8ELb0ES3_jN6hipcub16HIPCUB_304000_NS22TransformInputIteratorIbN2at6native8internal12_GLOBAL__N_110LoadBoolOpEPKhlEEPS6_PKS6_NS0_5tupleIJPbS6_EEENSN_IJSK_SK_EEENS0_18inequality_wrapperINSA_8EqualityEEEPlJS6_EEE10hipError_tPvRmT3_T4_T5_T6_T7_T9_mT8_P12ihipStream_tbDpT10_ENKUlT_T0_E_clISt17integral_constantIbLb1EES1E_EEDaS19_S1A_EUlS19_E_NS1_11comp_targetILNS1_3genE5ELNS1_11target_archE942ELNS1_3gpuE9ELNS1_3repE0EEENS1_30default_config_static_selectorELNS0_4arch9wavefront6targetE0EEEvT1_ ; -- Begin function _ZN7rocprim17ROCPRIM_400000_NS6detail17trampoline_kernelINS0_14default_configENS1_25partition_config_selectorILNS1_17partition_subalgoE8EbNS0_10empty_typeEbEEZZNS1_14partition_implILS5_8ELb0ES3_jN6hipcub16HIPCUB_304000_NS22TransformInputIteratorIbN2at6native8internal12_GLOBAL__N_110LoadBoolOpEPKhlEEPS6_PKS6_NS0_5tupleIJPbS6_EEENSN_IJSK_SK_EEENS0_18inequality_wrapperINSA_8EqualityEEEPlJS6_EEE10hipError_tPvRmT3_T4_T5_T6_T7_T9_mT8_P12ihipStream_tbDpT10_ENKUlT_T0_E_clISt17integral_constantIbLb1EES1E_EEDaS19_S1A_EUlS19_E_NS1_11comp_targetILNS1_3genE5ELNS1_11target_archE942ELNS1_3gpuE9ELNS1_3repE0EEENS1_30default_config_static_selectorELNS0_4arch9wavefront6targetE0EEEvT1_
	.p2align	8
	.type	_ZN7rocprim17ROCPRIM_400000_NS6detail17trampoline_kernelINS0_14default_configENS1_25partition_config_selectorILNS1_17partition_subalgoE8EbNS0_10empty_typeEbEEZZNS1_14partition_implILS5_8ELb0ES3_jN6hipcub16HIPCUB_304000_NS22TransformInputIteratorIbN2at6native8internal12_GLOBAL__N_110LoadBoolOpEPKhlEEPS6_PKS6_NS0_5tupleIJPbS6_EEENSN_IJSK_SK_EEENS0_18inequality_wrapperINSA_8EqualityEEEPlJS6_EEE10hipError_tPvRmT3_T4_T5_T6_T7_T9_mT8_P12ihipStream_tbDpT10_ENKUlT_T0_E_clISt17integral_constantIbLb1EES1E_EEDaS19_S1A_EUlS19_E_NS1_11comp_targetILNS1_3genE5ELNS1_11target_archE942ELNS1_3gpuE9ELNS1_3repE0EEENS1_30default_config_static_selectorELNS0_4arch9wavefront6targetE0EEEvT1_,@function
_ZN7rocprim17ROCPRIM_400000_NS6detail17trampoline_kernelINS0_14default_configENS1_25partition_config_selectorILNS1_17partition_subalgoE8EbNS0_10empty_typeEbEEZZNS1_14partition_implILS5_8ELb0ES3_jN6hipcub16HIPCUB_304000_NS22TransformInputIteratorIbN2at6native8internal12_GLOBAL__N_110LoadBoolOpEPKhlEEPS6_PKS6_NS0_5tupleIJPbS6_EEENSN_IJSK_SK_EEENS0_18inequality_wrapperINSA_8EqualityEEEPlJS6_EEE10hipError_tPvRmT3_T4_T5_T6_T7_T9_mT8_P12ihipStream_tbDpT10_ENKUlT_T0_E_clISt17integral_constantIbLb1EES1E_EEDaS19_S1A_EUlS19_E_NS1_11comp_targetILNS1_3genE5ELNS1_11target_archE942ELNS1_3gpuE9ELNS1_3repE0EEENS1_30default_config_static_selectorELNS0_4arch9wavefront6targetE0EEEvT1_: ; @_ZN7rocprim17ROCPRIM_400000_NS6detail17trampoline_kernelINS0_14default_configENS1_25partition_config_selectorILNS1_17partition_subalgoE8EbNS0_10empty_typeEbEEZZNS1_14partition_implILS5_8ELb0ES3_jN6hipcub16HIPCUB_304000_NS22TransformInputIteratorIbN2at6native8internal12_GLOBAL__N_110LoadBoolOpEPKhlEEPS6_PKS6_NS0_5tupleIJPbS6_EEENSN_IJSK_SK_EEENS0_18inequality_wrapperINSA_8EqualityEEEPlJS6_EEE10hipError_tPvRmT3_T4_T5_T6_T7_T9_mT8_P12ihipStream_tbDpT10_ENKUlT_T0_E_clISt17integral_constantIbLb1EES1E_EEDaS19_S1A_EUlS19_E_NS1_11comp_targetILNS1_3genE5ELNS1_11target_archE942ELNS1_3gpuE9ELNS1_3repE0EEENS1_30default_config_static_selectorELNS0_4arch9wavefront6targetE0EEEvT1_
; %bb.0:
	.section	.rodata,"a",@progbits
	.p2align	6, 0x0
	.amdhsa_kernel _ZN7rocprim17ROCPRIM_400000_NS6detail17trampoline_kernelINS0_14default_configENS1_25partition_config_selectorILNS1_17partition_subalgoE8EbNS0_10empty_typeEbEEZZNS1_14partition_implILS5_8ELb0ES3_jN6hipcub16HIPCUB_304000_NS22TransformInputIteratorIbN2at6native8internal12_GLOBAL__N_110LoadBoolOpEPKhlEEPS6_PKS6_NS0_5tupleIJPbS6_EEENSN_IJSK_SK_EEENS0_18inequality_wrapperINSA_8EqualityEEEPlJS6_EEE10hipError_tPvRmT3_T4_T5_T6_T7_T9_mT8_P12ihipStream_tbDpT10_ENKUlT_T0_E_clISt17integral_constantIbLb1EES1E_EEDaS19_S1A_EUlS19_E_NS1_11comp_targetILNS1_3genE5ELNS1_11target_archE942ELNS1_3gpuE9ELNS1_3repE0EEENS1_30default_config_static_selectorELNS0_4arch9wavefront6targetE0EEEvT1_
		.amdhsa_group_segment_fixed_size 0
		.amdhsa_private_segment_fixed_size 0
		.amdhsa_kernarg_size 136
		.amdhsa_user_sgpr_count 2
		.amdhsa_user_sgpr_dispatch_ptr 0
		.amdhsa_user_sgpr_queue_ptr 0
		.amdhsa_user_sgpr_kernarg_segment_ptr 1
		.amdhsa_user_sgpr_dispatch_id 0
		.amdhsa_user_sgpr_kernarg_preload_length 0
		.amdhsa_user_sgpr_kernarg_preload_offset 0
		.amdhsa_user_sgpr_private_segment_size 0
		.amdhsa_wavefront_size32 1
		.amdhsa_uses_dynamic_stack 0
		.amdhsa_enable_private_segment 0
		.amdhsa_system_sgpr_workgroup_id_x 1
		.amdhsa_system_sgpr_workgroup_id_y 0
		.amdhsa_system_sgpr_workgroup_id_z 0
		.amdhsa_system_sgpr_workgroup_info 0
		.amdhsa_system_vgpr_workitem_id 0
		.amdhsa_next_free_vgpr 1
		.amdhsa_next_free_sgpr 1
		.amdhsa_named_barrier_count 0
		.amdhsa_reserve_vcc 0
		.amdhsa_float_round_mode_32 0
		.amdhsa_float_round_mode_16_64 0
		.amdhsa_float_denorm_mode_32 3
		.amdhsa_float_denorm_mode_16_64 3
		.amdhsa_fp16_overflow 0
		.amdhsa_memory_ordered 1
		.amdhsa_forward_progress 1
		.amdhsa_inst_pref_size 0
		.amdhsa_round_robin_scheduling 0
		.amdhsa_exception_fp_ieee_invalid_op 0
		.amdhsa_exception_fp_denorm_src 0
		.amdhsa_exception_fp_ieee_div_zero 0
		.amdhsa_exception_fp_ieee_overflow 0
		.amdhsa_exception_fp_ieee_underflow 0
		.amdhsa_exception_fp_ieee_inexact 0
		.amdhsa_exception_int_div_zero 0
	.end_amdhsa_kernel
	.section	.text._ZN7rocprim17ROCPRIM_400000_NS6detail17trampoline_kernelINS0_14default_configENS1_25partition_config_selectorILNS1_17partition_subalgoE8EbNS0_10empty_typeEbEEZZNS1_14partition_implILS5_8ELb0ES3_jN6hipcub16HIPCUB_304000_NS22TransformInputIteratorIbN2at6native8internal12_GLOBAL__N_110LoadBoolOpEPKhlEEPS6_PKS6_NS0_5tupleIJPbS6_EEENSN_IJSK_SK_EEENS0_18inequality_wrapperINSA_8EqualityEEEPlJS6_EEE10hipError_tPvRmT3_T4_T5_T6_T7_T9_mT8_P12ihipStream_tbDpT10_ENKUlT_T0_E_clISt17integral_constantIbLb1EES1E_EEDaS19_S1A_EUlS19_E_NS1_11comp_targetILNS1_3genE5ELNS1_11target_archE942ELNS1_3gpuE9ELNS1_3repE0EEENS1_30default_config_static_selectorELNS0_4arch9wavefront6targetE0EEEvT1_,"axG",@progbits,_ZN7rocprim17ROCPRIM_400000_NS6detail17trampoline_kernelINS0_14default_configENS1_25partition_config_selectorILNS1_17partition_subalgoE8EbNS0_10empty_typeEbEEZZNS1_14partition_implILS5_8ELb0ES3_jN6hipcub16HIPCUB_304000_NS22TransformInputIteratorIbN2at6native8internal12_GLOBAL__N_110LoadBoolOpEPKhlEEPS6_PKS6_NS0_5tupleIJPbS6_EEENSN_IJSK_SK_EEENS0_18inequality_wrapperINSA_8EqualityEEEPlJS6_EEE10hipError_tPvRmT3_T4_T5_T6_T7_T9_mT8_P12ihipStream_tbDpT10_ENKUlT_T0_E_clISt17integral_constantIbLb1EES1E_EEDaS19_S1A_EUlS19_E_NS1_11comp_targetILNS1_3genE5ELNS1_11target_archE942ELNS1_3gpuE9ELNS1_3repE0EEENS1_30default_config_static_selectorELNS0_4arch9wavefront6targetE0EEEvT1_,comdat
.Lfunc_end23:
	.size	_ZN7rocprim17ROCPRIM_400000_NS6detail17trampoline_kernelINS0_14default_configENS1_25partition_config_selectorILNS1_17partition_subalgoE8EbNS0_10empty_typeEbEEZZNS1_14partition_implILS5_8ELb0ES3_jN6hipcub16HIPCUB_304000_NS22TransformInputIteratorIbN2at6native8internal12_GLOBAL__N_110LoadBoolOpEPKhlEEPS6_PKS6_NS0_5tupleIJPbS6_EEENSN_IJSK_SK_EEENS0_18inequality_wrapperINSA_8EqualityEEEPlJS6_EEE10hipError_tPvRmT3_T4_T5_T6_T7_T9_mT8_P12ihipStream_tbDpT10_ENKUlT_T0_E_clISt17integral_constantIbLb1EES1E_EEDaS19_S1A_EUlS19_E_NS1_11comp_targetILNS1_3genE5ELNS1_11target_archE942ELNS1_3gpuE9ELNS1_3repE0EEENS1_30default_config_static_selectorELNS0_4arch9wavefront6targetE0EEEvT1_, .Lfunc_end23-_ZN7rocprim17ROCPRIM_400000_NS6detail17trampoline_kernelINS0_14default_configENS1_25partition_config_selectorILNS1_17partition_subalgoE8EbNS0_10empty_typeEbEEZZNS1_14partition_implILS5_8ELb0ES3_jN6hipcub16HIPCUB_304000_NS22TransformInputIteratorIbN2at6native8internal12_GLOBAL__N_110LoadBoolOpEPKhlEEPS6_PKS6_NS0_5tupleIJPbS6_EEENSN_IJSK_SK_EEENS0_18inequality_wrapperINSA_8EqualityEEEPlJS6_EEE10hipError_tPvRmT3_T4_T5_T6_T7_T9_mT8_P12ihipStream_tbDpT10_ENKUlT_T0_E_clISt17integral_constantIbLb1EES1E_EEDaS19_S1A_EUlS19_E_NS1_11comp_targetILNS1_3genE5ELNS1_11target_archE942ELNS1_3gpuE9ELNS1_3repE0EEENS1_30default_config_static_selectorELNS0_4arch9wavefront6targetE0EEEvT1_
                                        ; -- End function
	.set _ZN7rocprim17ROCPRIM_400000_NS6detail17trampoline_kernelINS0_14default_configENS1_25partition_config_selectorILNS1_17partition_subalgoE8EbNS0_10empty_typeEbEEZZNS1_14partition_implILS5_8ELb0ES3_jN6hipcub16HIPCUB_304000_NS22TransformInputIteratorIbN2at6native8internal12_GLOBAL__N_110LoadBoolOpEPKhlEEPS6_PKS6_NS0_5tupleIJPbS6_EEENSN_IJSK_SK_EEENS0_18inequality_wrapperINSA_8EqualityEEEPlJS6_EEE10hipError_tPvRmT3_T4_T5_T6_T7_T9_mT8_P12ihipStream_tbDpT10_ENKUlT_T0_E_clISt17integral_constantIbLb1EES1E_EEDaS19_S1A_EUlS19_E_NS1_11comp_targetILNS1_3genE5ELNS1_11target_archE942ELNS1_3gpuE9ELNS1_3repE0EEENS1_30default_config_static_selectorELNS0_4arch9wavefront6targetE0EEEvT1_.num_vgpr, 0
	.set _ZN7rocprim17ROCPRIM_400000_NS6detail17trampoline_kernelINS0_14default_configENS1_25partition_config_selectorILNS1_17partition_subalgoE8EbNS0_10empty_typeEbEEZZNS1_14partition_implILS5_8ELb0ES3_jN6hipcub16HIPCUB_304000_NS22TransformInputIteratorIbN2at6native8internal12_GLOBAL__N_110LoadBoolOpEPKhlEEPS6_PKS6_NS0_5tupleIJPbS6_EEENSN_IJSK_SK_EEENS0_18inequality_wrapperINSA_8EqualityEEEPlJS6_EEE10hipError_tPvRmT3_T4_T5_T6_T7_T9_mT8_P12ihipStream_tbDpT10_ENKUlT_T0_E_clISt17integral_constantIbLb1EES1E_EEDaS19_S1A_EUlS19_E_NS1_11comp_targetILNS1_3genE5ELNS1_11target_archE942ELNS1_3gpuE9ELNS1_3repE0EEENS1_30default_config_static_selectorELNS0_4arch9wavefront6targetE0EEEvT1_.num_agpr, 0
	.set _ZN7rocprim17ROCPRIM_400000_NS6detail17trampoline_kernelINS0_14default_configENS1_25partition_config_selectorILNS1_17partition_subalgoE8EbNS0_10empty_typeEbEEZZNS1_14partition_implILS5_8ELb0ES3_jN6hipcub16HIPCUB_304000_NS22TransformInputIteratorIbN2at6native8internal12_GLOBAL__N_110LoadBoolOpEPKhlEEPS6_PKS6_NS0_5tupleIJPbS6_EEENSN_IJSK_SK_EEENS0_18inequality_wrapperINSA_8EqualityEEEPlJS6_EEE10hipError_tPvRmT3_T4_T5_T6_T7_T9_mT8_P12ihipStream_tbDpT10_ENKUlT_T0_E_clISt17integral_constantIbLb1EES1E_EEDaS19_S1A_EUlS19_E_NS1_11comp_targetILNS1_3genE5ELNS1_11target_archE942ELNS1_3gpuE9ELNS1_3repE0EEENS1_30default_config_static_selectorELNS0_4arch9wavefront6targetE0EEEvT1_.numbered_sgpr, 0
	.set _ZN7rocprim17ROCPRIM_400000_NS6detail17trampoline_kernelINS0_14default_configENS1_25partition_config_selectorILNS1_17partition_subalgoE8EbNS0_10empty_typeEbEEZZNS1_14partition_implILS5_8ELb0ES3_jN6hipcub16HIPCUB_304000_NS22TransformInputIteratorIbN2at6native8internal12_GLOBAL__N_110LoadBoolOpEPKhlEEPS6_PKS6_NS0_5tupleIJPbS6_EEENSN_IJSK_SK_EEENS0_18inequality_wrapperINSA_8EqualityEEEPlJS6_EEE10hipError_tPvRmT3_T4_T5_T6_T7_T9_mT8_P12ihipStream_tbDpT10_ENKUlT_T0_E_clISt17integral_constantIbLb1EES1E_EEDaS19_S1A_EUlS19_E_NS1_11comp_targetILNS1_3genE5ELNS1_11target_archE942ELNS1_3gpuE9ELNS1_3repE0EEENS1_30default_config_static_selectorELNS0_4arch9wavefront6targetE0EEEvT1_.num_named_barrier, 0
	.set _ZN7rocprim17ROCPRIM_400000_NS6detail17trampoline_kernelINS0_14default_configENS1_25partition_config_selectorILNS1_17partition_subalgoE8EbNS0_10empty_typeEbEEZZNS1_14partition_implILS5_8ELb0ES3_jN6hipcub16HIPCUB_304000_NS22TransformInputIteratorIbN2at6native8internal12_GLOBAL__N_110LoadBoolOpEPKhlEEPS6_PKS6_NS0_5tupleIJPbS6_EEENSN_IJSK_SK_EEENS0_18inequality_wrapperINSA_8EqualityEEEPlJS6_EEE10hipError_tPvRmT3_T4_T5_T6_T7_T9_mT8_P12ihipStream_tbDpT10_ENKUlT_T0_E_clISt17integral_constantIbLb1EES1E_EEDaS19_S1A_EUlS19_E_NS1_11comp_targetILNS1_3genE5ELNS1_11target_archE942ELNS1_3gpuE9ELNS1_3repE0EEENS1_30default_config_static_selectorELNS0_4arch9wavefront6targetE0EEEvT1_.private_seg_size, 0
	.set _ZN7rocprim17ROCPRIM_400000_NS6detail17trampoline_kernelINS0_14default_configENS1_25partition_config_selectorILNS1_17partition_subalgoE8EbNS0_10empty_typeEbEEZZNS1_14partition_implILS5_8ELb0ES3_jN6hipcub16HIPCUB_304000_NS22TransformInputIteratorIbN2at6native8internal12_GLOBAL__N_110LoadBoolOpEPKhlEEPS6_PKS6_NS0_5tupleIJPbS6_EEENSN_IJSK_SK_EEENS0_18inequality_wrapperINSA_8EqualityEEEPlJS6_EEE10hipError_tPvRmT3_T4_T5_T6_T7_T9_mT8_P12ihipStream_tbDpT10_ENKUlT_T0_E_clISt17integral_constantIbLb1EES1E_EEDaS19_S1A_EUlS19_E_NS1_11comp_targetILNS1_3genE5ELNS1_11target_archE942ELNS1_3gpuE9ELNS1_3repE0EEENS1_30default_config_static_selectorELNS0_4arch9wavefront6targetE0EEEvT1_.uses_vcc, 0
	.set _ZN7rocprim17ROCPRIM_400000_NS6detail17trampoline_kernelINS0_14default_configENS1_25partition_config_selectorILNS1_17partition_subalgoE8EbNS0_10empty_typeEbEEZZNS1_14partition_implILS5_8ELb0ES3_jN6hipcub16HIPCUB_304000_NS22TransformInputIteratorIbN2at6native8internal12_GLOBAL__N_110LoadBoolOpEPKhlEEPS6_PKS6_NS0_5tupleIJPbS6_EEENSN_IJSK_SK_EEENS0_18inequality_wrapperINSA_8EqualityEEEPlJS6_EEE10hipError_tPvRmT3_T4_T5_T6_T7_T9_mT8_P12ihipStream_tbDpT10_ENKUlT_T0_E_clISt17integral_constantIbLb1EES1E_EEDaS19_S1A_EUlS19_E_NS1_11comp_targetILNS1_3genE5ELNS1_11target_archE942ELNS1_3gpuE9ELNS1_3repE0EEENS1_30default_config_static_selectorELNS0_4arch9wavefront6targetE0EEEvT1_.uses_flat_scratch, 0
	.set _ZN7rocprim17ROCPRIM_400000_NS6detail17trampoline_kernelINS0_14default_configENS1_25partition_config_selectorILNS1_17partition_subalgoE8EbNS0_10empty_typeEbEEZZNS1_14partition_implILS5_8ELb0ES3_jN6hipcub16HIPCUB_304000_NS22TransformInputIteratorIbN2at6native8internal12_GLOBAL__N_110LoadBoolOpEPKhlEEPS6_PKS6_NS0_5tupleIJPbS6_EEENSN_IJSK_SK_EEENS0_18inequality_wrapperINSA_8EqualityEEEPlJS6_EEE10hipError_tPvRmT3_T4_T5_T6_T7_T9_mT8_P12ihipStream_tbDpT10_ENKUlT_T0_E_clISt17integral_constantIbLb1EES1E_EEDaS19_S1A_EUlS19_E_NS1_11comp_targetILNS1_3genE5ELNS1_11target_archE942ELNS1_3gpuE9ELNS1_3repE0EEENS1_30default_config_static_selectorELNS0_4arch9wavefront6targetE0EEEvT1_.has_dyn_sized_stack, 0
	.set _ZN7rocprim17ROCPRIM_400000_NS6detail17trampoline_kernelINS0_14default_configENS1_25partition_config_selectorILNS1_17partition_subalgoE8EbNS0_10empty_typeEbEEZZNS1_14partition_implILS5_8ELb0ES3_jN6hipcub16HIPCUB_304000_NS22TransformInputIteratorIbN2at6native8internal12_GLOBAL__N_110LoadBoolOpEPKhlEEPS6_PKS6_NS0_5tupleIJPbS6_EEENSN_IJSK_SK_EEENS0_18inequality_wrapperINSA_8EqualityEEEPlJS6_EEE10hipError_tPvRmT3_T4_T5_T6_T7_T9_mT8_P12ihipStream_tbDpT10_ENKUlT_T0_E_clISt17integral_constantIbLb1EES1E_EEDaS19_S1A_EUlS19_E_NS1_11comp_targetILNS1_3genE5ELNS1_11target_archE942ELNS1_3gpuE9ELNS1_3repE0EEENS1_30default_config_static_selectorELNS0_4arch9wavefront6targetE0EEEvT1_.has_recursion, 0
	.set _ZN7rocprim17ROCPRIM_400000_NS6detail17trampoline_kernelINS0_14default_configENS1_25partition_config_selectorILNS1_17partition_subalgoE8EbNS0_10empty_typeEbEEZZNS1_14partition_implILS5_8ELb0ES3_jN6hipcub16HIPCUB_304000_NS22TransformInputIteratorIbN2at6native8internal12_GLOBAL__N_110LoadBoolOpEPKhlEEPS6_PKS6_NS0_5tupleIJPbS6_EEENSN_IJSK_SK_EEENS0_18inequality_wrapperINSA_8EqualityEEEPlJS6_EEE10hipError_tPvRmT3_T4_T5_T6_T7_T9_mT8_P12ihipStream_tbDpT10_ENKUlT_T0_E_clISt17integral_constantIbLb1EES1E_EEDaS19_S1A_EUlS19_E_NS1_11comp_targetILNS1_3genE5ELNS1_11target_archE942ELNS1_3gpuE9ELNS1_3repE0EEENS1_30default_config_static_selectorELNS0_4arch9wavefront6targetE0EEEvT1_.has_indirect_call, 0
	.section	.AMDGPU.csdata,"",@progbits
; Kernel info:
; codeLenInByte = 0
; TotalNumSgprs: 0
; NumVgprs: 0
; ScratchSize: 0
; MemoryBound: 0
; FloatMode: 240
; IeeeMode: 1
; LDSByteSize: 0 bytes/workgroup (compile time only)
; SGPRBlocks: 0
; VGPRBlocks: 0
; NumSGPRsForWavesPerEU: 1
; NumVGPRsForWavesPerEU: 1
; NamedBarCnt: 0
; Occupancy: 16
; WaveLimiterHint : 0
; COMPUTE_PGM_RSRC2:SCRATCH_EN: 0
; COMPUTE_PGM_RSRC2:USER_SGPR: 2
; COMPUTE_PGM_RSRC2:TRAP_HANDLER: 0
; COMPUTE_PGM_RSRC2:TGID_X_EN: 1
; COMPUTE_PGM_RSRC2:TGID_Y_EN: 0
; COMPUTE_PGM_RSRC2:TGID_Z_EN: 0
; COMPUTE_PGM_RSRC2:TIDIG_COMP_CNT: 0
	.section	.text._ZN7rocprim17ROCPRIM_400000_NS6detail17trampoline_kernelINS0_14default_configENS1_25partition_config_selectorILNS1_17partition_subalgoE8EbNS0_10empty_typeEbEEZZNS1_14partition_implILS5_8ELb0ES3_jN6hipcub16HIPCUB_304000_NS22TransformInputIteratorIbN2at6native8internal12_GLOBAL__N_110LoadBoolOpEPKhlEEPS6_PKS6_NS0_5tupleIJPbS6_EEENSN_IJSK_SK_EEENS0_18inequality_wrapperINSA_8EqualityEEEPlJS6_EEE10hipError_tPvRmT3_T4_T5_T6_T7_T9_mT8_P12ihipStream_tbDpT10_ENKUlT_T0_E_clISt17integral_constantIbLb1EES1E_EEDaS19_S1A_EUlS19_E_NS1_11comp_targetILNS1_3genE4ELNS1_11target_archE910ELNS1_3gpuE8ELNS1_3repE0EEENS1_30default_config_static_selectorELNS0_4arch9wavefront6targetE0EEEvT1_,"axG",@progbits,_ZN7rocprim17ROCPRIM_400000_NS6detail17trampoline_kernelINS0_14default_configENS1_25partition_config_selectorILNS1_17partition_subalgoE8EbNS0_10empty_typeEbEEZZNS1_14partition_implILS5_8ELb0ES3_jN6hipcub16HIPCUB_304000_NS22TransformInputIteratorIbN2at6native8internal12_GLOBAL__N_110LoadBoolOpEPKhlEEPS6_PKS6_NS0_5tupleIJPbS6_EEENSN_IJSK_SK_EEENS0_18inequality_wrapperINSA_8EqualityEEEPlJS6_EEE10hipError_tPvRmT3_T4_T5_T6_T7_T9_mT8_P12ihipStream_tbDpT10_ENKUlT_T0_E_clISt17integral_constantIbLb1EES1E_EEDaS19_S1A_EUlS19_E_NS1_11comp_targetILNS1_3genE4ELNS1_11target_archE910ELNS1_3gpuE8ELNS1_3repE0EEENS1_30default_config_static_selectorELNS0_4arch9wavefront6targetE0EEEvT1_,comdat
	.globl	_ZN7rocprim17ROCPRIM_400000_NS6detail17trampoline_kernelINS0_14default_configENS1_25partition_config_selectorILNS1_17partition_subalgoE8EbNS0_10empty_typeEbEEZZNS1_14partition_implILS5_8ELb0ES3_jN6hipcub16HIPCUB_304000_NS22TransformInputIteratorIbN2at6native8internal12_GLOBAL__N_110LoadBoolOpEPKhlEEPS6_PKS6_NS0_5tupleIJPbS6_EEENSN_IJSK_SK_EEENS0_18inequality_wrapperINSA_8EqualityEEEPlJS6_EEE10hipError_tPvRmT3_T4_T5_T6_T7_T9_mT8_P12ihipStream_tbDpT10_ENKUlT_T0_E_clISt17integral_constantIbLb1EES1E_EEDaS19_S1A_EUlS19_E_NS1_11comp_targetILNS1_3genE4ELNS1_11target_archE910ELNS1_3gpuE8ELNS1_3repE0EEENS1_30default_config_static_selectorELNS0_4arch9wavefront6targetE0EEEvT1_ ; -- Begin function _ZN7rocprim17ROCPRIM_400000_NS6detail17trampoline_kernelINS0_14default_configENS1_25partition_config_selectorILNS1_17partition_subalgoE8EbNS0_10empty_typeEbEEZZNS1_14partition_implILS5_8ELb0ES3_jN6hipcub16HIPCUB_304000_NS22TransformInputIteratorIbN2at6native8internal12_GLOBAL__N_110LoadBoolOpEPKhlEEPS6_PKS6_NS0_5tupleIJPbS6_EEENSN_IJSK_SK_EEENS0_18inequality_wrapperINSA_8EqualityEEEPlJS6_EEE10hipError_tPvRmT3_T4_T5_T6_T7_T9_mT8_P12ihipStream_tbDpT10_ENKUlT_T0_E_clISt17integral_constantIbLb1EES1E_EEDaS19_S1A_EUlS19_E_NS1_11comp_targetILNS1_3genE4ELNS1_11target_archE910ELNS1_3gpuE8ELNS1_3repE0EEENS1_30default_config_static_selectorELNS0_4arch9wavefront6targetE0EEEvT1_
	.p2align	8
	.type	_ZN7rocprim17ROCPRIM_400000_NS6detail17trampoline_kernelINS0_14default_configENS1_25partition_config_selectorILNS1_17partition_subalgoE8EbNS0_10empty_typeEbEEZZNS1_14partition_implILS5_8ELb0ES3_jN6hipcub16HIPCUB_304000_NS22TransformInputIteratorIbN2at6native8internal12_GLOBAL__N_110LoadBoolOpEPKhlEEPS6_PKS6_NS0_5tupleIJPbS6_EEENSN_IJSK_SK_EEENS0_18inequality_wrapperINSA_8EqualityEEEPlJS6_EEE10hipError_tPvRmT3_T4_T5_T6_T7_T9_mT8_P12ihipStream_tbDpT10_ENKUlT_T0_E_clISt17integral_constantIbLb1EES1E_EEDaS19_S1A_EUlS19_E_NS1_11comp_targetILNS1_3genE4ELNS1_11target_archE910ELNS1_3gpuE8ELNS1_3repE0EEENS1_30default_config_static_selectorELNS0_4arch9wavefront6targetE0EEEvT1_,@function
_ZN7rocprim17ROCPRIM_400000_NS6detail17trampoline_kernelINS0_14default_configENS1_25partition_config_selectorILNS1_17partition_subalgoE8EbNS0_10empty_typeEbEEZZNS1_14partition_implILS5_8ELb0ES3_jN6hipcub16HIPCUB_304000_NS22TransformInputIteratorIbN2at6native8internal12_GLOBAL__N_110LoadBoolOpEPKhlEEPS6_PKS6_NS0_5tupleIJPbS6_EEENSN_IJSK_SK_EEENS0_18inequality_wrapperINSA_8EqualityEEEPlJS6_EEE10hipError_tPvRmT3_T4_T5_T6_T7_T9_mT8_P12ihipStream_tbDpT10_ENKUlT_T0_E_clISt17integral_constantIbLb1EES1E_EEDaS19_S1A_EUlS19_E_NS1_11comp_targetILNS1_3genE4ELNS1_11target_archE910ELNS1_3gpuE8ELNS1_3repE0EEENS1_30default_config_static_selectorELNS0_4arch9wavefront6targetE0EEEvT1_: ; @_ZN7rocprim17ROCPRIM_400000_NS6detail17trampoline_kernelINS0_14default_configENS1_25partition_config_selectorILNS1_17partition_subalgoE8EbNS0_10empty_typeEbEEZZNS1_14partition_implILS5_8ELb0ES3_jN6hipcub16HIPCUB_304000_NS22TransformInputIteratorIbN2at6native8internal12_GLOBAL__N_110LoadBoolOpEPKhlEEPS6_PKS6_NS0_5tupleIJPbS6_EEENSN_IJSK_SK_EEENS0_18inequality_wrapperINSA_8EqualityEEEPlJS6_EEE10hipError_tPvRmT3_T4_T5_T6_T7_T9_mT8_P12ihipStream_tbDpT10_ENKUlT_T0_E_clISt17integral_constantIbLb1EES1E_EEDaS19_S1A_EUlS19_E_NS1_11comp_targetILNS1_3genE4ELNS1_11target_archE910ELNS1_3gpuE8ELNS1_3repE0EEENS1_30default_config_static_selectorELNS0_4arch9wavefront6targetE0EEEvT1_
; %bb.0:
	.section	.rodata,"a",@progbits
	.p2align	6, 0x0
	.amdhsa_kernel _ZN7rocprim17ROCPRIM_400000_NS6detail17trampoline_kernelINS0_14default_configENS1_25partition_config_selectorILNS1_17partition_subalgoE8EbNS0_10empty_typeEbEEZZNS1_14partition_implILS5_8ELb0ES3_jN6hipcub16HIPCUB_304000_NS22TransformInputIteratorIbN2at6native8internal12_GLOBAL__N_110LoadBoolOpEPKhlEEPS6_PKS6_NS0_5tupleIJPbS6_EEENSN_IJSK_SK_EEENS0_18inequality_wrapperINSA_8EqualityEEEPlJS6_EEE10hipError_tPvRmT3_T4_T5_T6_T7_T9_mT8_P12ihipStream_tbDpT10_ENKUlT_T0_E_clISt17integral_constantIbLb1EES1E_EEDaS19_S1A_EUlS19_E_NS1_11comp_targetILNS1_3genE4ELNS1_11target_archE910ELNS1_3gpuE8ELNS1_3repE0EEENS1_30default_config_static_selectorELNS0_4arch9wavefront6targetE0EEEvT1_
		.amdhsa_group_segment_fixed_size 0
		.amdhsa_private_segment_fixed_size 0
		.amdhsa_kernarg_size 136
		.amdhsa_user_sgpr_count 2
		.amdhsa_user_sgpr_dispatch_ptr 0
		.amdhsa_user_sgpr_queue_ptr 0
		.amdhsa_user_sgpr_kernarg_segment_ptr 1
		.amdhsa_user_sgpr_dispatch_id 0
		.amdhsa_user_sgpr_kernarg_preload_length 0
		.amdhsa_user_sgpr_kernarg_preload_offset 0
		.amdhsa_user_sgpr_private_segment_size 0
		.amdhsa_wavefront_size32 1
		.amdhsa_uses_dynamic_stack 0
		.amdhsa_enable_private_segment 0
		.amdhsa_system_sgpr_workgroup_id_x 1
		.amdhsa_system_sgpr_workgroup_id_y 0
		.amdhsa_system_sgpr_workgroup_id_z 0
		.amdhsa_system_sgpr_workgroup_info 0
		.amdhsa_system_vgpr_workitem_id 0
		.amdhsa_next_free_vgpr 1
		.amdhsa_next_free_sgpr 1
		.amdhsa_named_barrier_count 0
		.amdhsa_reserve_vcc 0
		.amdhsa_float_round_mode_32 0
		.amdhsa_float_round_mode_16_64 0
		.amdhsa_float_denorm_mode_32 3
		.amdhsa_float_denorm_mode_16_64 3
		.amdhsa_fp16_overflow 0
		.amdhsa_memory_ordered 1
		.amdhsa_forward_progress 1
		.amdhsa_inst_pref_size 0
		.amdhsa_round_robin_scheduling 0
		.amdhsa_exception_fp_ieee_invalid_op 0
		.amdhsa_exception_fp_denorm_src 0
		.amdhsa_exception_fp_ieee_div_zero 0
		.amdhsa_exception_fp_ieee_overflow 0
		.amdhsa_exception_fp_ieee_underflow 0
		.amdhsa_exception_fp_ieee_inexact 0
		.amdhsa_exception_int_div_zero 0
	.end_amdhsa_kernel
	.section	.text._ZN7rocprim17ROCPRIM_400000_NS6detail17trampoline_kernelINS0_14default_configENS1_25partition_config_selectorILNS1_17partition_subalgoE8EbNS0_10empty_typeEbEEZZNS1_14partition_implILS5_8ELb0ES3_jN6hipcub16HIPCUB_304000_NS22TransformInputIteratorIbN2at6native8internal12_GLOBAL__N_110LoadBoolOpEPKhlEEPS6_PKS6_NS0_5tupleIJPbS6_EEENSN_IJSK_SK_EEENS0_18inequality_wrapperINSA_8EqualityEEEPlJS6_EEE10hipError_tPvRmT3_T4_T5_T6_T7_T9_mT8_P12ihipStream_tbDpT10_ENKUlT_T0_E_clISt17integral_constantIbLb1EES1E_EEDaS19_S1A_EUlS19_E_NS1_11comp_targetILNS1_3genE4ELNS1_11target_archE910ELNS1_3gpuE8ELNS1_3repE0EEENS1_30default_config_static_selectorELNS0_4arch9wavefront6targetE0EEEvT1_,"axG",@progbits,_ZN7rocprim17ROCPRIM_400000_NS6detail17trampoline_kernelINS0_14default_configENS1_25partition_config_selectorILNS1_17partition_subalgoE8EbNS0_10empty_typeEbEEZZNS1_14partition_implILS5_8ELb0ES3_jN6hipcub16HIPCUB_304000_NS22TransformInputIteratorIbN2at6native8internal12_GLOBAL__N_110LoadBoolOpEPKhlEEPS6_PKS6_NS0_5tupleIJPbS6_EEENSN_IJSK_SK_EEENS0_18inequality_wrapperINSA_8EqualityEEEPlJS6_EEE10hipError_tPvRmT3_T4_T5_T6_T7_T9_mT8_P12ihipStream_tbDpT10_ENKUlT_T0_E_clISt17integral_constantIbLb1EES1E_EEDaS19_S1A_EUlS19_E_NS1_11comp_targetILNS1_3genE4ELNS1_11target_archE910ELNS1_3gpuE8ELNS1_3repE0EEENS1_30default_config_static_selectorELNS0_4arch9wavefront6targetE0EEEvT1_,comdat
.Lfunc_end24:
	.size	_ZN7rocprim17ROCPRIM_400000_NS6detail17trampoline_kernelINS0_14default_configENS1_25partition_config_selectorILNS1_17partition_subalgoE8EbNS0_10empty_typeEbEEZZNS1_14partition_implILS5_8ELb0ES3_jN6hipcub16HIPCUB_304000_NS22TransformInputIteratorIbN2at6native8internal12_GLOBAL__N_110LoadBoolOpEPKhlEEPS6_PKS6_NS0_5tupleIJPbS6_EEENSN_IJSK_SK_EEENS0_18inequality_wrapperINSA_8EqualityEEEPlJS6_EEE10hipError_tPvRmT3_T4_T5_T6_T7_T9_mT8_P12ihipStream_tbDpT10_ENKUlT_T0_E_clISt17integral_constantIbLb1EES1E_EEDaS19_S1A_EUlS19_E_NS1_11comp_targetILNS1_3genE4ELNS1_11target_archE910ELNS1_3gpuE8ELNS1_3repE0EEENS1_30default_config_static_selectorELNS0_4arch9wavefront6targetE0EEEvT1_, .Lfunc_end24-_ZN7rocprim17ROCPRIM_400000_NS6detail17trampoline_kernelINS0_14default_configENS1_25partition_config_selectorILNS1_17partition_subalgoE8EbNS0_10empty_typeEbEEZZNS1_14partition_implILS5_8ELb0ES3_jN6hipcub16HIPCUB_304000_NS22TransformInputIteratorIbN2at6native8internal12_GLOBAL__N_110LoadBoolOpEPKhlEEPS6_PKS6_NS0_5tupleIJPbS6_EEENSN_IJSK_SK_EEENS0_18inequality_wrapperINSA_8EqualityEEEPlJS6_EEE10hipError_tPvRmT3_T4_T5_T6_T7_T9_mT8_P12ihipStream_tbDpT10_ENKUlT_T0_E_clISt17integral_constantIbLb1EES1E_EEDaS19_S1A_EUlS19_E_NS1_11comp_targetILNS1_3genE4ELNS1_11target_archE910ELNS1_3gpuE8ELNS1_3repE0EEENS1_30default_config_static_selectorELNS0_4arch9wavefront6targetE0EEEvT1_
                                        ; -- End function
	.set _ZN7rocprim17ROCPRIM_400000_NS6detail17trampoline_kernelINS0_14default_configENS1_25partition_config_selectorILNS1_17partition_subalgoE8EbNS0_10empty_typeEbEEZZNS1_14partition_implILS5_8ELb0ES3_jN6hipcub16HIPCUB_304000_NS22TransformInputIteratorIbN2at6native8internal12_GLOBAL__N_110LoadBoolOpEPKhlEEPS6_PKS6_NS0_5tupleIJPbS6_EEENSN_IJSK_SK_EEENS0_18inequality_wrapperINSA_8EqualityEEEPlJS6_EEE10hipError_tPvRmT3_T4_T5_T6_T7_T9_mT8_P12ihipStream_tbDpT10_ENKUlT_T0_E_clISt17integral_constantIbLb1EES1E_EEDaS19_S1A_EUlS19_E_NS1_11comp_targetILNS1_3genE4ELNS1_11target_archE910ELNS1_3gpuE8ELNS1_3repE0EEENS1_30default_config_static_selectorELNS0_4arch9wavefront6targetE0EEEvT1_.num_vgpr, 0
	.set _ZN7rocprim17ROCPRIM_400000_NS6detail17trampoline_kernelINS0_14default_configENS1_25partition_config_selectorILNS1_17partition_subalgoE8EbNS0_10empty_typeEbEEZZNS1_14partition_implILS5_8ELb0ES3_jN6hipcub16HIPCUB_304000_NS22TransformInputIteratorIbN2at6native8internal12_GLOBAL__N_110LoadBoolOpEPKhlEEPS6_PKS6_NS0_5tupleIJPbS6_EEENSN_IJSK_SK_EEENS0_18inequality_wrapperINSA_8EqualityEEEPlJS6_EEE10hipError_tPvRmT3_T4_T5_T6_T7_T9_mT8_P12ihipStream_tbDpT10_ENKUlT_T0_E_clISt17integral_constantIbLb1EES1E_EEDaS19_S1A_EUlS19_E_NS1_11comp_targetILNS1_3genE4ELNS1_11target_archE910ELNS1_3gpuE8ELNS1_3repE0EEENS1_30default_config_static_selectorELNS0_4arch9wavefront6targetE0EEEvT1_.num_agpr, 0
	.set _ZN7rocprim17ROCPRIM_400000_NS6detail17trampoline_kernelINS0_14default_configENS1_25partition_config_selectorILNS1_17partition_subalgoE8EbNS0_10empty_typeEbEEZZNS1_14partition_implILS5_8ELb0ES3_jN6hipcub16HIPCUB_304000_NS22TransformInputIteratorIbN2at6native8internal12_GLOBAL__N_110LoadBoolOpEPKhlEEPS6_PKS6_NS0_5tupleIJPbS6_EEENSN_IJSK_SK_EEENS0_18inequality_wrapperINSA_8EqualityEEEPlJS6_EEE10hipError_tPvRmT3_T4_T5_T6_T7_T9_mT8_P12ihipStream_tbDpT10_ENKUlT_T0_E_clISt17integral_constantIbLb1EES1E_EEDaS19_S1A_EUlS19_E_NS1_11comp_targetILNS1_3genE4ELNS1_11target_archE910ELNS1_3gpuE8ELNS1_3repE0EEENS1_30default_config_static_selectorELNS0_4arch9wavefront6targetE0EEEvT1_.numbered_sgpr, 0
	.set _ZN7rocprim17ROCPRIM_400000_NS6detail17trampoline_kernelINS0_14default_configENS1_25partition_config_selectorILNS1_17partition_subalgoE8EbNS0_10empty_typeEbEEZZNS1_14partition_implILS5_8ELb0ES3_jN6hipcub16HIPCUB_304000_NS22TransformInputIteratorIbN2at6native8internal12_GLOBAL__N_110LoadBoolOpEPKhlEEPS6_PKS6_NS0_5tupleIJPbS6_EEENSN_IJSK_SK_EEENS0_18inequality_wrapperINSA_8EqualityEEEPlJS6_EEE10hipError_tPvRmT3_T4_T5_T6_T7_T9_mT8_P12ihipStream_tbDpT10_ENKUlT_T0_E_clISt17integral_constantIbLb1EES1E_EEDaS19_S1A_EUlS19_E_NS1_11comp_targetILNS1_3genE4ELNS1_11target_archE910ELNS1_3gpuE8ELNS1_3repE0EEENS1_30default_config_static_selectorELNS0_4arch9wavefront6targetE0EEEvT1_.num_named_barrier, 0
	.set _ZN7rocprim17ROCPRIM_400000_NS6detail17trampoline_kernelINS0_14default_configENS1_25partition_config_selectorILNS1_17partition_subalgoE8EbNS0_10empty_typeEbEEZZNS1_14partition_implILS5_8ELb0ES3_jN6hipcub16HIPCUB_304000_NS22TransformInputIteratorIbN2at6native8internal12_GLOBAL__N_110LoadBoolOpEPKhlEEPS6_PKS6_NS0_5tupleIJPbS6_EEENSN_IJSK_SK_EEENS0_18inequality_wrapperINSA_8EqualityEEEPlJS6_EEE10hipError_tPvRmT3_T4_T5_T6_T7_T9_mT8_P12ihipStream_tbDpT10_ENKUlT_T0_E_clISt17integral_constantIbLb1EES1E_EEDaS19_S1A_EUlS19_E_NS1_11comp_targetILNS1_3genE4ELNS1_11target_archE910ELNS1_3gpuE8ELNS1_3repE0EEENS1_30default_config_static_selectorELNS0_4arch9wavefront6targetE0EEEvT1_.private_seg_size, 0
	.set _ZN7rocprim17ROCPRIM_400000_NS6detail17trampoline_kernelINS0_14default_configENS1_25partition_config_selectorILNS1_17partition_subalgoE8EbNS0_10empty_typeEbEEZZNS1_14partition_implILS5_8ELb0ES3_jN6hipcub16HIPCUB_304000_NS22TransformInputIteratorIbN2at6native8internal12_GLOBAL__N_110LoadBoolOpEPKhlEEPS6_PKS6_NS0_5tupleIJPbS6_EEENSN_IJSK_SK_EEENS0_18inequality_wrapperINSA_8EqualityEEEPlJS6_EEE10hipError_tPvRmT3_T4_T5_T6_T7_T9_mT8_P12ihipStream_tbDpT10_ENKUlT_T0_E_clISt17integral_constantIbLb1EES1E_EEDaS19_S1A_EUlS19_E_NS1_11comp_targetILNS1_3genE4ELNS1_11target_archE910ELNS1_3gpuE8ELNS1_3repE0EEENS1_30default_config_static_selectorELNS0_4arch9wavefront6targetE0EEEvT1_.uses_vcc, 0
	.set _ZN7rocprim17ROCPRIM_400000_NS6detail17trampoline_kernelINS0_14default_configENS1_25partition_config_selectorILNS1_17partition_subalgoE8EbNS0_10empty_typeEbEEZZNS1_14partition_implILS5_8ELb0ES3_jN6hipcub16HIPCUB_304000_NS22TransformInputIteratorIbN2at6native8internal12_GLOBAL__N_110LoadBoolOpEPKhlEEPS6_PKS6_NS0_5tupleIJPbS6_EEENSN_IJSK_SK_EEENS0_18inequality_wrapperINSA_8EqualityEEEPlJS6_EEE10hipError_tPvRmT3_T4_T5_T6_T7_T9_mT8_P12ihipStream_tbDpT10_ENKUlT_T0_E_clISt17integral_constantIbLb1EES1E_EEDaS19_S1A_EUlS19_E_NS1_11comp_targetILNS1_3genE4ELNS1_11target_archE910ELNS1_3gpuE8ELNS1_3repE0EEENS1_30default_config_static_selectorELNS0_4arch9wavefront6targetE0EEEvT1_.uses_flat_scratch, 0
	.set _ZN7rocprim17ROCPRIM_400000_NS6detail17trampoline_kernelINS0_14default_configENS1_25partition_config_selectorILNS1_17partition_subalgoE8EbNS0_10empty_typeEbEEZZNS1_14partition_implILS5_8ELb0ES3_jN6hipcub16HIPCUB_304000_NS22TransformInputIteratorIbN2at6native8internal12_GLOBAL__N_110LoadBoolOpEPKhlEEPS6_PKS6_NS0_5tupleIJPbS6_EEENSN_IJSK_SK_EEENS0_18inequality_wrapperINSA_8EqualityEEEPlJS6_EEE10hipError_tPvRmT3_T4_T5_T6_T7_T9_mT8_P12ihipStream_tbDpT10_ENKUlT_T0_E_clISt17integral_constantIbLb1EES1E_EEDaS19_S1A_EUlS19_E_NS1_11comp_targetILNS1_3genE4ELNS1_11target_archE910ELNS1_3gpuE8ELNS1_3repE0EEENS1_30default_config_static_selectorELNS0_4arch9wavefront6targetE0EEEvT1_.has_dyn_sized_stack, 0
	.set _ZN7rocprim17ROCPRIM_400000_NS6detail17trampoline_kernelINS0_14default_configENS1_25partition_config_selectorILNS1_17partition_subalgoE8EbNS0_10empty_typeEbEEZZNS1_14partition_implILS5_8ELb0ES3_jN6hipcub16HIPCUB_304000_NS22TransformInputIteratorIbN2at6native8internal12_GLOBAL__N_110LoadBoolOpEPKhlEEPS6_PKS6_NS0_5tupleIJPbS6_EEENSN_IJSK_SK_EEENS0_18inequality_wrapperINSA_8EqualityEEEPlJS6_EEE10hipError_tPvRmT3_T4_T5_T6_T7_T9_mT8_P12ihipStream_tbDpT10_ENKUlT_T0_E_clISt17integral_constantIbLb1EES1E_EEDaS19_S1A_EUlS19_E_NS1_11comp_targetILNS1_3genE4ELNS1_11target_archE910ELNS1_3gpuE8ELNS1_3repE0EEENS1_30default_config_static_selectorELNS0_4arch9wavefront6targetE0EEEvT1_.has_recursion, 0
	.set _ZN7rocprim17ROCPRIM_400000_NS6detail17trampoline_kernelINS0_14default_configENS1_25partition_config_selectorILNS1_17partition_subalgoE8EbNS0_10empty_typeEbEEZZNS1_14partition_implILS5_8ELb0ES3_jN6hipcub16HIPCUB_304000_NS22TransformInputIteratorIbN2at6native8internal12_GLOBAL__N_110LoadBoolOpEPKhlEEPS6_PKS6_NS0_5tupleIJPbS6_EEENSN_IJSK_SK_EEENS0_18inequality_wrapperINSA_8EqualityEEEPlJS6_EEE10hipError_tPvRmT3_T4_T5_T6_T7_T9_mT8_P12ihipStream_tbDpT10_ENKUlT_T0_E_clISt17integral_constantIbLb1EES1E_EEDaS19_S1A_EUlS19_E_NS1_11comp_targetILNS1_3genE4ELNS1_11target_archE910ELNS1_3gpuE8ELNS1_3repE0EEENS1_30default_config_static_selectorELNS0_4arch9wavefront6targetE0EEEvT1_.has_indirect_call, 0
	.section	.AMDGPU.csdata,"",@progbits
; Kernel info:
; codeLenInByte = 0
; TotalNumSgprs: 0
; NumVgprs: 0
; ScratchSize: 0
; MemoryBound: 0
; FloatMode: 240
; IeeeMode: 1
; LDSByteSize: 0 bytes/workgroup (compile time only)
; SGPRBlocks: 0
; VGPRBlocks: 0
; NumSGPRsForWavesPerEU: 1
; NumVGPRsForWavesPerEU: 1
; NamedBarCnt: 0
; Occupancy: 16
; WaveLimiterHint : 0
; COMPUTE_PGM_RSRC2:SCRATCH_EN: 0
; COMPUTE_PGM_RSRC2:USER_SGPR: 2
; COMPUTE_PGM_RSRC2:TRAP_HANDLER: 0
; COMPUTE_PGM_RSRC2:TGID_X_EN: 1
; COMPUTE_PGM_RSRC2:TGID_Y_EN: 0
; COMPUTE_PGM_RSRC2:TGID_Z_EN: 0
; COMPUTE_PGM_RSRC2:TIDIG_COMP_CNT: 0
	.section	.text._ZN7rocprim17ROCPRIM_400000_NS6detail17trampoline_kernelINS0_14default_configENS1_25partition_config_selectorILNS1_17partition_subalgoE8EbNS0_10empty_typeEbEEZZNS1_14partition_implILS5_8ELb0ES3_jN6hipcub16HIPCUB_304000_NS22TransformInputIteratorIbN2at6native8internal12_GLOBAL__N_110LoadBoolOpEPKhlEEPS6_PKS6_NS0_5tupleIJPbS6_EEENSN_IJSK_SK_EEENS0_18inequality_wrapperINSA_8EqualityEEEPlJS6_EEE10hipError_tPvRmT3_T4_T5_T6_T7_T9_mT8_P12ihipStream_tbDpT10_ENKUlT_T0_E_clISt17integral_constantIbLb1EES1E_EEDaS19_S1A_EUlS19_E_NS1_11comp_targetILNS1_3genE3ELNS1_11target_archE908ELNS1_3gpuE7ELNS1_3repE0EEENS1_30default_config_static_selectorELNS0_4arch9wavefront6targetE0EEEvT1_,"axG",@progbits,_ZN7rocprim17ROCPRIM_400000_NS6detail17trampoline_kernelINS0_14default_configENS1_25partition_config_selectorILNS1_17partition_subalgoE8EbNS0_10empty_typeEbEEZZNS1_14partition_implILS5_8ELb0ES3_jN6hipcub16HIPCUB_304000_NS22TransformInputIteratorIbN2at6native8internal12_GLOBAL__N_110LoadBoolOpEPKhlEEPS6_PKS6_NS0_5tupleIJPbS6_EEENSN_IJSK_SK_EEENS0_18inequality_wrapperINSA_8EqualityEEEPlJS6_EEE10hipError_tPvRmT3_T4_T5_T6_T7_T9_mT8_P12ihipStream_tbDpT10_ENKUlT_T0_E_clISt17integral_constantIbLb1EES1E_EEDaS19_S1A_EUlS19_E_NS1_11comp_targetILNS1_3genE3ELNS1_11target_archE908ELNS1_3gpuE7ELNS1_3repE0EEENS1_30default_config_static_selectorELNS0_4arch9wavefront6targetE0EEEvT1_,comdat
	.globl	_ZN7rocprim17ROCPRIM_400000_NS6detail17trampoline_kernelINS0_14default_configENS1_25partition_config_selectorILNS1_17partition_subalgoE8EbNS0_10empty_typeEbEEZZNS1_14partition_implILS5_8ELb0ES3_jN6hipcub16HIPCUB_304000_NS22TransformInputIteratorIbN2at6native8internal12_GLOBAL__N_110LoadBoolOpEPKhlEEPS6_PKS6_NS0_5tupleIJPbS6_EEENSN_IJSK_SK_EEENS0_18inequality_wrapperINSA_8EqualityEEEPlJS6_EEE10hipError_tPvRmT3_T4_T5_T6_T7_T9_mT8_P12ihipStream_tbDpT10_ENKUlT_T0_E_clISt17integral_constantIbLb1EES1E_EEDaS19_S1A_EUlS19_E_NS1_11comp_targetILNS1_3genE3ELNS1_11target_archE908ELNS1_3gpuE7ELNS1_3repE0EEENS1_30default_config_static_selectorELNS0_4arch9wavefront6targetE0EEEvT1_ ; -- Begin function _ZN7rocprim17ROCPRIM_400000_NS6detail17trampoline_kernelINS0_14default_configENS1_25partition_config_selectorILNS1_17partition_subalgoE8EbNS0_10empty_typeEbEEZZNS1_14partition_implILS5_8ELb0ES3_jN6hipcub16HIPCUB_304000_NS22TransformInputIteratorIbN2at6native8internal12_GLOBAL__N_110LoadBoolOpEPKhlEEPS6_PKS6_NS0_5tupleIJPbS6_EEENSN_IJSK_SK_EEENS0_18inequality_wrapperINSA_8EqualityEEEPlJS6_EEE10hipError_tPvRmT3_T4_T5_T6_T7_T9_mT8_P12ihipStream_tbDpT10_ENKUlT_T0_E_clISt17integral_constantIbLb1EES1E_EEDaS19_S1A_EUlS19_E_NS1_11comp_targetILNS1_3genE3ELNS1_11target_archE908ELNS1_3gpuE7ELNS1_3repE0EEENS1_30default_config_static_selectorELNS0_4arch9wavefront6targetE0EEEvT1_
	.p2align	8
	.type	_ZN7rocprim17ROCPRIM_400000_NS6detail17trampoline_kernelINS0_14default_configENS1_25partition_config_selectorILNS1_17partition_subalgoE8EbNS0_10empty_typeEbEEZZNS1_14partition_implILS5_8ELb0ES3_jN6hipcub16HIPCUB_304000_NS22TransformInputIteratorIbN2at6native8internal12_GLOBAL__N_110LoadBoolOpEPKhlEEPS6_PKS6_NS0_5tupleIJPbS6_EEENSN_IJSK_SK_EEENS0_18inequality_wrapperINSA_8EqualityEEEPlJS6_EEE10hipError_tPvRmT3_T4_T5_T6_T7_T9_mT8_P12ihipStream_tbDpT10_ENKUlT_T0_E_clISt17integral_constantIbLb1EES1E_EEDaS19_S1A_EUlS19_E_NS1_11comp_targetILNS1_3genE3ELNS1_11target_archE908ELNS1_3gpuE7ELNS1_3repE0EEENS1_30default_config_static_selectorELNS0_4arch9wavefront6targetE0EEEvT1_,@function
_ZN7rocprim17ROCPRIM_400000_NS6detail17trampoline_kernelINS0_14default_configENS1_25partition_config_selectorILNS1_17partition_subalgoE8EbNS0_10empty_typeEbEEZZNS1_14partition_implILS5_8ELb0ES3_jN6hipcub16HIPCUB_304000_NS22TransformInputIteratorIbN2at6native8internal12_GLOBAL__N_110LoadBoolOpEPKhlEEPS6_PKS6_NS0_5tupleIJPbS6_EEENSN_IJSK_SK_EEENS0_18inequality_wrapperINSA_8EqualityEEEPlJS6_EEE10hipError_tPvRmT3_T4_T5_T6_T7_T9_mT8_P12ihipStream_tbDpT10_ENKUlT_T0_E_clISt17integral_constantIbLb1EES1E_EEDaS19_S1A_EUlS19_E_NS1_11comp_targetILNS1_3genE3ELNS1_11target_archE908ELNS1_3gpuE7ELNS1_3repE0EEENS1_30default_config_static_selectorELNS0_4arch9wavefront6targetE0EEEvT1_: ; @_ZN7rocprim17ROCPRIM_400000_NS6detail17trampoline_kernelINS0_14default_configENS1_25partition_config_selectorILNS1_17partition_subalgoE8EbNS0_10empty_typeEbEEZZNS1_14partition_implILS5_8ELb0ES3_jN6hipcub16HIPCUB_304000_NS22TransformInputIteratorIbN2at6native8internal12_GLOBAL__N_110LoadBoolOpEPKhlEEPS6_PKS6_NS0_5tupleIJPbS6_EEENSN_IJSK_SK_EEENS0_18inequality_wrapperINSA_8EqualityEEEPlJS6_EEE10hipError_tPvRmT3_T4_T5_T6_T7_T9_mT8_P12ihipStream_tbDpT10_ENKUlT_T0_E_clISt17integral_constantIbLb1EES1E_EEDaS19_S1A_EUlS19_E_NS1_11comp_targetILNS1_3genE3ELNS1_11target_archE908ELNS1_3gpuE7ELNS1_3repE0EEENS1_30default_config_static_selectorELNS0_4arch9wavefront6targetE0EEEvT1_
; %bb.0:
	.section	.rodata,"a",@progbits
	.p2align	6, 0x0
	.amdhsa_kernel _ZN7rocprim17ROCPRIM_400000_NS6detail17trampoline_kernelINS0_14default_configENS1_25partition_config_selectorILNS1_17partition_subalgoE8EbNS0_10empty_typeEbEEZZNS1_14partition_implILS5_8ELb0ES3_jN6hipcub16HIPCUB_304000_NS22TransformInputIteratorIbN2at6native8internal12_GLOBAL__N_110LoadBoolOpEPKhlEEPS6_PKS6_NS0_5tupleIJPbS6_EEENSN_IJSK_SK_EEENS0_18inequality_wrapperINSA_8EqualityEEEPlJS6_EEE10hipError_tPvRmT3_T4_T5_T6_T7_T9_mT8_P12ihipStream_tbDpT10_ENKUlT_T0_E_clISt17integral_constantIbLb1EES1E_EEDaS19_S1A_EUlS19_E_NS1_11comp_targetILNS1_3genE3ELNS1_11target_archE908ELNS1_3gpuE7ELNS1_3repE0EEENS1_30default_config_static_selectorELNS0_4arch9wavefront6targetE0EEEvT1_
		.amdhsa_group_segment_fixed_size 0
		.amdhsa_private_segment_fixed_size 0
		.amdhsa_kernarg_size 136
		.amdhsa_user_sgpr_count 2
		.amdhsa_user_sgpr_dispatch_ptr 0
		.amdhsa_user_sgpr_queue_ptr 0
		.amdhsa_user_sgpr_kernarg_segment_ptr 1
		.amdhsa_user_sgpr_dispatch_id 0
		.amdhsa_user_sgpr_kernarg_preload_length 0
		.amdhsa_user_sgpr_kernarg_preload_offset 0
		.amdhsa_user_sgpr_private_segment_size 0
		.amdhsa_wavefront_size32 1
		.amdhsa_uses_dynamic_stack 0
		.amdhsa_enable_private_segment 0
		.amdhsa_system_sgpr_workgroup_id_x 1
		.amdhsa_system_sgpr_workgroup_id_y 0
		.amdhsa_system_sgpr_workgroup_id_z 0
		.amdhsa_system_sgpr_workgroup_info 0
		.amdhsa_system_vgpr_workitem_id 0
		.amdhsa_next_free_vgpr 1
		.amdhsa_next_free_sgpr 1
		.amdhsa_named_barrier_count 0
		.amdhsa_reserve_vcc 0
		.amdhsa_float_round_mode_32 0
		.amdhsa_float_round_mode_16_64 0
		.amdhsa_float_denorm_mode_32 3
		.amdhsa_float_denorm_mode_16_64 3
		.amdhsa_fp16_overflow 0
		.amdhsa_memory_ordered 1
		.amdhsa_forward_progress 1
		.amdhsa_inst_pref_size 0
		.amdhsa_round_robin_scheduling 0
		.amdhsa_exception_fp_ieee_invalid_op 0
		.amdhsa_exception_fp_denorm_src 0
		.amdhsa_exception_fp_ieee_div_zero 0
		.amdhsa_exception_fp_ieee_overflow 0
		.amdhsa_exception_fp_ieee_underflow 0
		.amdhsa_exception_fp_ieee_inexact 0
		.amdhsa_exception_int_div_zero 0
	.end_amdhsa_kernel
	.section	.text._ZN7rocprim17ROCPRIM_400000_NS6detail17trampoline_kernelINS0_14default_configENS1_25partition_config_selectorILNS1_17partition_subalgoE8EbNS0_10empty_typeEbEEZZNS1_14partition_implILS5_8ELb0ES3_jN6hipcub16HIPCUB_304000_NS22TransformInputIteratorIbN2at6native8internal12_GLOBAL__N_110LoadBoolOpEPKhlEEPS6_PKS6_NS0_5tupleIJPbS6_EEENSN_IJSK_SK_EEENS0_18inequality_wrapperINSA_8EqualityEEEPlJS6_EEE10hipError_tPvRmT3_T4_T5_T6_T7_T9_mT8_P12ihipStream_tbDpT10_ENKUlT_T0_E_clISt17integral_constantIbLb1EES1E_EEDaS19_S1A_EUlS19_E_NS1_11comp_targetILNS1_3genE3ELNS1_11target_archE908ELNS1_3gpuE7ELNS1_3repE0EEENS1_30default_config_static_selectorELNS0_4arch9wavefront6targetE0EEEvT1_,"axG",@progbits,_ZN7rocprim17ROCPRIM_400000_NS6detail17trampoline_kernelINS0_14default_configENS1_25partition_config_selectorILNS1_17partition_subalgoE8EbNS0_10empty_typeEbEEZZNS1_14partition_implILS5_8ELb0ES3_jN6hipcub16HIPCUB_304000_NS22TransformInputIteratorIbN2at6native8internal12_GLOBAL__N_110LoadBoolOpEPKhlEEPS6_PKS6_NS0_5tupleIJPbS6_EEENSN_IJSK_SK_EEENS0_18inequality_wrapperINSA_8EqualityEEEPlJS6_EEE10hipError_tPvRmT3_T4_T5_T6_T7_T9_mT8_P12ihipStream_tbDpT10_ENKUlT_T0_E_clISt17integral_constantIbLb1EES1E_EEDaS19_S1A_EUlS19_E_NS1_11comp_targetILNS1_3genE3ELNS1_11target_archE908ELNS1_3gpuE7ELNS1_3repE0EEENS1_30default_config_static_selectorELNS0_4arch9wavefront6targetE0EEEvT1_,comdat
.Lfunc_end25:
	.size	_ZN7rocprim17ROCPRIM_400000_NS6detail17trampoline_kernelINS0_14default_configENS1_25partition_config_selectorILNS1_17partition_subalgoE8EbNS0_10empty_typeEbEEZZNS1_14partition_implILS5_8ELb0ES3_jN6hipcub16HIPCUB_304000_NS22TransformInputIteratorIbN2at6native8internal12_GLOBAL__N_110LoadBoolOpEPKhlEEPS6_PKS6_NS0_5tupleIJPbS6_EEENSN_IJSK_SK_EEENS0_18inequality_wrapperINSA_8EqualityEEEPlJS6_EEE10hipError_tPvRmT3_T4_T5_T6_T7_T9_mT8_P12ihipStream_tbDpT10_ENKUlT_T0_E_clISt17integral_constantIbLb1EES1E_EEDaS19_S1A_EUlS19_E_NS1_11comp_targetILNS1_3genE3ELNS1_11target_archE908ELNS1_3gpuE7ELNS1_3repE0EEENS1_30default_config_static_selectorELNS0_4arch9wavefront6targetE0EEEvT1_, .Lfunc_end25-_ZN7rocprim17ROCPRIM_400000_NS6detail17trampoline_kernelINS0_14default_configENS1_25partition_config_selectorILNS1_17partition_subalgoE8EbNS0_10empty_typeEbEEZZNS1_14partition_implILS5_8ELb0ES3_jN6hipcub16HIPCUB_304000_NS22TransformInputIteratorIbN2at6native8internal12_GLOBAL__N_110LoadBoolOpEPKhlEEPS6_PKS6_NS0_5tupleIJPbS6_EEENSN_IJSK_SK_EEENS0_18inequality_wrapperINSA_8EqualityEEEPlJS6_EEE10hipError_tPvRmT3_T4_T5_T6_T7_T9_mT8_P12ihipStream_tbDpT10_ENKUlT_T0_E_clISt17integral_constantIbLb1EES1E_EEDaS19_S1A_EUlS19_E_NS1_11comp_targetILNS1_3genE3ELNS1_11target_archE908ELNS1_3gpuE7ELNS1_3repE0EEENS1_30default_config_static_selectorELNS0_4arch9wavefront6targetE0EEEvT1_
                                        ; -- End function
	.set _ZN7rocprim17ROCPRIM_400000_NS6detail17trampoline_kernelINS0_14default_configENS1_25partition_config_selectorILNS1_17partition_subalgoE8EbNS0_10empty_typeEbEEZZNS1_14partition_implILS5_8ELb0ES3_jN6hipcub16HIPCUB_304000_NS22TransformInputIteratorIbN2at6native8internal12_GLOBAL__N_110LoadBoolOpEPKhlEEPS6_PKS6_NS0_5tupleIJPbS6_EEENSN_IJSK_SK_EEENS0_18inequality_wrapperINSA_8EqualityEEEPlJS6_EEE10hipError_tPvRmT3_T4_T5_T6_T7_T9_mT8_P12ihipStream_tbDpT10_ENKUlT_T0_E_clISt17integral_constantIbLb1EES1E_EEDaS19_S1A_EUlS19_E_NS1_11comp_targetILNS1_3genE3ELNS1_11target_archE908ELNS1_3gpuE7ELNS1_3repE0EEENS1_30default_config_static_selectorELNS0_4arch9wavefront6targetE0EEEvT1_.num_vgpr, 0
	.set _ZN7rocprim17ROCPRIM_400000_NS6detail17trampoline_kernelINS0_14default_configENS1_25partition_config_selectorILNS1_17partition_subalgoE8EbNS0_10empty_typeEbEEZZNS1_14partition_implILS5_8ELb0ES3_jN6hipcub16HIPCUB_304000_NS22TransformInputIteratorIbN2at6native8internal12_GLOBAL__N_110LoadBoolOpEPKhlEEPS6_PKS6_NS0_5tupleIJPbS6_EEENSN_IJSK_SK_EEENS0_18inequality_wrapperINSA_8EqualityEEEPlJS6_EEE10hipError_tPvRmT3_T4_T5_T6_T7_T9_mT8_P12ihipStream_tbDpT10_ENKUlT_T0_E_clISt17integral_constantIbLb1EES1E_EEDaS19_S1A_EUlS19_E_NS1_11comp_targetILNS1_3genE3ELNS1_11target_archE908ELNS1_3gpuE7ELNS1_3repE0EEENS1_30default_config_static_selectorELNS0_4arch9wavefront6targetE0EEEvT1_.num_agpr, 0
	.set _ZN7rocprim17ROCPRIM_400000_NS6detail17trampoline_kernelINS0_14default_configENS1_25partition_config_selectorILNS1_17partition_subalgoE8EbNS0_10empty_typeEbEEZZNS1_14partition_implILS5_8ELb0ES3_jN6hipcub16HIPCUB_304000_NS22TransformInputIteratorIbN2at6native8internal12_GLOBAL__N_110LoadBoolOpEPKhlEEPS6_PKS6_NS0_5tupleIJPbS6_EEENSN_IJSK_SK_EEENS0_18inequality_wrapperINSA_8EqualityEEEPlJS6_EEE10hipError_tPvRmT3_T4_T5_T6_T7_T9_mT8_P12ihipStream_tbDpT10_ENKUlT_T0_E_clISt17integral_constantIbLb1EES1E_EEDaS19_S1A_EUlS19_E_NS1_11comp_targetILNS1_3genE3ELNS1_11target_archE908ELNS1_3gpuE7ELNS1_3repE0EEENS1_30default_config_static_selectorELNS0_4arch9wavefront6targetE0EEEvT1_.numbered_sgpr, 0
	.set _ZN7rocprim17ROCPRIM_400000_NS6detail17trampoline_kernelINS0_14default_configENS1_25partition_config_selectorILNS1_17partition_subalgoE8EbNS0_10empty_typeEbEEZZNS1_14partition_implILS5_8ELb0ES3_jN6hipcub16HIPCUB_304000_NS22TransformInputIteratorIbN2at6native8internal12_GLOBAL__N_110LoadBoolOpEPKhlEEPS6_PKS6_NS0_5tupleIJPbS6_EEENSN_IJSK_SK_EEENS0_18inequality_wrapperINSA_8EqualityEEEPlJS6_EEE10hipError_tPvRmT3_T4_T5_T6_T7_T9_mT8_P12ihipStream_tbDpT10_ENKUlT_T0_E_clISt17integral_constantIbLb1EES1E_EEDaS19_S1A_EUlS19_E_NS1_11comp_targetILNS1_3genE3ELNS1_11target_archE908ELNS1_3gpuE7ELNS1_3repE0EEENS1_30default_config_static_selectorELNS0_4arch9wavefront6targetE0EEEvT1_.num_named_barrier, 0
	.set _ZN7rocprim17ROCPRIM_400000_NS6detail17trampoline_kernelINS0_14default_configENS1_25partition_config_selectorILNS1_17partition_subalgoE8EbNS0_10empty_typeEbEEZZNS1_14partition_implILS5_8ELb0ES3_jN6hipcub16HIPCUB_304000_NS22TransformInputIteratorIbN2at6native8internal12_GLOBAL__N_110LoadBoolOpEPKhlEEPS6_PKS6_NS0_5tupleIJPbS6_EEENSN_IJSK_SK_EEENS0_18inequality_wrapperINSA_8EqualityEEEPlJS6_EEE10hipError_tPvRmT3_T4_T5_T6_T7_T9_mT8_P12ihipStream_tbDpT10_ENKUlT_T0_E_clISt17integral_constantIbLb1EES1E_EEDaS19_S1A_EUlS19_E_NS1_11comp_targetILNS1_3genE3ELNS1_11target_archE908ELNS1_3gpuE7ELNS1_3repE0EEENS1_30default_config_static_selectorELNS0_4arch9wavefront6targetE0EEEvT1_.private_seg_size, 0
	.set _ZN7rocprim17ROCPRIM_400000_NS6detail17trampoline_kernelINS0_14default_configENS1_25partition_config_selectorILNS1_17partition_subalgoE8EbNS0_10empty_typeEbEEZZNS1_14partition_implILS5_8ELb0ES3_jN6hipcub16HIPCUB_304000_NS22TransformInputIteratorIbN2at6native8internal12_GLOBAL__N_110LoadBoolOpEPKhlEEPS6_PKS6_NS0_5tupleIJPbS6_EEENSN_IJSK_SK_EEENS0_18inequality_wrapperINSA_8EqualityEEEPlJS6_EEE10hipError_tPvRmT3_T4_T5_T6_T7_T9_mT8_P12ihipStream_tbDpT10_ENKUlT_T0_E_clISt17integral_constantIbLb1EES1E_EEDaS19_S1A_EUlS19_E_NS1_11comp_targetILNS1_3genE3ELNS1_11target_archE908ELNS1_3gpuE7ELNS1_3repE0EEENS1_30default_config_static_selectorELNS0_4arch9wavefront6targetE0EEEvT1_.uses_vcc, 0
	.set _ZN7rocprim17ROCPRIM_400000_NS6detail17trampoline_kernelINS0_14default_configENS1_25partition_config_selectorILNS1_17partition_subalgoE8EbNS0_10empty_typeEbEEZZNS1_14partition_implILS5_8ELb0ES3_jN6hipcub16HIPCUB_304000_NS22TransformInputIteratorIbN2at6native8internal12_GLOBAL__N_110LoadBoolOpEPKhlEEPS6_PKS6_NS0_5tupleIJPbS6_EEENSN_IJSK_SK_EEENS0_18inequality_wrapperINSA_8EqualityEEEPlJS6_EEE10hipError_tPvRmT3_T4_T5_T6_T7_T9_mT8_P12ihipStream_tbDpT10_ENKUlT_T0_E_clISt17integral_constantIbLb1EES1E_EEDaS19_S1A_EUlS19_E_NS1_11comp_targetILNS1_3genE3ELNS1_11target_archE908ELNS1_3gpuE7ELNS1_3repE0EEENS1_30default_config_static_selectorELNS0_4arch9wavefront6targetE0EEEvT1_.uses_flat_scratch, 0
	.set _ZN7rocprim17ROCPRIM_400000_NS6detail17trampoline_kernelINS0_14default_configENS1_25partition_config_selectorILNS1_17partition_subalgoE8EbNS0_10empty_typeEbEEZZNS1_14partition_implILS5_8ELb0ES3_jN6hipcub16HIPCUB_304000_NS22TransformInputIteratorIbN2at6native8internal12_GLOBAL__N_110LoadBoolOpEPKhlEEPS6_PKS6_NS0_5tupleIJPbS6_EEENSN_IJSK_SK_EEENS0_18inequality_wrapperINSA_8EqualityEEEPlJS6_EEE10hipError_tPvRmT3_T4_T5_T6_T7_T9_mT8_P12ihipStream_tbDpT10_ENKUlT_T0_E_clISt17integral_constantIbLb1EES1E_EEDaS19_S1A_EUlS19_E_NS1_11comp_targetILNS1_3genE3ELNS1_11target_archE908ELNS1_3gpuE7ELNS1_3repE0EEENS1_30default_config_static_selectorELNS0_4arch9wavefront6targetE0EEEvT1_.has_dyn_sized_stack, 0
	.set _ZN7rocprim17ROCPRIM_400000_NS6detail17trampoline_kernelINS0_14default_configENS1_25partition_config_selectorILNS1_17partition_subalgoE8EbNS0_10empty_typeEbEEZZNS1_14partition_implILS5_8ELb0ES3_jN6hipcub16HIPCUB_304000_NS22TransformInputIteratorIbN2at6native8internal12_GLOBAL__N_110LoadBoolOpEPKhlEEPS6_PKS6_NS0_5tupleIJPbS6_EEENSN_IJSK_SK_EEENS0_18inequality_wrapperINSA_8EqualityEEEPlJS6_EEE10hipError_tPvRmT3_T4_T5_T6_T7_T9_mT8_P12ihipStream_tbDpT10_ENKUlT_T0_E_clISt17integral_constantIbLb1EES1E_EEDaS19_S1A_EUlS19_E_NS1_11comp_targetILNS1_3genE3ELNS1_11target_archE908ELNS1_3gpuE7ELNS1_3repE0EEENS1_30default_config_static_selectorELNS0_4arch9wavefront6targetE0EEEvT1_.has_recursion, 0
	.set _ZN7rocprim17ROCPRIM_400000_NS6detail17trampoline_kernelINS0_14default_configENS1_25partition_config_selectorILNS1_17partition_subalgoE8EbNS0_10empty_typeEbEEZZNS1_14partition_implILS5_8ELb0ES3_jN6hipcub16HIPCUB_304000_NS22TransformInputIteratorIbN2at6native8internal12_GLOBAL__N_110LoadBoolOpEPKhlEEPS6_PKS6_NS0_5tupleIJPbS6_EEENSN_IJSK_SK_EEENS0_18inequality_wrapperINSA_8EqualityEEEPlJS6_EEE10hipError_tPvRmT3_T4_T5_T6_T7_T9_mT8_P12ihipStream_tbDpT10_ENKUlT_T0_E_clISt17integral_constantIbLb1EES1E_EEDaS19_S1A_EUlS19_E_NS1_11comp_targetILNS1_3genE3ELNS1_11target_archE908ELNS1_3gpuE7ELNS1_3repE0EEENS1_30default_config_static_selectorELNS0_4arch9wavefront6targetE0EEEvT1_.has_indirect_call, 0
	.section	.AMDGPU.csdata,"",@progbits
; Kernel info:
; codeLenInByte = 0
; TotalNumSgprs: 0
; NumVgprs: 0
; ScratchSize: 0
; MemoryBound: 0
; FloatMode: 240
; IeeeMode: 1
; LDSByteSize: 0 bytes/workgroup (compile time only)
; SGPRBlocks: 0
; VGPRBlocks: 0
; NumSGPRsForWavesPerEU: 1
; NumVGPRsForWavesPerEU: 1
; NamedBarCnt: 0
; Occupancy: 16
; WaveLimiterHint : 0
; COMPUTE_PGM_RSRC2:SCRATCH_EN: 0
; COMPUTE_PGM_RSRC2:USER_SGPR: 2
; COMPUTE_PGM_RSRC2:TRAP_HANDLER: 0
; COMPUTE_PGM_RSRC2:TGID_X_EN: 1
; COMPUTE_PGM_RSRC2:TGID_Y_EN: 0
; COMPUTE_PGM_RSRC2:TGID_Z_EN: 0
; COMPUTE_PGM_RSRC2:TIDIG_COMP_CNT: 0
	.section	.text._ZN7rocprim17ROCPRIM_400000_NS6detail17trampoline_kernelINS0_14default_configENS1_25partition_config_selectorILNS1_17partition_subalgoE8EbNS0_10empty_typeEbEEZZNS1_14partition_implILS5_8ELb0ES3_jN6hipcub16HIPCUB_304000_NS22TransformInputIteratorIbN2at6native8internal12_GLOBAL__N_110LoadBoolOpEPKhlEEPS6_PKS6_NS0_5tupleIJPbS6_EEENSN_IJSK_SK_EEENS0_18inequality_wrapperINSA_8EqualityEEEPlJS6_EEE10hipError_tPvRmT3_T4_T5_T6_T7_T9_mT8_P12ihipStream_tbDpT10_ENKUlT_T0_E_clISt17integral_constantIbLb1EES1E_EEDaS19_S1A_EUlS19_E_NS1_11comp_targetILNS1_3genE2ELNS1_11target_archE906ELNS1_3gpuE6ELNS1_3repE0EEENS1_30default_config_static_selectorELNS0_4arch9wavefront6targetE0EEEvT1_,"axG",@progbits,_ZN7rocprim17ROCPRIM_400000_NS6detail17trampoline_kernelINS0_14default_configENS1_25partition_config_selectorILNS1_17partition_subalgoE8EbNS0_10empty_typeEbEEZZNS1_14partition_implILS5_8ELb0ES3_jN6hipcub16HIPCUB_304000_NS22TransformInputIteratorIbN2at6native8internal12_GLOBAL__N_110LoadBoolOpEPKhlEEPS6_PKS6_NS0_5tupleIJPbS6_EEENSN_IJSK_SK_EEENS0_18inequality_wrapperINSA_8EqualityEEEPlJS6_EEE10hipError_tPvRmT3_T4_T5_T6_T7_T9_mT8_P12ihipStream_tbDpT10_ENKUlT_T0_E_clISt17integral_constantIbLb1EES1E_EEDaS19_S1A_EUlS19_E_NS1_11comp_targetILNS1_3genE2ELNS1_11target_archE906ELNS1_3gpuE6ELNS1_3repE0EEENS1_30default_config_static_selectorELNS0_4arch9wavefront6targetE0EEEvT1_,comdat
	.globl	_ZN7rocprim17ROCPRIM_400000_NS6detail17trampoline_kernelINS0_14default_configENS1_25partition_config_selectorILNS1_17partition_subalgoE8EbNS0_10empty_typeEbEEZZNS1_14partition_implILS5_8ELb0ES3_jN6hipcub16HIPCUB_304000_NS22TransformInputIteratorIbN2at6native8internal12_GLOBAL__N_110LoadBoolOpEPKhlEEPS6_PKS6_NS0_5tupleIJPbS6_EEENSN_IJSK_SK_EEENS0_18inequality_wrapperINSA_8EqualityEEEPlJS6_EEE10hipError_tPvRmT3_T4_T5_T6_T7_T9_mT8_P12ihipStream_tbDpT10_ENKUlT_T0_E_clISt17integral_constantIbLb1EES1E_EEDaS19_S1A_EUlS19_E_NS1_11comp_targetILNS1_3genE2ELNS1_11target_archE906ELNS1_3gpuE6ELNS1_3repE0EEENS1_30default_config_static_selectorELNS0_4arch9wavefront6targetE0EEEvT1_ ; -- Begin function _ZN7rocprim17ROCPRIM_400000_NS6detail17trampoline_kernelINS0_14default_configENS1_25partition_config_selectorILNS1_17partition_subalgoE8EbNS0_10empty_typeEbEEZZNS1_14partition_implILS5_8ELb0ES3_jN6hipcub16HIPCUB_304000_NS22TransformInputIteratorIbN2at6native8internal12_GLOBAL__N_110LoadBoolOpEPKhlEEPS6_PKS6_NS0_5tupleIJPbS6_EEENSN_IJSK_SK_EEENS0_18inequality_wrapperINSA_8EqualityEEEPlJS6_EEE10hipError_tPvRmT3_T4_T5_T6_T7_T9_mT8_P12ihipStream_tbDpT10_ENKUlT_T0_E_clISt17integral_constantIbLb1EES1E_EEDaS19_S1A_EUlS19_E_NS1_11comp_targetILNS1_3genE2ELNS1_11target_archE906ELNS1_3gpuE6ELNS1_3repE0EEENS1_30default_config_static_selectorELNS0_4arch9wavefront6targetE0EEEvT1_
	.p2align	8
	.type	_ZN7rocprim17ROCPRIM_400000_NS6detail17trampoline_kernelINS0_14default_configENS1_25partition_config_selectorILNS1_17partition_subalgoE8EbNS0_10empty_typeEbEEZZNS1_14partition_implILS5_8ELb0ES3_jN6hipcub16HIPCUB_304000_NS22TransformInputIteratorIbN2at6native8internal12_GLOBAL__N_110LoadBoolOpEPKhlEEPS6_PKS6_NS0_5tupleIJPbS6_EEENSN_IJSK_SK_EEENS0_18inequality_wrapperINSA_8EqualityEEEPlJS6_EEE10hipError_tPvRmT3_T4_T5_T6_T7_T9_mT8_P12ihipStream_tbDpT10_ENKUlT_T0_E_clISt17integral_constantIbLb1EES1E_EEDaS19_S1A_EUlS19_E_NS1_11comp_targetILNS1_3genE2ELNS1_11target_archE906ELNS1_3gpuE6ELNS1_3repE0EEENS1_30default_config_static_selectorELNS0_4arch9wavefront6targetE0EEEvT1_,@function
_ZN7rocprim17ROCPRIM_400000_NS6detail17trampoline_kernelINS0_14default_configENS1_25partition_config_selectorILNS1_17partition_subalgoE8EbNS0_10empty_typeEbEEZZNS1_14partition_implILS5_8ELb0ES3_jN6hipcub16HIPCUB_304000_NS22TransformInputIteratorIbN2at6native8internal12_GLOBAL__N_110LoadBoolOpEPKhlEEPS6_PKS6_NS0_5tupleIJPbS6_EEENSN_IJSK_SK_EEENS0_18inequality_wrapperINSA_8EqualityEEEPlJS6_EEE10hipError_tPvRmT3_T4_T5_T6_T7_T9_mT8_P12ihipStream_tbDpT10_ENKUlT_T0_E_clISt17integral_constantIbLb1EES1E_EEDaS19_S1A_EUlS19_E_NS1_11comp_targetILNS1_3genE2ELNS1_11target_archE906ELNS1_3gpuE6ELNS1_3repE0EEENS1_30default_config_static_selectorELNS0_4arch9wavefront6targetE0EEEvT1_: ; @_ZN7rocprim17ROCPRIM_400000_NS6detail17trampoline_kernelINS0_14default_configENS1_25partition_config_selectorILNS1_17partition_subalgoE8EbNS0_10empty_typeEbEEZZNS1_14partition_implILS5_8ELb0ES3_jN6hipcub16HIPCUB_304000_NS22TransformInputIteratorIbN2at6native8internal12_GLOBAL__N_110LoadBoolOpEPKhlEEPS6_PKS6_NS0_5tupleIJPbS6_EEENSN_IJSK_SK_EEENS0_18inequality_wrapperINSA_8EqualityEEEPlJS6_EEE10hipError_tPvRmT3_T4_T5_T6_T7_T9_mT8_P12ihipStream_tbDpT10_ENKUlT_T0_E_clISt17integral_constantIbLb1EES1E_EEDaS19_S1A_EUlS19_E_NS1_11comp_targetILNS1_3genE2ELNS1_11target_archE906ELNS1_3gpuE6ELNS1_3repE0EEENS1_30default_config_static_selectorELNS0_4arch9wavefront6targetE0EEEvT1_
; %bb.0:
	.section	.rodata,"a",@progbits
	.p2align	6, 0x0
	.amdhsa_kernel _ZN7rocprim17ROCPRIM_400000_NS6detail17trampoline_kernelINS0_14default_configENS1_25partition_config_selectorILNS1_17partition_subalgoE8EbNS0_10empty_typeEbEEZZNS1_14partition_implILS5_8ELb0ES3_jN6hipcub16HIPCUB_304000_NS22TransformInputIteratorIbN2at6native8internal12_GLOBAL__N_110LoadBoolOpEPKhlEEPS6_PKS6_NS0_5tupleIJPbS6_EEENSN_IJSK_SK_EEENS0_18inequality_wrapperINSA_8EqualityEEEPlJS6_EEE10hipError_tPvRmT3_T4_T5_T6_T7_T9_mT8_P12ihipStream_tbDpT10_ENKUlT_T0_E_clISt17integral_constantIbLb1EES1E_EEDaS19_S1A_EUlS19_E_NS1_11comp_targetILNS1_3genE2ELNS1_11target_archE906ELNS1_3gpuE6ELNS1_3repE0EEENS1_30default_config_static_selectorELNS0_4arch9wavefront6targetE0EEEvT1_
		.amdhsa_group_segment_fixed_size 0
		.amdhsa_private_segment_fixed_size 0
		.amdhsa_kernarg_size 136
		.amdhsa_user_sgpr_count 2
		.amdhsa_user_sgpr_dispatch_ptr 0
		.amdhsa_user_sgpr_queue_ptr 0
		.amdhsa_user_sgpr_kernarg_segment_ptr 1
		.amdhsa_user_sgpr_dispatch_id 0
		.amdhsa_user_sgpr_kernarg_preload_length 0
		.amdhsa_user_sgpr_kernarg_preload_offset 0
		.amdhsa_user_sgpr_private_segment_size 0
		.amdhsa_wavefront_size32 1
		.amdhsa_uses_dynamic_stack 0
		.amdhsa_enable_private_segment 0
		.amdhsa_system_sgpr_workgroup_id_x 1
		.amdhsa_system_sgpr_workgroup_id_y 0
		.amdhsa_system_sgpr_workgroup_id_z 0
		.amdhsa_system_sgpr_workgroup_info 0
		.amdhsa_system_vgpr_workitem_id 0
		.amdhsa_next_free_vgpr 1
		.amdhsa_next_free_sgpr 1
		.amdhsa_named_barrier_count 0
		.amdhsa_reserve_vcc 0
		.amdhsa_float_round_mode_32 0
		.amdhsa_float_round_mode_16_64 0
		.amdhsa_float_denorm_mode_32 3
		.amdhsa_float_denorm_mode_16_64 3
		.amdhsa_fp16_overflow 0
		.amdhsa_memory_ordered 1
		.amdhsa_forward_progress 1
		.amdhsa_inst_pref_size 0
		.amdhsa_round_robin_scheduling 0
		.amdhsa_exception_fp_ieee_invalid_op 0
		.amdhsa_exception_fp_denorm_src 0
		.amdhsa_exception_fp_ieee_div_zero 0
		.amdhsa_exception_fp_ieee_overflow 0
		.amdhsa_exception_fp_ieee_underflow 0
		.amdhsa_exception_fp_ieee_inexact 0
		.amdhsa_exception_int_div_zero 0
	.end_amdhsa_kernel
	.section	.text._ZN7rocprim17ROCPRIM_400000_NS6detail17trampoline_kernelINS0_14default_configENS1_25partition_config_selectorILNS1_17partition_subalgoE8EbNS0_10empty_typeEbEEZZNS1_14partition_implILS5_8ELb0ES3_jN6hipcub16HIPCUB_304000_NS22TransformInputIteratorIbN2at6native8internal12_GLOBAL__N_110LoadBoolOpEPKhlEEPS6_PKS6_NS0_5tupleIJPbS6_EEENSN_IJSK_SK_EEENS0_18inequality_wrapperINSA_8EqualityEEEPlJS6_EEE10hipError_tPvRmT3_T4_T5_T6_T7_T9_mT8_P12ihipStream_tbDpT10_ENKUlT_T0_E_clISt17integral_constantIbLb1EES1E_EEDaS19_S1A_EUlS19_E_NS1_11comp_targetILNS1_3genE2ELNS1_11target_archE906ELNS1_3gpuE6ELNS1_3repE0EEENS1_30default_config_static_selectorELNS0_4arch9wavefront6targetE0EEEvT1_,"axG",@progbits,_ZN7rocprim17ROCPRIM_400000_NS6detail17trampoline_kernelINS0_14default_configENS1_25partition_config_selectorILNS1_17partition_subalgoE8EbNS0_10empty_typeEbEEZZNS1_14partition_implILS5_8ELb0ES3_jN6hipcub16HIPCUB_304000_NS22TransformInputIteratorIbN2at6native8internal12_GLOBAL__N_110LoadBoolOpEPKhlEEPS6_PKS6_NS0_5tupleIJPbS6_EEENSN_IJSK_SK_EEENS0_18inequality_wrapperINSA_8EqualityEEEPlJS6_EEE10hipError_tPvRmT3_T4_T5_T6_T7_T9_mT8_P12ihipStream_tbDpT10_ENKUlT_T0_E_clISt17integral_constantIbLb1EES1E_EEDaS19_S1A_EUlS19_E_NS1_11comp_targetILNS1_3genE2ELNS1_11target_archE906ELNS1_3gpuE6ELNS1_3repE0EEENS1_30default_config_static_selectorELNS0_4arch9wavefront6targetE0EEEvT1_,comdat
.Lfunc_end26:
	.size	_ZN7rocprim17ROCPRIM_400000_NS6detail17trampoline_kernelINS0_14default_configENS1_25partition_config_selectorILNS1_17partition_subalgoE8EbNS0_10empty_typeEbEEZZNS1_14partition_implILS5_8ELb0ES3_jN6hipcub16HIPCUB_304000_NS22TransformInputIteratorIbN2at6native8internal12_GLOBAL__N_110LoadBoolOpEPKhlEEPS6_PKS6_NS0_5tupleIJPbS6_EEENSN_IJSK_SK_EEENS0_18inequality_wrapperINSA_8EqualityEEEPlJS6_EEE10hipError_tPvRmT3_T4_T5_T6_T7_T9_mT8_P12ihipStream_tbDpT10_ENKUlT_T0_E_clISt17integral_constantIbLb1EES1E_EEDaS19_S1A_EUlS19_E_NS1_11comp_targetILNS1_3genE2ELNS1_11target_archE906ELNS1_3gpuE6ELNS1_3repE0EEENS1_30default_config_static_selectorELNS0_4arch9wavefront6targetE0EEEvT1_, .Lfunc_end26-_ZN7rocprim17ROCPRIM_400000_NS6detail17trampoline_kernelINS0_14default_configENS1_25partition_config_selectorILNS1_17partition_subalgoE8EbNS0_10empty_typeEbEEZZNS1_14partition_implILS5_8ELb0ES3_jN6hipcub16HIPCUB_304000_NS22TransformInputIteratorIbN2at6native8internal12_GLOBAL__N_110LoadBoolOpEPKhlEEPS6_PKS6_NS0_5tupleIJPbS6_EEENSN_IJSK_SK_EEENS0_18inequality_wrapperINSA_8EqualityEEEPlJS6_EEE10hipError_tPvRmT3_T4_T5_T6_T7_T9_mT8_P12ihipStream_tbDpT10_ENKUlT_T0_E_clISt17integral_constantIbLb1EES1E_EEDaS19_S1A_EUlS19_E_NS1_11comp_targetILNS1_3genE2ELNS1_11target_archE906ELNS1_3gpuE6ELNS1_3repE0EEENS1_30default_config_static_selectorELNS0_4arch9wavefront6targetE0EEEvT1_
                                        ; -- End function
	.set _ZN7rocprim17ROCPRIM_400000_NS6detail17trampoline_kernelINS0_14default_configENS1_25partition_config_selectorILNS1_17partition_subalgoE8EbNS0_10empty_typeEbEEZZNS1_14partition_implILS5_8ELb0ES3_jN6hipcub16HIPCUB_304000_NS22TransformInputIteratorIbN2at6native8internal12_GLOBAL__N_110LoadBoolOpEPKhlEEPS6_PKS6_NS0_5tupleIJPbS6_EEENSN_IJSK_SK_EEENS0_18inequality_wrapperINSA_8EqualityEEEPlJS6_EEE10hipError_tPvRmT3_T4_T5_T6_T7_T9_mT8_P12ihipStream_tbDpT10_ENKUlT_T0_E_clISt17integral_constantIbLb1EES1E_EEDaS19_S1A_EUlS19_E_NS1_11comp_targetILNS1_3genE2ELNS1_11target_archE906ELNS1_3gpuE6ELNS1_3repE0EEENS1_30default_config_static_selectorELNS0_4arch9wavefront6targetE0EEEvT1_.num_vgpr, 0
	.set _ZN7rocprim17ROCPRIM_400000_NS6detail17trampoline_kernelINS0_14default_configENS1_25partition_config_selectorILNS1_17partition_subalgoE8EbNS0_10empty_typeEbEEZZNS1_14partition_implILS5_8ELb0ES3_jN6hipcub16HIPCUB_304000_NS22TransformInputIteratorIbN2at6native8internal12_GLOBAL__N_110LoadBoolOpEPKhlEEPS6_PKS6_NS0_5tupleIJPbS6_EEENSN_IJSK_SK_EEENS0_18inequality_wrapperINSA_8EqualityEEEPlJS6_EEE10hipError_tPvRmT3_T4_T5_T6_T7_T9_mT8_P12ihipStream_tbDpT10_ENKUlT_T0_E_clISt17integral_constantIbLb1EES1E_EEDaS19_S1A_EUlS19_E_NS1_11comp_targetILNS1_3genE2ELNS1_11target_archE906ELNS1_3gpuE6ELNS1_3repE0EEENS1_30default_config_static_selectorELNS0_4arch9wavefront6targetE0EEEvT1_.num_agpr, 0
	.set _ZN7rocprim17ROCPRIM_400000_NS6detail17trampoline_kernelINS0_14default_configENS1_25partition_config_selectorILNS1_17partition_subalgoE8EbNS0_10empty_typeEbEEZZNS1_14partition_implILS5_8ELb0ES3_jN6hipcub16HIPCUB_304000_NS22TransformInputIteratorIbN2at6native8internal12_GLOBAL__N_110LoadBoolOpEPKhlEEPS6_PKS6_NS0_5tupleIJPbS6_EEENSN_IJSK_SK_EEENS0_18inequality_wrapperINSA_8EqualityEEEPlJS6_EEE10hipError_tPvRmT3_T4_T5_T6_T7_T9_mT8_P12ihipStream_tbDpT10_ENKUlT_T0_E_clISt17integral_constantIbLb1EES1E_EEDaS19_S1A_EUlS19_E_NS1_11comp_targetILNS1_3genE2ELNS1_11target_archE906ELNS1_3gpuE6ELNS1_3repE0EEENS1_30default_config_static_selectorELNS0_4arch9wavefront6targetE0EEEvT1_.numbered_sgpr, 0
	.set _ZN7rocprim17ROCPRIM_400000_NS6detail17trampoline_kernelINS0_14default_configENS1_25partition_config_selectorILNS1_17partition_subalgoE8EbNS0_10empty_typeEbEEZZNS1_14partition_implILS5_8ELb0ES3_jN6hipcub16HIPCUB_304000_NS22TransformInputIteratorIbN2at6native8internal12_GLOBAL__N_110LoadBoolOpEPKhlEEPS6_PKS6_NS0_5tupleIJPbS6_EEENSN_IJSK_SK_EEENS0_18inequality_wrapperINSA_8EqualityEEEPlJS6_EEE10hipError_tPvRmT3_T4_T5_T6_T7_T9_mT8_P12ihipStream_tbDpT10_ENKUlT_T0_E_clISt17integral_constantIbLb1EES1E_EEDaS19_S1A_EUlS19_E_NS1_11comp_targetILNS1_3genE2ELNS1_11target_archE906ELNS1_3gpuE6ELNS1_3repE0EEENS1_30default_config_static_selectorELNS0_4arch9wavefront6targetE0EEEvT1_.num_named_barrier, 0
	.set _ZN7rocprim17ROCPRIM_400000_NS6detail17trampoline_kernelINS0_14default_configENS1_25partition_config_selectorILNS1_17partition_subalgoE8EbNS0_10empty_typeEbEEZZNS1_14partition_implILS5_8ELb0ES3_jN6hipcub16HIPCUB_304000_NS22TransformInputIteratorIbN2at6native8internal12_GLOBAL__N_110LoadBoolOpEPKhlEEPS6_PKS6_NS0_5tupleIJPbS6_EEENSN_IJSK_SK_EEENS0_18inequality_wrapperINSA_8EqualityEEEPlJS6_EEE10hipError_tPvRmT3_T4_T5_T6_T7_T9_mT8_P12ihipStream_tbDpT10_ENKUlT_T0_E_clISt17integral_constantIbLb1EES1E_EEDaS19_S1A_EUlS19_E_NS1_11comp_targetILNS1_3genE2ELNS1_11target_archE906ELNS1_3gpuE6ELNS1_3repE0EEENS1_30default_config_static_selectorELNS0_4arch9wavefront6targetE0EEEvT1_.private_seg_size, 0
	.set _ZN7rocprim17ROCPRIM_400000_NS6detail17trampoline_kernelINS0_14default_configENS1_25partition_config_selectorILNS1_17partition_subalgoE8EbNS0_10empty_typeEbEEZZNS1_14partition_implILS5_8ELb0ES3_jN6hipcub16HIPCUB_304000_NS22TransformInputIteratorIbN2at6native8internal12_GLOBAL__N_110LoadBoolOpEPKhlEEPS6_PKS6_NS0_5tupleIJPbS6_EEENSN_IJSK_SK_EEENS0_18inequality_wrapperINSA_8EqualityEEEPlJS6_EEE10hipError_tPvRmT3_T4_T5_T6_T7_T9_mT8_P12ihipStream_tbDpT10_ENKUlT_T0_E_clISt17integral_constantIbLb1EES1E_EEDaS19_S1A_EUlS19_E_NS1_11comp_targetILNS1_3genE2ELNS1_11target_archE906ELNS1_3gpuE6ELNS1_3repE0EEENS1_30default_config_static_selectorELNS0_4arch9wavefront6targetE0EEEvT1_.uses_vcc, 0
	.set _ZN7rocprim17ROCPRIM_400000_NS6detail17trampoline_kernelINS0_14default_configENS1_25partition_config_selectorILNS1_17partition_subalgoE8EbNS0_10empty_typeEbEEZZNS1_14partition_implILS5_8ELb0ES3_jN6hipcub16HIPCUB_304000_NS22TransformInputIteratorIbN2at6native8internal12_GLOBAL__N_110LoadBoolOpEPKhlEEPS6_PKS6_NS0_5tupleIJPbS6_EEENSN_IJSK_SK_EEENS0_18inequality_wrapperINSA_8EqualityEEEPlJS6_EEE10hipError_tPvRmT3_T4_T5_T6_T7_T9_mT8_P12ihipStream_tbDpT10_ENKUlT_T0_E_clISt17integral_constantIbLb1EES1E_EEDaS19_S1A_EUlS19_E_NS1_11comp_targetILNS1_3genE2ELNS1_11target_archE906ELNS1_3gpuE6ELNS1_3repE0EEENS1_30default_config_static_selectorELNS0_4arch9wavefront6targetE0EEEvT1_.uses_flat_scratch, 0
	.set _ZN7rocprim17ROCPRIM_400000_NS6detail17trampoline_kernelINS0_14default_configENS1_25partition_config_selectorILNS1_17partition_subalgoE8EbNS0_10empty_typeEbEEZZNS1_14partition_implILS5_8ELb0ES3_jN6hipcub16HIPCUB_304000_NS22TransformInputIteratorIbN2at6native8internal12_GLOBAL__N_110LoadBoolOpEPKhlEEPS6_PKS6_NS0_5tupleIJPbS6_EEENSN_IJSK_SK_EEENS0_18inequality_wrapperINSA_8EqualityEEEPlJS6_EEE10hipError_tPvRmT3_T4_T5_T6_T7_T9_mT8_P12ihipStream_tbDpT10_ENKUlT_T0_E_clISt17integral_constantIbLb1EES1E_EEDaS19_S1A_EUlS19_E_NS1_11comp_targetILNS1_3genE2ELNS1_11target_archE906ELNS1_3gpuE6ELNS1_3repE0EEENS1_30default_config_static_selectorELNS0_4arch9wavefront6targetE0EEEvT1_.has_dyn_sized_stack, 0
	.set _ZN7rocprim17ROCPRIM_400000_NS6detail17trampoline_kernelINS0_14default_configENS1_25partition_config_selectorILNS1_17partition_subalgoE8EbNS0_10empty_typeEbEEZZNS1_14partition_implILS5_8ELb0ES3_jN6hipcub16HIPCUB_304000_NS22TransformInputIteratorIbN2at6native8internal12_GLOBAL__N_110LoadBoolOpEPKhlEEPS6_PKS6_NS0_5tupleIJPbS6_EEENSN_IJSK_SK_EEENS0_18inequality_wrapperINSA_8EqualityEEEPlJS6_EEE10hipError_tPvRmT3_T4_T5_T6_T7_T9_mT8_P12ihipStream_tbDpT10_ENKUlT_T0_E_clISt17integral_constantIbLb1EES1E_EEDaS19_S1A_EUlS19_E_NS1_11comp_targetILNS1_3genE2ELNS1_11target_archE906ELNS1_3gpuE6ELNS1_3repE0EEENS1_30default_config_static_selectorELNS0_4arch9wavefront6targetE0EEEvT1_.has_recursion, 0
	.set _ZN7rocprim17ROCPRIM_400000_NS6detail17trampoline_kernelINS0_14default_configENS1_25partition_config_selectorILNS1_17partition_subalgoE8EbNS0_10empty_typeEbEEZZNS1_14partition_implILS5_8ELb0ES3_jN6hipcub16HIPCUB_304000_NS22TransformInputIteratorIbN2at6native8internal12_GLOBAL__N_110LoadBoolOpEPKhlEEPS6_PKS6_NS0_5tupleIJPbS6_EEENSN_IJSK_SK_EEENS0_18inequality_wrapperINSA_8EqualityEEEPlJS6_EEE10hipError_tPvRmT3_T4_T5_T6_T7_T9_mT8_P12ihipStream_tbDpT10_ENKUlT_T0_E_clISt17integral_constantIbLb1EES1E_EEDaS19_S1A_EUlS19_E_NS1_11comp_targetILNS1_3genE2ELNS1_11target_archE906ELNS1_3gpuE6ELNS1_3repE0EEENS1_30default_config_static_selectorELNS0_4arch9wavefront6targetE0EEEvT1_.has_indirect_call, 0
	.section	.AMDGPU.csdata,"",@progbits
; Kernel info:
; codeLenInByte = 0
; TotalNumSgprs: 0
; NumVgprs: 0
; ScratchSize: 0
; MemoryBound: 0
; FloatMode: 240
; IeeeMode: 1
; LDSByteSize: 0 bytes/workgroup (compile time only)
; SGPRBlocks: 0
; VGPRBlocks: 0
; NumSGPRsForWavesPerEU: 1
; NumVGPRsForWavesPerEU: 1
; NamedBarCnt: 0
; Occupancy: 16
; WaveLimiterHint : 0
; COMPUTE_PGM_RSRC2:SCRATCH_EN: 0
; COMPUTE_PGM_RSRC2:USER_SGPR: 2
; COMPUTE_PGM_RSRC2:TRAP_HANDLER: 0
; COMPUTE_PGM_RSRC2:TGID_X_EN: 1
; COMPUTE_PGM_RSRC2:TGID_Y_EN: 0
; COMPUTE_PGM_RSRC2:TGID_Z_EN: 0
; COMPUTE_PGM_RSRC2:TIDIG_COMP_CNT: 0
	.section	.text._ZN7rocprim17ROCPRIM_400000_NS6detail17trampoline_kernelINS0_14default_configENS1_25partition_config_selectorILNS1_17partition_subalgoE8EbNS0_10empty_typeEbEEZZNS1_14partition_implILS5_8ELb0ES3_jN6hipcub16HIPCUB_304000_NS22TransformInputIteratorIbN2at6native8internal12_GLOBAL__N_110LoadBoolOpEPKhlEEPS6_PKS6_NS0_5tupleIJPbS6_EEENSN_IJSK_SK_EEENS0_18inequality_wrapperINSA_8EqualityEEEPlJS6_EEE10hipError_tPvRmT3_T4_T5_T6_T7_T9_mT8_P12ihipStream_tbDpT10_ENKUlT_T0_E_clISt17integral_constantIbLb1EES1E_EEDaS19_S1A_EUlS19_E_NS1_11comp_targetILNS1_3genE10ELNS1_11target_archE1200ELNS1_3gpuE4ELNS1_3repE0EEENS1_30default_config_static_selectorELNS0_4arch9wavefront6targetE0EEEvT1_,"axG",@progbits,_ZN7rocprim17ROCPRIM_400000_NS6detail17trampoline_kernelINS0_14default_configENS1_25partition_config_selectorILNS1_17partition_subalgoE8EbNS0_10empty_typeEbEEZZNS1_14partition_implILS5_8ELb0ES3_jN6hipcub16HIPCUB_304000_NS22TransformInputIteratorIbN2at6native8internal12_GLOBAL__N_110LoadBoolOpEPKhlEEPS6_PKS6_NS0_5tupleIJPbS6_EEENSN_IJSK_SK_EEENS0_18inequality_wrapperINSA_8EqualityEEEPlJS6_EEE10hipError_tPvRmT3_T4_T5_T6_T7_T9_mT8_P12ihipStream_tbDpT10_ENKUlT_T0_E_clISt17integral_constantIbLb1EES1E_EEDaS19_S1A_EUlS19_E_NS1_11comp_targetILNS1_3genE10ELNS1_11target_archE1200ELNS1_3gpuE4ELNS1_3repE0EEENS1_30default_config_static_selectorELNS0_4arch9wavefront6targetE0EEEvT1_,comdat
	.globl	_ZN7rocprim17ROCPRIM_400000_NS6detail17trampoline_kernelINS0_14default_configENS1_25partition_config_selectorILNS1_17partition_subalgoE8EbNS0_10empty_typeEbEEZZNS1_14partition_implILS5_8ELb0ES3_jN6hipcub16HIPCUB_304000_NS22TransformInputIteratorIbN2at6native8internal12_GLOBAL__N_110LoadBoolOpEPKhlEEPS6_PKS6_NS0_5tupleIJPbS6_EEENSN_IJSK_SK_EEENS0_18inequality_wrapperINSA_8EqualityEEEPlJS6_EEE10hipError_tPvRmT3_T4_T5_T6_T7_T9_mT8_P12ihipStream_tbDpT10_ENKUlT_T0_E_clISt17integral_constantIbLb1EES1E_EEDaS19_S1A_EUlS19_E_NS1_11comp_targetILNS1_3genE10ELNS1_11target_archE1200ELNS1_3gpuE4ELNS1_3repE0EEENS1_30default_config_static_selectorELNS0_4arch9wavefront6targetE0EEEvT1_ ; -- Begin function _ZN7rocprim17ROCPRIM_400000_NS6detail17trampoline_kernelINS0_14default_configENS1_25partition_config_selectorILNS1_17partition_subalgoE8EbNS0_10empty_typeEbEEZZNS1_14partition_implILS5_8ELb0ES3_jN6hipcub16HIPCUB_304000_NS22TransformInputIteratorIbN2at6native8internal12_GLOBAL__N_110LoadBoolOpEPKhlEEPS6_PKS6_NS0_5tupleIJPbS6_EEENSN_IJSK_SK_EEENS0_18inequality_wrapperINSA_8EqualityEEEPlJS6_EEE10hipError_tPvRmT3_T4_T5_T6_T7_T9_mT8_P12ihipStream_tbDpT10_ENKUlT_T0_E_clISt17integral_constantIbLb1EES1E_EEDaS19_S1A_EUlS19_E_NS1_11comp_targetILNS1_3genE10ELNS1_11target_archE1200ELNS1_3gpuE4ELNS1_3repE0EEENS1_30default_config_static_selectorELNS0_4arch9wavefront6targetE0EEEvT1_
	.p2align	8
	.type	_ZN7rocprim17ROCPRIM_400000_NS6detail17trampoline_kernelINS0_14default_configENS1_25partition_config_selectorILNS1_17partition_subalgoE8EbNS0_10empty_typeEbEEZZNS1_14partition_implILS5_8ELb0ES3_jN6hipcub16HIPCUB_304000_NS22TransformInputIteratorIbN2at6native8internal12_GLOBAL__N_110LoadBoolOpEPKhlEEPS6_PKS6_NS0_5tupleIJPbS6_EEENSN_IJSK_SK_EEENS0_18inequality_wrapperINSA_8EqualityEEEPlJS6_EEE10hipError_tPvRmT3_T4_T5_T6_T7_T9_mT8_P12ihipStream_tbDpT10_ENKUlT_T0_E_clISt17integral_constantIbLb1EES1E_EEDaS19_S1A_EUlS19_E_NS1_11comp_targetILNS1_3genE10ELNS1_11target_archE1200ELNS1_3gpuE4ELNS1_3repE0EEENS1_30default_config_static_selectorELNS0_4arch9wavefront6targetE0EEEvT1_,@function
_ZN7rocprim17ROCPRIM_400000_NS6detail17trampoline_kernelINS0_14default_configENS1_25partition_config_selectorILNS1_17partition_subalgoE8EbNS0_10empty_typeEbEEZZNS1_14partition_implILS5_8ELb0ES3_jN6hipcub16HIPCUB_304000_NS22TransformInputIteratorIbN2at6native8internal12_GLOBAL__N_110LoadBoolOpEPKhlEEPS6_PKS6_NS0_5tupleIJPbS6_EEENSN_IJSK_SK_EEENS0_18inequality_wrapperINSA_8EqualityEEEPlJS6_EEE10hipError_tPvRmT3_T4_T5_T6_T7_T9_mT8_P12ihipStream_tbDpT10_ENKUlT_T0_E_clISt17integral_constantIbLb1EES1E_EEDaS19_S1A_EUlS19_E_NS1_11comp_targetILNS1_3genE10ELNS1_11target_archE1200ELNS1_3gpuE4ELNS1_3repE0EEENS1_30default_config_static_selectorELNS0_4arch9wavefront6targetE0EEEvT1_: ; @_ZN7rocprim17ROCPRIM_400000_NS6detail17trampoline_kernelINS0_14default_configENS1_25partition_config_selectorILNS1_17partition_subalgoE8EbNS0_10empty_typeEbEEZZNS1_14partition_implILS5_8ELb0ES3_jN6hipcub16HIPCUB_304000_NS22TransformInputIteratorIbN2at6native8internal12_GLOBAL__N_110LoadBoolOpEPKhlEEPS6_PKS6_NS0_5tupleIJPbS6_EEENSN_IJSK_SK_EEENS0_18inequality_wrapperINSA_8EqualityEEEPlJS6_EEE10hipError_tPvRmT3_T4_T5_T6_T7_T9_mT8_P12ihipStream_tbDpT10_ENKUlT_T0_E_clISt17integral_constantIbLb1EES1E_EEDaS19_S1A_EUlS19_E_NS1_11comp_targetILNS1_3genE10ELNS1_11target_archE1200ELNS1_3gpuE4ELNS1_3repE0EEENS1_30default_config_static_selectorELNS0_4arch9wavefront6targetE0EEEvT1_
; %bb.0:
	.section	.rodata,"a",@progbits
	.p2align	6, 0x0
	.amdhsa_kernel _ZN7rocprim17ROCPRIM_400000_NS6detail17trampoline_kernelINS0_14default_configENS1_25partition_config_selectorILNS1_17partition_subalgoE8EbNS0_10empty_typeEbEEZZNS1_14partition_implILS5_8ELb0ES3_jN6hipcub16HIPCUB_304000_NS22TransformInputIteratorIbN2at6native8internal12_GLOBAL__N_110LoadBoolOpEPKhlEEPS6_PKS6_NS0_5tupleIJPbS6_EEENSN_IJSK_SK_EEENS0_18inequality_wrapperINSA_8EqualityEEEPlJS6_EEE10hipError_tPvRmT3_T4_T5_T6_T7_T9_mT8_P12ihipStream_tbDpT10_ENKUlT_T0_E_clISt17integral_constantIbLb1EES1E_EEDaS19_S1A_EUlS19_E_NS1_11comp_targetILNS1_3genE10ELNS1_11target_archE1200ELNS1_3gpuE4ELNS1_3repE0EEENS1_30default_config_static_selectorELNS0_4arch9wavefront6targetE0EEEvT1_
		.amdhsa_group_segment_fixed_size 0
		.amdhsa_private_segment_fixed_size 0
		.amdhsa_kernarg_size 136
		.amdhsa_user_sgpr_count 2
		.amdhsa_user_sgpr_dispatch_ptr 0
		.amdhsa_user_sgpr_queue_ptr 0
		.amdhsa_user_sgpr_kernarg_segment_ptr 1
		.amdhsa_user_sgpr_dispatch_id 0
		.amdhsa_user_sgpr_kernarg_preload_length 0
		.amdhsa_user_sgpr_kernarg_preload_offset 0
		.amdhsa_user_sgpr_private_segment_size 0
		.amdhsa_wavefront_size32 1
		.amdhsa_uses_dynamic_stack 0
		.amdhsa_enable_private_segment 0
		.amdhsa_system_sgpr_workgroup_id_x 1
		.amdhsa_system_sgpr_workgroup_id_y 0
		.amdhsa_system_sgpr_workgroup_id_z 0
		.amdhsa_system_sgpr_workgroup_info 0
		.amdhsa_system_vgpr_workitem_id 0
		.amdhsa_next_free_vgpr 1
		.amdhsa_next_free_sgpr 1
		.amdhsa_named_barrier_count 0
		.amdhsa_reserve_vcc 0
		.amdhsa_float_round_mode_32 0
		.amdhsa_float_round_mode_16_64 0
		.amdhsa_float_denorm_mode_32 3
		.amdhsa_float_denorm_mode_16_64 3
		.amdhsa_fp16_overflow 0
		.amdhsa_memory_ordered 1
		.amdhsa_forward_progress 1
		.amdhsa_inst_pref_size 0
		.amdhsa_round_robin_scheduling 0
		.amdhsa_exception_fp_ieee_invalid_op 0
		.amdhsa_exception_fp_denorm_src 0
		.amdhsa_exception_fp_ieee_div_zero 0
		.amdhsa_exception_fp_ieee_overflow 0
		.amdhsa_exception_fp_ieee_underflow 0
		.amdhsa_exception_fp_ieee_inexact 0
		.amdhsa_exception_int_div_zero 0
	.end_amdhsa_kernel
	.section	.text._ZN7rocprim17ROCPRIM_400000_NS6detail17trampoline_kernelINS0_14default_configENS1_25partition_config_selectorILNS1_17partition_subalgoE8EbNS0_10empty_typeEbEEZZNS1_14partition_implILS5_8ELb0ES3_jN6hipcub16HIPCUB_304000_NS22TransformInputIteratorIbN2at6native8internal12_GLOBAL__N_110LoadBoolOpEPKhlEEPS6_PKS6_NS0_5tupleIJPbS6_EEENSN_IJSK_SK_EEENS0_18inequality_wrapperINSA_8EqualityEEEPlJS6_EEE10hipError_tPvRmT3_T4_T5_T6_T7_T9_mT8_P12ihipStream_tbDpT10_ENKUlT_T0_E_clISt17integral_constantIbLb1EES1E_EEDaS19_S1A_EUlS19_E_NS1_11comp_targetILNS1_3genE10ELNS1_11target_archE1200ELNS1_3gpuE4ELNS1_3repE0EEENS1_30default_config_static_selectorELNS0_4arch9wavefront6targetE0EEEvT1_,"axG",@progbits,_ZN7rocprim17ROCPRIM_400000_NS6detail17trampoline_kernelINS0_14default_configENS1_25partition_config_selectorILNS1_17partition_subalgoE8EbNS0_10empty_typeEbEEZZNS1_14partition_implILS5_8ELb0ES3_jN6hipcub16HIPCUB_304000_NS22TransformInputIteratorIbN2at6native8internal12_GLOBAL__N_110LoadBoolOpEPKhlEEPS6_PKS6_NS0_5tupleIJPbS6_EEENSN_IJSK_SK_EEENS0_18inequality_wrapperINSA_8EqualityEEEPlJS6_EEE10hipError_tPvRmT3_T4_T5_T6_T7_T9_mT8_P12ihipStream_tbDpT10_ENKUlT_T0_E_clISt17integral_constantIbLb1EES1E_EEDaS19_S1A_EUlS19_E_NS1_11comp_targetILNS1_3genE10ELNS1_11target_archE1200ELNS1_3gpuE4ELNS1_3repE0EEENS1_30default_config_static_selectorELNS0_4arch9wavefront6targetE0EEEvT1_,comdat
.Lfunc_end27:
	.size	_ZN7rocprim17ROCPRIM_400000_NS6detail17trampoline_kernelINS0_14default_configENS1_25partition_config_selectorILNS1_17partition_subalgoE8EbNS0_10empty_typeEbEEZZNS1_14partition_implILS5_8ELb0ES3_jN6hipcub16HIPCUB_304000_NS22TransformInputIteratorIbN2at6native8internal12_GLOBAL__N_110LoadBoolOpEPKhlEEPS6_PKS6_NS0_5tupleIJPbS6_EEENSN_IJSK_SK_EEENS0_18inequality_wrapperINSA_8EqualityEEEPlJS6_EEE10hipError_tPvRmT3_T4_T5_T6_T7_T9_mT8_P12ihipStream_tbDpT10_ENKUlT_T0_E_clISt17integral_constantIbLb1EES1E_EEDaS19_S1A_EUlS19_E_NS1_11comp_targetILNS1_3genE10ELNS1_11target_archE1200ELNS1_3gpuE4ELNS1_3repE0EEENS1_30default_config_static_selectorELNS0_4arch9wavefront6targetE0EEEvT1_, .Lfunc_end27-_ZN7rocprim17ROCPRIM_400000_NS6detail17trampoline_kernelINS0_14default_configENS1_25partition_config_selectorILNS1_17partition_subalgoE8EbNS0_10empty_typeEbEEZZNS1_14partition_implILS5_8ELb0ES3_jN6hipcub16HIPCUB_304000_NS22TransformInputIteratorIbN2at6native8internal12_GLOBAL__N_110LoadBoolOpEPKhlEEPS6_PKS6_NS0_5tupleIJPbS6_EEENSN_IJSK_SK_EEENS0_18inequality_wrapperINSA_8EqualityEEEPlJS6_EEE10hipError_tPvRmT3_T4_T5_T6_T7_T9_mT8_P12ihipStream_tbDpT10_ENKUlT_T0_E_clISt17integral_constantIbLb1EES1E_EEDaS19_S1A_EUlS19_E_NS1_11comp_targetILNS1_3genE10ELNS1_11target_archE1200ELNS1_3gpuE4ELNS1_3repE0EEENS1_30default_config_static_selectorELNS0_4arch9wavefront6targetE0EEEvT1_
                                        ; -- End function
	.set _ZN7rocprim17ROCPRIM_400000_NS6detail17trampoline_kernelINS0_14default_configENS1_25partition_config_selectorILNS1_17partition_subalgoE8EbNS0_10empty_typeEbEEZZNS1_14partition_implILS5_8ELb0ES3_jN6hipcub16HIPCUB_304000_NS22TransformInputIteratorIbN2at6native8internal12_GLOBAL__N_110LoadBoolOpEPKhlEEPS6_PKS6_NS0_5tupleIJPbS6_EEENSN_IJSK_SK_EEENS0_18inequality_wrapperINSA_8EqualityEEEPlJS6_EEE10hipError_tPvRmT3_T4_T5_T6_T7_T9_mT8_P12ihipStream_tbDpT10_ENKUlT_T0_E_clISt17integral_constantIbLb1EES1E_EEDaS19_S1A_EUlS19_E_NS1_11comp_targetILNS1_3genE10ELNS1_11target_archE1200ELNS1_3gpuE4ELNS1_3repE0EEENS1_30default_config_static_selectorELNS0_4arch9wavefront6targetE0EEEvT1_.num_vgpr, 0
	.set _ZN7rocprim17ROCPRIM_400000_NS6detail17trampoline_kernelINS0_14default_configENS1_25partition_config_selectorILNS1_17partition_subalgoE8EbNS0_10empty_typeEbEEZZNS1_14partition_implILS5_8ELb0ES3_jN6hipcub16HIPCUB_304000_NS22TransformInputIteratorIbN2at6native8internal12_GLOBAL__N_110LoadBoolOpEPKhlEEPS6_PKS6_NS0_5tupleIJPbS6_EEENSN_IJSK_SK_EEENS0_18inequality_wrapperINSA_8EqualityEEEPlJS6_EEE10hipError_tPvRmT3_T4_T5_T6_T7_T9_mT8_P12ihipStream_tbDpT10_ENKUlT_T0_E_clISt17integral_constantIbLb1EES1E_EEDaS19_S1A_EUlS19_E_NS1_11comp_targetILNS1_3genE10ELNS1_11target_archE1200ELNS1_3gpuE4ELNS1_3repE0EEENS1_30default_config_static_selectorELNS0_4arch9wavefront6targetE0EEEvT1_.num_agpr, 0
	.set _ZN7rocprim17ROCPRIM_400000_NS6detail17trampoline_kernelINS0_14default_configENS1_25partition_config_selectorILNS1_17partition_subalgoE8EbNS0_10empty_typeEbEEZZNS1_14partition_implILS5_8ELb0ES3_jN6hipcub16HIPCUB_304000_NS22TransformInputIteratorIbN2at6native8internal12_GLOBAL__N_110LoadBoolOpEPKhlEEPS6_PKS6_NS0_5tupleIJPbS6_EEENSN_IJSK_SK_EEENS0_18inequality_wrapperINSA_8EqualityEEEPlJS6_EEE10hipError_tPvRmT3_T4_T5_T6_T7_T9_mT8_P12ihipStream_tbDpT10_ENKUlT_T0_E_clISt17integral_constantIbLb1EES1E_EEDaS19_S1A_EUlS19_E_NS1_11comp_targetILNS1_3genE10ELNS1_11target_archE1200ELNS1_3gpuE4ELNS1_3repE0EEENS1_30default_config_static_selectorELNS0_4arch9wavefront6targetE0EEEvT1_.numbered_sgpr, 0
	.set _ZN7rocprim17ROCPRIM_400000_NS6detail17trampoline_kernelINS0_14default_configENS1_25partition_config_selectorILNS1_17partition_subalgoE8EbNS0_10empty_typeEbEEZZNS1_14partition_implILS5_8ELb0ES3_jN6hipcub16HIPCUB_304000_NS22TransformInputIteratorIbN2at6native8internal12_GLOBAL__N_110LoadBoolOpEPKhlEEPS6_PKS6_NS0_5tupleIJPbS6_EEENSN_IJSK_SK_EEENS0_18inequality_wrapperINSA_8EqualityEEEPlJS6_EEE10hipError_tPvRmT3_T4_T5_T6_T7_T9_mT8_P12ihipStream_tbDpT10_ENKUlT_T0_E_clISt17integral_constantIbLb1EES1E_EEDaS19_S1A_EUlS19_E_NS1_11comp_targetILNS1_3genE10ELNS1_11target_archE1200ELNS1_3gpuE4ELNS1_3repE0EEENS1_30default_config_static_selectorELNS0_4arch9wavefront6targetE0EEEvT1_.num_named_barrier, 0
	.set _ZN7rocprim17ROCPRIM_400000_NS6detail17trampoline_kernelINS0_14default_configENS1_25partition_config_selectorILNS1_17partition_subalgoE8EbNS0_10empty_typeEbEEZZNS1_14partition_implILS5_8ELb0ES3_jN6hipcub16HIPCUB_304000_NS22TransformInputIteratorIbN2at6native8internal12_GLOBAL__N_110LoadBoolOpEPKhlEEPS6_PKS6_NS0_5tupleIJPbS6_EEENSN_IJSK_SK_EEENS0_18inequality_wrapperINSA_8EqualityEEEPlJS6_EEE10hipError_tPvRmT3_T4_T5_T6_T7_T9_mT8_P12ihipStream_tbDpT10_ENKUlT_T0_E_clISt17integral_constantIbLb1EES1E_EEDaS19_S1A_EUlS19_E_NS1_11comp_targetILNS1_3genE10ELNS1_11target_archE1200ELNS1_3gpuE4ELNS1_3repE0EEENS1_30default_config_static_selectorELNS0_4arch9wavefront6targetE0EEEvT1_.private_seg_size, 0
	.set _ZN7rocprim17ROCPRIM_400000_NS6detail17trampoline_kernelINS0_14default_configENS1_25partition_config_selectorILNS1_17partition_subalgoE8EbNS0_10empty_typeEbEEZZNS1_14partition_implILS5_8ELb0ES3_jN6hipcub16HIPCUB_304000_NS22TransformInputIteratorIbN2at6native8internal12_GLOBAL__N_110LoadBoolOpEPKhlEEPS6_PKS6_NS0_5tupleIJPbS6_EEENSN_IJSK_SK_EEENS0_18inequality_wrapperINSA_8EqualityEEEPlJS6_EEE10hipError_tPvRmT3_T4_T5_T6_T7_T9_mT8_P12ihipStream_tbDpT10_ENKUlT_T0_E_clISt17integral_constantIbLb1EES1E_EEDaS19_S1A_EUlS19_E_NS1_11comp_targetILNS1_3genE10ELNS1_11target_archE1200ELNS1_3gpuE4ELNS1_3repE0EEENS1_30default_config_static_selectorELNS0_4arch9wavefront6targetE0EEEvT1_.uses_vcc, 0
	.set _ZN7rocprim17ROCPRIM_400000_NS6detail17trampoline_kernelINS0_14default_configENS1_25partition_config_selectorILNS1_17partition_subalgoE8EbNS0_10empty_typeEbEEZZNS1_14partition_implILS5_8ELb0ES3_jN6hipcub16HIPCUB_304000_NS22TransformInputIteratorIbN2at6native8internal12_GLOBAL__N_110LoadBoolOpEPKhlEEPS6_PKS6_NS0_5tupleIJPbS6_EEENSN_IJSK_SK_EEENS0_18inequality_wrapperINSA_8EqualityEEEPlJS6_EEE10hipError_tPvRmT3_T4_T5_T6_T7_T9_mT8_P12ihipStream_tbDpT10_ENKUlT_T0_E_clISt17integral_constantIbLb1EES1E_EEDaS19_S1A_EUlS19_E_NS1_11comp_targetILNS1_3genE10ELNS1_11target_archE1200ELNS1_3gpuE4ELNS1_3repE0EEENS1_30default_config_static_selectorELNS0_4arch9wavefront6targetE0EEEvT1_.uses_flat_scratch, 0
	.set _ZN7rocprim17ROCPRIM_400000_NS6detail17trampoline_kernelINS0_14default_configENS1_25partition_config_selectorILNS1_17partition_subalgoE8EbNS0_10empty_typeEbEEZZNS1_14partition_implILS5_8ELb0ES3_jN6hipcub16HIPCUB_304000_NS22TransformInputIteratorIbN2at6native8internal12_GLOBAL__N_110LoadBoolOpEPKhlEEPS6_PKS6_NS0_5tupleIJPbS6_EEENSN_IJSK_SK_EEENS0_18inequality_wrapperINSA_8EqualityEEEPlJS6_EEE10hipError_tPvRmT3_T4_T5_T6_T7_T9_mT8_P12ihipStream_tbDpT10_ENKUlT_T0_E_clISt17integral_constantIbLb1EES1E_EEDaS19_S1A_EUlS19_E_NS1_11comp_targetILNS1_3genE10ELNS1_11target_archE1200ELNS1_3gpuE4ELNS1_3repE0EEENS1_30default_config_static_selectorELNS0_4arch9wavefront6targetE0EEEvT1_.has_dyn_sized_stack, 0
	.set _ZN7rocprim17ROCPRIM_400000_NS6detail17trampoline_kernelINS0_14default_configENS1_25partition_config_selectorILNS1_17partition_subalgoE8EbNS0_10empty_typeEbEEZZNS1_14partition_implILS5_8ELb0ES3_jN6hipcub16HIPCUB_304000_NS22TransformInputIteratorIbN2at6native8internal12_GLOBAL__N_110LoadBoolOpEPKhlEEPS6_PKS6_NS0_5tupleIJPbS6_EEENSN_IJSK_SK_EEENS0_18inequality_wrapperINSA_8EqualityEEEPlJS6_EEE10hipError_tPvRmT3_T4_T5_T6_T7_T9_mT8_P12ihipStream_tbDpT10_ENKUlT_T0_E_clISt17integral_constantIbLb1EES1E_EEDaS19_S1A_EUlS19_E_NS1_11comp_targetILNS1_3genE10ELNS1_11target_archE1200ELNS1_3gpuE4ELNS1_3repE0EEENS1_30default_config_static_selectorELNS0_4arch9wavefront6targetE0EEEvT1_.has_recursion, 0
	.set _ZN7rocprim17ROCPRIM_400000_NS6detail17trampoline_kernelINS0_14default_configENS1_25partition_config_selectorILNS1_17partition_subalgoE8EbNS0_10empty_typeEbEEZZNS1_14partition_implILS5_8ELb0ES3_jN6hipcub16HIPCUB_304000_NS22TransformInputIteratorIbN2at6native8internal12_GLOBAL__N_110LoadBoolOpEPKhlEEPS6_PKS6_NS0_5tupleIJPbS6_EEENSN_IJSK_SK_EEENS0_18inequality_wrapperINSA_8EqualityEEEPlJS6_EEE10hipError_tPvRmT3_T4_T5_T6_T7_T9_mT8_P12ihipStream_tbDpT10_ENKUlT_T0_E_clISt17integral_constantIbLb1EES1E_EEDaS19_S1A_EUlS19_E_NS1_11comp_targetILNS1_3genE10ELNS1_11target_archE1200ELNS1_3gpuE4ELNS1_3repE0EEENS1_30default_config_static_selectorELNS0_4arch9wavefront6targetE0EEEvT1_.has_indirect_call, 0
	.section	.AMDGPU.csdata,"",@progbits
; Kernel info:
; codeLenInByte = 0
; TotalNumSgprs: 0
; NumVgprs: 0
; ScratchSize: 0
; MemoryBound: 0
; FloatMode: 240
; IeeeMode: 1
; LDSByteSize: 0 bytes/workgroup (compile time only)
; SGPRBlocks: 0
; VGPRBlocks: 0
; NumSGPRsForWavesPerEU: 1
; NumVGPRsForWavesPerEU: 1
; NamedBarCnt: 0
; Occupancy: 16
; WaveLimiterHint : 0
; COMPUTE_PGM_RSRC2:SCRATCH_EN: 0
; COMPUTE_PGM_RSRC2:USER_SGPR: 2
; COMPUTE_PGM_RSRC2:TRAP_HANDLER: 0
; COMPUTE_PGM_RSRC2:TGID_X_EN: 1
; COMPUTE_PGM_RSRC2:TGID_Y_EN: 0
; COMPUTE_PGM_RSRC2:TGID_Z_EN: 0
; COMPUTE_PGM_RSRC2:TIDIG_COMP_CNT: 0
	.section	.text._ZN7rocprim17ROCPRIM_400000_NS6detail17trampoline_kernelINS0_14default_configENS1_25partition_config_selectorILNS1_17partition_subalgoE8EbNS0_10empty_typeEbEEZZNS1_14partition_implILS5_8ELb0ES3_jN6hipcub16HIPCUB_304000_NS22TransformInputIteratorIbN2at6native8internal12_GLOBAL__N_110LoadBoolOpEPKhlEEPS6_PKS6_NS0_5tupleIJPbS6_EEENSN_IJSK_SK_EEENS0_18inequality_wrapperINSA_8EqualityEEEPlJS6_EEE10hipError_tPvRmT3_T4_T5_T6_T7_T9_mT8_P12ihipStream_tbDpT10_ENKUlT_T0_E_clISt17integral_constantIbLb1EES1E_EEDaS19_S1A_EUlS19_E_NS1_11comp_targetILNS1_3genE9ELNS1_11target_archE1100ELNS1_3gpuE3ELNS1_3repE0EEENS1_30default_config_static_selectorELNS0_4arch9wavefront6targetE0EEEvT1_,"axG",@progbits,_ZN7rocprim17ROCPRIM_400000_NS6detail17trampoline_kernelINS0_14default_configENS1_25partition_config_selectorILNS1_17partition_subalgoE8EbNS0_10empty_typeEbEEZZNS1_14partition_implILS5_8ELb0ES3_jN6hipcub16HIPCUB_304000_NS22TransformInputIteratorIbN2at6native8internal12_GLOBAL__N_110LoadBoolOpEPKhlEEPS6_PKS6_NS0_5tupleIJPbS6_EEENSN_IJSK_SK_EEENS0_18inequality_wrapperINSA_8EqualityEEEPlJS6_EEE10hipError_tPvRmT3_T4_T5_T6_T7_T9_mT8_P12ihipStream_tbDpT10_ENKUlT_T0_E_clISt17integral_constantIbLb1EES1E_EEDaS19_S1A_EUlS19_E_NS1_11comp_targetILNS1_3genE9ELNS1_11target_archE1100ELNS1_3gpuE3ELNS1_3repE0EEENS1_30default_config_static_selectorELNS0_4arch9wavefront6targetE0EEEvT1_,comdat
	.globl	_ZN7rocprim17ROCPRIM_400000_NS6detail17trampoline_kernelINS0_14default_configENS1_25partition_config_selectorILNS1_17partition_subalgoE8EbNS0_10empty_typeEbEEZZNS1_14partition_implILS5_8ELb0ES3_jN6hipcub16HIPCUB_304000_NS22TransformInputIteratorIbN2at6native8internal12_GLOBAL__N_110LoadBoolOpEPKhlEEPS6_PKS6_NS0_5tupleIJPbS6_EEENSN_IJSK_SK_EEENS0_18inequality_wrapperINSA_8EqualityEEEPlJS6_EEE10hipError_tPvRmT3_T4_T5_T6_T7_T9_mT8_P12ihipStream_tbDpT10_ENKUlT_T0_E_clISt17integral_constantIbLb1EES1E_EEDaS19_S1A_EUlS19_E_NS1_11comp_targetILNS1_3genE9ELNS1_11target_archE1100ELNS1_3gpuE3ELNS1_3repE0EEENS1_30default_config_static_selectorELNS0_4arch9wavefront6targetE0EEEvT1_ ; -- Begin function _ZN7rocprim17ROCPRIM_400000_NS6detail17trampoline_kernelINS0_14default_configENS1_25partition_config_selectorILNS1_17partition_subalgoE8EbNS0_10empty_typeEbEEZZNS1_14partition_implILS5_8ELb0ES3_jN6hipcub16HIPCUB_304000_NS22TransformInputIteratorIbN2at6native8internal12_GLOBAL__N_110LoadBoolOpEPKhlEEPS6_PKS6_NS0_5tupleIJPbS6_EEENSN_IJSK_SK_EEENS0_18inequality_wrapperINSA_8EqualityEEEPlJS6_EEE10hipError_tPvRmT3_T4_T5_T6_T7_T9_mT8_P12ihipStream_tbDpT10_ENKUlT_T0_E_clISt17integral_constantIbLb1EES1E_EEDaS19_S1A_EUlS19_E_NS1_11comp_targetILNS1_3genE9ELNS1_11target_archE1100ELNS1_3gpuE3ELNS1_3repE0EEENS1_30default_config_static_selectorELNS0_4arch9wavefront6targetE0EEEvT1_
	.p2align	8
	.type	_ZN7rocprim17ROCPRIM_400000_NS6detail17trampoline_kernelINS0_14default_configENS1_25partition_config_selectorILNS1_17partition_subalgoE8EbNS0_10empty_typeEbEEZZNS1_14partition_implILS5_8ELb0ES3_jN6hipcub16HIPCUB_304000_NS22TransformInputIteratorIbN2at6native8internal12_GLOBAL__N_110LoadBoolOpEPKhlEEPS6_PKS6_NS0_5tupleIJPbS6_EEENSN_IJSK_SK_EEENS0_18inequality_wrapperINSA_8EqualityEEEPlJS6_EEE10hipError_tPvRmT3_T4_T5_T6_T7_T9_mT8_P12ihipStream_tbDpT10_ENKUlT_T0_E_clISt17integral_constantIbLb1EES1E_EEDaS19_S1A_EUlS19_E_NS1_11comp_targetILNS1_3genE9ELNS1_11target_archE1100ELNS1_3gpuE3ELNS1_3repE0EEENS1_30default_config_static_selectorELNS0_4arch9wavefront6targetE0EEEvT1_,@function
_ZN7rocprim17ROCPRIM_400000_NS6detail17trampoline_kernelINS0_14default_configENS1_25partition_config_selectorILNS1_17partition_subalgoE8EbNS0_10empty_typeEbEEZZNS1_14partition_implILS5_8ELb0ES3_jN6hipcub16HIPCUB_304000_NS22TransformInputIteratorIbN2at6native8internal12_GLOBAL__N_110LoadBoolOpEPKhlEEPS6_PKS6_NS0_5tupleIJPbS6_EEENSN_IJSK_SK_EEENS0_18inequality_wrapperINSA_8EqualityEEEPlJS6_EEE10hipError_tPvRmT3_T4_T5_T6_T7_T9_mT8_P12ihipStream_tbDpT10_ENKUlT_T0_E_clISt17integral_constantIbLb1EES1E_EEDaS19_S1A_EUlS19_E_NS1_11comp_targetILNS1_3genE9ELNS1_11target_archE1100ELNS1_3gpuE3ELNS1_3repE0EEENS1_30default_config_static_selectorELNS0_4arch9wavefront6targetE0EEEvT1_: ; @_ZN7rocprim17ROCPRIM_400000_NS6detail17trampoline_kernelINS0_14default_configENS1_25partition_config_selectorILNS1_17partition_subalgoE8EbNS0_10empty_typeEbEEZZNS1_14partition_implILS5_8ELb0ES3_jN6hipcub16HIPCUB_304000_NS22TransformInputIteratorIbN2at6native8internal12_GLOBAL__N_110LoadBoolOpEPKhlEEPS6_PKS6_NS0_5tupleIJPbS6_EEENSN_IJSK_SK_EEENS0_18inequality_wrapperINSA_8EqualityEEEPlJS6_EEE10hipError_tPvRmT3_T4_T5_T6_T7_T9_mT8_P12ihipStream_tbDpT10_ENKUlT_T0_E_clISt17integral_constantIbLb1EES1E_EEDaS19_S1A_EUlS19_E_NS1_11comp_targetILNS1_3genE9ELNS1_11target_archE1100ELNS1_3gpuE3ELNS1_3repE0EEENS1_30default_config_static_selectorELNS0_4arch9wavefront6targetE0EEEvT1_
; %bb.0:
	.section	.rodata,"a",@progbits
	.p2align	6, 0x0
	.amdhsa_kernel _ZN7rocprim17ROCPRIM_400000_NS6detail17trampoline_kernelINS0_14default_configENS1_25partition_config_selectorILNS1_17partition_subalgoE8EbNS0_10empty_typeEbEEZZNS1_14partition_implILS5_8ELb0ES3_jN6hipcub16HIPCUB_304000_NS22TransformInputIteratorIbN2at6native8internal12_GLOBAL__N_110LoadBoolOpEPKhlEEPS6_PKS6_NS0_5tupleIJPbS6_EEENSN_IJSK_SK_EEENS0_18inequality_wrapperINSA_8EqualityEEEPlJS6_EEE10hipError_tPvRmT3_T4_T5_T6_T7_T9_mT8_P12ihipStream_tbDpT10_ENKUlT_T0_E_clISt17integral_constantIbLb1EES1E_EEDaS19_S1A_EUlS19_E_NS1_11comp_targetILNS1_3genE9ELNS1_11target_archE1100ELNS1_3gpuE3ELNS1_3repE0EEENS1_30default_config_static_selectorELNS0_4arch9wavefront6targetE0EEEvT1_
		.amdhsa_group_segment_fixed_size 0
		.amdhsa_private_segment_fixed_size 0
		.amdhsa_kernarg_size 136
		.amdhsa_user_sgpr_count 2
		.amdhsa_user_sgpr_dispatch_ptr 0
		.amdhsa_user_sgpr_queue_ptr 0
		.amdhsa_user_sgpr_kernarg_segment_ptr 1
		.amdhsa_user_sgpr_dispatch_id 0
		.amdhsa_user_sgpr_kernarg_preload_length 0
		.amdhsa_user_sgpr_kernarg_preload_offset 0
		.amdhsa_user_sgpr_private_segment_size 0
		.amdhsa_wavefront_size32 1
		.amdhsa_uses_dynamic_stack 0
		.amdhsa_enable_private_segment 0
		.amdhsa_system_sgpr_workgroup_id_x 1
		.amdhsa_system_sgpr_workgroup_id_y 0
		.amdhsa_system_sgpr_workgroup_id_z 0
		.amdhsa_system_sgpr_workgroup_info 0
		.amdhsa_system_vgpr_workitem_id 0
		.amdhsa_next_free_vgpr 1
		.amdhsa_next_free_sgpr 1
		.amdhsa_named_barrier_count 0
		.amdhsa_reserve_vcc 0
		.amdhsa_float_round_mode_32 0
		.amdhsa_float_round_mode_16_64 0
		.amdhsa_float_denorm_mode_32 3
		.amdhsa_float_denorm_mode_16_64 3
		.amdhsa_fp16_overflow 0
		.amdhsa_memory_ordered 1
		.amdhsa_forward_progress 1
		.amdhsa_inst_pref_size 0
		.amdhsa_round_robin_scheduling 0
		.amdhsa_exception_fp_ieee_invalid_op 0
		.amdhsa_exception_fp_denorm_src 0
		.amdhsa_exception_fp_ieee_div_zero 0
		.amdhsa_exception_fp_ieee_overflow 0
		.amdhsa_exception_fp_ieee_underflow 0
		.amdhsa_exception_fp_ieee_inexact 0
		.amdhsa_exception_int_div_zero 0
	.end_amdhsa_kernel
	.section	.text._ZN7rocprim17ROCPRIM_400000_NS6detail17trampoline_kernelINS0_14default_configENS1_25partition_config_selectorILNS1_17partition_subalgoE8EbNS0_10empty_typeEbEEZZNS1_14partition_implILS5_8ELb0ES3_jN6hipcub16HIPCUB_304000_NS22TransformInputIteratorIbN2at6native8internal12_GLOBAL__N_110LoadBoolOpEPKhlEEPS6_PKS6_NS0_5tupleIJPbS6_EEENSN_IJSK_SK_EEENS0_18inequality_wrapperINSA_8EqualityEEEPlJS6_EEE10hipError_tPvRmT3_T4_T5_T6_T7_T9_mT8_P12ihipStream_tbDpT10_ENKUlT_T0_E_clISt17integral_constantIbLb1EES1E_EEDaS19_S1A_EUlS19_E_NS1_11comp_targetILNS1_3genE9ELNS1_11target_archE1100ELNS1_3gpuE3ELNS1_3repE0EEENS1_30default_config_static_selectorELNS0_4arch9wavefront6targetE0EEEvT1_,"axG",@progbits,_ZN7rocprim17ROCPRIM_400000_NS6detail17trampoline_kernelINS0_14default_configENS1_25partition_config_selectorILNS1_17partition_subalgoE8EbNS0_10empty_typeEbEEZZNS1_14partition_implILS5_8ELb0ES3_jN6hipcub16HIPCUB_304000_NS22TransformInputIteratorIbN2at6native8internal12_GLOBAL__N_110LoadBoolOpEPKhlEEPS6_PKS6_NS0_5tupleIJPbS6_EEENSN_IJSK_SK_EEENS0_18inequality_wrapperINSA_8EqualityEEEPlJS6_EEE10hipError_tPvRmT3_T4_T5_T6_T7_T9_mT8_P12ihipStream_tbDpT10_ENKUlT_T0_E_clISt17integral_constantIbLb1EES1E_EEDaS19_S1A_EUlS19_E_NS1_11comp_targetILNS1_3genE9ELNS1_11target_archE1100ELNS1_3gpuE3ELNS1_3repE0EEENS1_30default_config_static_selectorELNS0_4arch9wavefront6targetE0EEEvT1_,comdat
.Lfunc_end28:
	.size	_ZN7rocprim17ROCPRIM_400000_NS6detail17trampoline_kernelINS0_14default_configENS1_25partition_config_selectorILNS1_17partition_subalgoE8EbNS0_10empty_typeEbEEZZNS1_14partition_implILS5_8ELb0ES3_jN6hipcub16HIPCUB_304000_NS22TransformInputIteratorIbN2at6native8internal12_GLOBAL__N_110LoadBoolOpEPKhlEEPS6_PKS6_NS0_5tupleIJPbS6_EEENSN_IJSK_SK_EEENS0_18inequality_wrapperINSA_8EqualityEEEPlJS6_EEE10hipError_tPvRmT3_T4_T5_T6_T7_T9_mT8_P12ihipStream_tbDpT10_ENKUlT_T0_E_clISt17integral_constantIbLb1EES1E_EEDaS19_S1A_EUlS19_E_NS1_11comp_targetILNS1_3genE9ELNS1_11target_archE1100ELNS1_3gpuE3ELNS1_3repE0EEENS1_30default_config_static_selectorELNS0_4arch9wavefront6targetE0EEEvT1_, .Lfunc_end28-_ZN7rocprim17ROCPRIM_400000_NS6detail17trampoline_kernelINS0_14default_configENS1_25partition_config_selectorILNS1_17partition_subalgoE8EbNS0_10empty_typeEbEEZZNS1_14partition_implILS5_8ELb0ES3_jN6hipcub16HIPCUB_304000_NS22TransformInputIteratorIbN2at6native8internal12_GLOBAL__N_110LoadBoolOpEPKhlEEPS6_PKS6_NS0_5tupleIJPbS6_EEENSN_IJSK_SK_EEENS0_18inequality_wrapperINSA_8EqualityEEEPlJS6_EEE10hipError_tPvRmT3_T4_T5_T6_T7_T9_mT8_P12ihipStream_tbDpT10_ENKUlT_T0_E_clISt17integral_constantIbLb1EES1E_EEDaS19_S1A_EUlS19_E_NS1_11comp_targetILNS1_3genE9ELNS1_11target_archE1100ELNS1_3gpuE3ELNS1_3repE0EEENS1_30default_config_static_selectorELNS0_4arch9wavefront6targetE0EEEvT1_
                                        ; -- End function
	.set _ZN7rocprim17ROCPRIM_400000_NS6detail17trampoline_kernelINS0_14default_configENS1_25partition_config_selectorILNS1_17partition_subalgoE8EbNS0_10empty_typeEbEEZZNS1_14partition_implILS5_8ELb0ES3_jN6hipcub16HIPCUB_304000_NS22TransformInputIteratorIbN2at6native8internal12_GLOBAL__N_110LoadBoolOpEPKhlEEPS6_PKS6_NS0_5tupleIJPbS6_EEENSN_IJSK_SK_EEENS0_18inequality_wrapperINSA_8EqualityEEEPlJS6_EEE10hipError_tPvRmT3_T4_T5_T6_T7_T9_mT8_P12ihipStream_tbDpT10_ENKUlT_T0_E_clISt17integral_constantIbLb1EES1E_EEDaS19_S1A_EUlS19_E_NS1_11comp_targetILNS1_3genE9ELNS1_11target_archE1100ELNS1_3gpuE3ELNS1_3repE0EEENS1_30default_config_static_selectorELNS0_4arch9wavefront6targetE0EEEvT1_.num_vgpr, 0
	.set _ZN7rocprim17ROCPRIM_400000_NS6detail17trampoline_kernelINS0_14default_configENS1_25partition_config_selectorILNS1_17partition_subalgoE8EbNS0_10empty_typeEbEEZZNS1_14partition_implILS5_8ELb0ES3_jN6hipcub16HIPCUB_304000_NS22TransformInputIteratorIbN2at6native8internal12_GLOBAL__N_110LoadBoolOpEPKhlEEPS6_PKS6_NS0_5tupleIJPbS6_EEENSN_IJSK_SK_EEENS0_18inequality_wrapperINSA_8EqualityEEEPlJS6_EEE10hipError_tPvRmT3_T4_T5_T6_T7_T9_mT8_P12ihipStream_tbDpT10_ENKUlT_T0_E_clISt17integral_constantIbLb1EES1E_EEDaS19_S1A_EUlS19_E_NS1_11comp_targetILNS1_3genE9ELNS1_11target_archE1100ELNS1_3gpuE3ELNS1_3repE0EEENS1_30default_config_static_selectorELNS0_4arch9wavefront6targetE0EEEvT1_.num_agpr, 0
	.set _ZN7rocprim17ROCPRIM_400000_NS6detail17trampoline_kernelINS0_14default_configENS1_25partition_config_selectorILNS1_17partition_subalgoE8EbNS0_10empty_typeEbEEZZNS1_14partition_implILS5_8ELb0ES3_jN6hipcub16HIPCUB_304000_NS22TransformInputIteratorIbN2at6native8internal12_GLOBAL__N_110LoadBoolOpEPKhlEEPS6_PKS6_NS0_5tupleIJPbS6_EEENSN_IJSK_SK_EEENS0_18inequality_wrapperINSA_8EqualityEEEPlJS6_EEE10hipError_tPvRmT3_T4_T5_T6_T7_T9_mT8_P12ihipStream_tbDpT10_ENKUlT_T0_E_clISt17integral_constantIbLb1EES1E_EEDaS19_S1A_EUlS19_E_NS1_11comp_targetILNS1_3genE9ELNS1_11target_archE1100ELNS1_3gpuE3ELNS1_3repE0EEENS1_30default_config_static_selectorELNS0_4arch9wavefront6targetE0EEEvT1_.numbered_sgpr, 0
	.set _ZN7rocprim17ROCPRIM_400000_NS6detail17trampoline_kernelINS0_14default_configENS1_25partition_config_selectorILNS1_17partition_subalgoE8EbNS0_10empty_typeEbEEZZNS1_14partition_implILS5_8ELb0ES3_jN6hipcub16HIPCUB_304000_NS22TransformInputIteratorIbN2at6native8internal12_GLOBAL__N_110LoadBoolOpEPKhlEEPS6_PKS6_NS0_5tupleIJPbS6_EEENSN_IJSK_SK_EEENS0_18inequality_wrapperINSA_8EqualityEEEPlJS6_EEE10hipError_tPvRmT3_T4_T5_T6_T7_T9_mT8_P12ihipStream_tbDpT10_ENKUlT_T0_E_clISt17integral_constantIbLb1EES1E_EEDaS19_S1A_EUlS19_E_NS1_11comp_targetILNS1_3genE9ELNS1_11target_archE1100ELNS1_3gpuE3ELNS1_3repE0EEENS1_30default_config_static_selectorELNS0_4arch9wavefront6targetE0EEEvT1_.num_named_barrier, 0
	.set _ZN7rocprim17ROCPRIM_400000_NS6detail17trampoline_kernelINS0_14default_configENS1_25partition_config_selectorILNS1_17partition_subalgoE8EbNS0_10empty_typeEbEEZZNS1_14partition_implILS5_8ELb0ES3_jN6hipcub16HIPCUB_304000_NS22TransformInputIteratorIbN2at6native8internal12_GLOBAL__N_110LoadBoolOpEPKhlEEPS6_PKS6_NS0_5tupleIJPbS6_EEENSN_IJSK_SK_EEENS0_18inequality_wrapperINSA_8EqualityEEEPlJS6_EEE10hipError_tPvRmT3_T4_T5_T6_T7_T9_mT8_P12ihipStream_tbDpT10_ENKUlT_T0_E_clISt17integral_constantIbLb1EES1E_EEDaS19_S1A_EUlS19_E_NS1_11comp_targetILNS1_3genE9ELNS1_11target_archE1100ELNS1_3gpuE3ELNS1_3repE0EEENS1_30default_config_static_selectorELNS0_4arch9wavefront6targetE0EEEvT1_.private_seg_size, 0
	.set _ZN7rocprim17ROCPRIM_400000_NS6detail17trampoline_kernelINS0_14default_configENS1_25partition_config_selectorILNS1_17partition_subalgoE8EbNS0_10empty_typeEbEEZZNS1_14partition_implILS5_8ELb0ES3_jN6hipcub16HIPCUB_304000_NS22TransformInputIteratorIbN2at6native8internal12_GLOBAL__N_110LoadBoolOpEPKhlEEPS6_PKS6_NS0_5tupleIJPbS6_EEENSN_IJSK_SK_EEENS0_18inequality_wrapperINSA_8EqualityEEEPlJS6_EEE10hipError_tPvRmT3_T4_T5_T6_T7_T9_mT8_P12ihipStream_tbDpT10_ENKUlT_T0_E_clISt17integral_constantIbLb1EES1E_EEDaS19_S1A_EUlS19_E_NS1_11comp_targetILNS1_3genE9ELNS1_11target_archE1100ELNS1_3gpuE3ELNS1_3repE0EEENS1_30default_config_static_selectorELNS0_4arch9wavefront6targetE0EEEvT1_.uses_vcc, 0
	.set _ZN7rocprim17ROCPRIM_400000_NS6detail17trampoline_kernelINS0_14default_configENS1_25partition_config_selectorILNS1_17partition_subalgoE8EbNS0_10empty_typeEbEEZZNS1_14partition_implILS5_8ELb0ES3_jN6hipcub16HIPCUB_304000_NS22TransformInputIteratorIbN2at6native8internal12_GLOBAL__N_110LoadBoolOpEPKhlEEPS6_PKS6_NS0_5tupleIJPbS6_EEENSN_IJSK_SK_EEENS0_18inequality_wrapperINSA_8EqualityEEEPlJS6_EEE10hipError_tPvRmT3_T4_T5_T6_T7_T9_mT8_P12ihipStream_tbDpT10_ENKUlT_T0_E_clISt17integral_constantIbLb1EES1E_EEDaS19_S1A_EUlS19_E_NS1_11comp_targetILNS1_3genE9ELNS1_11target_archE1100ELNS1_3gpuE3ELNS1_3repE0EEENS1_30default_config_static_selectorELNS0_4arch9wavefront6targetE0EEEvT1_.uses_flat_scratch, 0
	.set _ZN7rocprim17ROCPRIM_400000_NS6detail17trampoline_kernelINS0_14default_configENS1_25partition_config_selectorILNS1_17partition_subalgoE8EbNS0_10empty_typeEbEEZZNS1_14partition_implILS5_8ELb0ES3_jN6hipcub16HIPCUB_304000_NS22TransformInputIteratorIbN2at6native8internal12_GLOBAL__N_110LoadBoolOpEPKhlEEPS6_PKS6_NS0_5tupleIJPbS6_EEENSN_IJSK_SK_EEENS0_18inequality_wrapperINSA_8EqualityEEEPlJS6_EEE10hipError_tPvRmT3_T4_T5_T6_T7_T9_mT8_P12ihipStream_tbDpT10_ENKUlT_T0_E_clISt17integral_constantIbLb1EES1E_EEDaS19_S1A_EUlS19_E_NS1_11comp_targetILNS1_3genE9ELNS1_11target_archE1100ELNS1_3gpuE3ELNS1_3repE0EEENS1_30default_config_static_selectorELNS0_4arch9wavefront6targetE0EEEvT1_.has_dyn_sized_stack, 0
	.set _ZN7rocprim17ROCPRIM_400000_NS6detail17trampoline_kernelINS0_14default_configENS1_25partition_config_selectorILNS1_17partition_subalgoE8EbNS0_10empty_typeEbEEZZNS1_14partition_implILS5_8ELb0ES3_jN6hipcub16HIPCUB_304000_NS22TransformInputIteratorIbN2at6native8internal12_GLOBAL__N_110LoadBoolOpEPKhlEEPS6_PKS6_NS0_5tupleIJPbS6_EEENSN_IJSK_SK_EEENS0_18inequality_wrapperINSA_8EqualityEEEPlJS6_EEE10hipError_tPvRmT3_T4_T5_T6_T7_T9_mT8_P12ihipStream_tbDpT10_ENKUlT_T0_E_clISt17integral_constantIbLb1EES1E_EEDaS19_S1A_EUlS19_E_NS1_11comp_targetILNS1_3genE9ELNS1_11target_archE1100ELNS1_3gpuE3ELNS1_3repE0EEENS1_30default_config_static_selectorELNS0_4arch9wavefront6targetE0EEEvT1_.has_recursion, 0
	.set _ZN7rocprim17ROCPRIM_400000_NS6detail17trampoline_kernelINS0_14default_configENS1_25partition_config_selectorILNS1_17partition_subalgoE8EbNS0_10empty_typeEbEEZZNS1_14partition_implILS5_8ELb0ES3_jN6hipcub16HIPCUB_304000_NS22TransformInputIteratorIbN2at6native8internal12_GLOBAL__N_110LoadBoolOpEPKhlEEPS6_PKS6_NS0_5tupleIJPbS6_EEENSN_IJSK_SK_EEENS0_18inequality_wrapperINSA_8EqualityEEEPlJS6_EEE10hipError_tPvRmT3_T4_T5_T6_T7_T9_mT8_P12ihipStream_tbDpT10_ENKUlT_T0_E_clISt17integral_constantIbLb1EES1E_EEDaS19_S1A_EUlS19_E_NS1_11comp_targetILNS1_3genE9ELNS1_11target_archE1100ELNS1_3gpuE3ELNS1_3repE0EEENS1_30default_config_static_selectorELNS0_4arch9wavefront6targetE0EEEvT1_.has_indirect_call, 0
	.section	.AMDGPU.csdata,"",@progbits
; Kernel info:
; codeLenInByte = 0
; TotalNumSgprs: 0
; NumVgprs: 0
; ScratchSize: 0
; MemoryBound: 0
; FloatMode: 240
; IeeeMode: 1
; LDSByteSize: 0 bytes/workgroup (compile time only)
; SGPRBlocks: 0
; VGPRBlocks: 0
; NumSGPRsForWavesPerEU: 1
; NumVGPRsForWavesPerEU: 1
; NamedBarCnt: 0
; Occupancy: 16
; WaveLimiterHint : 0
; COMPUTE_PGM_RSRC2:SCRATCH_EN: 0
; COMPUTE_PGM_RSRC2:USER_SGPR: 2
; COMPUTE_PGM_RSRC2:TRAP_HANDLER: 0
; COMPUTE_PGM_RSRC2:TGID_X_EN: 1
; COMPUTE_PGM_RSRC2:TGID_Y_EN: 0
; COMPUTE_PGM_RSRC2:TGID_Z_EN: 0
; COMPUTE_PGM_RSRC2:TIDIG_COMP_CNT: 0
	.section	.text._ZN7rocprim17ROCPRIM_400000_NS6detail17trampoline_kernelINS0_14default_configENS1_25partition_config_selectorILNS1_17partition_subalgoE8EbNS0_10empty_typeEbEEZZNS1_14partition_implILS5_8ELb0ES3_jN6hipcub16HIPCUB_304000_NS22TransformInputIteratorIbN2at6native8internal12_GLOBAL__N_110LoadBoolOpEPKhlEEPS6_PKS6_NS0_5tupleIJPbS6_EEENSN_IJSK_SK_EEENS0_18inequality_wrapperINSA_8EqualityEEEPlJS6_EEE10hipError_tPvRmT3_T4_T5_T6_T7_T9_mT8_P12ihipStream_tbDpT10_ENKUlT_T0_E_clISt17integral_constantIbLb1EES1E_EEDaS19_S1A_EUlS19_E_NS1_11comp_targetILNS1_3genE8ELNS1_11target_archE1030ELNS1_3gpuE2ELNS1_3repE0EEENS1_30default_config_static_selectorELNS0_4arch9wavefront6targetE0EEEvT1_,"axG",@progbits,_ZN7rocprim17ROCPRIM_400000_NS6detail17trampoline_kernelINS0_14default_configENS1_25partition_config_selectorILNS1_17partition_subalgoE8EbNS0_10empty_typeEbEEZZNS1_14partition_implILS5_8ELb0ES3_jN6hipcub16HIPCUB_304000_NS22TransformInputIteratorIbN2at6native8internal12_GLOBAL__N_110LoadBoolOpEPKhlEEPS6_PKS6_NS0_5tupleIJPbS6_EEENSN_IJSK_SK_EEENS0_18inequality_wrapperINSA_8EqualityEEEPlJS6_EEE10hipError_tPvRmT3_T4_T5_T6_T7_T9_mT8_P12ihipStream_tbDpT10_ENKUlT_T0_E_clISt17integral_constantIbLb1EES1E_EEDaS19_S1A_EUlS19_E_NS1_11comp_targetILNS1_3genE8ELNS1_11target_archE1030ELNS1_3gpuE2ELNS1_3repE0EEENS1_30default_config_static_selectorELNS0_4arch9wavefront6targetE0EEEvT1_,comdat
	.globl	_ZN7rocprim17ROCPRIM_400000_NS6detail17trampoline_kernelINS0_14default_configENS1_25partition_config_selectorILNS1_17partition_subalgoE8EbNS0_10empty_typeEbEEZZNS1_14partition_implILS5_8ELb0ES3_jN6hipcub16HIPCUB_304000_NS22TransformInputIteratorIbN2at6native8internal12_GLOBAL__N_110LoadBoolOpEPKhlEEPS6_PKS6_NS0_5tupleIJPbS6_EEENSN_IJSK_SK_EEENS0_18inequality_wrapperINSA_8EqualityEEEPlJS6_EEE10hipError_tPvRmT3_T4_T5_T6_T7_T9_mT8_P12ihipStream_tbDpT10_ENKUlT_T0_E_clISt17integral_constantIbLb1EES1E_EEDaS19_S1A_EUlS19_E_NS1_11comp_targetILNS1_3genE8ELNS1_11target_archE1030ELNS1_3gpuE2ELNS1_3repE0EEENS1_30default_config_static_selectorELNS0_4arch9wavefront6targetE0EEEvT1_ ; -- Begin function _ZN7rocprim17ROCPRIM_400000_NS6detail17trampoline_kernelINS0_14default_configENS1_25partition_config_selectorILNS1_17partition_subalgoE8EbNS0_10empty_typeEbEEZZNS1_14partition_implILS5_8ELb0ES3_jN6hipcub16HIPCUB_304000_NS22TransformInputIteratorIbN2at6native8internal12_GLOBAL__N_110LoadBoolOpEPKhlEEPS6_PKS6_NS0_5tupleIJPbS6_EEENSN_IJSK_SK_EEENS0_18inequality_wrapperINSA_8EqualityEEEPlJS6_EEE10hipError_tPvRmT3_T4_T5_T6_T7_T9_mT8_P12ihipStream_tbDpT10_ENKUlT_T0_E_clISt17integral_constantIbLb1EES1E_EEDaS19_S1A_EUlS19_E_NS1_11comp_targetILNS1_3genE8ELNS1_11target_archE1030ELNS1_3gpuE2ELNS1_3repE0EEENS1_30default_config_static_selectorELNS0_4arch9wavefront6targetE0EEEvT1_
	.p2align	8
	.type	_ZN7rocprim17ROCPRIM_400000_NS6detail17trampoline_kernelINS0_14default_configENS1_25partition_config_selectorILNS1_17partition_subalgoE8EbNS0_10empty_typeEbEEZZNS1_14partition_implILS5_8ELb0ES3_jN6hipcub16HIPCUB_304000_NS22TransformInputIteratorIbN2at6native8internal12_GLOBAL__N_110LoadBoolOpEPKhlEEPS6_PKS6_NS0_5tupleIJPbS6_EEENSN_IJSK_SK_EEENS0_18inequality_wrapperINSA_8EqualityEEEPlJS6_EEE10hipError_tPvRmT3_T4_T5_T6_T7_T9_mT8_P12ihipStream_tbDpT10_ENKUlT_T0_E_clISt17integral_constantIbLb1EES1E_EEDaS19_S1A_EUlS19_E_NS1_11comp_targetILNS1_3genE8ELNS1_11target_archE1030ELNS1_3gpuE2ELNS1_3repE0EEENS1_30default_config_static_selectorELNS0_4arch9wavefront6targetE0EEEvT1_,@function
_ZN7rocprim17ROCPRIM_400000_NS6detail17trampoline_kernelINS0_14default_configENS1_25partition_config_selectorILNS1_17partition_subalgoE8EbNS0_10empty_typeEbEEZZNS1_14partition_implILS5_8ELb0ES3_jN6hipcub16HIPCUB_304000_NS22TransformInputIteratorIbN2at6native8internal12_GLOBAL__N_110LoadBoolOpEPKhlEEPS6_PKS6_NS0_5tupleIJPbS6_EEENSN_IJSK_SK_EEENS0_18inequality_wrapperINSA_8EqualityEEEPlJS6_EEE10hipError_tPvRmT3_T4_T5_T6_T7_T9_mT8_P12ihipStream_tbDpT10_ENKUlT_T0_E_clISt17integral_constantIbLb1EES1E_EEDaS19_S1A_EUlS19_E_NS1_11comp_targetILNS1_3genE8ELNS1_11target_archE1030ELNS1_3gpuE2ELNS1_3repE0EEENS1_30default_config_static_selectorELNS0_4arch9wavefront6targetE0EEEvT1_: ; @_ZN7rocprim17ROCPRIM_400000_NS6detail17trampoline_kernelINS0_14default_configENS1_25partition_config_selectorILNS1_17partition_subalgoE8EbNS0_10empty_typeEbEEZZNS1_14partition_implILS5_8ELb0ES3_jN6hipcub16HIPCUB_304000_NS22TransformInputIteratorIbN2at6native8internal12_GLOBAL__N_110LoadBoolOpEPKhlEEPS6_PKS6_NS0_5tupleIJPbS6_EEENSN_IJSK_SK_EEENS0_18inequality_wrapperINSA_8EqualityEEEPlJS6_EEE10hipError_tPvRmT3_T4_T5_T6_T7_T9_mT8_P12ihipStream_tbDpT10_ENKUlT_T0_E_clISt17integral_constantIbLb1EES1E_EEDaS19_S1A_EUlS19_E_NS1_11comp_targetILNS1_3genE8ELNS1_11target_archE1030ELNS1_3gpuE2ELNS1_3repE0EEENS1_30default_config_static_selectorELNS0_4arch9wavefront6targetE0EEEvT1_
; %bb.0:
	.section	.rodata,"a",@progbits
	.p2align	6, 0x0
	.amdhsa_kernel _ZN7rocprim17ROCPRIM_400000_NS6detail17trampoline_kernelINS0_14default_configENS1_25partition_config_selectorILNS1_17partition_subalgoE8EbNS0_10empty_typeEbEEZZNS1_14partition_implILS5_8ELb0ES3_jN6hipcub16HIPCUB_304000_NS22TransformInputIteratorIbN2at6native8internal12_GLOBAL__N_110LoadBoolOpEPKhlEEPS6_PKS6_NS0_5tupleIJPbS6_EEENSN_IJSK_SK_EEENS0_18inequality_wrapperINSA_8EqualityEEEPlJS6_EEE10hipError_tPvRmT3_T4_T5_T6_T7_T9_mT8_P12ihipStream_tbDpT10_ENKUlT_T0_E_clISt17integral_constantIbLb1EES1E_EEDaS19_S1A_EUlS19_E_NS1_11comp_targetILNS1_3genE8ELNS1_11target_archE1030ELNS1_3gpuE2ELNS1_3repE0EEENS1_30default_config_static_selectorELNS0_4arch9wavefront6targetE0EEEvT1_
		.amdhsa_group_segment_fixed_size 0
		.amdhsa_private_segment_fixed_size 0
		.amdhsa_kernarg_size 136
		.amdhsa_user_sgpr_count 2
		.amdhsa_user_sgpr_dispatch_ptr 0
		.amdhsa_user_sgpr_queue_ptr 0
		.amdhsa_user_sgpr_kernarg_segment_ptr 1
		.amdhsa_user_sgpr_dispatch_id 0
		.amdhsa_user_sgpr_kernarg_preload_length 0
		.amdhsa_user_sgpr_kernarg_preload_offset 0
		.amdhsa_user_sgpr_private_segment_size 0
		.amdhsa_wavefront_size32 1
		.amdhsa_uses_dynamic_stack 0
		.amdhsa_enable_private_segment 0
		.amdhsa_system_sgpr_workgroup_id_x 1
		.amdhsa_system_sgpr_workgroup_id_y 0
		.amdhsa_system_sgpr_workgroup_id_z 0
		.amdhsa_system_sgpr_workgroup_info 0
		.amdhsa_system_vgpr_workitem_id 0
		.amdhsa_next_free_vgpr 1
		.amdhsa_next_free_sgpr 1
		.amdhsa_named_barrier_count 0
		.amdhsa_reserve_vcc 0
		.amdhsa_float_round_mode_32 0
		.amdhsa_float_round_mode_16_64 0
		.amdhsa_float_denorm_mode_32 3
		.amdhsa_float_denorm_mode_16_64 3
		.amdhsa_fp16_overflow 0
		.amdhsa_memory_ordered 1
		.amdhsa_forward_progress 1
		.amdhsa_inst_pref_size 0
		.amdhsa_round_robin_scheduling 0
		.amdhsa_exception_fp_ieee_invalid_op 0
		.amdhsa_exception_fp_denorm_src 0
		.amdhsa_exception_fp_ieee_div_zero 0
		.amdhsa_exception_fp_ieee_overflow 0
		.amdhsa_exception_fp_ieee_underflow 0
		.amdhsa_exception_fp_ieee_inexact 0
		.amdhsa_exception_int_div_zero 0
	.end_amdhsa_kernel
	.section	.text._ZN7rocprim17ROCPRIM_400000_NS6detail17trampoline_kernelINS0_14default_configENS1_25partition_config_selectorILNS1_17partition_subalgoE8EbNS0_10empty_typeEbEEZZNS1_14partition_implILS5_8ELb0ES3_jN6hipcub16HIPCUB_304000_NS22TransformInputIteratorIbN2at6native8internal12_GLOBAL__N_110LoadBoolOpEPKhlEEPS6_PKS6_NS0_5tupleIJPbS6_EEENSN_IJSK_SK_EEENS0_18inequality_wrapperINSA_8EqualityEEEPlJS6_EEE10hipError_tPvRmT3_T4_T5_T6_T7_T9_mT8_P12ihipStream_tbDpT10_ENKUlT_T0_E_clISt17integral_constantIbLb1EES1E_EEDaS19_S1A_EUlS19_E_NS1_11comp_targetILNS1_3genE8ELNS1_11target_archE1030ELNS1_3gpuE2ELNS1_3repE0EEENS1_30default_config_static_selectorELNS0_4arch9wavefront6targetE0EEEvT1_,"axG",@progbits,_ZN7rocprim17ROCPRIM_400000_NS6detail17trampoline_kernelINS0_14default_configENS1_25partition_config_selectorILNS1_17partition_subalgoE8EbNS0_10empty_typeEbEEZZNS1_14partition_implILS5_8ELb0ES3_jN6hipcub16HIPCUB_304000_NS22TransformInputIteratorIbN2at6native8internal12_GLOBAL__N_110LoadBoolOpEPKhlEEPS6_PKS6_NS0_5tupleIJPbS6_EEENSN_IJSK_SK_EEENS0_18inequality_wrapperINSA_8EqualityEEEPlJS6_EEE10hipError_tPvRmT3_T4_T5_T6_T7_T9_mT8_P12ihipStream_tbDpT10_ENKUlT_T0_E_clISt17integral_constantIbLb1EES1E_EEDaS19_S1A_EUlS19_E_NS1_11comp_targetILNS1_3genE8ELNS1_11target_archE1030ELNS1_3gpuE2ELNS1_3repE0EEENS1_30default_config_static_selectorELNS0_4arch9wavefront6targetE0EEEvT1_,comdat
.Lfunc_end29:
	.size	_ZN7rocprim17ROCPRIM_400000_NS6detail17trampoline_kernelINS0_14default_configENS1_25partition_config_selectorILNS1_17partition_subalgoE8EbNS0_10empty_typeEbEEZZNS1_14partition_implILS5_8ELb0ES3_jN6hipcub16HIPCUB_304000_NS22TransformInputIteratorIbN2at6native8internal12_GLOBAL__N_110LoadBoolOpEPKhlEEPS6_PKS6_NS0_5tupleIJPbS6_EEENSN_IJSK_SK_EEENS0_18inequality_wrapperINSA_8EqualityEEEPlJS6_EEE10hipError_tPvRmT3_T4_T5_T6_T7_T9_mT8_P12ihipStream_tbDpT10_ENKUlT_T0_E_clISt17integral_constantIbLb1EES1E_EEDaS19_S1A_EUlS19_E_NS1_11comp_targetILNS1_3genE8ELNS1_11target_archE1030ELNS1_3gpuE2ELNS1_3repE0EEENS1_30default_config_static_selectorELNS0_4arch9wavefront6targetE0EEEvT1_, .Lfunc_end29-_ZN7rocprim17ROCPRIM_400000_NS6detail17trampoline_kernelINS0_14default_configENS1_25partition_config_selectorILNS1_17partition_subalgoE8EbNS0_10empty_typeEbEEZZNS1_14partition_implILS5_8ELb0ES3_jN6hipcub16HIPCUB_304000_NS22TransformInputIteratorIbN2at6native8internal12_GLOBAL__N_110LoadBoolOpEPKhlEEPS6_PKS6_NS0_5tupleIJPbS6_EEENSN_IJSK_SK_EEENS0_18inequality_wrapperINSA_8EqualityEEEPlJS6_EEE10hipError_tPvRmT3_T4_T5_T6_T7_T9_mT8_P12ihipStream_tbDpT10_ENKUlT_T0_E_clISt17integral_constantIbLb1EES1E_EEDaS19_S1A_EUlS19_E_NS1_11comp_targetILNS1_3genE8ELNS1_11target_archE1030ELNS1_3gpuE2ELNS1_3repE0EEENS1_30default_config_static_selectorELNS0_4arch9wavefront6targetE0EEEvT1_
                                        ; -- End function
	.set _ZN7rocprim17ROCPRIM_400000_NS6detail17trampoline_kernelINS0_14default_configENS1_25partition_config_selectorILNS1_17partition_subalgoE8EbNS0_10empty_typeEbEEZZNS1_14partition_implILS5_8ELb0ES3_jN6hipcub16HIPCUB_304000_NS22TransformInputIteratorIbN2at6native8internal12_GLOBAL__N_110LoadBoolOpEPKhlEEPS6_PKS6_NS0_5tupleIJPbS6_EEENSN_IJSK_SK_EEENS0_18inequality_wrapperINSA_8EqualityEEEPlJS6_EEE10hipError_tPvRmT3_T4_T5_T6_T7_T9_mT8_P12ihipStream_tbDpT10_ENKUlT_T0_E_clISt17integral_constantIbLb1EES1E_EEDaS19_S1A_EUlS19_E_NS1_11comp_targetILNS1_3genE8ELNS1_11target_archE1030ELNS1_3gpuE2ELNS1_3repE0EEENS1_30default_config_static_selectorELNS0_4arch9wavefront6targetE0EEEvT1_.num_vgpr, 0
	.set _ZN7rocprim17ROCPRIM_400000_NS6detail17trampoline_kernelINS0_14default_configENS1_25partition_config_selectorILNS1_17partition_subalgoE8EbNS0_10empty_typeEbEEZZNS1_14partition_implILS5_8ELb0ES3_jN6hipcub16HIPCUB_304000_NS22TransformInputIteratorIbN2at6native8internal12_GLOBAL__N_110LoadBoolOpEPKhlEEPS6_PKS6_NS0_5tupleIJPbS6_EEENSN_IJSK_SK_EEENS0_18inequality_wrapperINSA_8EqualityEEEPlJS6_EEE10hipError_tPvRmT3_T4_T5_T6_T7_T9_mT8_P12ihipStream_tbDpT10_ENKUlT_T0_E_clISt17integral_constantIbLb1EES1E_EEDaS19_S1A_EUlS19_E_NS1_11comp_targetILNS1_3genE8ELNS1_11target_archE1030ELNS1_3gpuE2ELNS1_3repE0EEENS1_30default_config_static_selectorELNS0_4arch9wavefront6targetE0EEEvT1_.num_agpr, 0
	.set _ZN7rocprim17ROCPRIM_400000_NS6detail17trampoline_kernelINS0_14default_configENS1_25partition_config_selectorILNS1_17partition_subalgoE8EbNS0_10empty_typeEbEEZZNS1_14partition_implILS5_8ELb0ES3_jN6hipcub16HIPCUB_304000_NS22TransformInputIteratorIbN2at6native8internal12_GLOBAL__N_110LoadBoolOpEPKhlEEPS6_PKS6_NS0_5tupleIJPbS6_EEENSN_IJSK_SK_EEENS0_18inequality_wrapperINSA_8EqualityEEEPlJS6_EEE10hipError_tPvRmT3_T4_T5_T6_T7_T9_mT8_P12ihipStream_tbDpT10_ENKUlT_T0_E_clISt17integral_constantIbLb1EES1E_EEDaS19_S1A_EUlS19_E_NS1_11comp_targetILNS1_3genE8ELNS1_11target_archE1030ELNS1_3gpuE2ELNS1_3repE0EEENS1_30default_config_static_selectorELNS0_4arch9wavefront6targetE0EEEvT1_.numbered_sgpr, 0
	.set _ZN7rocprim17ROCPRIM_400000_NS6detail17trampoline_kernelINS0_14default_configENS1_25partition_config_selectorILNS1_17partition_subalgoE8EbNS0_10empty_typeEbEEZZNS1_14partition_implILS5_8ELb0ES3_jN6hipcub16HIPCUB_304000_NS22TransformInputIteratorIbN2at6native8internal12_GLOBAL__N_110LoadBoolOpEPKhlEEPS6_PKS6_NS0_5tupleIJPbS6_EEENSN_IJSK_SK_EEENS0_18inequality_wrapperINSA_8EqualityEEEPlJS6_EEE10hipError_tPvRmT3_T4_T5_T6_T7_T9_mT8_P12ihipStream_tbDpT10_ENKUlT_T0_E_clISt17integral_constantIbLb1EES1E_EEDaS19_S1A_EUlS19_E_NS1_11comp_targetILNS1_3genE8ELNS1_11target_archE1030ELNS1_3gpuE2ELNS1_3repE0EEENS1_30default_config_static_selectorELNS0_4arch9wavefront6targetE0EEEvT1_.num_named_barrier, 0
	.set _ZN7rocprim17ROCPRIM_400000_NS6detail17trampoline_kernelINS0_14default_configENS1_25partition_config_selectorILNS1_17partition_subalgoE8EbNS0_10empty_typeEbEEZZNS1_14partition_implILS5_8ELb0ES3_jN6hipcub16HIPCUB_304000_NS22TransformInputIteratorIbN2at6native8internal12_GLOBAL__N_110LoadBoolOpEPKhlEEPS6_PKS6_NS0_5tupleIJPbS6_EEENSN_IJSK_SK_EEENS0_18inequality_wrapperINSA_8EqualityEEEPlJS6_EEE10hipError_tPvRmT3_T4_T5_T6_T7_T9_mT8_P12ihipStream_tbDpT10_ENKUlT_T0_E_clISt17integral_constantIbLb1EES1E_EEDaS19_S1A_EUlS19_E_NS1_11comp_targetILNS1_3genE8ELNS1_11target_archE1030ELNS1_3gpuE2ELNS1_3repE0EEENS1_30default_config_static_selectorELNS0_4arch9wavefront6targetE0EEEvT1_.private_seg_size, 0
	.set _ZN7rocprim17ROCPRIM_400000_NS6detail17trampoline_kernelINS0_14default_configENS1_25partition_config_selectorILNS1_17partition_subalgoE8EbNS0_10empty_typeEbEEZZNS1_14partition_implILS5_8ELb0ES3_jN6hipcub16HIPCUB_304000_NS22TransformInputIteratorIbN2at6native8internal12_GLOBAL__N_110LoadBoolOpEPKhlEEPS6_PKS6_NS0_5tupleIJPbS6_EEENSN_IJSK_SK_EEENS0_18inequality_wrapperINSA_8EqualityEEEPlJS6_EEE10hipError_tPvRmT3_T4_T5_T6_T7_T9_mT8_P12ihipStream_tbDpT10_ENKUlT_T0_E_clISt17integral_constantIbLb1EES1E_EEDaS19_S1A_EUlS19_E_NS1_11comp_targetILNS1_3genE8ELNS1_11target_archE1030ELNS1_3gpuE2ELNS1_3repE0EEENS1_30default_config_static_selectorELNS0_4arch9wavefront6targetE0EEEvT1_.uses_vcc, 0
	.set _ZN7rocprim17ROCPRIM_400000_NS6detail17trampoline_kernelINS0_14default_configENS1_25partition_config_selectorILNS1_17partition_subalgoE8EbNS0_10empty_typeEbEEZZNS1_14partition_implILS5_8ELb0ES3_jN6hipcub16HIPCUB_304000_NS22TransformInputIteratorIbN2at6native8internal12_GLOBAL__N_110LoadBoolOpEPKhlEEPS6_PKS6_NS0_5tupleIJPbS6_EEENSN_IJSK_SK_EEENS0_18inequality_wrapperINSA_8EqualityEEEPlJS6_EEE10hipError_tPvRmT3_T4_T5_T6_T7_T9_mT8_P12ihipStream_tbDpT10_ENKUlT_T0_E_clISt17integral_constantIbLb1EES1E_EEDaS19_S1A_EUlS19_E_NS1_11comp_targetILNS1_3genE8ELNS1_11target_archE1030ELNS1_3gpuE2ELNS1_3repE0EEENS1_30default_config_static_selectorELNS0_4arch9wavefront6targetE0EEEvT1_.uses_flat_scratch, 0
	.set _ZN7rocprim17ROCPRIM_400000_NS6detail17trampoline_kernelINS0_14default_configENS1_25partition_config_selectorILNS1_17partition_subalgoE8EbNS0_10empty_typeEbEEZZNS1_14partition_implILS5_8ELb0ES3_jN6hipcub16HIPCUB_304000_NS22TransformInputIteratorIbN2at6native8internal12_GLOBAL__N_110LoadBoolOpEPKhlEEPS6_PKS6_NS0_5tupleIJPbS6_EEENSN_IJSK_SK_EEENS0_18inequality_wrapperINSA_8EqualityEEEPlJS6_EEE10hipError_tPvRmT3_T4_T5_T6_T7_T9_mT8_P12ihipStream_tbDpT10_ENKUlT_T0_E_clISt17integral_constantIbLb1EES1E_EEDaS19_S1A_EUlS19_E_NS1_11comp_targetILNS1_3genE8ELNS1_11target_archE1030ELNS1_3gpuE2ELNS1_3repE0EEENS1_30default_config_static_selectorELNS0_4arch9wavefront6targetE0EEEvT1_.has_dyn_sized_stack, 0
	.set _ZN7rocprim17ROCPRIM_400000_NS6detail17trampoline_kernelINS0_14default_configENS1_25partition_config_selectorILNS1_17partition_subalgoE8EbNS0_10empty_typeEbEEZZNS1_14partition_implILS5_8ELb0ES3_jN6hipcub16HIPCUB_304000_NS22TransformInputIteratorIbN2at6native8internal12_GLOBAL__N_110LoadBoolOpEPKhlEEPS6_PKS6_NS0_5tupleIJPbS6_EEENSN_IJSK_SK_EEENS0_18inequality_wrapperINSA_8EqualityEEEPlJS6_EEE10hipError_tPvRmT3_T4_T5_T6_T7_T9_mT8_P12ihipStream_tbDpT10_ENKUlT_T0_E_clISt17integral_constantIbLb1EES1E_EEDaS19_S1A_EUlS19_E_NS1_11comp_targetILNS1_3genE8ELNS1_11target_archE1030ELNS1_3gpuE2ELNS1_3repE0EEENS1_30default_config_static_selectorELNS0_4arch9wavefront6targetE0EEEvT1_.has_recursion, 0
	.set _ZN7rocprim17ROCPRIM_400000_NS6detail17trampoline_kernelINS0_14default_configENS1_25partition_config_selectorILNS1_17partition_subalgoE8EbNS0_10empty_typeEbEEZZNS1_14partition_implILS5_8ELb0ES3_jN6hipcub16HIPCUB_304000_NS22TransformInputIteratorIbN2at6native8internal12_GLOBAL__N_110LoadBoolOpEPKhlEEPS6_PKS6_NS0_5tupleIJPbS6_EEENSN_IJSK_SK_EEENS0_18inequality_wrapperINSA_8EqualityEEEPlJS6_EEE10hipError_tPvRmT3_T4_T5_T6_T7_T9_mT8_P12ihipStream_tbDpT10_ENKUlT_T0_E_clISt17integral_constantIbLb1EES1E_EEDaS19_S1A_EUlS19_E_NS1_11comp_targetILNS1_3genE8ELNS1_11target_archE1030ELNS1_3gpuE2ELNS1_3repE0EEENS1_30default_config_static_selectorELNS0_4arch9wavefront6targetE0EEEvT1_.has_indirect_call, 0
	.section	.AMDGPU.csdata,"",@progbits
; Kernel info:
; codeLenInByte = 0
; TotalNumSgprs: 0
; NumVgprs: 0
; ScratchSize: 0
; MemoryBound: 0
; FloatMode: 240
; IeeeMode: 1
; LDSByteSize: 0 bytes/workgroup (compile time only)
; SGPRBlocks: 0
; VGPRBlocks: 0
; NumSGPRsForWavesPerEU: 1
; NumVGPRsForWavesPerEU: 1
; NamedBarCnt: 0
; Occupancy: 16
; WaveLimiterHint : 0
; COMPUTE_PGM_RSRC2:SCRATCH_EN: 0
; COMPUTE_PGM_RSRC2:USER_SGPR: 2
; COMPUTE_PGM_RSRC2:TRAP_HANDLER: 0
; COMPUTE_PGM_RSRC2:TGID_X_EN: 1
; COMPUTE_PGM_RSRC2:TGID_Y_EN: 0
; COMPUTE_PGM_RSRC2:TGID_Z_EN: 0
; COMPUTE_PGM_RSRC2:TIDIG_COMP_CNT: 0
	.section	.text._ZN7rocprim17ROCPRIM_400000_NS6detail31init_lookback_scan_state_kernelINS1_19lookback_scan_stateIjLb1ELb1EEENS1_16block_id_wrapperIjLb0EEEEEvT_jT0_jPNS7_10value_typeE,"axG",@progbits,_ZN7rocprim17ROCPRIM_400000_NS6detail31init_lookback_scan_state_kernelINS1_19lookback_scan_stateIjLb1ELb1EEENS1_16block_id_wrapperIjLb0EEEEEvT_jT0_jPNS7_10value_typeE,comdat
	.protected	_ZN7rocprim17ROCPRIM_400000_NS6detail31init_lookback_scan_state_kernelINS1_19lookback_scan_stateIjLb1ELb1EEENS1_16block_id_wrapperIjLb0EEEEEvT_jT0_jPNS7_10value_typeE ; -- Begin function _ZN7rocprim17ROCPRIM_400000_NS6detail31init_lookback_scan_state_kernelINS1_19lookback_scan_stateIjLb1ELb1EEENS1_16block_id_wrapperIjLb0EEEEEvT_jT0_jPNS7_10value_typeE
	.globl	_ZN7rocprim17ROCPRIM_400000_NS6detail31init_lookback_scan_state_kernelINS1_19lookback_scan_stateIjLb1ELb1EEENS1_16block_id_wrapperIjLb0EEEEEvT_jT0_jPNS7_10value_typeE
	.p2align	8
	.type	_ZN7rocprim17ROCPRIM_400000_NS6detail31init_lookback_scan_state_kernelINS1_19lookback_scan_stateIjLb1ELb1EEENS1_16block_id_wrapperIjLb0EEEEEvT_jT0_jPNS7_10value_typeE,@function
_ZN7rocprim17ROCPRIM_400000_NS6detail31init_lookback_scan_state_kernelINS1_19lookback_scan_stateIjLb1ELb1EEENS1_16block_id_wrapperIjLb0EEEEEvT_jT0_jPNS7_10value_typeE: ; @_ZN7rocprim17ROCPRIM_400000_NS6detail31init_lookback_scan_state_kernelINS1_19lookback_scan_stateIjLb1ELb1EEENS1_16block_id_wrapperIjLb0EEEEEvT_jT0_jPNS7_10value_typeE
; %bb.0:
	s_clause 0x2
	s_load_b32 s7, s[0:1], 0x2c
	s_load_b96 s[4:6], s[0:1], 0x0
	s_load_b64 s[2:3], s[0:1], 0x18
	s_bfe_u32 s8, ttmp6, 0x4000c
	s_and_b32 s9, ttmp6, 15
	s_add_co_i32 s8, s8, 1
	s_getreg_b32 s10, hwreg(HW_REG_IB_STS2, 6, 4)
	s_mul_i32 s8, ttmp9, s8
	s_delay_alu instid0(SALU_CYCLE_1)
	s_add_co_i32 s9, s9, s8
	s_wait_kmcnt 0x0
	s_and_b32 s7, s7, 0xffff
	s_cmp_eq_u32 s10, 0
	s_cselect_b32 s8, ttmp9, s9
	s_cmp_eq_u64 s[2:3], 0
	v_mad_u32 v4, s8, s7, v0
	s_cbranch_scc1 .LBB30_9
; %bb.1:
	s_load_b32 s0, s[0:1], 0x10
	s_mov_b32 s7, exec_lo
	s_wait_kmcnt 0x0
	s_cmp_lt_u32 s0, s6
	s_cselect_b32 s1, s0, 0
	s_delay_alu instid0(VALU_DEP_1) | instid1(SALU_CYCLE_1)
	v_cmpx_eq_u32_e64 s1, v4
	s_cbranch_execz .LBB30_8
; %bb.2:
	s_add_co_i32 s0, s0, 32
	s_delay_alu instid0(SALU_CYCLE_1)
	v_mov_b32_e32 v0, s0
	global_load_b64 v[2:3], v0, s[4:5] scale_offset scope:SCOPE_DEV
	s_wait_xcnt 0x0
	v_mov_b32_e32 v0, 0
	s_wait_loadcnt 0x0
	v_and_b32_e32 v1, 0xff, v3
	s_delay_alu instid0(VALU_DEP_1)
	v_cmp_ne_u64_e32 vcc_lo, 0, v[0:1]
	s_cbranch_vccnz .LBB30_7
; %bb.3:
	s_mov_b32 s1, 0
	s_mov_b32 s8, 1
	s_lshl_b64 s[0:1], s[0:1], 3
	s_delay_alu instid0(SALU_CYCLE_1)
	s_add_nc_u64 s[0:1], s[4:5], s[0:1]
.LBB30_4:                               ; =>This Loop Header: Depth=1
                                        ;     Child Loop BB30_5 Depth 2
	s_mov_b32 s9, s8
.LBB30_5:                               ;   Parent Loop BB30_4 Depth=1
                                        ; =>  This Inner Loop Header: Depth=2
	s_delay_alu instid0(SALU_CYCLE_1)
	s_add_co_i32 s9, s9, -1
	s_sleep 1
	s_cmp_eq_u32 s9, 0
	s_cbranch_scc0 .LBB30_5
; %bb.6:                                ;   in Loop: Header=BB30_4 Depth=1
	global_load_b64 v[2:3], v0, s[0:1] scope:SCOPE_DEV
	s_cmp_lt_u32 s8, 32
	s_cselect_b32 s9, -1, 0
	s_delay_alu instid0(SALU_CYCLE_1) | instskip(SKIP_3) | instid1(VALU_DEP_1)
	s_cmp_lg_u32 s9, 0
	s_add_co_ci_u32 s8, s8, 0
	s_wait_loadcnt 0x0
	v_and_b32_e32 v1, 0xff, v3
	v_cmp_ne_u64_e32 vcc_lo, 0, v[0:1]
	s_cbranch_vccz .LBB30_4
.LBB30_7:
	v_mov_b32_e32 v0, 0
	global_store_b32 v0, v2, s[2:3]
.LBB30_8:
	s_wait_xcnt 0x0
	s_or_b32 exec_lo, exec_lo, s7
.LBB30_9:
	s_delay_alu instid0(SALU_CYCLE_1) | instskip(NEXT) | instid1(VALU_DEP_1)
	s_mov_b32 s0, exec_lo
	v_cmpx_gt_u32_e64 s6, v4
	s_cbranch_execz .LBB30_11
; %bb.10:
	v_mov_b64_e32 v[0:1], 0
	v_add_nc_u32_e32 v2, 32, v4
	global_store_b64 v2, v[0:1], s[4:5] scale_offset
.LBB30_11:
	s_wait_xcnt 0x0
	s_or_b32 exec_lo, exec_lo, s0
	s_delay_alu instid0(SALU_CYCLE_1)
	s_mov_b32 s0, exec_lo
	v_cmpx_gt_u32_e32 32, v4
	s_cbranch_execz .LBB30_13
; %bb.12:
	v_mov_b64_e32 v[0:1], 0xff00000000
	global_store_b64 v4, v[0:1], s[4:5] scale_offset
.LBB30_13:
	s_endpgm
	.section	.rodata,"a",@progbits
	.p2align	6, 0x0
	.amdhsa_kernel _ZN7rocprim17ROCPRIM_400000_NS6detail31init_lookback_scan_state_kernelINS1_19lookback_scan_stateIjLb1ELb1EEENS1_16block_id_wrapperIjLb0EEEEEvT_jT0_jPNS7_10value_typeE
		.amdhsa_group_segment_fixed_size 0
		.amdhsa_private_segment_fixed_size 0
		.amdhsa_kernarg_size 288
		.amdhsa_user_sgpr_count 2
		.amdhsa_user_sgpr_dispatch_ptr 0
		.amdhsa_user_sgpr_queue_ptr 0
		.amdhsa_user_sgpr_kernarg_segment_ptr 1
		.amdhsa_user_sgpr_dispatch_id 0
		.amdhsa_user_sgpr_kernarg_preload_length 0
		.amdhsa_user_sgpr_kernarg_preload_offset 0
		.amdhsa_user_sgpr_private_segment_size 0
		.amdhsa_wavefront_size32 1
		.amdhsa_uses_dynamic_stack 0
		.amdhsa_enable_private_segment 0
		.amdhsa_system_sgpr_workgroup_id_x 1
		.amdhsa_system_sgpr_workgroup_id_y 0
		.amdhsa_system_sgpr_workgroup_id_z 0
		.amdhsa_system_sgpr_workgroup_info 0
		.amdhsa_system_vgpr_workitem_id 0
		.amdhsa_next_free_vgpr 5
		.amdhsa_next_free_sgpr 11
		.amdhsa_named_barrier_count 0
		.amdhsa_reserve_vcc 1
		.amdhsa_float_round_mode_32 0
		.amdhsa_float_round_mode_16_64 0
		.amdhsa_float_denorm_mode_32 3
		.amdhsa_float_denorm_mode_16_64 3
		.amdhsa_fp16_overflow 0
		.amdhsa_memory_ordered 1
		.amdhsa_forward_progress 1
		.amdhsa_inst_pref_size 4
		.amdhsa_round_robin_scheduling 0
		.amdhsa_exception_fp_ieee_invalid_op 0
		.amdhsa_exception_fp_denorm_src 0
		.amdhsa_exception_fp_ieee_div_zero 0
		.amdhsa_exception_fp_ieee_overflow 0
		.amdhsa_exception_fp_ieee_underflow 0
		.amdhsa_exception_fp_ieee_inexact 0
		.amdhsa_exception_int_div_zero 0
	.end_amdhsa_kernel
	.section	.text._ZN7rocprim17ROCPRIM_400000_NS6detail31init_lookback_scan_state_kernelINS1_19lookback_scan_stateIjLb1ELb1EEENS1_16block_id_wrapperIjLb0EEEEEvT_jT0_jPNS7_10value_typeE,"axG",@progbits,_ZN7rocprim17ROCPRIM_400000_NS6detail31init_lookback_scan_state_kernelINS1_19lookback_scan_stateIjLb1ELb1EEENS1_16block_id_wrapperIjLb0EEEEEvT_jT0_jPNS7_10value_typeE,comdat
.Lfunc_end30:
	.size	_ZN7rocprim17ROCPRIM_400000_NS6detail31init_lookback_scan_state_kernelINS1_19lookback_scan_stateIjLb1ELb1EEENS1_16block_id_wrapperIjLb0EEEEEvT_jT0_jPNS7_10value_typeE, .Lfunc_end30-_ZN7rocprim17ROCPRIM_400000_NS6detail31init_lookback_scan_state_kernelINS1_19lookback_scan_stateIjLb1ELb1EEENS1_16block_id_wrapperIjLb0EEEEEvT_jT0_jPNS7_10value_typeE
                                        ; -- End function
	.set _ZN7rocprim17ROCPRIM_400000_NS6detail31init_lookback_scan_state_kernelINS1_19lookback_scan_stateIjLb1ELb1EEENS1_16block_id_wrapperIjLb0EEEEEvT_jT0_jPNS7_10value_typeE.num_vgpr, 5
	.set _ZN7rocprim17ROCPRIM_400000_NS6detail31init_lookback_scan_state_kernelINS1_19lookback_scan_stateIjLb1ELb1EEENS1_16block_id_wrapperIjLb0EEEEEvT_jT0_jPNS7_10value_typeE.num_agpr, 0
	.set _ZN7rocprim17ROCPRIM_400000_NS6detail31init_lookback_scan_state_kernelINS1_19lookback_scan_stateIjLb1ELb1EEENS1_16block_id_wrapperIjLb0EEEEEvT_jT0_jPNS7_10value_typeE.numbered_sgpr, 11
	.set _ZN7rocprim17ROCPRIM_400000_NS6detail31init_lookback_scan_state_kernelINS1_19lookback_scan_stateIjLb1ELb1EEENS1_16block_id_wrapperIjLb0EEEEEvT_jT0_jPNS7_10value_typeE.num_named_barrier, 0
	.set _ZN7rocprim17ROCPRIM_400000_NS6detail31init_lookback_scan_state_kernelINS1_19lookback_scan_stateIjLb1ELb1EEENS1_16block_id_wrapperIjLb0EEEEEvT_jT0_jPNS7_10value_typeE.private_seg_size, 0
	.set _ZN7rocprim17ROCPRIM_400000_NS6detail31init_lookback_scan_state_kernelINS1_19lookback_scan_stateIjLb1ELb1EEENS1_16block_id_wrapperIjLb0EEEEEvT_jT0_jPNS7_10value_typeE.uses_vcc, 1
	.set _ZN7rocprim17ROCPRIM_400000_NS6detail31init_lookback_scan_state_kernelINS1_19lookback_scan_stateIjLb1ELb1EEENS1_16block_id_wrapperIjLb0EEEEEvT_jT0_jPNS7_10value_typeE.uses_flat_scratch, 0
	.set _ZN7rocprim17ROCPRIM_400000_NS6detail31init_lookback_scan_state_kernelINS1_19lookback_scan_stateIjLb1ELb1EEENS1_16block_id_wrapperIjLb0EEEEEvT_jT0_jPNS7_10value_typeE.has_dyn_sized_stack, 0
	.set _ZN7rocprim17ROCPRIM_400000_NS6detail31init_lookback_scan_state_kernelINS1_19lookback_scan_stateIjLb1ELb1EEENS1_16block_id_wrapperIjLb0EEEEEvT_jT0_jPNS7_10value_typeE.has_recursion, 0
	.set _ZN7rocprim17ROCPRIM_400000_NS6detail31init_lookback_scan_state_kernelINS1_19lookback_scan_stateIjLb1ELb1EEENS1_16block_id_wrapperIjLb0EEEEEvT_jT0_jPNS7_10value_typeE.has_indirect_call, 0
	.section	.AMDGPU.csdata,"",@progbits
; Kernel info:
; codeLenInByte = 404
; TotalNumSgprs: 13
; NumVgprs: 5
; ScratchSize: 0
; MemoryBound: 0
; FloatMode: 240
; IeeeMode: 1
; LDSByteSize: 0 bytes/workgroup (compile time only)
; SGPRBlocks: 0
; VGPRBlocks: 0
; NumSGPRsForWavesPerEU: 13
; NumVGPRsForWavesPerEU: 5
; NamedBarCnt: 0
; Occupancy: 16
; WaveLimiterHint : 0
; COMPUTE_PGM_RSRC2:SCRATCH_EN: 0
; COMPUTE_PGM_RSRC2:USER_SGPR: 2
; COMPUTE_PGM_RSRC2:TRAP_HANDLER: 0
; COMPUTE_PGM_RSRC2:TGID_X_EN: 1
; COMPUTE_PGM_RSRC2:TGID_Y_EN: 0
; COMPUTE_PGM_RSRC2:TGID_Z_EN: 0
; COMPUTE_PGM_RSRC2:TIDIG_COMP_CNT: 0
	.section	.text._ZN7rocprim17ROCPRIM_400000_NS6detail17trampoline_kernelINS0_14default_configENS1_25partition_config_selectorILNS1_17partition_subalgoE8EbNS0_10empty_typeEbEEZZNS1_14partition_implILS5_8ELb0ES3_jN6hipcub16HIPCUB_304000_NS22TransformInputIteratorIbN2at6native8internal12_GLOBAL__N_110LoadBoolOpEPKhlEEPS6_PKS6_NS0_5tupleIJPbS6_EEENSN_IJSK_SK_EEENS0_18inequality_wrapperINSA_8EqualityEEEPlJS6_EEE10hipError_tPvRmT3_T4_T5_T6_T7_T9_mT8_P12ihipStream_tbDpT10_ENKUlT_T0_E_clISt17integral_constantIbLb1EES1D_IbLb0EEEEDaS19_S1A_EUlS19_E_NS1_11comp_targetILNS1_3genE0ELNS1_11target_archE4294967295ELNS1_3gpuE0ELNS1_3repE0EEENS1_30default_config_static_selectorELNS0_4arch9wavefront6targetE0EEEvT1_,"axG",@progbits,_ZN7rocprim17ROCPRIM_400000_NS6detail17trampoline_kernelINS0_14default_configENS1_25partition_config_selectorILNS1_17partition_subalgoE8EbNS0_10empty_typeEbEEZZNS1_14partition_implILS5_8ELb0ES3_jN6hipcub16HIPCUB_304000_NS22TransformInputIteratorIbN2at6native8internal12_GLOBAL__N_110LoadBoolOpEPKhlEEPS6_PKS6_NS0_5tupleIJPbS6_EEENSN_IJSK_SK_EEENS0_18inequality_wrapperINSA_8EqualityEEEPlJS6_EEE10hipError_tPvRmT3_T4_T5_T6_T7_T9_mT8_P12ihipStream_tbDpT10_ENKUlT_T0_E_clISt17integral_constantIbLb1EES1D_IbLb0EEEEDaS19_S1A_EUlS19_E_NS1_11comp_targetILNS1_3genE0ELNS1_11target_archE4294967295ELNS1_3gpuE0ELNS1_3repE0EEENS1_30default_config_static_selectorELNS0_4arch9wavefront6targetE0EEEvT1_,comdat
	.globl	_ZN7rocprim17ROCPRIM_400000_NS6detail17trampoline_kernelINS0_14default_configENS1_25partition_config_selectorILNS1_17partition_subalgoE8EbNS0_10empty_typeEbEEZZNS1_14partition_implILS5_8ELb0ES3_jN6hipcub16HIPCUB_304000_NS22TransformInputIteratorIbN2at6native8internal12_GLOBAL__N_110LoadBoolOpEPKhlEEPS6_PKS6_NS0_5tupleIJPbS6_EEENSN_IJSK_SK_EEENS0_18inequality_wrapperINSA_8EqualityEEEPlJS6_EEE10hipError_tPvRmT3_T4_T5_T6_T7_T9_mT8_P12ihipStream_tbDpT10_ENKUlT_T0_E_clISt17integral_constantIbLb1EES1D_IbLb0EEEEDaS19_S1A_EUlS19_E_NS1_11comp_targetILNS1_3genE0ELNS1_11target_archE4294967295ELNS1_3gpuE0ELNS1_3repE0EEENS1_30default_config_static_selectorELNS0_4arch9wavefront6targetE0EEEvT1_ ; -- Begin function _ZN7rocprim17ROCPRIM_400000_NS6detail17trampoline_kernelINS0_14default_configENS1_25partition_config_selectorILNS1_17partition_subalgoE8EbNS0_10empty_typeEbEEZZNS1_14partition_implILS5_8ELb0ES3_jN6hipcub16HIPCUB_304000_NS22TransformInputIteratorIbN2at6native8internal12_GLOBAL__N_110LoadBoolOpEPKhlEEPS6_PKS6_NS0_5tupleIJPbS6_EEENSN_IJSK_SK_EEENS0_18inequality_wrapperINSA_8EqualityEEEPlJS6_EEE10hipError_tPvRmT3_T4_T5_T6_T7_T9_mT8_P12ihipStream_tbDpT10_ENKUlT_T0_E_clISt17integral_constantIbLb1EES1D_IbLb0EEEEDaS19_S1A_EUlS19_E_NS1_11comp_targetILNS1_3genE0ELNS1_11target_archE4294967295ELNS1_3gpuE0ELNS1_3repE0EEENS1_30default_config_static_selectorELNS0_4arch9wavefront6targetE0EEEvT1_
	.p2align	8
	.type	_ZN7rocprim17ROCPRIM_400000_NS6detail17trampoline_kernelINS0_14default_configENS1_25partition_config_selectorILNS1_17partition_subalgoE8EbNS0_10empty_typeEbEEZZNS1_14partition_implILS5_8ELb0ES3_jN6hipcub16HIPCUB_304000_NS22TransformInputIteratorIbN2at6native8internal12_GLOBAL__N_110LoadBoolOpEPKhlEEPS6_PKS6_NS0_5tupleIJPbS6_EEENSN_IJSK_SK_EEENS0_18inequality_wrapperINSA_8EqualityEEEPlJS6_EEE10hipError_tPvRmT3_T4_T5_T6_T7_T9_mT8_P12ihipStream_tbDpT10_ENKUlT_T0_E_clISt17integral_constantIbLb1EES1D_IbLb0EEEEDaS19_S1A_EUlS19_E_NS1_11comp_targetILNS1_3genE0ELNS1_11target_archE4294967295ELNS1_3gpuE0ELNS1_3repE0EEENS1_30default_config_static_selectorELNS0_4arch9wavefront6targetE0EEEvT1_,@function
_ZN7rocprim17ROCPRIM_400000_NS6detail17trampoline_kernelINS0_14default_configENS1_25partition_config_selectorILNS1_17partition_subalgoE8EbNS0_10empty_typeEbEEZZNS1_14partition_implILS5_8ELb0ES3_jN6hipcub16HIPCUB_304000_NS22TransformInputIteratorIbN2at6native8internal12_GLOBAL__N_110LoadBoolOpEPKhlEEPS6_PKS6_NS0_5tupleIJPbS6_EEENSN_IJSK_SK_EEENS0_18inequality_wrapperINSA_8EqualityEEEPlJS6_EEE10hipError_tPvRmT3_T4_T5_T6_T7_T9_mT8_P12ihipStream_tbDpT10_ENKUlT_T0_E_clISt17integral_constantIbLb1EES1D_IbLb0EEEEDaS19_S1A_EUlS19_E_NS1_11comp_targetILNS1_3genE0ELNS1_11target_archE4294967295ELNS1_3gpuE0ELNS1_3repE0EEENS1_30default_config_static_selectorELNS0_4arch9wavefront6targetE0EEEvT1_: ; @_ZN7rocprim17ROCPRIM_400000_NS6detail17trampoline_kernelINS0_14default_configENS1_25partition_config_selectorILNS1_17partition_subalgoE8EbNS0_10empty_typeEbEEZZNS1_14partition_implILS5_8ELb0ES3_jN6hipcub16HIPCUB_304000_NS22TransformInputIteratorIbN2at6native8internal12_GLOBAL__N_110LoadBoolOpEPKhlEEPS6_PKS6_NS0_5tupleIJPbS6_EEENSN_IJSK_SK_EEENS0_18inequality_wrapperINSA_8EqualityEEEPlJS6_EEE10hipError_tPvRmT3_T4_T5_T6_T7_T9_mT8_P12ihipStream_tbDpT10_ENKUlT_T0_E_clISt17integral_constantIbLb1EES1D_IbLb0EEEEDaS19_S1A_EUlS19_E_NS1_11comp_targetILNS1_3genE0ELNS1_11target_archE4294967295ELNS1_3gpuE0ELNS1_3repE0EEENS1_30default_config_static_selectorELNS0_4arch9wavefront6targetE0EEEvT1_
; %bb.0:
	s_endpgm
	.section	.rodata,"a",@progbits
	.p2align	6, 0x0
	.amdhsa_kernel _ZN7rocprim17ROCPRIM_400000_NS6detail17trampoline_kernelINS0_14default_configENS1_25partition_config_selectorILNS1_17partition_subalgoE8EbNS0_10empty_typeEbEEZZNS1_14partition_implILS5_8ELb0ES3_jN6hipcub16HIPCUB_304000_NS22TransformInputIteratorIbN2at6native8internal12_GLOBAL__N_110LoadBoolOpEPKhlEEPS6_PKS6_NS0_5tupleIJPbS6_EEENSN_IJSK_SK_EEENS0_18inequality_wrapperINSA_8EqualityEEEPlJS6_EEE10hipError_tPvRmT3_T4_T5_T6_T7_T9_mT8_P12ihipStream_tbDpT10_ENKUlT_T0_E_clISt17integral_constantIbLb1EES1D_IbLb0EEEEDaS19_S1A_EUlS19_E_NS1_11comp_targetILNS1_3genE0ELNS1_11target_archE4294967295ELNS1_3gpuE0ELNS1_3repE0EEENS1_30default_config_static_selectorELNS0_4arch9wavefront6targetE0EEEvT1_
		.amdhsa_group_segment_fixed_size 0
		.amdhsa_private_segment_fixed_size 0
		.amdhsa_kernarg_size 120
		.amdhsa_user_sgpr_count 2
		.amdhsa_user_sgpr_dispatch_ptr 0
		.amdhsa_user_sgpr_queue_ptr 0
		.amdhsa_user_sgpr_kernarg_segment_ptr 1
		.amdhsa_user_sgpr_dispatch_id 0
		.amdhsa_user_sgpr_kernarg_preload_length 0
		.amdhsa_user_sgpr_kernarg_preload_offset 0
		.amdhsa_user_sgpr_private_segment_size 0
		.amdhsa_wavefront_size32 1
		.amdhsa_uses_dynamic_stack 0
		.amdhsa_enable_private_segment 0
		.amdhsa_system_sgpr_workgroup_id_x 1
		.amdhsa_system_sgpr_workgroup_id_y 0
		.amdhsa_system_sgpr_workgroup_id_z 0
		.amdhsa_system_sgpr_workgroup_info 0
		.amdhsa_system_vgpr_workitem_id 0
		.amdhsa_next_free_vgpr 1
		.amdhsa_next_free_sgpr 1
		.amdhsa_named_barrier_count 0
		.amdhsa_reserve_vcc 0
		.amdhsa_float_round_mode_32 0
		.amdhsa_float_round_mode_16_64 0
		.amdhsa_float_denorm_mode_32 3
		.amdhsa_float_denorm_mode_16_64 3
		.amdhsa_fp16_overflow 0
		.amdhsa_memory_ordered 1
		.amdhsa_forward_progress 1
		.amdhsa_inst_pref_size 1
		.amdhsa_round_robin_scheduling 0
		.amdhsa_exception_fp_ieee_invalid_op 0
		.amdhsa_exception_fp_denorm_src 0
		.amdhsa_exception_fp_ieee_div_zero 0
		.amdhsa_exception_fp_ieee_overflow 0
		.amdhsa_exception_fp_ieee_underflow 0
		.amdhsa_exception_fp_ieee_inexact 0
		.amdhsa_exception_int_div_zero 0
	.end_amdhsa_kernel
	.section	.text._ZN7rocprim17ROCPRIM_400000_NS6detail17trampoline_kernelINS0_14default_configENS1_25partition_config_selectorILNS1_17partition_subalgoE8EbNS0_10empty_typeEbEEZZNS1_14partition_implILS5_8ELb0ES3_jN6hipcub16HIPCUB_304000_NS22TransformInputIteratorIbN2at6native8internal12_GLOBAL__N_110LoadBoolOpEPKhlEEPS6_PKS6_NS0_5tupleIJPbS6_EEENSN_IJSK_SK_EEENS0_18inequality_wrapperINSA_8EqualityEEEPlJS6_EEE10hipError_tPvRmT3_T4_T5_T6_T7_T9_mT8_P12ihipStream_tbDpT10_ENKUlT_T0_E_clISt17integral_constantIbLb1EES1D_IbLb0EEEEDaS19_S1A_EUlS19_E_NS1_11comp_targetILNS1_3genE0ELNS1_11target_archE4294967295ELNS1_3gpuE0ELNS1_3repE0EEENS1_30default_config_static_selectorELNS0_4arch9wavefront6targetE0EEEvT1_,"axG",@progbits,_ZN7rocprim17ROCPRIM_400000_NS6detail17trampoline_kernelINS0_14default_configENS1_25partition_config_selectorILNS1_17partition_subalgoE8EbNS0_10empty_typeEbEEZZNS1_14partition_implILS5_8ELb0ES3_jN6hipcub16HIPCUB_304000_NS22TransformInputIteratorIbN2at6native8internal12_GLOBAL__N_110LoadBoolOpEPKhlEEPS6_PKS6_NS0_5tupleIJPbS6_EEENSN_IJSK_SK_EEENS0_18inequality_wrapperINSA_8EqualityEEEPlJS6_EEE10hipError_tPvRmT3_T4_T5_T6_T7_T9_mT8_P12ihipStream_tbDpT10_ENKUlT_T0_E_clISt17integral_constantIbLb1EES1D_IbLb0EEEEDaS19_S1A_EUlS19_E_NS1_11comp_targetILNS1_3genE0ELNS1_11target_archE4294967295ELNS1_3gpuE0ELNS1_3repE0EEENS1_30default_config_static_selectorELNS0_4arch9wavefront6targetE0EEEvT1_,comdat
.Lfunc_end31:
	.size	_ZN7rocprim17ROCPRIM_400000_NS6detail17trampoline_kernelINS0_14default_configENS1_25partition_config_selectorILNS1_17partition_subalgoE8EbNS0_10empty_typeEbEEZZNS1_14partition_implILS5_8ELb0ES3_jN6hipcub16HIPCUB_304000_NS22TransformInputIteratorIbN2at6native8internal12_GLOBAL__N_110LoadBoolOpEPKhlEEPS6_PKS6_NS0_5tupleIJPbS6_EEENSN_IJSK_SK_EEENS0_18inequality_wrapperINSA_8EqualityEEEPlJS6_EEE10hipError_tPvRmT3_T4_T5_T6_T7_T9_mT8_P12ihipStream_tbDpT10_ENKUlT_T0_E_clISt17integral_constantIbLb1EES1D_IbLb0EEEEDaS19_S1A_EUlS19_E_NS1_11comp_targetILNS1_3genE0ELNS1_11target_archE4294967295ELNS1_3gpuE0ELNS1_3repE0EEENS1_30default_config_static_selectorELNS0_4arch9wavefront6targetE0EEEvT1_, .Lfunc_end31-_ZN7rocprim17ROCPRIM_400000_NS6detail17trampoline_kernelINS0_14default_configENS1_25partition_config_selectorILNS1_17partition_subalgoE8EbNS0_10empty_typeEbEEZZNS1_14partition_implILS5_8ELb0ES3_jN6hipcub16HIPCUB_304000_NS22TransformInputIteratorIbN2at6native8internal12_GLOBAL__N_110LoadBoolOpEPKhlEEPS6_PKS6_NS0_5tupleIJPbS6_EEENSN_IJSK_SK_EEENS0_18inequality_wrapperINSA_8EqualityEEEPlJS6_EEE10hipError_tPvRmT3_T4_T5_T6_T7_T9_mT8_P12ihipStream_tbDpT10_ENKUlT_T0_E_clISt17integral_constantIbLb1EES1D_IbLb0EEEEDaS19_S1A_EUlS19_E_NS1_11comp_targetILNS1_3genE0ELNS1_11target_archE4294967295ELNS1_3gpuE0ELNS1_3repE0EEENS1_30default_config_static_selectorELNS0_4arch9wavefront6targetE0EEEvT1_
                                        ; -- End function
	.set _ZN7rocprim17ROCPRIM_400000_NS6detail17trampoline_kernelINS0_14default_configENS1_25partition_config_selectorILNS1_17partition_subalgoE8EbNS0_10empty_typeEbEEZZNS1_14partition_implILS5_8ELb0ES3_jN6hipcub16HIPCUB_304000_NS22TransformInputIteratorIbN2at6native8internal12_GLOBAL__N_110LoadBoolOpEPKhlEEPS6_PKS6_NS0_5tupleIJPbS6_EEENSN_IJSK_SK_EEENS0_18inequality_wrapperINSA_8EqualityEEEPlJS6_EEE10hipError_tPvRmT3_T4_T5_T6_T7_T9_mT8_P12ihipStream_tbDpT10_ENKUlT_T0_E_clISt17integral_constantIbLb1EES1D_IbLb0EEEEDaS19_S1A_EUlS19_E_NS1_11comp_targetILNS1_3genE0ELNS1_11target_archE4294967295ELNS1_3gpuE0ELNS1_3repE0EEENS1_30default_config_static_selectorELNS0_4arch9wavefront6targetE0EEEvT1_.num_vgpr, 0
	.set _ZN7rocprim17ROCPRIM_400000_NS6detail17trampoline_kernelINS0_14default_configENS1_25partition_config_selectorILNS1_17partition_subalgoE8EbNS0_10empty_typeEbEEZZNS1_14partition_implILS5_8ELb0ES3_jN6hipcub16HIPCUB_304000_NS22TransformInputIteratorIbN2at6native8internal12_GLOBAL__N_110LoadBoolOpEPKhlEEPS6_PKS6_NS0_5tupleIJPbS6_EEENSN_IJSK_SK_EEENS0_18inequality_wrapperINSA_8EqualityEEEPlJS6_EEE10hipError_tPvRmT3_T4_T5_T6_T7_T9_mT8_P12ihipStream_tbDpT10_ENKUlT_T0_E_clISt17integral_constantIbLb1EES1D_IbLb0EEEEDaS19_S1A_EUlS19_E_NS1_11comp_targetILNS1_3genE0ELNS1_11target_archE4294967295ELNS1_3gpuE0ELNS1_3repE0EEENS1_30default_config_static_selectorELNS0_4arch9wavefront6targetE0EEEvT1_.num_agpr, 0
	.set _ZN7rocprim17ROCPRIM_400000_NS6detail17trampoline_kernelINS0_14default_configENS1_25partition_config_selectorILNS1_17partition_subalgoE8EbNS0_10empty_typeEbEEZZNS1_14partition_implILS5_8ELb0ES3_jN6hipcub16HIPCUB_304000_NS22TransformInputIteratorIbN2at6native8internal12_GLOBAL__N_110LoadBoolOpEPKhlEEPS6_PKS6_NS0_5tupleIJPbS6_EEENSN_IJSK_SK_EEENS0_18inequality_wrapperINSA_8EqualityEEEPlJS6_EEE10hipError_tPvRmT3_T4_T5_T6_T7_T9_mT8_P12ihipStream_tbDpT10_ENKUlT_T0_E_clISt17integral_constantIbLb1EES1D_IbLb0EEEEDaS19_S1A_EUlS19_E_NS1_11comp_targetILNS1_3genE0ELNS1_11target_archE4294967295ELNS1_3gpuE0ELNS1_3repE0EEENS1_30default_config_static_selectorELNS0_4arch9wavefront6targetE0EEEvT1_.numbered_sgpr, 0
	.set _ZN7rocprim17ROCPRIM_400000_NS6detail17trampoline_kernelINS0_14default_configENS1_25partition_config_selectorILNS1_17partition_subalgoE8EbNS0_10empty_typeEbEEZZNS1_14partition_implILS5_8ELb0ES3_jN6hipcub16HIPCUB_304000_NS22TransformInputIteratorIbN2at6native8internal12_GLOBAL__N_110LoadBoolOpEPKhlEEPS6_PKS6_NS0_5tupleIJPbS6_EEENSN_IJSK_SK_EEENS0_18inequality_wrapperINSA_8EqualityEEEPlJS6_EEE10hipError_tPvRmT3_T4_T5_T6_T7_T9_mT8_P12ihipStream_tbDpT10_ENKUlT_T0_E_clISt17integral_constantIbLb1EES1D_IbLb0EEEEDaS19_S1A_EUlS19_E_NS1_11comp_targetILNS1_3genE0ELNS1_11target_archE4294967295ELNS1_3gpuE0ELNS1_3repE0EEENS1_30default_config_static_selectorELNS0_4arch9wavefront6targetE0EEEvT1_.num_named_barrier, 0
	.set _ZN7rocprim17ROCPRIM_400000_NS6detail17trampoline_kernelINS0_14default_configENS1_25partition_config_selectorILNS1_17partition_subalgoE8EbNS0_10empty_typeEbEEZZNS1_14partition_implILS5_8ELb0ES3_jN6hipcub16HIPCUB_304000_NS22TransformInputIteratorIbN2at6native8internal12_GLOBAL__N_110LoadBoolOpEPKhlEEPS6_PKS6_NS0_5tupleIJPbS6_EEENSN_IJSK_SK_EEENS0_18inequality_wrapperINSA_8EqualityEEEPlJS6_EEE10hipError_tPvRmT3_T4_T5_T6_T7_T9_mT8_P12ihipStream_tbDpT10_ENKUlT_T0_E_clISt17integral_constantIbLb1EES1D_IbLb0EEEEDaS19_S1A_EUlS19_E_NS1_11comp_targetILNS1_3genE0ELNS1_11target_archE4294967295ELNS1_3gpuE0ELNS1_3repE0EEENS1_30default_config_static_selectorELNS0_4arch9wavefront6targetE0EEEvT1_.private_seg_size, 0
	.set _ZN7rocprim17ROCPRIM_400000_NS6detail17trampoline_kernelINS0_14default_configENS1_25partition_config_selectorILNS1_17partition_subalgoE8EbNS0_10empty_typeEbEEZZNS1_14partition_implILS5_8ELb0ES3_jN6hipcub16HIPCUB_304000_NS22TransformInputIteratorIbN2at6native8internal12_GLOBAL__N_110LoadBoolOpEPKhlEEPS6_PKS6_NS0_5tupleIJPbS6_EEENSN_IJSK_SK_EEENS0_18inequality_wrapperINSA_8EqualityEEEPlJS6_EEE10hipError_tPvRmT3_T4_T5_T6_T7_T9_mT8_P12ihipStream_tbDpT10_ENKUlT_T0_E_clISt17integral_constantIbLb1EES1D_IbLb0EEEEDaS19_S1A_EUlS19_E_NS1_11comp_targetILNS1_3genE0ELNS1_11target_archE4294967295ELNS1_3gpuE0ELNS1_3repE0EEENS1_30default_config_static_selectorELNS0_4arch9wavefront6targetE0EEEvT1_.uses_vcc, 0
	.set _ZN7rocprim17ROCPRIM_400000_NS6detail17trampoline_kernelINS0_14default_configENS1_25partition_config_selectorILNS1_17partition_subalgoE8EbNS0_10empty_typeEbEEZZNS1_14partition_implILS5_8ELb0ES3_jN6hipcub16HIPCUB_304000_NS22TransformInputIteratorIbN2at6native8internal12_GLOBAL__N_110LoadBoolOpEPKhlEEPS6_PKS6_NS0_5tupleIJPbS6_EEENSN_IJSK_SK_EEENS0_18inequality_wrapperINSA_8EqualityEEEPlJS6_EEE10hipError_tPvRmT3_T4_T5_T6_T7_T9_mT8_P12ihipStream_tbDpT10_ENKUlT_T0_E_clISt17integral_constantIbLb1EES1D_IbLb0EEEEDaS19_S1A_EUlS19_E_NS1_11comp_targetILNS1_3genE0ELNS1_11target_archE4294967295ELNS1_3gpuE0ELNS1_3repE0EEENS1_30default_config_static_selectorELNS0_4arch9wavefront6targetE0EEEvT1_.uses_flat_scratch, 0
	.set _ZN7rocprim17ROCPRIM_400000_NS6detail17trampoline_kernelINS0_14default_configENS1_25partition_config_selectorILNS1_17partition_subalgoE8EbNS0_10empty_typeEbEEZZNS1_14partition_implILS5_8ELb0ES3_jN6hipcub16HIPCUB_304000_NS22TransformInputIteratorIbN2at6native8internal12_GLOBAL__N_110LoadBoolOpEPKhlEEPS6_PKS6_NS0_5tupleIJPbS6_EEENSN_IJSK_SK_EEENS0_18inequality_wrapperINSA_8EqualityEEEPlJS6_EEE10hipError_tPvRmT3_T4_T5_T6_T7_T9_mT8_P12ihipStream_tbDpT10_ENKUlT_T0_E_clISt17integral_constantIbLb1EES1D_IbLb0EEEEDaS19_S1A_EUlS19_E_NS1_11comp_targetILNS1_3genE0ELNS1_11target_archE4294967295ELNS1_3gpuE0ELNS1_3repE0EEENS1_30default_config_static_selectorELNS0_4arch9wavefront6targetE0EEEvT1_.has_dyn_sized_stack, 0
	.set _ZN7rocprim17ROCPRIM_400000_NS6detail17trampoline_kernelINS0_14default_configENS1_25partition_config_selectorILNS1_17partition_subalgoE8EbNS0_10empty_typeEbEEZZNS1_14partition_implILS5_8ELb0ES3_jN6hipcub16HIPCUB_304000_NS22TransformInputIteratorIbN2at6native8internal12_GLOBAL__N_110LoadBoolOpEPKhlEEPS6_PKS6_NS0_5tupleIJPbS6_EEENSN_IJSK_SK_EEENS0_18inequality_wrapperINSA_8EqualityEEEPlJS6_EEE10hipError_tPvRmT3_T4_T5_T6_T7_T9_mT8_P12ihipStream_tbDpT10_ENKUlT_T0_E_clISt17integral_constantIbLb1EES1D_IbLb0EEEEDaS19_S1A_EUlS19_E_NS1_11comp_targetILNS1_3genE0ELNS1_11target_archE4294967295ELNS1_3gpuE0ELNS1_3repE0EEENS1_30default_config_static_selectorELNS0_4arch9wavefront6targetE0EEEvT1_.has_recursion, 0
	.set _ZN7rocprim17ROCPRIM_400000_NS6detail17trampoline_kernelINS0_14default_configENS1_25partition_config_selectorILNS1_17partition_subalgoE8EbNS0_10empty_typeEbEEZZNS1_14partition_implILS5_8ELb0ES3_jN6hipcub16HIPCUB_304000_NS22TransformInputIteratorIbN2at6native8internal12_GLOBAL__N_110LoadBoolOpEPKhlEEPS6_PKS6_NS0_5tupleIJPbS6_EEENSN_IJSK_SK_EEENS0_18inequality_wrapperINSA_8EqualityEEEPlJS6_EEE10hipError_tPvRmT3_T4_T5_T6_T7_T9_mT8_P12ihipStream_tbDpT10_ENKUlT_T0_E_clISt17integral_constantIbLb1EES1D_IbLb0EEEEDaS19_S1A_EUlS19_E_NS1_11comp_targetILNS1_3genE0ELNS1_11target_archE4294967295ELNS1_3gpuE0ELNS1_3repE0EEENS1_30default_config_static_selectorELNS0_4arch9wavefront6targetE0EEEvT1_.has_indirect_call, 0
	.section	.AMDGPU.csdata,"",@progbits
; Kernel info:
; codeLenInByte = 4
; TotalNumSgprs: 0
; NumVgprs: 0
; ScratchSize: 0
; MemoryBound: 0
; FloatMode: 240
; IeeeMode: 1
; LDSByteSize: 0 bytes/workgroup (compile time only)
; SGPRBlocks: 0
; VGPRBlocks: 0
; NumSGPRsForWavesPerEU: 1
; NumVGPRsForWavesPerEU: 1
; NamedBarCnt: 0
; Occupancy: 16
; WaveLimiterHint : 0
; COMPUTE_PGM_RSRC2:SCRATCH_EN: 0
; COMPUTE_PGM_RSRC2:USER_SGPR: 2
; COMPUTE_PGM_RSRC2:TRAP_HANDLER: 0
; COMPUTE_PGM_RSRC2:TGID_X_EN: 1
; COMPUTE_PGM_RSRC2:TGID_Y_EN: 0
; COMPUTE_PGM_RSRC2:TGID_Z_EN: 0
; COMPUTE_PGM_RSRC2:TIDIG_COMP_CNT: 0
	.section	.text._ZN7rocprim17ROCPRIM_400000_NS6detail17trampoline_kernelINS0_14default_configENS1_25partition_config_selectorILNS1_17partition_subalgoE8EbNS0_10empty_typeEbEEZZNS1_14partition_implILS5_8ELb0ES3_jN6hipcub16HIPCUB_304000_NS22TransformInputIteratorIbN2at6native8internal12_GLOBAL__N_110LoadBoolOpEPKhlEEPS6_PKS6_NS0_5tupleIJPbS6_EEENSN_IJSK_SK_EEENS0_18inequality_wrapperINSA_8EqualityEEEPlJS6_EEE10hipError_tPvRmT3_T4_T5_T6_T7_T9_mT8_P12ihipStream_tbDpT10_ENKUlT_T0_E_clISt17integral_constantIbLb1EES1D_IbLb0EEEEDaS19_S1A_EUlS19_E_NS1_11comp_targetILNS1_3genE5ELNS1_11target_archE942ELNS1_3gpuE9ELNS1_3repE0EEENS1_30default_config_static_selectorELNS0_4arch9wavefront6targetE0EEEvT1_,"axG",@progbits,_ZN7rocprim17ROCPRIM_400000_NS6detail17trampoline_kernelINS0_14default_configENS1_25partition_config_selectorILNS1_17partition_subalgoE8EbNS0_10empty_typeEbEEZZNS1_14partition_implILS5_8ELb0ES3_jN6hipcub16HIPCUB_304000_NS22TransformInputIteratorIbN2at6native8internal12_GLOBAL__N_110LoadBoolOpEPKhlEEPS6_PKS6_NS0_5tupleIJPbS6_EEENSN_IJSK_SK_EEENS0_18inequality_wrapperINSA_8EqualityEEEPlJS6_EEE10hipError_tPvRmT3_T4_T5_T6_T7_T9_mT8_P12ihipStream_tbDpT10_ENKUlT_T0_E_clISt17integral_constantIbLb1EES1D_IbLb0EEEEDaS19_S1A_EUlS19_E_NS1_11comp_targetILNS1_3genE5ELNS1_11target_archE942ELNS1_3gpuE9ELNS1_3repE0EEENS1_30default_config_static_selectorELNS0_4arch9wavefront6targetE0EEEvT1_,comdat
	.globl	_ZN7rocprim17ROCPRIM_400000_NS6detail17trampoline_kernelINS0_14default_configENS1_25partition_config_selectorILNS1_17partition_subalgoE8EbNS0_10empty_typeEbEEZZNS1_14partition_implILS5_8ELb0ES3_jN6hipcub16HIPCUB_304000_NS22TransformInputIteratorIbN2at6native8internal12_GLOBAL__N_110LoadBoolOpEPKhlEEPS6_PKS6_NS0_5tupleIJPbS6_EEENSN_IJSK_SK_EEENS0_18inequality_wrapperINSA_8EqualityEEEPlJS6_EEE10hipError_tPvRmT3_T4_T5_T6_T7_T9_mT8_P12ihipStream_tbDpT10_ENKUlT_T0_E_clISt17integral_constantIbLb1EES1D_IbLb0EEEEDaS19_S1A_EUlS19_E_NS1_11comp_targetILNS1_3genE5ELNS1_11target_archE942ELNS1_3gpuE9ELNS1_3repE0EEENS1_30default_config_static_selectorELNS0_4arch9wavefront6targetE0EEEvT1_ ; -- Begin function _ZN7rocprim17ROCPRIM_400000_NS6detail17trampoline_kernelINS0_14default_configENS1_25partition_config_selectorILNS1_17partition_subalgoE8EbNS0_10empty_typeEbEEZZNS1_14partition_implILS5_8ELb0ES3_jN6hipcub16HIPCUB_304000_NS22TransformInputIteratorIbN2at6native8internal12_GLOBAL__N_110LoadBoolOpEPKhlEEPS6_PKS6_NS0_5tupleIJPbS6_EEENSN_IJSK_SK_EEENS0_18inequality_wrapperINSA_8EqualityEEEPlJS6_EEE10hipError_tPvRmT3_T4_T5_T6_T7_T9_mT8_P12ihipStream_tbDpT10_ENKUlT_T0_E_clISt17integral_constantIbLb1EES1D_IbLb0EEEEDaS19_S1A_EUlS19_E_NS1_11comp_targetILNS1_3genE5ELNS1_11target_archE942ELNS1_3gpuE9ELNS1_3repE0EEENS1_30default_config_static_selectorELNS0_4arch9wavefront6targetE0EEEvT1_
	.p2align	8
	.type	_ZN7rocprim17ROCPRIM_400000_NS6detail17trampoline_kernelINS0_14default_configENS1_25partition_config_selectorILNS1_17partition_subalgoE8EbNS0_10empty_typeEbEEZZNS1_14partition_implILS5_8ELb0ES3_jN6hipcub16HIPCUB_304000_NS22TransformInputIteratorIbN2at6native8internal12_GLOBAL__N_110LoadBoolOpEPKhlEEPS6_PKS6_NS0_5tupleIJPbS6_EEENSN_IJSK_SK_EEENS0_18inequality_wrapperINSA_8EqualityEEEPlJS6_EEE10hipError_tPvRmT3_T4_T5_T6_T7_T9_mT8_P12ihipStream_tbDpT10_ENKUlT_T0_E_clISt17integral_constantIbLb1EES1D_IbLb0EEEEDaS19_S1A_EUlS19_E_NS1_11comp_targetILNS1_3genE5ELNS1_11target_archE942ELNS1_3gpuE9ELNS1_3repE0EEENS1_30default_config_static_selectorELNS0_4arch9wavefront6targetE0EEEvT1_,@function
_ZN7rocprim17ROCPRIM_400000_NS6detail17trampoline_kernelINS0_14default_configENS1_25partition_config_selectorILNS1_17partition_subalgoE8EbNS0_10empty_typeEbEEZZNS1_14partition_implILS5_8ELb0ES3_jN6hipcub16HIPCUB_304000_NS22TransformInputIteratorIbN2at6native8internal12_GLOBAL__N_110LoadBoolOpEPKhlEEPS6_PKS6_NS0_5tupleIJPbS6_EEENSN_IJSK_SK_EEENS0_18inequality_wrapperINSA_8EqualityEEEPlJS6_EEE10hipError_tPvRmT3_T4_T5_T6_T7_T9_mT8_P12ihipStream_tbDpT10_ENKUlT_T0_E_clISt17integral_constantIbLb1EES1D_IbLb0EEEEDaS19_S1A_EUlS19_E_NS1_11comp_targetILNS1_3genE5ELNS1_11target_archE942ELNS1_3gpuE9ELNS1_3repE0EEENS1_30default_config_static_selectorELNS0_4arch9wavefront6targetE0EEEvT1_: ; @_ZN7rocprim17ROCPRIM_400000_NS6detail17trampoline_kernelINS0_14default_configENS1_25partition_config_selectorILNS1_17partition_subalgoE8EbNS0_10empty_typeEbEEZZNS1_14partition_implILS5_8ELb0ES3_jN6hipcub16HIPCUB_304000_NS22TransformInputIteratorIbN2at6native8internal12_GLOBAL__N_110LoadBoolOpEPKhlEEPS6_PKS6_NS0_5tupleIJPbS6_EEENSN_IJSK_SK_EEENS0_18inequality_wrapperINSA_8EqualityEEEPlJS6_EEE10hipError_tPvRmT3_T4_T5_T6_T7_T9_mT8_P12ihipStream_tbDpT10_ENKUlT_T0_E_clISt17integral_constantIbLb1EES1D_IbLb0EEEEDaS19_S1A_EUlS19_E_NS1_11comp_targetILNS1_3genE5ELNS1_11target_archE942ELNS1_3gpuE9ELNS1_3repE0EEENS1_30default_config_static_selectorELNS0_4arch9wavefront6targetE0EEEvT1_
; %bb.0:
	.section	.rodata,"a",@progbits
	.p2align	6, 0x0
	.amdhsa_kernel _ZN7rocprim17ROCPRIM_400000_NS6detail17trampoline_kernelINS0_14default_configENS1_25partition_config_selectorILNS1_17partition_subalgoE8EbNS0_10empty_typeEbEEZZNS1_14partition_implILS5_8ELb0ES3_jN6hipcub16HIPCUB_304000_NS22TransformInputIteratorIbN2at6native8internal12_GLOBAL__N_110LoadBoolOpEPKhlEEPS6_PKS6_NS0_5tupleIJPbS6_EEENSN_IJSK_SK_EEENS0_18inequality_wrapperINSA_8EqualityEEEPlJS6_EEE10hipError_tPvRmT3_T4_T5_T6_T7_T9_mT8_P12ihipStream_tbDpT10_ENKUlT_T0_E_clISt17integral_constantIbLb1EES1D_IbLb0EEEEDaS19_S1A_EUlS19_E_NS1_11comp_targetILNS1_3genE5ELNS1_11target_archE942ELNS1_3gpuE9ELNS1_3repE0EEENS1_30default_config_static_selectorELNS0_4arch9wavefront6targetE0EEEvT1_
		.amdhsa_group_segment_fixed_size 0
		.amdhsa_private_segment_fixed_size 0
		.amdhsa_kernarg_size 120
		.amdhsa_user_sgpr_count 2
		.amdhsa_user_sgpr_dispatch_ptr 0
		.amdhsa_user_sgpr_queue_ptr 0
		.amdhsa_user_sgpr_kernarg_segment_ptr 1
		.amdhsa_user_sgpr_dispatch_id 0
		.amdhsa_user_sgpr_kernarg_preload_length 0
		.amdhsa_user_sgpr_kernarg_preload_offset 0
		.amdhsa_user_sgpr_private_segment_size 0
		.amdhsa_wavefront_size32 1
		.amdhsa_uses_dynamic_stack 0
		.amdhsa_enable_private_segment 0
		.amdhsa_system_sgpr_workgroup_id_x 1
		.amdhsa_system_sgpr_workgroup_id_y 0
		.amdhsa_system_sgpr_workgroup_id_z 0
		.amdhsa_system_sgpr_workgroup_info 0
		.amdhsa_system_vgpr_workitem_id 0
		.amdhsa_next_free_vgpr 1
		.amdhsa_next_free_sgpr 1
		.amdhsa_named_barrier_count 0
		.amdhsa_reserve_vcc 0
		.amdhsa_float_round_mode_32 0
		.amdhsa_float_round_mode_16_64 0
		.amdhsa_float_denorm_mode_32 3
		.amdhsa_float_denorm_mode_16_64 3
		.amdhsa_fp16_overflow 0
		.amdhsa_memory_ordered 1
		.amdhsa_forward_progress 1
		.amdhsa_inst_pref_size 0
		.amdhsa_round_robin_scheduling 0
		.amdhsa_exception_fp_ieee_invalid_op 0
		.amdhsa_exception_fp_denorm_src 0
		.amdhsa_exception_fp_ieee_div_zero 0
		.amdhsa_exception_fp_ieee_overflow 0
		.amdhsa_exception_fp_ieee_underflow 0
		.amdhsa_exception_fp_ieee_inexact 0
		.amdhsa_exception_int_div_zero 0
	.end_amdhsa_kernel
	.section	.text._ZN7rocprim17ROCPRIM_400000_NS6detail17trampoline_kernelINS0_14default_configENS1_25partition_config_selectorILNS1_17partition_subalgoE8EbNS0_10empty_typeEbEEZZNS1_14partition_implILS5_8ELb0ES3_jN6hipcub16HIPCUB_304000_NS22TransformInputIteratorIbN2at6native8internal12_GLOBAL__N_110LoadBoolOpEPKhlEEPS6_PKS6_NS0_5tupleIJPbS6_EEENSN_IJSK_SK_EEENS0_18inequality_wrapperINSA_8EqualityEEEPlJS6_EEE10hipError_tPvRmT3_T4_T5_T6_T7_T9_mT8_P12ihipStream_tbDpT10_ENKUlT_T0_E_clISt17integral_constantIbLb1EES1D_IbLb0EEEEDaS19_S1A_EUlS19_E_NS1_11comp_targetILNS1_3genE5ELNS1_11target_archE942ELNS1_3gpuE9ELNS1_3repE0EEENS1_30default_config_static_selectorELNS0_4arch9wavefront6targetE0EEEvT1_,"axG",@progbits,_ZN7rocprim17ROCPRIM_400000_NS6detail17trampoline_kernelINS0_14default_configENS1_25partition_config_selectorILNS1_17partition_subalgoE8EbNS0_10empty_typeEbEEZZNS1_14partition_implILS5_8ELb0ES3_jN6hipcub16HIPCUB_304000_NS22TransformInputIteratorIbN2at6native8internal12_GLOBAL__N_110LoadBoolOpEPKhlEEPS6_PKS6_NS0_5tupleIJPbS6_EEENSN_IJSK_SK_EEENS0_18inequality_wrapperINSA_8EqualityEEEPlJS6_EEE10hipError_tPvRmT3_T4_T5_T6_T7_T9_mT8_P12ihipStream_tbDpT10_ENKUlT_T0_E_clISt17integral_constantIbLb1EES1D_IbLb0EEEEDaS19_S1A_EUlS19_E_NS1_11comp_targetILNS1_3genE5ELNS1_11target_archE942ELNS1_3gpuE9ELNS1_3repE0EEENS1_30default_config_static_selectorELNS0_4arch9wavefront6targetE0EEEvT1_,comdat
.Lfunc_end32:
	.size	_ZN7rocprim17ROCPRIM_400000_NS6detail17trampoline_kernelINS0_14default_configENS1_25partition_config_selectorILNS1_17partition_subalgoE8EbNS0_10empty_typeEbEEZZNS1_14partition_implILS5_8ELb0ES3_jN6hipcub16HIPCUB_304000_NS22TransformInputIteratorIbN2at6native8internal12_GLOBAL__N_110LoadBoolOpEPKhlEEPS6_PKS6_NS0_5tupleIJPbS6_EEENSN_IJSK_SK_EEENS0_18inequality_wrapperINSA_8EqualityEEEPlJS6_EEE10hipError_tPvRmT3_T4_T5_T6_T7_T9_mT8_P12ihipStream_tbDpT10_ENKUlT_T0_E_clISt17integral_constantIbLb1EES1D_IbLb0EEEEDaS19_S1A_EUlS19_E_NS1_11comp_targetILNS1_3genE5ELNS1_11target_archE942ELNS1_3gpuE9ELNS1_3repE0EEENS1_30default_config_static_selectorELNS0_4arch9wavefront6targetE0EEEvT1_, .Lfunc_end32-_ZN7rocprim17ROCPRIM_400000_NS6detail17trampoline_kernelINS0_14default_configENS1_25partition_config_selectorILNS1_17partition_subalgoE8EbNS0_10empty_typeEbEEZZNS1_14partition_implILS5_8ELb0ES3_jN6hipcub16HIPCUB_304000_NS22TransformInputIteratorIbN2at6native8internal12_GLOBAL__N_110LoadBoolOpEPKhlEEPS6_PKS6_NS0_5tupleIJPbS6_EEENSN_IJSK_SK_EEENS0_18inequality_wrapperINSA_8EqualityEEEPlJS6_EEE10hipError_tPvRmT3_T4_T5_T6_T7_T9_mT8_P12ihipStream_tbDpT10_ENKUlT_T0_E_clISt17integral_constantIbLb1EES1D_IbLb0EEEEDaS19_S1A_EUlS19_E_NS1_11comp_targetILNS1_3genE5ELNS1_11target_archE942ELNS1_3gpuE9ELNS1_3repE0EEENS1_30default_config_static_selectorELNS0_4arch9wavefront6targetE0EEEvT1_
                                        ; -- End function
	.set _ZN7rocprim17ROCPRIM_400000_NS6detail17trampoline_kernelINS0_14default_configENS1_25partition_config_selectorILNS1_17partition_subalgoE8EbNS0_10empty_typeEbEEZZNS1_14partition_implILS5_8ELb0ES3_jN6hipcub16HIPCUB_304000_NS22TransformInputIteratorIbN2at6native8internal12_GLOBAL__N_110LoadBoolOpEPKhlEEPS6_PKS6_NS0_5tupleIJPbS6_EEENSN_IJSK_SK_EEENS0_18inequality_wrapperINSA_8EqualityEEEPlJS6_EEE10hipError_tPvRmT3_T4_T5_T6_T7_T9_mT8_P12ihipStream_tbDpT10_ENKUlT_T0_E_clISt17integral_constantIbLb1EES1D_IbLb0EEEEDaS19_S1A_EUlS19_E_NS1_11comp_targetILNS1_3genE5ELNS1_11target_archE942ELNS1_3gpuE9ELNS1_3repE0EEENS1_30default_config_static_selectorELNS0_4arch9wavefront6targetE0EEEvT1_.num_vgpr, 0
	.set _ZN7rocprim17ROCPRIM_400000_NS6detail17trampoline_kernelINS0_14default_configENS1_25partition_config_selectorILNS1_17partition_subalgoE8EbNS0_10empty_typeEbEEZZNS1_14partition_implILS5_8ELb0ES3_jN6hipcub16HIPCUB_304000_NS22TransformInputIteratorIbN2at6native8internal12_GLOBAL__N_110LoadBoolOpEPKhlEEPS6_PKS6_NS0_5tupleIJPbS6_EEENSN_IJSK_SK_EEENS0_18inequality_wrapperINSA_8EqualityEEEPlJS6_EEE10hipError_tPvRmT3_T4_T5_T6_T7_T9_mT8_P12ihipStream_tbDpT10_ENKUlT_T0_E_clISt17integral_constantIbLb1EES1D_IbLb0EEEEDaS19_S1A_EUlS19_E_NS1_11comp_targetILNS1_3genE5ELNS1_11target_archE942ELNS1_3gpuE9ELNS1_3repE0EEENS1_30default_config_static_selectorELNS0_4arch9wavefront6targetE0EEEvT1_.num_agpr, 0
	.set _ZN7rocprim17ROCPRIM_400000_NS6detail17trampoline_kernelINS0_14default_configENS1_25partition_config_selectorILNS1_17partition_subalgoE8EbNS0_10empty_typeEbEEZZNS1_14partition_implILS5_8ELb0ES3_jN6hipcub16HIPCUB_304000_NS22TransformInputIteratorIbN2at6native8internal12_GLOBAL__N_110LoadBoolOpEPKhlEEPS6_PKS6_NS0_5tupleIJPbS6_EEENSN_IJSK_SK_EEENS0_18inequality_wrapperINSA_8EqualityEEEPlJS6_EEE10hipError_tPvRmT3_T4_T5_T6_T7_T9_mT8_P12ihipStream_tbDpT10_ENKUlT_T0_E_clISt17integral_constantIbLb1EES1D_IbLb0EEEEDaS19_S1A_EUlS19_E_NS1_11comp_targetILNS1_3genE5ELNS1_11target_archE942ELNS1_3gpuE9ELNS1_3repE0EEENS1_30default_config_static_selectorELNS0_4arch9wavefront6targetE0EEEvT1_.numbered_sgpr, 0
	.set _ZN7rocprim17ROCPRIM_400000_NS6detail17trampoline_kernelINS0_14default_configENS1_25partition_config_selectorILNS1_17partition_subalgoE8EbNS0_10empty_typeEbEEZZNS1_14partition_implILS5_8ELb0ES3_jN6hipcub16HIPCUB_304000_NS22TransformInputIteratorIbN2at6native8internal12_GLOBAL__N_110LoadBoolOpEPKhlEEPS6_PKS6_NS0_5tupleIJPbS6_EEENSN_IJSK_SK_EEENS0_18inequality_wrapperINSA_8EqualityEEEPlJS6_EEE10hipError_tPvRmT3_T4_T5_T6_T7_T9_mT8_P12ihipStream_tbDpT10_ENKUlT_T0_E_clISt17integral_constantIbLb1EES1D_IbLb0EEEEDaS19_S1A_EUlS19_E_NS1_11comp_targetILNS1_3genE5ELNS1_11target_archE942ELNS1_3gpuE9ELNS1_3repE0EEENS1_30default_config_static_selectorELNS0_4arch9wavefront6targetE0EEEvT1_.num_named_barrier, 0
	.set _ZN7rocprim17ROCPRIM_400000_NS6detail17trampoline_kernelINS0_14default_configENS1_25partition_config_selectorILNS1_17partition_subalgoE8EbNS0_10empty_typeEbEEZZNS1_14partition_implILS5_8ELb0ES3_jN6hipcub16HIPCUB_304000_NS22TransformInputIteratorIbN2at6native8internal12_GLOBAL__N_110LoadBoolOpEPKhlEEPS6_PKS6_NS0_5tupleIJPbS6_EEENSN_IJSK_SK_EEENS0_18inequality_wrapperINSA_8EqualityEEEPlJS6_EEE10hipError_tPvRmT3_T4_T5_T6_T7_T9_mT8_P12ihipStream_tbDpT10_ENKUlT_T0_E_clISt17integral_constantIbLb1EES1D_IbLb0EEEEDaS19_S1A_EUlS19_E_NS1_11comp_targetILNS1_3genE5ELNS1_11target_archE942ELNS1_3gpuE9ELNS1_3repE0EEENS1_30default_config_static_selectorELNS0_4arch9wavefront6targetE0EEEvT1_.private_seg_size, 0
	.set _ZN7rocprim17ROCPRIM_400000_NS6detail17trampoline_kernelINS0_14default_configENS1_25partition_config_selectorILNS1_17partition_subalgoE8EbNS0_10empty_typeEbEEZZNS1_14partition_implILS5_8ELb0ES3_jN6hipcub16HIPCUB_304000_NS22TransformInputIteratorIbN2at6native8internal12_GLOBAL__N_110LoadBoolOpEPKhlEEPS6_PKS6_NS0_5tupleIJPbS6_EEENSN_IJSK_SK_EEENS0_18inequality_wrapperINSA_8EqualityEEEPlJS6_EEE10hipError_tPvRmT3_T4_T5_T6_T7_T9_mT8_P12ihipStream_tbDpT10_ENKUlT_T0_E_clISt17integral_constantIbLb1EES1D_IbLb0EEEEDaS19_S1A_EUlS19_E_NS1_11comp_targetILNS1_3genE5ELNS1_11target_archE942ELNS1_3gpuE9ELNS1_3repE0EEENS1_30default_config_static_selectorELNS0_4arch9wavefront6targetE0EEEvT1_.uses_vcc, 0
	.set _ZN7rocprim17ROCPRIM_400000_NS6detail17trampoline_kernelINS0_14default_configENS1_25partition_config_selectorILNS1_17partition_subalgoE8EbNS0_10empty_typeEbEEZZNS1_14partition_implILS5_8ELb0ES3_jN6hipcub16HIPCUB_304000_NS22TransformInputIteratorIbN2at6native8internal12_GLOBAL__N_110LoadBoolOpEPKhlEEPS6_PKS6_NS0_5tupleIJPbS6_EEENSN_IJSK_SK_EEENS0_18inequality_wrapperINSA_8EqualityEEEPlJS6_EEE10hipError_tPvRmT3_T4_T5_T6_T7_T9_mT8_P12ihipStream_tbDpT10_ENKUlT_T0_E_clISt17integral_constantIbLb1EES1D_IbLb0EEEEDaS19_S1A_EUlS19_E_NS1_11comp_targetILNS1_3genE5ELNS1_11target_archE942ELNS1_3gpuE9ELNS1_3repE0EEENS1_30default_config_static_selectorELNS0_4arch9wavefront6targetE0EEEvT1_.uses_flat_scratch, 0
	.set _ZN7rocprim17ROCPRIM_400000_NS6detail17trampoline_kernelINS0_14default_configENS1_25partition_config_selectorILNS1_17partition_subalgoE8EbNS0_10empty_typeEbEEZZNS1_14partition_implILS5_8ELb0ES3_jN6hipcub16HIPCUB_304000_NS22TransformInputIteratorIbN2at6native8internal12_GLOBAL__N_110LoadBoolOpEPKhlEEPS6_PKS6_NS0_5tupleIJPbS6_EEENSN_IJSK_SK_EEENS0_18inequality_wrapperINSA_8EqualityEEEPlJS6_EEE10hipError_tPvRmT3_T4_T5_T6_T7_T9_mT8_P12ihipStream_tbDpT10_ENKUlT_T0_E_clISt17integral_constantIbLb1EES1D_IbLb0EEEEDaS19_S1A_EUlS19_E_NS1_11comp_targetILNS1_3genE5ELNS1_11target_archE942ELNS1_3gpuE9ELNS1_3repE0EEENS1_30default_config_static_selectorELNS0_4arch9wavefront6targetE0EEEvT1_.has_dyn_sized_stack, 0
	.set _ZN7rocprim17ROCPRIM_400000_NS6detail17trampoline_kernelINS0_14default_configENS1_25partition_config_selectorILNS1_17partition_subalgoE8EbNS0_10empty_typeEbEEZZNS1_14partition_implILS5_8ELb0ES3_jN6hipcub16HIPCUB_304000_NS22TransformInputIteratorIbN2at6native8internal12_GLOBAL__N_110LoadBoolOpEPKhlEEPS6_PKS6_NS0_5tupleIJPbS6_EEENSN_IJSK_SK_EEENS0_18inequality_wrapperINSA_8EqualityEEEPlJS6_EEE10hipError_tPvRmT3_T4_T5_T6_T7_T9_mT8_P12ihipStream_tbDpT10_ENKUlT_T0_E_clISt17integral_constantIbLb1EES1D_IbLb0EEEEDaS19_S1A_EUlS19_E_NS1_11comp_targetILNS1_3genE5ELNS1_11target_archE942ELNS1_3gpuE9ELNS1_3repE0EEENS1_30default_config_static_selectorELNS0_4arch9wavefront6targetE0EEEvT1_.has_recursion, 0
	.set _ZN7rocprim17ROCPRIM_400000_NS6detail17trampoline_kernelINS0_14default_configENS1_25partition_config_selectorILNS1_17partition_subalgoE8EbNS0_10empty_typeEbEEZZNS1_14partition_implILS5_8ELb0ES3_jN6hipcub16HIPCUB_304000_NS22TransformInputIteratorIbN2at6native8internal12_GLOBAL__N_110LoadBoolOpEPKhlEEPS6_PKS6_NS0_5tupleIJPbS6_EEENSN_IJSK_SK_EEENS0_18inequality_wrapperINSA_8EqualityEEEPlJS6_EEE10hipError_tPvRmT3_T4_T5_T6_T7_T9_mT8_P12ihipStream_tbDpT10_ENKUlT_T0_E_clISt17integral_constantIbLb1EES1D_IbLb0EEEEDaS19_S1A_EUlS19_E_NS1_11comp_targetILNS1_3genE5ELNS1_11target_archE942ELNS1_3gpuE9ELNS1_3repE0EEENS1_30default_config_static_selectorELNS0_4arch9wavefront6targetE0EEEvT1_.has_indirect_call, 0
	.section	.AMDGPU.csdata,"",@progbits
; Kernel info:
; codeLenInByte = 0
; TotalNumSgprs: 0
; NumVgprs: 0
; ScratchSize: 0
; MemoryBound: 0
; FloatMode: 240
; IeeeMode: 1
; LDSByteSize: 0 bytes/workgroup (compile time only)
; SGPRBlocks: 0
; VGPRBlocks: 0
; NumSGPRsForWavesPerEU: 1
; NumVGPRsForWavesPerEU: 1
; NamedBarCnt: 0
; Occupancy: 16
; WaveLimiterHint : 0
; COMPUTE_PGM_RSRC2:SCRATCH_EN: 0
; COMPUTE_PGM_RSRC2:USER_SGPR: 2
; COMPUTE_PGM_RSRC2:TRAP_HANDLER: 0
; COMPUTE_PGM_RSRC2:TGID_X_EN: 1
; COMPUTE_PGM_RSRC2:TGID_Y_EN: 0
; COMPUTE_PGM_RSRC2:TGID_Z_EN: 0
; COMPUTE_PGM_RSRC2:TIDIG_COMP_CNT: 0
	.section	.text._ZN7rocprim17ROCPRIM_400000_NS6detail17trampoline_kernelINS0_14default_configENS1_25partition_config_selectorILNS1_17partition_subalgoE8EbNS0_10empty_typeEbEEZZNS1_14partition_implILS5_8ELb0ES3_jN6hipcub16HIPCUB_304000_NS22TransformInputIteratorIbN2at6native8internal12_GLOBAL__N_110LoadBoolOpEPKhlEEPS6_PKS6_NS0_5tupleIJPbS6_EEENSN_IJSK_SK_EEENS0_18inequality_wrapperINSA_8EqualityEEEPlJS6_EEE10hipError_tPvRmT3_T4_T5_T6_T7_T9_mT8_P12ihipStream_tbDpT10_ENKUlT_T0_E_clISt17integral_constantIbLb1EES1D_IbLb0EEEEDaS19_S1A_EUlS19_E_NS1_11comp_targetILNS1_3genE4ELNS1_11target_archE910ELNS1_3gpuE8ELNS1_3repE0EEENS1_30default_config_static_selectorELNS0_4arch9wavefront6targetE0EEEvT1_,"axG",@progbits,_ZN7rocprim17ROCPRIM_400000_NS6detail17trampoline_kernelINS0_14default_configENS1_25partition_config_selectorILNS1_17partition_subalgoE8EbNS0_10empty_typeEbEEZZNS1_14partition_implILS5_8ELb0ES3_jN6hipcub16HIPCUB_304000_NS22TransformInputIteratorIbN2at6native8internal12_GLOBAL__N_110LoadBoolOpEPKhlEEPS6_PKS6_NS0_5tupleIJPbS6_EEENSN_IJSK_SK_EEENS0_18inequality_wrapperINSA_8EqualityEEEPlJS6_EEE10hipError_tPvRmT3_T4_T5_T6_T7_T9_mT8_P12ihipStream_tbDpT10_ENKUlT_T0_E_clISt17integral_constantIbLb1EES1D_IbLb0EEEEDaS19_S1A_EUlS19_E_NS1_11comp_targetILNS1_3genE4ELNS1_11target_archE910ELNS1_3gpuE8ELNS1_3repE0EEENS1_30default_config_static_selectorELNS0_4arch9wavefront6targetE0EEEvT1_,comdat
	.globl	_ZN7rocprim17ROCPRIM_400000_NS6detail17trampoline_kernelINS0_14default_configENS1_25partition_config_selectorILNS1_17partition_subalgoE8EbNS0_10empty_typeEbEEZZNS1_14partition_implILS5_8ELb0ES3_jN6hipcub16HIPCUB_304000_NS22TransformInputIteratorIbN2at6native8internal12_GLOBAL__N_110LoadBoolOpEPKhlEEPS6_PKS6_NS0_5tupleIJPbS6_EEENSN_IJSK_SK_EEENS0_18inequality_wrapperINSA_8EqualityEEEPlJS6_EEE10hipError_tPvRmT3_T4_T5_T6_T7_T9_mT8_P12ihipStream_tbDpT10_ENKUlT_T0_E_clISt17integral_constantIbLb1EES1D_IbLb0EEEEDaS19_S1A_EUlS19_E_NS1_11comp_targetILNS1_3genE4ELNS1_11target_archE910ELNS1_3gpuE8ELNS1_3repE0EEENS1_30default_config_static_selectorELNS0_4arch9wavefront6targetE0EEEvT1_ ; -- Begin function _ZN7rocprim17ROCPRIM_400000_NS6detail17trampoline_kernelINS0_14default_configENS1_25partition_config_selectorILNS1_17partition_subalgoE8EbNS0_10empty_typeEbEEZZNS1_14partition_implILS5_8ELb0ES3_jN6hipcub16HIPCUB_304000_NS22TransformInputIteratorIbN2at6native8internal12_GLOBAL__N_110LoadBoolOpEPKhlEEPS6_PKS6_NS0_5tupleIJPbS6_EEENSN_IJSK_SK_EEENS0_18inequality_wrapperINSA_8EqualityEEEPlJS6_EEE10hipError_tPvRmT3_T4_T5_T6_T7_T9_mT8_P12ihipStream_tbDpT10_ENKUlT_T0_E_clISt17integral_constantIbLb1EES1D_IbLb0EEEEDaS19_S1A_EUlS19_E_NS1_11comp_targetILNS1_3genE4ELNS1_11target_archE910ELNS1_3gpuE8ELNS1_3repE0EEENS1_30default_config_static_selectorELNS0_4arch9wavefront6targetE0EEEvT1_
	.p2align	8
	.type	_ZN7rocprim17ROCPRIM_400000_NS6detail17trampoline_kernelINS0_14default_configENS1_25partition_config_selectorILNS1_17partition_subalgoE8EbNS0_10empty_typeEbEEZZNS1_14partition_implILS5_8ELb0ES3_jN6hipcub16HIPCUB_304000_NS22TransformInputIteratorIbN2at6native8internal12_GLOBAL__N_110LoadBoolOpEPKhlEEPS6_PKS6_NS0_5tupleIJPbS6_EEENSN_IJSK_SK_EEENS0_18inequality_wrapperINSA_8EqualityEEEPlJS6_EEE10hipError_tPvRmT3_T4_T5_T6_T7_T9_mT8_P12ihipStream_tbDpT10_ENKUlT_T0_E_clISt17integral_constantIbLb1EES1D_IbLb0EEEEDaS19_S1A_EUlS19_E_NS1_11comp_targetILNS1_3genE4ELNS1_11target_archE910ELNS1_3gpuE8ELNS1_3repE0EEENS1_30default_config_static_selectorELNS0_4arch9wavefront6targetE0EEEvT1_,@function
_ZN7rocprim17ROCPRIM_400000_NS6detail17trampoline_kernelINS0_14default_configENS1_25partition_config_selectorILNS1_17partition_subalgoE8EbNS0_10empty_typeEbEEZZNS1_14partition_implILS5_8ELb0ES3_jN6hipcub16HIPCUB_304000_NS22TransformInputIteratorIbN2at6native8internal12_GLOBAL__N_110LoadBoolOpEPKhlEEPS6_PKS6_NS0_5tupleIJPbS6_EEENSN_IJSK_SK_EEENS0_18inequality_wrapperINSA_8EqualityEEEPlJS6_EEE10hipError_tPvRmT3_T4_T5_T6_T7_T9_mT8_P12ihipStream_tbDpT10_ENKUlT_T0_E_clISt17integral_constantIbLb1EES1D_IbLb0EEEEDaS19_S1A_EUlS19_E_NS1_11comp_targetILNS1_3genE4ELNS1_11target_archE910ELNS1_3gpuE8ELNS1_3repE0EEENS1_30default_config_static_selectorELNS0_4arch9wavefront6targetE0EEEvT1_: ; @_ZN7rocprim17ROCPRIM_400000_NS6detail17trampoline_kernelINS0_14default_configENS1_25partition_config_selectorILNS1_17partition_subalgoE8EbNS0_10empty_typeEbEEZZNS1_14partition_implILS5_8ELb0ES3_jN6hipcub16HIPCUB_304000_NS22TransformInputIteratorIbN2at6native8internal12_GLOBAL__N_110LoadBoolOpEPKhlEEPS6_PKS6_NS0_5tupleIJPbS6_EEENSN_IJSK_SK_EEENS0_18inequality_wrapperINSA_8EqualityEEEPlJS6_EEE10hipError_tPvRmT3_T4_T5_T6_T7_T9_mT8_P12ihipStream_tbDpT10_ENKUlT_T0_E_clISt17integral_constantIbLb1EES1D_IbLb0EEEEDaS19_S1A_EUlS19_E_NS1_11comp_targetILNS1_3genE4ELNS1_11target_archE910ELNS1_3gpuE8ELNS1_3repE0EEENS1_30default_config_static_selectorELNS0_4arch9wavefront6targetE0EEEvT1_
; %bb.0:
	.section	.rodata,"a",@progbits
	.p2align	6, 0x0
	.amdhsa_kernel _ZN7rocprim17ROCPRIM_400000_NS6detail17trampoline_kernelINS0_14default_configENS1_25partition_config_selectorILNS1_17partition_subalgoE8EbNS0_10empty_typeEbEEZZNS1_14partition_implILS5_8ELb0ES3_jN6hipcub16HIPCUB_304000_NS22TransformInputIteratorIbN2at6native8internal12_GLOBAL__N_110LoadBoolOpEPKhlEEPS6_PKS6_NS0_5tupleIJPbS6_EEENSN_IJSK_SK_EEENS0_18inequality_wrapperINSA_8EqualityEEEPlJS6_EEE10hipError_tPvRmT3_T4_T5_T6_T7_T9_mT8_P12ihipStream_tbDpT10_ENKUlT_T0_E_clISt17integral_constantIbLb1EES1D_IbLb0EEEEDaS19_S1A_EUlS19_E_NS1_11comp_targetILNS1_3genE4ELNS1_11target_archE910ELNS1_3gpuE8ELNS1_3repE0EEENS1_30default_config_static_selectorELNS0_4arch9wavefront6targetE0EEEvT1_
		.amdhsa_group_segment_fixed_size 0
		.amdhsa_private_segment_fixed_size 0
		.amdhsa_kernarg_size 120
		.amdhsa_user_sgpr_count 2
		.amdhsa_user_sgpr_dispatch_ptr 0
		.amdhsa_user_sgpr_queue_ptr 0
		.amdhsa_user_sgpr_kernarg_segment_ptr 1
		.amdhsa_user_sgpr_dispatch_id 0
		.amdhsa_user_sgpr_kernarg_preload_length 0
		.amdhsa_user_sgpr_kernarg_preload_offset 0
		.amdhsa_user_sgpr_private_segment_size 0
		.amdhsa_wavefront_size32 1
		.amdhsa_uses_dynamic_stack 0
		.amdhsa_enable_private_segment 0
		.amdhsa_system_sgpr_workgroup_id_x 1
		.amdhsa_system_sgpr_workgroup_id_y 0
		.amdhsa_system_sgpr_workgroup_id_z 0
		.amdhsa_system_sgpr_workgroup_info 0
		.amdhsa_system_vgpr_workitem_id 0
		.amdhsa_next_free_vgpr 1
		.amdhsa_next_free_sgpr 1
		.amdhsa_named_barrier_count 0
		.amdhsa_reserve_vcc 0
		.amdhsa_float_round_mode_32 0
		.amdhsa_float_round_mode_16_64 0
		.amdhsa_float_denorm_mode_32 3
		.amdhsa_float_denorm_mode_16_64 3
		.amdhsa_fp16_overflow 0
		.amdhsa_memory_ordered 1
		.amdhsa_forward_progress 1
		.amdhsa_inst_pref_size 0
		.amdhsa_round_robin_scheduling 0
		.amdhsa_exception_fp_ieee_invalid_op 0
		.amdhsa_exception_fp_denorm_src 0
		.amdhsa_exception_fp_ieee_div_zero 0
		.amdhsa_exception_fp_ieee_overflow 0
		.amdhsa_exception_fp_ieee_underflow 0
		.amdhsa_exception_fp_ieee_inexact 0
		.amdhsa_exception_int_div_zero 0
	.end_amdhsa_kernel
	.section	.text._ZN7rocprim17ROCPRIM_400000_NS6detail17trampoline_kernelINS0_14default_configENS1_25partition_config_selectorILNS1_17partition_subalgoE8EbNS0_10empty_typeEbEEZZNS1_14partition_implILS5_8ELb0ES3_jN6hipcub16HIPCUB_304000_NS22TransformInputIteratorIbN2at6native8internal12_GLOBAL__N_110LoadBoolOpEPKhlEEPS6_PKS6_NS0_5tupleIJPbS6_EEENSN_IJSK_SK_EEENS0_18inequality_wrapperINSA_8EqualityEEEPlJS6_EEE10hipError_tPvRmT3_T4_T5_T6_T7_T9_mT8_P12ihipStream_tbDpT10_ENKUlT_T0_E_clISt17integral_constantIbLb1EES1D_IbLb0EEEEDaS19_S1A_EUlS19_E_NS1_11comp_targetILNS1_3genE4ELNS1_11target_archE910ELNS1_3gpuE8ELNS1_3repE0EEENS1_30default_config_static_selectorELNS0_4arch9wavefront6targetE0EEEvT1_,"axG",@progbits,_ZN7rocprim17ROCPRIM_400000_NS6detail17trampoline_kernelINS0_14default_configENS1_25partition_config_selectorILNS1_17partition_subalgoE8EbNS0_10empty_typeEbEEZZNS1_14partition_implILS5_8ELb0ES3_jN6hipcub16HIPCUB_304000_NS22TransformInputIteratorIbN2at6native8internal12_GLOBAL__N_110LoadBoolOpEPKhlEEPS6_PKS6_NS0_5tupleIJPbS6_EEENSN_IJSK_SK_EEENS0_18inequality_wrapperINSA_8EqualityEEEPlJS6_EEE10hipError_tPvRmT3_T4_T5_T6_T7_T9_mT8_P12ihipStream_tbDpT10_ENKUlT_T0_E_clISt17integral_constantIbLb1EES1D_IbLb0EEEEDaS19_S1A_EUlS19_E_NS1_11comp_targetILNS1_3genE4ELNS1_11target_archE910ELNS1_3gpuE8ELNS1_3repE0EEENS1_30default_config_static_selectorELNS0_4arch9wavefront6targetE0EEEvT1_,comdat
.Lfunc_end33:
	.size	_ZN7rocprim17ROCPRIM_400000_NS6detail17trampoline_kernelINS0_14default_configENS1_25partition_config_selectorILNS1_17partition_subalgoE8EbNS0_10empty_typeEbEEZZNS1_14partition_implILS5_8ELb0ES3_jN6hipcub16HIPCUB_304000_NS22TransformInputIteratorIbN2at6native8internal12_GLOBAL__N_110LoadBoolOpEPKhlEEPS6_PKS6_NS0_5tupleIJPbS6_EEENSN_IJSK_SK_EEENS0_18inequality_wrapperINSA_8EqualityEEEPlJS6_EEE10hipError_tPvRmT3_T4_T5_T6_T7_T9_mT8_P12ihipStream_tbDpT10_ENKUlT_T0_E_clISt17integral_constantIbLb1EES1D_IbLb0EEEEDaS19_S1A_EUlS19_E_NS1_11comp_targetILNS1_3genE4ELNS1_11target_archE910ELNS1_3gpuE8ELNS1_3repE0EEENS1_30default_config_static_selectorELNS0_4arch9wavefront6targetE0EEEvT1_, .Lfunc_end33-_ZN7rocprim17ROCPRIM_400000_NS6detail17trampoline_kernelINS0_14default_configENS1_25partition_config_selectorILNS1_17partition_subalgoE8EbNS0_10empty_typeEbEEZZNS1_14partition_implILS5_8ELb0ES3_jN6hipcub16HIPCUB_304000_NS22TransformInputIteratorIbN2at6native8internal12_GLOBAL__N_110LoadBoolOpEPKhlEEPS6_PKS6_NS0_5tupleIJPbS6_EEENSN_IJSK_SK_EEENS0_18inequality_wrapperINSA_8EqualityEEEPlJS6_EEE10hipError_tPvRmT3_T4_T5_T6_T7_T9_mT8_P12ihipStream_tbDpT10_ENKUlT_T0_E_clISt17integral_constantIbLb1EES1D_IbLb0EEEEDaS19_S1A_EUlS19_E_NS1_11comp_targetILNS1_3genE4ELNS1_11target_archE910ELNS1_3gpuE8ELNS1_3repE0EEENS1_30default_config_static_selectorELNS0_4arch9wavefront6targetE0EEEvT1_
                                        ; -- End function
	.set _ZN7rocprim17ROCPRIM_400000_NS6detail17trampoline_kernelINS0_14default_configENS1_25partition_config_selectorILNS1_17partition_subalgoE8EbNS0_10empty_typeEbEEZZNS1_14partition_implILS5_8ELb0ES3_jN6hipcub16HIPCUB_304000_NS22TransformInputIteratorIbN2at6native8internal12_GLOBAL__N_110LoadBoolOpEPKhlEEPS6_PKS6_NS0_5tupleIJPbS6_EEENSN_IJSK_SK_EEENS0_18inequality_wrapperINSA_8EqualityEEEPlJS6_EEE10hipError_tPvRmT3_T4_T5_T6_T7_T9_mT8_P12ihipStream_tbDpT10_ENKUlT_T0_E_clISt17integral_constantIbLb1EES1D_IbLb0EEEEDaS19_S1A_EUlS19_E_NS1_11comp_targetILNS1_3genE4ELNS1_11target_archE910ELNS1_3gpuE8ELNS1_3repE0EEENS1_30default_config_static_selectorELNS0_4arch9wavefront6targetE0EEEvT1_.num_vgpr, 0
	.set _ZN7rocprim17ROCPRIM_400000_NS6detail17trampoline_kernelINS0_14default_configENS1_25partition_config_selectorILNS1_17partition_subalgoE8EbNS0_10empty_typeEbEEZZNS1_14partition_implILS5_8ELb0ES3_jN6hipcub16HIPCUB_304000_NS22TransformInputIteratorIbN2at6native8internal12_GLOBAL__N_110LoadBoolOpEPKhlEEPS6_PKS6_NS0_5tupleIJPbS6_EEENSN_IJSK_SK_EEENS0_18inequality_wrapperINSA_8EqualityEEEPlJS6_EEE10hipError_tPvRmT3_T4_T5_T6_T7_T9_mT8_P12ihipStream_tbDpT10_ENKUlT_T0_E_clISt17integral_constantIbLb1EES1D_IbLb0EEEEDaS19_S1A_EUlS19_E_NS1_11comp_targetILNS1_3genE4ELNS1_11target_archE910ELNS1_3gpuE8ELNS1_3repE0EEENS1_30default_config_static_selectorELNS0_4arch9wavefront6targetE0EEEvT1_.num_agpr, 0
	.set _ZN7rocprim17ROCPRIM_400000_NS6detail17trampoline_kernelINS0_14default_configENS1_25partition_config_selectorILNS1_17partition_subalgoE8EbNS0_10empty_typeEbEEZZNS1_14partition_implILS5_8ELb0ES3_jN6hipcub16HIPCUB_304000_NS22TransformInputIteratorIbN2at6native8internal12_GLOBAL__N_110LoadBoolOpEPKhlEEPS6_PKS6_NS0_5tupleIJPbS6_EEENSN_IJSK_SK_EEENS0_18inequality_wrapperINSA_8EqualityEEEPlJS6_EEE10hipError_tPvRmT3_T4_T5_T6_T7_T9_mT8_P12ihipStream_tbDpT10_ENKUlT_T0_E_clISt17integral_constantIbLb1EES1D_IbLb0EEEEDaS19_S1A_EUlS19_E_NS1_11comp_targetILNS1_3genE4ELNS1_11target_archE910ELNS1_3gpuE8ELNS1_3repE0EEENS1_30default_config_static_selectorELNS0_4arch9wavefront6targetE0EEEvT1_.numbered_sgpr, 0
	.set _ZN7rocprim17ROCPRIM_400000_NS6detail17trampoline_kernelINS0_14default_configENS1_25partition_config_selectorILNS1_17partition_subalgoE8EbNS0_10empty_typeEbEEZZNS1_14partition_implILS5_8ELb0ES3_jN6hipcub16HIPCUB_304000_NS22TransformInputIteratorIbN2at6native8internal12_GLOBAL__N_110LoadBoolOpEPKhlEEPS6_PKS6_NS0_5tupleIJPbS6_EEENSN_IJSK_SK_EEENS0_18inequality_wrapperINSA_8EqualityEEEPlJS6_EEE10hipError_tPvRmT3_T4_T5_T6_T7_T9_mT8_P12ihipStream_tbDpT10_ENKUlT_T0_E_clISt17integral_constantIbLb1EES1D_IbLb0EEEEDaS19_S1A_EUlS19_E_NS1_11comp_targetILNS1_3genE4ELNS1_11target_archE910ELNS1_3gpuE8ELNS1_3repE0EEENS1_30default_config_static_selectorELNS0_4arch9wavefront6targetE0EEEvT1_.num_named_barrier, 0
	.set _ZN7rocprim17ROCPRIM_400000_NS6detail17trampoline_kernelINS0_14default_configENS1_25partition_config_selectorILNS1_17partition_subalgoE8EbNS0_10empty_typeEbEEZZNS1_14partition_implILS5_8ELb0ES3_jN6hipcub16HIPCUB_304000_NS22TransformInputIteratorIbN2at6native8internal12_GLOBAL__N_110LoadBoolOpEPKhlEEPS6_PKS6_NS0_5tupleIJPbS6_EEENSN_IJSK_SK_EEENS0_18inequality_wrapperINSA_8EqualityEEEPlJS6_EEE10hipError_tPvRmT3_T4_T5_T6_T7_T9_mT8_P12ihipStream_tbDpT10_ENKUlT_T0_E_clISt17integral_constantIbLb1EES1D_IbLb0EEEEDaS19_S1A_EUlS19_E_NS1_11comp_targetILNS1_3genE4ELNS1_11target_archE910ELNS1_3gpuE8ELNS1_3repE0EEENS1_30default_config_static_selectorELNS0_4arch9wavefront6targetE0EEEvT1_.private_seg_size, 0
	.set _ZN7rocprim17ROCPRIM_400000_NS6detail17trampoline_kernelINS0_14default_configENS1_25partition_config_selectorILNS1_17partition_subalgoE8EbNS0_10empty_typeEbEEZZNS1_14partition_implILS5_8ELb0ES3_jN6hipcub16HIPCUB_304000_NS22TransformInputIteratorIbN2at6native8internal12_GLOBAL__N_110LoadBoolOpEPKhlEEPS6_PKS6_NS0_5tupleIJPbS6_EEENSN_IJSK_SK_EEENS0_18inequality_wrapperINSA_8EqualityEEEPlJS6_EEE10hipError_tPvRmT3_T4_T5_T6_T7_T9_mT8_P12ihipStream_tbDpT10_ENKUlT_T0_E_clISt17integral_constantIbLb1EES1D_IbLb0EEEEDaS19_S1A_EUlS19_E_NS1_11comp_targetILNS1_3genE4ELNS1_11target_archE910ELNS1_3gpuE8ELNS1_3repE0EEENS1_30default_config_static_selectorELNS0_4arch9wavefront6targetE0EEEvT1_.uses_vcc, 0
	.set _ZN7rocprim17ROCPRIM_400000_NS6detail17trampoline_kernelINS0_14default_configENS1_25partition_config_selectorILNS1_17partition_subalgoE8EbNS0_10empty_typeEbEEZZNS1_14partition_implILS5_8ELb0ES3_jN6hipcub16HIPCUB_304000_NS22TransformInputIteratorIbN2at6native8internal12_GLOBAL__N_110LoadBoolOpEPKhlEEPS6_PKS6_NS0_5tupleIJPbS6_EEENSN_IJSK_SK_EEENS0_18inequality_wrapperINSA_8EqualityEEEPlJS6_EEE10hipError_tPvRmT3_T4_T5_T6_T7_T9_mT8_P12ihipStream_tbDpT10_ENKUlT_T0_E_clISt17integral_constantIbLb1EES1D_IbLb0EEEEDaS19_S1A_EUlS19_E_NS1_11comp_targetILNS1_3genE4ELNS1_11target_archE910ELNS1_3gpuE8ELNS1_3repE0EEENS1_30default_config_static_selectorELNS0_4arch9wavefront6targetE0EEEvT1_.uses_flat_scratch, 0
	.set _ZN7rocprim17ROCPRIM_400000_NS6detail17trampoline_kernelINS0_14default_configENS1_25partition_config_selectorILNS1_17partition_subalgoE8EbNS0_10empty_typeEbEEZZNS1_14partition_implILS5_8ELb0ES3_jN6hipcub16HIPCUB_304000_NS22TransformInputIteratorIbN2at6native8internal12_GLOBAL__N_110LoadBoolOpEPKhlEEPS6_PKS6_NS0_5tupleIJPbS6_EEENSN_IJSK_SK_EEENS0_18inequality_wrapperINSA_8EqualityEEEPlJS6_EEE10hipError_tPvRmT3_T4_T5_T6_T7_T9_mT8_P12ihipStream_tbDpT10_ENKUlT_T0_E_clISt17integral_constantIbLb1EES1D_IbLb0EEEEDaS19_S1A_EUlS19_E_NS1_11comp_targetILNS1_3genE4ELNS1_11target_archE910ELNS1_3gpuE8ELNS1_3repE0EEENS1_30default_config_static_selectorELNS0_4arch9wavefront6targetE0EEEvT1_.has_dyn_sized_stack, 0
	.set _ZN7rocprim17ROCPRIM_400000_NS6detail17trampoline_kernelINS0_14default_configENS1_25partition_config_selectorILNS1_17partition_subalgoE8EbNS0_10empty_typeEbEEZZNS1_14partition_implILS5_8ELb0ES3_jN6hipcub16HIPCUB_304000_NS22TransformInputIteratorIbN2at6native8internal12_GLOBAL__N_110LoadBoolOpEPKhlEEPS6_PKS6_NS0_5tupleIJPbS6_EEENSN_IJSK_SK_EEENS0_18inequality_wrapperINSA_8EqualityEEEPlJS6_EEE10hipError_tPvRmT3_T4_T5_T6_T7_T9_mT8_P12ihipStream_tbDpT10_ENKUlT_T0_E_clISt17integral_constantIbLb1EES1D_IbLb0EEEEDaS19_S1A_EUlS19_E_NS1_11comp_targetILNS1_3genE4ELNS1_11target_archE910ELNS1_3gpuE8ELNS1_3repE0EEENS1_30default_config_static_selectorELNS0_4arch9wavefront6targetE0EEEvT1_.has_recursion, 0
	.set _ZN7rocprim17ROCPRIM_400000_NS6detail17trampoline_kernelINS0_14default_configENS1_25partition_config_selectorILNS1_17partition_subalgoE8EbNS0_10empty_typeEbEEZZNS1_14partition_implILS5_8ELb0ES3_jN6hipcub16HIPCUB_304000_NS22TransformInputIteratorIbN2at6native8internal12_GLOBAL__N_110LoadBoolOpEPKhlEEPS6_PKS6_NS0_5tupleIJPbS6_EEENSN_IJSK_SK_EEENS0_18inequality_wrapperINSA_8EqualityEEEPlJS6_EEE10hipError_tPvRmT3_T4_T5_T6_T7_T9_mT8_P12ihipStream_tbDpT10_ENKUlT_T0_E_clISt17integral_constantIbLb1EES1D_IbLb0EEEEDaS19_S1A_EUlS19_E_NS1_11comp_targetILNS1_3genE4ELNS1_11target_archE910ELNS1_3gpuE8ELNS1_3repE0EEENS1_30default_config_static_selectorELNS0_4arch9wavefront6targetE0EEEvT1_.has_indirect_call, 0
	.section	.AMDGPU.csdata,"",@progbits
; Kernel info:
; codeLenInByte = 0
; TotalNumSgprs: 0
; NumVgprs: 0
; ScratchSize: 0
; MemoryBound: 0
; FloatMode: 240
; IeeeMode: 1
; LDSByteSize: 0 bytes/workgroup (compile time only)
; SGPRBlocks: 0
; VGPRBlocks: 0
; NumSGPRsForWavesPerEU: 1
; NumVGPRsForWavesPerEU: 1
; NamedBarCnt: 0
; Occupancy: 16
; WaveLimiterHint : 0
; COMPUTE_PGM_RSRC2:SCRATCH_EN: 0
; COMPUTE_PGM_RSRC2:USER_SGPR: 2
; COMPUTE_PGM_RSRC2:TRAP_HANDLER: 0
; COMPUTE_PGM_RSRC2:TGID_X_EN: 1
; COMPUTE_PGM_RSRC2:TGID_Y_EN: 0
; COMPUTE_PGM_RSRC2:TGID_Z_EN: 0
; COMPUTE_PGM_RSRC2:TIDIG_COMP_CNT: 0
	.section	.text._ZN7rocprim17ROCPRIM_400000_NS6detail17trampoline_kernelINS0_14default_configENS1_25partition_config_selectorILNS1_17partition_subalgoE8EbNS0_10empty_typeEbEEZZNS1_14partition_implILS5_8ELb0ES3_jN6hipcub16HIPCUB_304000_NS22TransformInputIteratorIbN2at6native8internal12_GLOBAL__N_110LoadBoolOpEPKhlEEPS6_PKS6_NS0_5tupleIJPbS6_EEENSN_IJSK_SK_EEENS0_18inequality_wrapperINSA_8EqualityEEEPlJS6_EEE10hipError_tPvRmT3_T4_T5_T6_T7_T9_mT8_P12ihipStream_tbDpT10_ENKUlT_T0_E_clISt17integral_constantIbLb1EES1D_IbLb0EEEEDaS19_S1A_EUlS19_E_NS1_11comp_targetILNS1_3genE3ELNS1_11target_archE908ELNS1_3gpuE7ELNS1_3repE0EEENS1_30default_config_static_selectorELNS0_4arch9wavefront6targetE0EEEvT1_,"axG",@progbits,_ZN7rocprim17ROCPRIM_400000_NS6detail17trampoline_kernelINS0_14default_configENS1_25partition_config_selectorILNS1_17partition_subalgoE8EbNS0_10empty_typeEbEEZZNS1_14partition_implILS5_8ELb0ES3_jN6hipcub16HIPCUB_304000_NS22TransformInputIteratorIbN2at6native8internal12_GLOBAL__N_110LoadBoolOpEPKhlEEPS6_PKS6_NS0_5tupleIJPbS6_EEENSN_IJSK_SK_EEENS0_18inequality_wrapperINSA_8EqualityEEEPlJS6_EEE10hipError_tPvRmT3_T4_T5_T6_T7_T9_mT8_P12ihipStream_tbDpT10_ENKUlT_T0_E_clISt17integral_constantIbLb1EES1D_IbLb0EEEEDaS19_S1A_EUlS19_E_NS1_11comp_targetILNS1_3genE3ELNS1_11target_archE908ELNS1_3gpuE7ELNS1_3repE0EEENS1_30default_config_static_selectorELNS0_4arch9wavefront6targetE0EEEvT1_,comdat
	.globl	_ZN7rocprim17ROCPRIM_400000_NS6detail17trampoline_kernelINS0_14default_configENS1_25partition_config_selectorILNS1_17partition_subalgoE8EbNS0_10empty_typeEbEEZZNS1_14partition_implILS5_8ELb0ES3_jN6hipcub16HIPCUB_304000_NS22TransformInputIteratorIbN2at6native8internal12_GLOBAL__N_110LoadBoolOpEPKhlEEPS6_PKS6_NS0_5tupleIJPbS6_EEENSN_IJSK_SK_EEENS0_18inequality_wrapperINSA_8EqualityEEEPlJS6_EEE10hipError_tPvRmT3_T4_T5_T6_T7_T9_mT8_P12ihipStream_tbDpT10_ENKUlT_T0_E_clISt17integral_constantIbLb1EES1D_IbLb0EEEEDaS19_S1A_EUlS19_E_NS1_11comp_targetILNS1_3genE3ELNS1_11target_archE908ELNS1_3gpuE7ELNS1_3repE0EEENS1_30default_config_static_selectorELNS0_4arch9wavefront6targetE0EEEvT1_ ; -- Begin function _ZN7rocprim17ROCPRIM_400000_NS6detail17trampoline_kernelINS0_14default_configENS1_25partition_config_selectorILNS1_17partition_subalgoE8EbNS0_10empty_typeEbEEZZNS1_14partition_implILS5_8ELb0ES3_jN6hipcub16HIPCUB_304000_NS22TransformInputIteratorIbN2at6native8internal12_GLOBAL__N_110LoadBoolOpEPKhlEEPS6_PKS6_NS0_5tupleIJPbS6_EEENSN_IJSK_SK_EEENS0_18inequality_wrapperINSA_8EqualityEEEPlJS6_EEE10hipError_tPvRmT3_T4_T5_T6_T7_T9_mT8_P12ihipStream_tbDpT10_ENKUlT_T0_E_clISt17integral_constantIbLb1EES1D_IbLb0EEEEDaS19_S1A_EUlS19_E_NS1_11comp_targetILNS1_3genE3ELNS1_11target_archE908ELNS1_3gpuE7ELNS1_3repE0EEENS1_30default_config_static_selectorELNS0_4arch9wavefront6targetE0EEEvT1_
	.p2align	8
	.type	_ZN7rocprim17ROCPRIM_400000_NS6detail17trampoline_kernelINS0_14default_configENS1_25partition_config_selectorILNS1_17partition_subalgoE8EbNS0_10empty_typeEbEEZZNS1_14partition_implILS5_8ELb0ES3_jN6hipcub16HIPCUB_304000_NS22TransformInputIteratorIbN2at6native8internal12_GLOBAL__N_110LoadBoolOpEPKhlEEPS6_PKS6_NS0_5tupleIJPbS6_EEENSN_IJSK_SK_EEENS0_18inequality_wrapperINSA_8EqualityEEEPlJS6_EEE10hipError_tPvRmT3_T4_T5_T6_T7_T9_mT8_P12ihipStream_tbDpT10_ENKUlT_T0_E_clISt17integral_constantIbLb1EES1D_IbLb0EEEEDaS19_S1A_EUlS19_E_NS1_11comp_targetILNS1_3genE3ELNS1_11target_archE908ELNS1_3gpuE7ELNS1_3repE0EEENS1_30default_config_static_selectorELNS0_4arch9wavefront6targetE0EEEvT1_,@function
_ZN7rocprim17ROCPRIM_400000_NS6detail17trampoline_kernelINS0_14default_configENS1_25partition_config_selectorILNS1_17partition_subalgoE8EbNS0_10empty_typeEbEEZZNS1_14partition_implILS5_8ELb0ES3_jN6hipcub16HIPCUB_304000_NS22TransformInputIteratorIbN2at6native8internal12_GLOBAL__N_110LoadBoolOpEPKhlEEPS6_PKS6_NS0_5tupleIJPbS6_EEENSN_IJSK_SK_EEENS0_18inequality_wrapperINSA_8EqualityEEEPlJS6_EEE10hipError_tPvRmT3_T4_T5_T6_T7_T9_mT8_P12ihipStream_tbDpT10_ENKUlT_T0_E_clISt17integral_constantIbLb1EES1D_IbLb0EEEEDaS19_S1A_EUlS19_E_NS1_11comp_targetILNS1_3genE3ELNS1_11target_archE908ELNS1_3gpuE7ELNS1_3repE0EEENS1_30default_config_static_selectorELNS0_4arch9wavefront6targetE0EEEvT1_: ; @_ZN7rocprim17ROCPRIM_400000_NS6detail17trampoline_kernelINS0_14default_configENS1_25partition_config_selectorILNS1_17partition_subalgoE8EbNS0_10empty_typeEbEEZZNS1_14partition_implILS5_8ELb0ES3_jN6hipcub16HIPCUB_304000_NS22TransformInputIteratorIbN2at6native8internal12_GLOBAL__N_110LoadBoolOpEPKhlEEPS6_PKS6_NS0_5tupleIJPbS6_EEENSN_IJSK_SK_EEENS0_18inequality_wrapperINSA_8EqualityEEEPlJS6_EEE10hipError_tPvRmT3_T4_T5_T6_T7_T9_mT8_P12ihipStream_tbDpT10_ENKUlT_T0_E_clISt17integral_constantIbLb1EES1D_IbLb0EEEEDaS19_S1A_EUlS19_E_NS1_11comp_targetILNS1_3genE3ELNS1_11target_archE908ELNS1_3gpuE7ELNS1_3repE0EEENS1_30default_config_static_selectorELNS0_4arch9wavefront6targetE0EEEvT1_
; %bb.0:
	.section	.rodata,"a",@progbits
	.p2align	6, 0x0
	.amdhsa_kernel _ZN7rocprim17ROCPRIM_400000_NS6detail17trampoline_kernelINS0_14default_configENS1_25partition_config_selectorILNS1_17partition_subalgoE8EbNS0_10empty_typeEbEEZZNS1_14partition_implILS5_8ELb0ES3_jN6hipcub16HIPCUB_304000_NS22TransformInputIteratorIbN2at6native8internal12_GLOBAL__N_110LoadBoolOpEPKhlEEPS6_PKS6_NS0_5tupleIJPbS6_EEENSN_IJSK_SK_EEENS0_18inequality_wrapperINSA_8EqualityEEEPlJS6_EEE10hipError_tPvRmT3_T4_T5_T6_T7_T9_mT8_P12ihipStream_tbDpT10_ENKUlT_T0_E_clISt17integral_constantIbLb1EES1D_IbLb0EEEEDaS19_S1A_EUlS19_E_NS1_11comp_targetILNS1_3genE3ELNS1_11target_archE908ELNS1_3gpuE7ELNS1_3repE0EEENS1_30default_config_static_selectorELNS0_4arch9wavefront6targetE0EEEvT1_
		.amdhsa_group_segment_fixed_size 0
		.amdhsa_private_segment_fixed_size 0
		.amdhsa_kernarg_size 120
		.amdhsa_user_sgpr_count 2
		.amdhsa_user_sgpr_dispatch_ptr 0
		.amdhsa_user_sgpr_queue_ptr 0
		.amdhsa_user_sgpr_kernarg_segment_ptr 1
		.amdhsa_user_sgpr_dispatch_id 0
		.amdhsa_user_sgpr_kernarg_preload_length 0
		.amdhsa_user_sgpr_kernarg_preload_offset 0
		.amdhsa_user_sgpr_private_segment_size 0
		.amdhsa_wavefront_size32 1
		.amdhsa_uses_dynamic_stack 0
		.amdhsa_enable_private_segment 0
		.amdhsa_system_sgpr_workgroup_id_x 1
		.amdhsa_system_sgpr_workgroup_id_y 0
		.amdhsa_system_sgpr_workgroup_id_z 0
		.amdhsa_system_sgpr_workgroup_info 0
		.amdhsa_system_vgpr_workitem_id 0
		.amdhsa_next_free_vgpr 1
		.amdhsa_next_free_sgpr 1
		.amdhsa_named_barrier_count 0
		.amdhsa_reserve_vcc 0
		.amdhsa_float_round_mode_32 0
		.amdhsa_float_round_mode_16_64 0
		.amdhsa_float_denorm_mode_32 3
		.amdhsa_float_denorm_mode_16_64 3
		.amdhsa_fp16_overflow 0
		.amdhsa_memory_ordered 1
		.amdhsa_forward_progress 1
		.amdhsa_inst_pref_size 0
		.amdhsa_round_robin_scheduling 0
		.amdhsa_exception_fp_ieee_invalid_op 0
		.amdhsa_exception_fp_denorm_src 0
		.amdhsa_exception_fp_ieee_div_zero 0
		.amdhsa_exception_fp_ieee_overflow 0
		.amdhsa_exception_fp_ieee_underflow 0
		.amdhsa_exception_fp_ieee_inexact 0
		.amdhsa_exception_int_div_zero 0
	.end_amdhsa_kernel
	.section	.text._ZN7rocprim17ROCPRIM_400000_NS6detail17trampoline_kernelINS0_14default_configENS1_25partition_config_selectorILNS1_17partition_subalgoE8EbNS0_10empty_typeEbEEZZNS1_14partition_implILS5_8ELb0ES3_jN6hipcub16HIPCUB_304000_NS22TransformInputIteratorIbN2at6native8internal12_GLOBAL__N_110LoadBoolOpEPKhlEEPS6_PKS6_NS0_5tupleIJPbS6_EEENSN_IJSK_SK_EEENS0_18inequality_wrapperINSA_8EqualityEEEPlJS6_EEE10hipError_tPvRmT3_T4_T5_T6_T7_T9_mT8_P12ihipStream_tbDpT10_ENKUlT_T0_E_clISt17integral_constantIbLb1EES1D_IbLb0EEEEDaS19_S1A_EUlS19_E_NS1_11comp_targetILNS1_3genE3ELNS1_11target_archE908ELNS1_3gpuE7ELNS1_3repE0EEENS1_30default_config_static_selectorELNS0_4arch9wavefront6targetE0EEEvT1_,"axG",@progbits,_ZN7rocprim17ROCPRIM_400000_NS6detail17trampoline_kernelINS0_14default_configENS1_25partition_config_selectorILNS1_17partition_subalgoE8EbNS0_10empty_typeEbEEZZNS1_14partition_implILS5_8ELb0ES3_jN6hipcub16HIPCUB_304000_NS22TransformInputIteratorIbN2at6native8internal12_GLOBAL__N_110LoadBoolOpEPKhlEEPS6_PKS6_NS0_5tupleIJPbS6_EEENSN_IJSK_SK_EEENS0_18inequality_wrapperINSA_8EqualityEEEPlJS6_EEE10hipError_tPvRmT3_T4_T5_T6_T7_T9_mT8_P12ihipStream_tbDpT10_ENKUlT_T0_E_clISt17integral_constantIbLb1EES1D_IbLb0EEEEDaS19_S1A_EUlS19_E_NS1_11comp_targetILNS1_3genE3ELNS1_11target_archE908ELNS1_3gpuE7ELNS1_3repE0EEENS1_30default_config_static_selectorELNS0_4arch9wavefront6targetE0EEEvT1_,comdat
.Lfunc_end34:
	.size	_ZN7rocprim17ROCPRIM_400000_NS6detail17trampoline_kernelINS0_14default_configENS1_25partition_config_selectorILNS1_17partition_subalgoE8EbNS0_10empty_typeEbEEZZNS1_14partition_implILS5_8ELb0ES3_jN6hipcub16HIPCUB_304000_NS22TransformInputIteratorIbN2at6native8internal12_GLOBAL__N_110LoadBoolOpEPKhlEEPS6_PKS6_NS0_5tupleIJPbS6_EEENSN_IJSK_SK_EEENS0_18inequality_wrapperINSA_8EqualityEEEPlJS6_EEE10hipError_tPvRmT3_T4_T5_T6_T7_T9_mT8_P12ihipStream_tbDpT10_ENKUlT_T0_E_clISt17integral_constantIbLb1EES1D_IbLb0EEEEDaS19_S1A_EUlS19_E_NS1_11comp_targetILNS1_3genE3ELNS1_11target_archE908ELNS1_3gpuE7ELNS1_3repE0EEENS1_30default_config_static_selectorELNS0_4arch9wavefront6targetE0EEEvT1_, .Lfunc_end34-_ZN7rocprim17ROCPRIM_400000_NS6detail17trampoline_kernelINS0_14default_configENS1_25partition_config_selectorILNS1_17partition_subalgoE8EbNS0_10empty_typeEbEEZZNS1_14partition_implILS5_8ELb0ES3_jN6hipcub16HIPCUB_304000_NS22TransformInputIteratorIbN2at6native8internal12_GLOBAL__N_110LoadBoolOpEPKhlEEPS6_PKS6_NS0_5tupleIJPbS6_EEENSN_IJSK_SK_EEENS0_18inequality_wrapperINSA_8EqualityEEEPlJS6_EEE10hipError_tPvRmT3_T4_T5_T6_T7_T9_mT8_P12ihipStream_tbDpT10_ENKUlT_T0_E_clISt17integral_constantIbLb1EES1D_IbLb0EEEEDaS19_S1A_EUlS19_E_NS1_11comp_targetILNS1_3genE3ELNS1_11target_archE908ELNS1_3gpuE7ELNS1_3repE0EEENS1_30default_config_static_selectorELNS0_4arch9wavefront6targetE0EEEvT1_
                                        ; -- End function
	.set _ZN7rocprim17ROCPRIM_400000_NS6detail17trampoline_kernelINS0_14default_configENS1_25partition_config_selectorILNS1_17partition_subalgoE8EbNS0_10empty_typeEbEEZZNS1_14partition_implILS5_8ELb0ES3_jN6hipcub16HIPCUB_304000_NS22TransformInputIteratorIbN2at6native8internal12_GLOBAL__N_110LoadBoolOpEPKhlEEPS6_PKS6_NS0_5tupleIJPbS6_EEENSN_IJSK_SK_EEENS0_18inequality_wrapperINSA_8EqualityEEEPlJS6_EEE10hipError_tPvRmT3_T4_T5_T6_T7_T9_mT8_P12ihipStream_tbDpT10_ENKUlT_T0_E_clISt17integral_constantIbLb1EES1D_IbLb0EEEEDaS19_S1A_EUlS19_E_NS1_11comp_targetILNS1_3genE3ELNS1_11target_archE908ELNS1_3gpuE7ELNS1_3repE0EEENS1_30default_config_static_selectorELNS0_4arch9wavefront6targetE0EEEvT1_.num_vgpr, 0
	.set _ZN7rocprim17ROCPRIM_400000_NS6detail17trampoline_kernelINS0_14default_configENS1_25partition_config_selectorILNS1_17partition_subalgoE8EbNS0_10empty_typeEbEEZZNS1_14partition_implILS5_8ELb0ES3_jN6hipcub16HIPCUB_304000_NS22TransformInputIteratorIbN2at6native8internal12_GLOBAL__N_110LoadBoolOpEPKhlEEPS6_PKS6_NS0_5tupleIJPbS6_EEENSN_IJSK_SK_EEENS0_18inequality_wrapperINSA_8EqualityEEEPlJS6_EEE10hipError_tPvRmT3_T4_T5_T6_T7_T9_mT8_P12ihipStream_tbDpT10_ENKUlT_T0_E_clISt17integral_constantIbLb1EES1D_IbLb0EEEEDaS19_S1A_EUlS19_E_NS1_11comp_targetILNS1_3genE3ELNS1_11target_archE908ELNS1_3gpuE7ELNS1_3repE0EEENS1_30default_config_static_selectorELNS0_4arch9wavefront6targetE0EEEvT1_.num_agpr, 0
	.set _ZN7rocprim17ROCPRIM_400000_NS6detail17trampoline_kernelINS0_14default_configENS1_25partition_config_selectorILNS1_17partition_subalgoE8EbNS0_10empty_typeEbEEZZNS1_14partition_implILS5_8ELb0ES3_jN6hipcub16HIPCUB_304000_NS22TransformInputIteratorIbN2at6native8internal12_GLOBAL__N_110LoadBoolOpEPKhlEEPS6_PKS6_NS0_5tupleIJPbS6_EEENSN_IJSK_SK_EEENS0_18inequality_wrapperINSA_8EqualityEEEPlJS6_EEE10hipError_tPvRmT3_T4_T5_T6_T7_T9_mT8_P12ihipStream_tbDpT10_ENKUlT_T0_E_clISt17integral_constantIbLb1EES1D_IbLb0EEEEDaS19_S1A_EUlS19_E_NS1_11comp_targetILNS1_3genE3ELNS1_11target_archE908ELNS1_3gpuE7ELNS1_3repE0EEENS1_30default_config_static_selectorELNS0_4arch9wavefront6targetE0EEEvT1_.numbered_sgpr, 0
	.set _ZN7rocprim17ROCPRIM_400000_NS6detail17trampoline_kernelINS0_14default_configENS1_25partition_config_selectorILNS1_17partition_subalgoE8EbNS0_10empty_typeEbEEZZNS1_14partition_implILS5_8ELb0ES3_jN6hipcub16HIPCUB_304000_NS22TransformInputIteratorIbN2at6native8internal12_GLOBAL__N_110LoadBoolOpEPKhlEEPS6_PKS6_NS0_5tupleIJPbS6_EEENSN_IJSK_SK_EEENS0_18inequality_wrapperINSA_8EqualityEEEPlJS6_EEE10hipError_tPvRmT3_T4_T5_T6_T7_T9_mT8_P12ihipStream_tbDpT10_ENKUlT_T0_E_clISt17integral_constantIbLb1EES1D_IbLb0EEEEDaS19_S1A_EUlS19_E_NS1_11comp_targetILNS1_3genE3ELNS1_11target_archE908ELNS1_3gpuE7ELNS1_3repE0EEENS1_30default_config_static_selectorELNS0_4arch9wavefront6targetE0EEEvT1_.num_named_barrier, 0
	.set _ZN7rocprim17ROCPRIM_400000_NS6detail17trampoline_kernelINS0_14default_configENS1_25partition_config_selectorILNS1_17partition_subalgoE8EbNS0_10empty_typeEbEEZZNS1_14partition_implILS5_8ELb0ES3_jN6hipcub16HIPCUB_304000_NS22TransformInputIteratorIbN2at6native8internal12_GLOBAL__N_110LoadBoolOpEPKhlEEPS6_PKS6_NS0_5tupleIJPbS6_EEENSN_IJSK_SK_EEENS0_18inequality_wrapperINSA_8EqualityEEEPlJS6_EEE10hipError_tPvRmT3_T4_T5_T6_T7_T9_mT8_P12ihipStream_tbDpT10_ENKUlT_T0_E_clISt17integral_constantIbLb1EES1D_IbLb0EEEEDaS19_S1A_EUlS19_E_NS1_11comp_targetILNS1_3genE3ELNS1_11target_archE908ELNS1_3gpuE7ELNS1_3repE0EEENS1_30default_config_static_selectorELNS0_4arch9wavefront6targetE0EEEvT1_.private_seg_size, 0
	.set _ZN7rocprim17ROCPRIM_400000_NS6detail17trampoline_kernelINS0_14default_configENS1_25partition_config_selectorILNS1_17partition_subalgoE8EbNS0_10empty_typeEbEEZZNS1_14partition_implILS5_8ELb0ES3_jN6hipcub16HIPCUB_304000_NS22TransformInputIteratorIbN2at6native8internal12_GLOBAL__N_110LoadBoolOpEPKhlEEPS6_PKS6_NS0_5tupleIJPbS6_EEENSN_IJSK_SK_EEENS0_18inequality_wrapperINSA_8EqualityEEEPlJS6_EEE10hipError_tPvRmT3_T4_T5_T6_T7_T9_mT8_P12ihipStream_tbDpT10_ENKUlT_T0_E_clISt17integral_constantIbLb1EES1D_IbLb0EEEEDaS19_S1A_EUlS19_E_NS1_11comp_targetILNS1_3genE3ELNS1_11target_archE908ELNS1_3gpuE7ELNS1_3repE0EEENS1_30default_config_static_selectorELNS0_4arch9wavefront6targetE0EEEvT1_.uses_vcc, 0
	.set _ZN7rocprim17ROCPRIM_400000_NS6detail17trampoline_kernelINS0_14default_configENS1_25partition_config_selectorILNS1_17partition_subalgoE8EbNS0_10empty_typeEbEEZZNS1_14partition_implILS5_8ELb0ES3_jN6hipcub16HIPCUB_304000_NS22TransformInputIteratorIbN2at6native8internal12_GLOBAL__N_110LoadBoolOpEPKhlEEPS6_PKS6_NS0_5tupleIJPbS6_EEENSN_IJSK_SK_EEENS0_18inequality_wrapperINSA_8EqualityEEEPlJS6_EEE10hipError_tPvRmT3_T4_T5_T6_T7_T9_mT8_P12ihipStream_tbDpT10_ENKUlT_T0_E_clISt17integral_constantIbLb1EES1D_IbLb0EEEEDaS19_S1A_EUlS19_E_NS1_11comp_targetILNS1_3genE3ELNS1_11target_archE908ELNS1_3gpuE7ELNS1_3repE0EEENS1_30default_config_static_selectorELNS0_4arch9wavefront6targetE0EEEvT1_.uses_flat_scratch, 0
	.set _ZN7rocprim17ROCPRIM_400000_NS6detail17trampoline_kernelINS0_14default_configENS1_25partition_config_selectorILNS1_17partition_subalgoE8EbNS0_10empty_typeEbEEZZNS1_14partition_implILS5_8ELb0ES3_jN6hipcub16HIPCUB_304000_NS22TransformInputIteratorIbN2at6native8internal12_GLOBAL__N_110LoadBoolOpEPKhlEEPS6_PKS6_NS0_5tupleIJPbS6_EEENSN_IJSK_SK_EEENS0_18inequality_wrapperINSA_8EqualityEEEPlJS6_EEE10hipError_tPvRmT3_T4_T5_T6_T7_T9_mT8_P12ihipStream_tbDpT10_ENKUlT_T0_E_clISt17integral_constantIbLb1EES1D_IbLb0EEEEDaS19_S1A_EUlS19_E_NS1_11comp_targetILNS1_3genE3ELNS1_11target_archE908ELNS1_3gpuE7ELNS1_3repE0EEENS1_30default_config_static_selectorELNS0_4arch9wavefront6targetE0EEEvT1_.has_dyn_sized_stack, 0
	.set _ZN7rocprim17ROCPRIM_400000_NS6detail17trampoline_kernelINS0_14default_configENS1_25partition_config_selectorILNS1_17partition_subalgoE8EbNS0_10empty_typeEbEEZZNS1_14partition_implILS5_8ELb0ES3_jN6hipcub16HIPCUB_304000_NS22TransformInputIteratorIbN2at6native8internal12_GLOBAL__N_110LoadBoolOpEPKhlEEPS6_PKS6_NS0_5tupleIJPbS6_EEENSN_IJSK_SK_EEENS0_18inequality_wrapperINSA_8EqualityEEEPlJS6_EEE10hipError_tPvRmT3_T4_T5_T6_T7_T9_mT8_P12ihipStream_tbDpT10_ENKUlT_T0_E_clISt17integral_constantIbLb1EES1D_IbLb0EEEEDaS19_S1A_EUlS19_E_NS1_11comp_targetILNS1_3genE3ELNS1_11target_archE908ELNS1_3gpuE7ELNS1_3repE0EEENS1_30default_config_static_selectorELNS0_4arch9wavefront6targetE0EEEvT1_.has_recursion, 0
	.set _ZN7rocprim17ROCPRIM_400000_NS6detail17trampoline_kernelINS0_14default_configENS1_25partition_config_selectorILNS1_17partition_subalgoE8EbNS0_10empty_typeEbEEZZNS1_14partition_implILS5_8ELb0ES3_jN6hipcub16HIPCUB_304000_NS22TransformInputIteratorIbN2at6native8internal12_GLOBAL__N_110LoadBoolOpEPKhlEEPS6_PKS6_NS0_5tupleIJPbS6_EEENSN_IJSK_SK_EEENS0_18inequality_wrapperINSA_8EqualityEEEPlJS6_EEE10hipError_tPvRmT3_T4_T5_T6_T7_T9_mT8_P12ihipStream_tbDpT10_ENKUlT_T0_E_clISt17integral_constantIbLb1EES1D_IbLb0EEEEDaS19_S1A_EUlS19_E_NS1_11comp_targetILNS1_3genE3ELNS1_11target_archE908ELNS1_3gpuE7ELNS1_3repE0EEENS1_30default_config_static_selectorELNS0_4arch9wavefront6targetE0EEEvT1_.has_indirect_call, 0
	.section	.AMDGPU.csdata,"",@progbits
; Kernel info:
; codeLenInByte = 0
; TotalNumSgprs: 0
; NumVgprs: 0
; ScratchSize: 0
; MemoryBound: 0
; FloatMode: 240
; IeeeMode: 1
; LDSByteSize: 0 bytes/workgroup (compile time only)
; SGPRBlocks: 0
; VGPRBlocks: 0
; NumSGPRsForWavesPerEU: 1
; NumVGPRsForWavesPerEU: 1
; NamedBarCnt: 0
; Occupancy: 16
; WaveLimiterHint : 0
; COMPUTE_PGM_RSRC2:SCRATCH_EN: 0
; COMPUTE_PGM_RSRC2:USER_SGPR: 2
; COMPUTE_PGM_RSRC2:TRAP_HANDLER: 0
; COMPUTE_PGM_RSRC2:TGID_X_EN: 1
; COMPUTE_PGM_RSRC2:TGID_Y_EN: 0
; COMPUTE_PGM_RSRC2:TGID_Z_EN: 0
; COMPUTE_PGM_RSRC2:TIDIG_COMP_CNT: 0
	.section	.text._ZN7rocprim17ROCPRIM_400000_NS6detail17trampoline_kernelINS0_14default_configENS1_25partition_config_selectorILNS1_17partition_subalgoE8EbNS0_10empty_typeEbEEZZNS1_14partition_implILS5_8ELb0ES3_jN6hipcub16HIPCUB_304000_NS22TransformInputIteratorIbN2at6native8internal12_GLOBAL__N_110LoadBoolOpEPKhlEEPS6_PKS6_NS0_5tupleIJPbS6_EEENSN_IJSK_SK_EEENS0_18inequality_wrapperINSA_8EqualityEEEPlJS6_EEE10hipError_tPvRmT3_T4_T5_T6_T7_T9_mT8_P12ihipStream_tbDpT10_ENKUlT_T0_E_clISt17integral_constantIbLb1EES1D_IbLb0EEEEDaS19_S1A_EUlS19_E_NS1_11comp_targetILNS1_3genE2ELNS1_11target_archE906ELNS1_3gpuE6ELNS1_3repE0EEENS1_30default_config_static_selectorELNS0_4arch9wavefront6targetE0EEEvT1_,"axG",@progbits,_ZN7rocprim17ROCPRIM_400000_NS6detail17trampoline_kernelINS0_14default_configENS1_25partition_config_selectorILNS1_17partition_subalgoE8EbNS0_10empty_typeEbEEZZNS1_14partition_implILS5_8ELb0ES3_jN6hipcub16HIPCUB_304000_NS22TransformInputIteratorIbN2at6native8internal12_GLOBAL__N_110LoadBoolOpEPKhlEEPS6_PKS6_NS0_5tupleIJPbS6_EEENSN_IJSK_SK_EEENS0_18inequality_wrapperINSA_8EqualityEEEPlJS6_EEE10hipError_tPvRmT3_T4_T5_T6_T7_T9_mT8_P12ihipStream_tbDpT10_ENKUlT_T0_E_clISt17integral_constantIbLb1EES1D_IbLb0EEEEDaS19_S1A_EUlS19_E_NS1_11comp_targetILNS1_3genE2ELNS1_11target_archE906ELNS1_3gpuE6ELNS1_3repE0EEENS1_30default_config_static_selectorELNS0_4arch9wavefront6targetE0EEEvT1_,comdat
	.globl	_ZN7rocprim17ROCPRIM_400000_NS6detail17trampoline_kernelINS0_14default_configENS1_25partition_config_selectorILNS1_17partition_subalgoE8EbNS0_10empty_typeEbEEZZNS1_14partition_implILS5_8ELb0ES3_jN6hipcub16HIPCUB_304000_NS22TransformInputIteratorIbN2at6native8internal12_GLOBAL__N_110LoadBoolOpEPKhlEEPS6_PKS6_NS0_5tupleIJPbS6_EEENSN_IJSK_SK_EEENS0_18inequality_wrapperINSA_8EqualityEEEPlJS6_EEE10hipError_tPvRmT3_T4_T5_T6_T7_T9_mT8_P12ihipStream_tbDpT10_ENKUlT_T0_E_clISt17integral_constantIbLb1EES1D_IbLb0EEEEDaS19_S1A_EUlS19_E_NS1_11comp_targetILNS1_3genE2ELNS1_11target_archE906ELNS1_3gpuE6ELNS1_3repE0EEENS1_30default_config_static_selectorELNS0_4arch9wavefront6targetE0EEEvT1_ ; -- Begin function _ZN7rocprim17ROCPRIM_400000_NS6detail17trampoline_kernelINS0_14default_configENS1_25partition_config_selectorILNS1_17partition_subalgoE8EbNS0_10empty_typeEbEEZZNS1_14partition_implILS5_8ELb0ES3_jN6hipcub16HIPCUB_304000_NS22TransformInputIteratorIbN2at6native8internal12_GLOBAL__N_110LoadBoolOpEPKhlEEPS6_PKS6_NS0_5tupleIJPbS6_EEENSN_IJSK_SK_EEENS0_18inequality_wrapperINSA_8EqualityEEEPlJS6_EEE10hipError_tPvRmT3_T4_T5_T6_T7_T9_mT8_P12ihipStream_tbDpT10_ENKUlT_T0_E_clISt17integral_constantIbLb1EES1D_IbLb0EEEEDaS19_S1A_EUlS19_E_NS1_11comp_targetILNS1_3genE2ELNS1_11target_archE906ELNS1_3gpuE6ELNS1_3repE0EEENS1_30default_config_static_selectorELNS0_4arch9wavefront6targetE0EEEvT1_
	.p2align	8
	.type	_ZN7rocprim17ROCPRIM_400000_NS6detail17trampoline_kernelINS0_14default_configENS1_25partition_config_selectorILNS1_17partition_subalgoE8EbNS0_10empty_typeEbEEZZNS1_14partition_implILS5_8ELb0ES3_jN6hipcub16HIPCUB_304000_NS22TransformInputIteratorIbN2at6native8internal12_GLOBAL__N_110LoadBoolOpEPKhlEEPS6_PKS6_NS0_5tupleIJPbS6_EEENSN_IJSK_SK_EEENS0_18inequality_wrapperINSA_8EqualityEEEPlJS6_EEE10hipError_tPvRmT3_T4_T5_T6_T7_T9_mT8_P12ihipStream_tbDpT10_ENKUlT_T0_E_clISt17integral_constantIbLb1EES1D_IbLb0EEEEDaS19_S1A_EUlS19_E_NS1_11comp_targetILNS1_3genE2ELNS1_11target_archE906ELNS1_3gpuE6ELNS1_3repE0EEENS1_30default_config_static_selectorELNS0_4arch9wavefront6targetE0EEEvT1_,@function
_ZN7rocprim17ROCPRIM_400000_NS6detail17trampoline_kernelINS0_14default_configENS1_25partition_config_selectorILNS1_17partition_subalgoE8EbNS0_10empty_typeEbEEZZNS1_14partition_implILS5_8ELb0ES3_jN6hipcub16HIPCUB_304000_NS22TransformInputIteratorIbN2at6native8internal12_GLOBAL__N_110LoadBoolOpEPKhlEEPS6_PKS6_NS0_5tupleIJPbS6_EEENSN_IJSK_SK_EEENS0_18inequality_wrapperINSA_8EqualityEEEPlJS6_EEE10hipError_tPvRmT3_T4_T5_T6_T7_T9_mT8_P12ihipStream_tbDpT10_ENKUlT_T0_E_clISt17integral_constantIbLb1EES1D_IbLb0EEEEDaS19_S1A_EUlS19_E_NS1_11comp_targetILNS1_3genE2ELNS1_11target_archE906ELNS1_3gpuE6ELNS1_3repE0EEENS1_30default_config_static_selectorELNS0_4arch9wavefront6targetE0EEEvT1_: ; @_ZN7rocprim17ROCPRIM_400000_NS6detail17trampoline_kernelINS0_14default_configENS1_25partition_config_selectorILNS1_17partition_subalgoE8EbNS0_10empty_typeEbEEZZNS1_14partition_implILS5_8ELb0ES3_jN6hipcub16HIPCUB_304000_NS22TransformInputIteratorIbN2at6native8internal12_GLOBAL__N_110LoadBoolOpEPKhlEEPS6_PKS6_NS0_5tupleIJPbS6_EEENSN_IJSK_SK_EEENS0_18inequality_wrapperINSA_8EqualityEEEPlJS6_EEE10hipError_tPvRmT3_T4_T5_T6_T7_T9_mT8_P12ihipStream_tbDpT10_ENKUlT_T0_E_clISt17integral_constantIbLb1EES1D_IbLb0EEEEDaS19_S1A_EUlS19_E_NS1_11comp_targetILNS1_3genE2ELNS1_11target_archE906ELNS1_3gpuE6ELNS1_3repE0EEENS1_30default_config_static_selectorELNS0_4arch9wavefront6targetE0EEEvT1_
; %bb.0:
	.section	.rodata,"a",@progbits
	.p2align	6, 0x0
	.amdhsa_kernel _ZN7rocprim17ROCPRIM_400000_NS6detail17trampoline_kernelINS0_14default_configENS1_25partition_config_selectorILNS1_17partition_subalgoE8EbNS0_10empty_typeEbEEZZNS1_14partition_implILS5_8ELb0ES3_jN6hipcub16HIPCUB_304000_NS22TransformInputIteratorIbN2at6native8internal12_GLOBAL__N_110LoadBoolOpEPKhlEEPS6_PKS6_NS0_5tupleIJPbS6_EEENSN_IJSK_SK_EEENS0_18inequality_wrapperINSA_8EqualityEEEPlJS6_EEE10hipError_tPvRmT3_T4_T5_T6_T7_T9_mT8_P12ihipStream_tbDpT10_ENKUlT_T0_E_clISt17integral_constantIbLb1EES1D_IbLb0EEEEDaS19_S1A_EUlS19_E_NS1_11comp_targetILNS1_3genE2ELNS1_11target_archE906ELNS1_3gpuE6ELNS1_3repE0EEENS1_30default_config_static_selectorELNS0_4arch9wavefront6targetE0EEEvT1_
		.amdhsa_group_segment_fixed_size 0
		.amdhsa_private_segment_fixed_size 0
		.amdhsa_kernarg_size 120
		.amdhsa_user_sgpr_count 2
		.amdhsa_user_sgpr_dispatch_ptr 0
		.amdhsa_user_sgpr_queue_ptr 0
		.amdhsa_user_sgpr_kernarg_segment_ptr 1
		.amdhsa_user_sgpr_dispatch_id 0
		.amdhsa_user_sgpr_kernarg_preload_length 0
		.amdhsa_user_sgpr_kernarg_preload_offset 0
		.amdhsa_user_sgpr_private_segment_size 0
		.amdhsa_wavefront_size32 1
		.amdhsa_uses_dynamic_stack 0
		.amdhsa_enable_private_segment 0
		.amdhsa_system_sgpr_workgroup_id_x 1
		.amdhsa_system_sgpr_workgroup_id_y 0
		.amdhsa_system_sgpr_workgroup_id_z 0
		.amdhsa_system_sgpr_workgroup_info 0
		.amdhsa_system_vgpr_workitem_id 0
		.amdhsa_next_free_vgpr 1
		.amdhsa_next_free_sgpr 1
		.amdhsa_named_barrier_count 0
		.amdhsa_reserve_vcc 0
		.amdhsa_float_round_mode_32 0
		.amdhsa_float_round_mode_16_64 0
		.amdhsa_float_denorm_mode_32 3
		.amdhsa_float_denorm_mode_16_64 3
		.amdhsa_fp16_overflow 0
		.amdhsa_memory_ordered 1
		.amdhsa_forward_progress 1
		.amdhsa_inst_pref_size 0
		.amdhsa_round_robin_scheduling 0
		.amdhsa_exception_fp_ieee_invalid_op 0
		.amdhsa_exception_fp_denorm_src 0
		.amdhsa_exception_fp_ieee_div_zero 0
		.amdhsa_exception_fp_ieee_overflow 0
		.amdhsa_exception_fp_ieee_underflow 0
		.amdhsa_exception_fp_ieee_inexact 0
		.amdhsa_exception_int_div_zero 0
	.end_amdhsa_kernel
	.section	.text._ZN7rocprim17ROCPRIM_400000_NS6detail17trampoline_kernelINS0_14default_configENS1_25partition_config_selectorILNS1_17partition_subalgoE8EbNS0_10empty_typeEbEEZZNS1_14partition_implILS5_8ELb0ES3_jN6hipcub16HIPCUB_304000_NS22TransformInputIteratorIbN2at6native8internal12_GLOBAL__N_110LoadBoolOpEPKhlEEPS6_PKS6_NS0_5tupleIJPbS6_EEENSN_IJSK_SK_EEENS0_18inequality_wrapperINSA_8EqualityEEEPlJS6_EEE10hipError_tPvRmT3_T4_T5_T6_T7_T9_mT8_P12ihipStream_tbDpT10_ENKUlT_T0_E_clISt17integral_constantIbLb1EES1D_IbLb0EEEEDaS19_S1A_EUlS19_E_NS1_11comp_targetILNS1_3genE2ELNS1_11target_archE906ELNS1_3gpuE6ELNS1_3repE0EEENS1_30default_config_static_selectorELNS0_4arch9wavefront6targetE0EEEvT1_,"axG",@progbits,_ZN7rocprim17ROCPRIM_400000_NS6detail17trampoline_kernelINS0_14default_configENS1_25partition_config_selectorILNS1_17partition_subalgoE8EbNS0_10empty_typeEbEEZZNS1_14partition_implILS5_8ELb0ES3_jN6hipcub16HIPCUB_304000_NS22TransformInputIteratorIbN2at6native8internal12_GLOBAL__N_110LoadBoolOpEPKhlEEPS6_PKS6_NS0_5tupleIJPbS6_EEENSN_IJSK_SK_EEENS0_18inequality_wrapperINSA_8EqualityEEEPlJS6_EEE10hipError_tPvRmT3_T4_T5_T6_T7_T9_mT8_P12ihipStream_tbDpT10_ENKUlT_T0_E_clISt17integral_constantIbLb1EES1D_IbLb0EEEEDaS19_S1A_EUlS19_E_NS1_11comp_targetILNS1_3genE2ELNS1_11target_archE906ELNS1_3gpuE6ELNS1_3repE0EEENS1_30default_config_static_selectorELNS0_4arch9wavefront6targetE0EEEvT1_,comdat
.Lfunc_end35:
	.size	_ZN7rocprim17ROCPRIM_400000_NS6detail17trampoline_kernelINS0_14default_configENS1_25partition_config_selectorILNS1_17partition_subalgoE8EbNS0_10empty_typeEbEEZZNS1_14partition_implILS5_8ELb0ES3_jN6hipcub16HIPCUB_304000_NS22TransformInputIteratorIbN2at6native8internal12_GLOBAL__N_110LoadBoolOpEPKhlEEPS6_PKS6_NS0_5tupleIJPbS6_EEENSN_IJSK_SK_EEENS0_18inequality_wrapperINSA_8EqualityEEEPlJS6_EEE10hipError_tPvRmT3_T4_T5_T6_T7_T9_mT8_P12ihipStream_tbDpT10_ENKUlT_T0_E_clISt17integral_constantIbLb1EES1D_IbLb0EEEEDaS19_S1A_EUlS19_E_NS1_11comp_targetILNS1_3genE2ELNS1_11target_archE906ELNS1_3gpuE6ELNS1_3repE0EEENS1_30default_config_static_selectorELNS0_4arch9wavefront6targetE0EEEvT1_, .Lfunc_end35-_ZN7rocprim17ROCPRIM_400000_NS6detail17trampoline_kernelINS0_14default_configENS1_25partition_config_selectorILNS1_17partition_subalgoE8EbNS0_10empty_typeEbEEZZNS1_14partition_implILS5_8ELb0ES3_jN6hipcub16HIPCUB_304000_NS22TransformInputIteratorIbN2at6native8internal12_GLOBAL__N_110LoadBoolOpEPKhlEEPS6_PKS6_NS0_5tupleIJPbS6_EEENSN_IJSK_SK_EEENS0_18inequality_wrapperINSA_8EqualityEEEPlJS6_EEE10hipError_tPvRmT3_T4_T5_T6_T7_T9_mT8_P12ihipStream_tbDpT10_ENKUlT_T0_E_clISt17integral_constantIbLb1EES1D_IbLb0EEEEDaS19_S1A_EUlS19_E_NS1_11comp_targetILNS1_3genE2ELNS1_11target_archE906ELNS1_3gpuE6ELNS1_3repE0EEENS1_30default_config_static_selectorELNS0_4arch9wavefront6targetE0EEEvT1_
                                        ; -- End function
	.set _ZN7rocprim17ROCPRIM_400000_NS6detail17trampoline_kernelINS0_14default_configENS1_25partition_config_selectorILNS1_17partition_subalgoE8EbNS0_10empty_typeEbEEZZNS1_14partition_implILS5_8ELb0ES3_jN6hipcub16HIPCUB_304000_NS22TransformInputIteratorIbN2at6native8internal12_GLOBAL__N_110LoadBoolOpEPKhlEEPS6_PKS6_NS0_5tupleIJPbS6_EEENSN_IJSK_SK_EEENS0_18inequality_wrapperINSA_8EqualityEEEPlJS6_EEE10hipError_tPvRmT3_T4_T5_T6_T7_T9_mT8_P12ihipStream_tbDpT10_ENKUlT_T0_E_clISt17integral_constantIbLb1EES1D_IbLb0EEEEDaS19_S1A_EUlS19_E_NS1_11comp_targetILNS1_3genE2ELNS1_11target_archE906ELNS1_3gpuE6ELNS1_3repE0EEENS1_30default_config_static_selectorELNS0_4arch9wavefront6targetE0EEEvT1_.num_vgpr, 0
	.set _ZN7rocprim17ROCPRIM_400000_NS6detail17trampoline_kernelINS0_14default_configENS1_25partition_config_selectorILNS1_17partition_subalgoE8EbNS0_10empty_typeEbEEZZNS1_14partition_implILS5_8ELb0ES3_jN6hipcub16HIPCUB_304000_NS22TransformInputIteratorIbN2at6native8internal12_GLOBAL__N_110LoadBoolOpEPKhlEEPS6_PKS6_NS0_5tupleIJPbS6_EEENSN_IJSK_SK_EEENS0_18inequality_wrapperINSA_8EqualityEEEPlJS6_EEE10hipError_tPvRmT3_T4_T5_T6_T7_T9_mT8_P12ihipStream_tbDpT10_ENKUlT_T0_E_clISt17integral_constantIbLb1EES1D_IbLb0EEEEDaS19_S1A_EUlS19_E_NS1_11comp_targetILNS1_3genE2ELNS1_11target_archE906ELNS1_3gpuE6ELNS1_3repE0EEENS1_30default_config_static_selectorELNS0_4arch9wavefront6targetE0EEEvT1_.num_agpr, 0
	.set _ZN7rocprim17ROCPRIM_400000_NS6detail17trampoline_kernelINS0_14default_configENS1_25partition_config_selectorILNS1_17partition_subalgoE8EbNS0_10empty_typeEbEEZZNS1_14partition_implILS5_8ELb0ES3_jN6hipcub16HIPCUB_304000_NS22TransformInputIteratorIbN2at6native8internal12_GLOBAL__N_110LoadBoolOpEPKhlEEPS6_PKS6_NS0_5tupleIJPbS6_EEENSN_IJSK_SK_EEENS0_18inequality_wrapperINSA_8EqualityEEEPlJS6_EEE10hipError_tPvRmT3_T4_T5_T6_T7_T9_mT8_P12ihipStream_tbDpT10_ENKUlT_T0_E_clISt17integral_constantIbLb1EES1D_IbLb0EEEEDaS19_S1A_EUlS19_E_NS1_11comp_targetILNS1_3genE2ELNS1_11target_archE906ELNS1_3gpuE6ELNS1_3repE0EEENS1_30default_config_static_selectorELNS0_4arch9wavefront6targetE0EEEvT1_.numbered_sgpr, 0
	.set _ZN7rocprim17ROCPRIM_400000_NS6detail17trampoline_kernelINS0_14default_configENS1_25partition_config_selectorILNS1_17partition_subalgoE8EbNS0_10empty_typeEbEEZZNS1_14partition_implILS5_8ELb0ES3_jN6hipcub16HIPCUB_304000_NS22TransformInputIteratorIbN2at6native8internal12_GLOBAL__N_110LoadBoolOpEPKhlEEPS6_PKS6_NS0_5tupleIJPbS6_EEENSN_IJSK_SK_EEENS0_18inequality_wrapperINSA_8EqualityEEEPlJS6_EEE10hipError_tPvRmT3_T4_T5_T6_T7_T9_mT8_P12ihipStream_tbDpT10_ENKUlT_T0_E_clISt17integral_constantIbLb1EES1D_IbLb0EEEEDaS19_S1A_EUlS19_E_NS1_11comp_targetILNS1_3genE2ELNS1_11target_archE906ELNS1_3gpuE6ELNS1_3repE0EEENS1_30default_config_static_selectorELNS0_4arch9wavefront6targetE0EEEvT1_.num_named_barrier, 0
	.set _ZN7rocprim17ROCPRIM_400000_NS6detail17trampoline_kernelINS0_14default_configENS1_25partition_config_selectorILNS1_17partition_subalgoE8EbNS0_10empty_typeEbEEZZNS1_14partition_implILS5_8ELb0ES3_jN6hipcub16HIPCUB_304000_NS22TransformInputIteratorIbN2at6native8internal12_GLOBAL__N_110LoadBoolOpEPKhlEEPS6_PKS6_NS0_5tupleIJPbS6_EEENSN_IJSK_SK_EEENS0_18inequality_wrapperINSA_8EqualityEEEPlJS6_EEE10hipError_tPvRmT3_T4_T5_T6_T7_T9_mT8_P12ihipStream_tbDpT10_ENKUlT_T0_E_clISt17integral_constantIbLb1EES1D_IbLb0EEEEDaS19_S1A_EUlS19_E_NS1_11comp_targetILNS1_3genE2ELNS1_11target_archE906ELNS1_3gpuE6ELNS1_3repE0EEENS1_30default_config_static_selectorELNS0_4arch9wavefront6targetE0EEEvT1_.private_seg_size, 0
	.set _ZN7rocprim17ROCPRIM_400000_NS6detail17trampoline_kernelINS0_14default_configENS1_25partition_config_selectorILNS1_17partition_subalgoE8EbNS0_10empty_typeEbEEZZNS1_14partition_implILS5_8ELb0ES3_jN6hipcub16HIPCUB_304000_NS22TransformInputIteratorIbN2at6native8internal12_GLOBAL__N_110LoadBoolOpEPKhlEEPS6_PKS6_NS0_5tupleIJPbS6_EEENSN_IJSK_SK_EEENS0_18inequality_wrapperINSA_8EqualityEEEPlJS6_EEE10hipError_tPvRmT3_T4_T5_T6_T7_T9_mT8_P12ihipStream_tbDpT10_ENKUlT_T0_E_clISt17integral_constantIbLb1EES1D_IbLb0EEEEDaS19_S1A_EUlS19_E_NS1_11comp_targetILNS1_3genE2ELNS1_11target_archE906ELNS1_3gpuE6ELNS1_3repE0EEENS1_30default_config_static_selectorELNS0_4arch9wavefront6targetE0EEEvT1_.uses_vcc, 0
	.set _ZN7rocprim17ROCPRIM_400000_NS6detail17trampoline_kernelINS0_14default_configENS1_25partition_config_selectorILNS1_17partition_subalgoE8EbNS0_10empty_typeEbEEZZNS1_14partition_implILS5_8ELb0ES3_jN6hipcub16HIPCUB_304000_NS22TransformInputIteratorIbN2at6native8internal12_GLOBAL__N_110LoadBoolOpEPKhlEEPS6_PKS6_NS0_5tupleIJPbS6_EEENSN_IJSK_SK_EEENS0_18inequality_wrapperINSA_8EqualityEEEPlJS6_EEE10hipError_tPvRmT3_T4_T5_T6_T7_T9_mT8_P12ihipStream_tbDpT10_ENKUlT_T0_E_clISt17integral_constantIbLb1EES1D_IbLb0EEEEDaS19_S1A_EUlS19_E_NS1_11comp_targetILNS1_3genE2ELNS1_11target_archE906ELNS1_3gpuE6ELNS1_3repE0EEENS1_30default_config_static_selectorELNS0_4arch9wavefront6targetE0EEEvT1_.uses_flat_scratch, 0
	.set _ZN7rocprim17ROCPRIM_400000_NS6detail17trampoline_kernelINS0_14default_configENS1_25partition_config_selectorILNS1_17partition_subalgoE8EbNS0_10empty_typeEbEEZZNS1_14partition_implILS5_8ELb0ES3_jN6hipcub16HIPCUB_304000_NS22TransformInputIteratorIbN2at6native8internal12_GLOBAL__N_110LoadBoolOpEPKhlEEPS6_PKS6_NS0_5tupleIJPbS6_EEENSN_IJSK_SK_EEENS0_18inequality_wrapperINSA_8EqualityEEEPlJS6_EEE10hipError_tPvRmT3_T4_T5_T6_T7_T9_mT8_P12ihipStream_tbDpT10_ENKUlT_T0_E_clISt17integral_constantIbLb1EES1D_IbLb0EEEEDaS19_S1A_EUlS19_E_NS1_11comp_targetILNS1_3genE2ELNS1_11target_archE906ELNS1_3gpuE6ELNS1_3repE0EEENS1_30default_config_static_selectorELNS0_4arch9wavefront6targetE0EEEvT1_.has_dyn_sized_stack, 0
	.set _ZN7rocprim17ROCPRIM_400000_NS6detail17trampoline_kernelINS0_14default_configENS1_25partition_config_selectorILNS1_17partition_subalgoE8EbNS0_10empty_typeEbEEZZNS1_14partition_implILS5_8ELb0ES3_jN6hipcub16HIPCUB_304000_NS22TransformInputIteratorIbN2at6native8internal12_GLOBAL__N_110LoadBoolOpEPKhlEEPS6_PKS6_NS0_5tupleIJPbS6_EEENSN_IJSK_SK_EEENS0_18inequality_wrapperINSA_8EqualityEEEPlJS6_EEE10hipError_tPvRmT3_T4_T5_T6_T7_T9_mT8_P12ihipStream_tbDpT10_ENKUlT_T0_E_clISt17integral_constantIbLb1EES1D_IbLb0EEEEDaS19_S1A_EUlS19_E_NS1_11comp_targetILNS1_3genE2ELNS1_11target_archE906ELNS1_3gpuE6ELNS1_3repE0EEENS1_30default_config_static_selectorELNS0_4arch9wavefront6targetE0EEEvT1_.has_recursion, 0
	.set _ZN7rocprim17ROCPRIM_400000_NS6detail17trampoline_kernelINS0_14default_configENS1_25partition_config_selectorILNS1_17partition_subalgoE8EbNS0_10empty_typeEbEEZZNS1_14partition_implILS5_8ELb0ES3_jN6hipcub16HIPCUB_304000_NS22TransformInputIteratorIbN2at6native8internal12_GLOBAL__N_110LoadBoolOpEPKhlEEPS6_PKS6_NS0_5tupleIJPbS6_EEENSN_IJSK_SK_EEENS0_18inequality_wrapperINSA_8EqualityEEEPlJS6_EEE10hipError_tPvRmT3_T4_T5_T6_T7_T9_mT8_P12ihipStream_tbDpT10_ENKUlT_T0_E_clISt17integral_constantIbLb1EES1D_IbLb0EEEEDaS19_S1A_EUlS19_E_NS1_11comp_targetILNS1_3genE2ELNS1_11target_archE906ELNS1_3gpuE6ELNS1_3repE0EEENS1_30default_config_static_selectorELNS0_4arch9wavefront6targetE0EEEvT1_.has_indirect_call, 0
	.section	.AMDGPU.csdata,"",@progbits
; Kernel info:
; codeLenInByte = 0
; TotalNumSgprs: 0
; NumVgprs: 0
; ScratchSize: 0
; MemoryBound: 0
; FloatMode: 240
; IeeeMode: 1
; LDSByteSize: 0 bytes/workgroup (compile time only)
; SGPRBlocks: 0
; VGPRBlocks: 0
; NumSGPRsForWavesPerEU: 1
; NumVGPRsForWavesPerEU: 1
; NamedBarCnt: 0
; Occupancy: 16
; WaveLimiterHint : 0
; COMPUTE_PGM_RSRC2:SCRATCH_EN: 0
; COMPUTE_PGM_RSRC2:USER_SGPR: 2
; COMPUTE_PGM_RSRC2:TRAP_HANDLER: 0
; COMPUTE_PGM_RSRC2:TGID_X_EN: 1
; COMPUTE_PGM_RSRC2:TGID_Y_EN: 0
; COMPUTE_PGM_RSRC2:TGID_Z_EN: 0
; COMPUTE_PGM_RSRC2:TIDIG_COMP_CNT: 0
	.section	.text._ZN7rocprim17ROCPRIM_400000_NS6detail17trampoline_kernelINS0_14default_configENS1_25partition_config_selectorILNS1_17partition_subalgoE8EbNS0_10empty_typeEbEEZZNS1_14partition_implILS5_8ELb0ES3_jN6hipcub16HIPCUB_304000_NS22TransformInputIteratorIbN2at6native8internal12_GLOBAL__N_110LoadBoolOpEPKhlEEPS6_PKS6_NS0_5tupleIJPbS6_EEENSN_IJSK_SK_EEENS0_18inequality_wrapperINSA_8EqualityEEEPlJS6_EEE10hipError_tPvRmT3_T4_T5_T6_T7_T9_mT8_P12ihipStream_tbDpT10_ENKUlT_T0_E_clISt17integral_constantIbLb1EES1D_IbLb0EEEEDaS19_S1A_EUlS19_E_NS1_11comp_targetILNS1_3genE10ELNS1_11target_archE1200ELNS1_3gpuE4ELNS1_3repE0EEENS1_30default_config_static_selectorELNS0_4arch9wavefront6targetE0EEEvT1_,"axG",@progbits,_ZN7rocprim17ROCPRIM_400000_NS6detail17trampoline_kernelINS0_14default_configENS1_25partition_config_selectorILNS1_17partition_subalgoE8EbNS0_10empty_typeEbEEZZNS1_14partition_implILS5_8ELb0ES3_jN6hipcub16HIPCUB_304000_NS22TransformInputIteratorIbN2at6native8internal12_GLOBAL__N_110LoadBoolOpEPKhlEEPS6_PKS6_NS0_5tupleIJPbS6_EEENSN_IJSK_SK_EEENS0_18inequality_wrapperINSA_8EqualityEEEPlJS6_EEE10hipError_tPvRmT3_T4_T5_T6_T7_T9_mT8_P12ihipStream_tbDpT10_ENKUlT_T0_E_clISt17integral_constantIbLb1EES1D_IbLb0EEEEDaS19_S1A_EUlS19_E_NS1_11comp_targetILNS1_3genE10ELNS1_11target_archE1200ELNS1_3gpuE4ELNS1_3repE0EEENS1_30default_config_static_selectorELNS0_4arch9wavefront6targetE0EEEvT1_,comdat
	.globl	_ZN7rocprim17ROCPRIM_400000_NS6detail17trampoline_kernelINS0_14default_configENS1_25partition_config_selectorILNS1_17partition_subalgoE8EbNS0_10empty_typeEbEEZZNS1_14partition_implILS5_8ELb0ES3_jN6hipcub16HIPCUB_304000_NS22TransformInputIteratorIbN2at6native8internal12_GLOBAL__N_110LoadBoolOpEPKhlEEPS6_PKS6_NS0_5tupleIJPbS6_EEENSN_IJSK_SK_EEENS0_18inequality_wrapperINSA_8EqualityEEEPlJS6_EEE10hipError_tPvRmT3_T4_T5_T6_T7_T9_mT8_P12ihipStream_tbDpT10_ENKUlT_T0_E_clISt17integral_constantIbLb1EES1D_IbLb0EEEEDaS19_S1A_EUlS19_E_NS1_11comp_targetILNS1_3genE10ELNS1_11target_archE1200ELNS1_3gpuE4ELNS1_3repE0EEENS1_30default_config_static_selectorELNS0_4arch9wavefront6targetE0EEEvT1_ ; -- Begin function _ZN7rocprim17ROCPRIM_400000_NS6detail17trampoline_kernelINS0_14default_configENS1_25partition_config_selectorILNS1_17partition_subalgoE8EbNS0_10empty_typeEbEEZZNS1_14partition_implILS5_8ELb0ES3_jN6hipcub16HIPCUB_304000_NS22TransformInputIteratorIbN2at6native8internal12_GLOBAL__N_110LoadBoolOpEPKhlEEPS6_PKS6_NS0_5tupleIJPbS6_EEENSN_IJSK_SK_EEENS0_18inequality_wrapperINSA_8EqualityEEEPlJS6_EEE10hipError_tPvRmT3_T4_T5_T6_T7_T9_mT8_P12ihipStream_tbDpT10_ENKUlT_T0_E_clISt17integral_constantIbLb1EES1D_IbLb0EEEEDaS19_S1A_EUlS19_E_NS1_11comp_targetILNS1_3genE10ELNS1_11target_archE1200ELNS1_3gpuE4ELNS1_3repE0EEENS1_30default_config_static_selectorELNS0_4arch9wavefront6targetE0EEEvT1_
	.p2align	8
	.type	_ZN7rocprim17ROCPRIM_400000_NS6detail17trampoline_kernelINS0_14default_configENS1_25partition_config_selectorILNS1_17partition_subalgoE8EbNS0_10empty_typeEbEEZZNS1_14partition_implILS5_8ELb0ES3_jN6hipcub16HIPCUB_304000_NS22TransformInputIteratorIbN2at6native8internal12_GLOBAL__N_110LoadBoolOpEPKhlEEPS6_PKS6_NS0_5tupleIJPbS6_EEENSN_IJSK_SK_EEENS0_18inequality_wrapperINSA_8EqualityEEEPlJS6_EEE10hipError_tPvRmT3_T4_T5_T6_T7_T9_mT8_P12ihipStream_tbDpT10_ENKUlT_T0_E_clISt17integral_constantIbLb1EES1D_IbLb0EEEEDaS19_S1A_EUlS19_E_NS1_11comp_targetILNS1_3genE10ELNS1_11target_archE1200ELNS1_3gpuE4ELNS1_3repE0EEENS1_30default_config_static_selectorELNS0_4arch9wavefront6targetE0EEEvT1_,@function
_ZN7rocprim17ROCPRIM_400000_NS6detail17trampoline_kernelINS0_14default_configENS1_25partition_config_selectorILNS1_17partition_subalgoE8EbNS0_10empty_typeEbEEZZNS1_14partition_implILS5_8ELb0ES3_jN6hipcub16HIPCUB_304000_NS22TransformInputIteratorIbN2at6native8internal12_GLOBAL__N_110LoadBoolOpEPKhlEEPS6_PKS6_NS0_5tupleIJPbS6_EEENSN_IJSK_SK_EEENS0_18inequality_wrapperINSA_8EqualityEEEPlJS6_EEE10hipError_tPvRmT3_T4_T5_T6_T7_T9_mT8_P12ihipStream_tbDpT10_ENKUlT_T0_E_clISt17integral_constantIbLb1EES1D_IbLb0EEEEDaS19_S1A_EUlS19_E_NS1_11comp_targetILNS1_3genE10ELNS1_11target_archE1200ELNS1_3gpuE4ELNS1_3repE0EEENS1_30default_config_static_selectorELNS0_4arch9wavefront6targetE0EEEvT1_: ; @_ZN7rocprim17ROCPRIM_400000_NS6detail17trampoline_kernelINS0_14default_configENS1_25partition_config_selectorILNS1_17partition_subalgoE8EbNS0_10empty_typeEbEEZZNS1_14partition_implILS5_8ELb0ES3_jN6hipcub16HIPCUB_304000_NS22TransformInputIteratorIbN2at6native8internal12_GLOBAL__N_110LoadBoolOpEPKhlEEPS6_PKS6_NS0_5tupleIJPbS6_EEENSN_IJSK_SK_EEENS0_18inequality_wrapperINSA_8EqualityEEEPlJS6_EEE10hipError_tPvRmT3_T4_T5_T6_T7_T9_mT8_P12ihipStream_tbDpT10_ENKUlT_T0_E_clISt17integral_constantIbLb1EES1D_IbLb0EEEEDaS19_S1A_EUlS19_E_NS1_11comp_targetILNS1_3genE10ELNS1_11target_archE1200ELNS1_3gpuE4ELNS1_3repE0EEENS1_30default_config_static_selectorELNS0_4arch9wavefront6targetE0EEEvT1_
; %bb.0:
	.section	.rodata,"a",@progbits
	.p2align	6, 0x0
	.amdhsa_kernel _ZN7rocprim17ROCPRIM_400000_NS6detail17trampoline_kernelINS0_14default_configENS1_25partition_config_selectorILNS1_17partition_subalgoE8EbNS0_10empty_typeEbEEZZNS1_14partition_implILS5_8ELb0ES3_jN6hipcub16HIPCUB_304000_NS22TransformInputIteratorIbN2at6native8internal12_GLOBAL__N_110LoadBoolOpEPKhlEEPS6_PKS6_NS0_5tupleIJPbS6_EEENSN_IJSK_SK_EEENS0_18inequality_wrapperINSA_8EqualityEEEPlJS6_EEE10hipError_tPvRmT3_T4_T5_T6_T7_T9_mT8_P12ihipStream_tbDpT10_ENKUlT_T0_E_clISt17integral_constantIbLb1EES1D_IbLb0EEEEDaS19_S1A_EUlS19_E_NS1_11comp_targetILNS1_3genE10ELNS1_11target_archE1200ELNS1_3gpuE4ELNS1_3repE0EEENS1_30default_config_static_selectorELNS0_4arch9wavefront6targetE0EEEvT1_
		.amdhsa_group_segment_fixed_size 0
		.amdhsa_private_segment_fixed_size 0
		.amdhsa_kernarg_size 120
		.amdhsa_user_sgpr_count 2
		.amdhsa_user_sgpr_dispatch_ptr 0
		.amdhsa_user_sgpr_queue_ptr 0
		.amdhsa_user_sgpr_kernarg_segment_ptr 1
		.amdhsa_user_sgpr_dispatch_id 0
		.amdhsa_user_sgpr_kernarg_preload_length 0
		.amdhsa_user_sgpr_kernarg_preload_offset 0
		.amdhsa_user_sgpr_private_segment_size 0
		.amdhsa_wavefront_size32 1
		.amdhsa_uses_dynamic_stack 0
		.amdhsa_enable_private_segment 0
		.amdhsa_system_sgpr_workgroup_id_x 1
		.amdhsa_system_sgpr_workgroup_id_y 0
		.amdhsa_system_sgpr_workgroup_id_z 0
		.amdhsa_system_sgpr_workgroup_info 0
		.amdhsa_system_vgpr_workitem_id 0
		.amdhsa_next_free_vgpr 1
		.amdhsa_next_free_sgpr 1
		.amdhsa_named_barrier_count 0
		.amdhsa_reserve_vcc 0
		.amdhsa_float_round_mode_32 0
		.amdhsa_float_round_mode_16_64 0
		.amdhsa_float_denorm_mode_32 3
		.amdhsa_float_denorm_mode_16_64 3
		.amdhsa_fp16_overflow 0
		.amdhsa_memory_ordered 1
		.amdhsa_forward_progress 1
		.amdhsa_inst_pref_size 0
		.amdhsa_round_robin_scheduling 0
		.amdhsa_exception_fp_ieee_invalid_op 0
		.amdhsa_exception_fp_denorm_src 0
		.amdhsa_exception_fp_ieee_div_zero 0
		.amdhsa_exception_fp_ieee_overflow 0
		.amdhsa_exception_fp_ieee_underflow 0
		.amdhsa_exception_fp_ieee_inexact 0
		.amdhsa_exception_int_div_zero 0
	.end_amdhsa_kernel
	.section	.text._ZN7rocprim17ROCPRIM_400000_NS6detail17trampoline_kernelINS0_14default_configENS1_25partition_config_selectorILNS1_17partition_subalgoE8EbNS0_10empty_typeEbEEZZNS1_14partition_implILS5_8ELb0ES3_jN6hipcub16HIPCUB_304000_NS22TransformInputIteratorIbN2at6native8internal12_GLOBAL__N_110LoadBoolOpEPKhlEEPS6_PKS6_NS0_5tupleIJPbS6_EEENSN_IJSK_SK_EEENS0_18inequality_wrapperINSA_8EqualityEEEPlJS6_EEE10hipError_tPvRmT3_T4_T5_T6_T7_T9_mT8_P12ihipStream_tbDpT10_ENKUlT_T0_E_clISt17integral_constantIbLb1EES1D_IbLb0EEEEDaS19_S1A_EUlS19_E_NS1_11comp_targetILNS1_3genE10ELNS1_11target_archE1200ELNS1_3gpuE4ELNS1_3repE0EEENS1_30default_config_static_selectorELNS0_4arch9wavefront6targetE0EEEvT1_,"axG",@progbits,_ZN7rocprim17ROCPRIM_400000_NS6detail17trampoline_kernelINS0_14default_configENS1_25partition_config_selectorILNS1_17partition_subalgoE8EbNS0_10empty_typeEbEEZZNS1_14partition_implILS5_8ELb0ES3_jN6hipcub16HIPCUB_304000_NS22TransformInputIteratorIbN2at6native8internal12_GLOBAL__N_110LoadBoolOpEPKhlEEPS6_PKS6_NS0_5tupleIJPbS6_EEENSN_IJSK_SK_EEENS0_18inequality_wrapperINSA_8EqualityEEEPlJS6_EEE10hipError_tPvRmT3_T4_T5_T6_T7_T9_mT8_P12ihipStream_tbDpT10_ENKUlT_T0_E_clISt17integral_constantIbLb1EES1D_IbLb0EEEEDaS19_S1A_EUlS19_E_NS1_11comp_targetILNS1_3genE10ELNS1_11target_archE1200ELNS1_3gpuE4ELNS1_3repE0EEENS1_30default_config_static_selectorELNS0_4arch9wavefront6targetE0EEEvT1_,comdat
.Lfunc_end36:
	.size	_ZN7rocprim17ROCPRIM_400000_NS6detail17trampoline_kernelINS0_14default_configENS1_25partition_config_selectorILNS1_17partition_subalgoE8EbNS0_10empty_typeEbEEZZNS1_14partition_implILS5_8ELb0ES3_jN6hipcub16HIPCUB_304000_NS22TransformInputIteratorIbN2at6native8internal12_GLOBAL__N_110LoadBoolOpEPKhlEEPS6_PKS6_NS0_5tupleIJPbS6_EEENSN_IJSK_SK_EEENS0_18inequality_wrapperINSA_8EqualityEEEPlJS6_EEE10hipError_tPvRmT3_T4_T5_T6_T7_T9_mT8_P12ihipStream_tbDpT10_ENKUlT_T0_E_clISt17integral_constantIbLb1EES1D_IbLb0EEEEDaS19_S1A_EUlS19_E_NS1_11comp_targetILNS1_3genE10ELNS1_11target_archE1200ELNS1_3gpuE4ELNS1_3repE0EEENS1_30default_config_static_selectorELNS0_4arch9wavefront6targetE0EEEvT1_, .Lfunc_end36-_ZN7rocprim17ROCPRIM_400000_NS6detail17trampoline_kernelINS0_14default_configENS1_25partition_config_selectorILNS1_17partition_subalgoE8EbNS0_10empty_typeEbEEZZNS1_14partition_implILS5_8ELb0ES3_jN6hipcub16HIPCUB_304000_NS22TransformInputIteratorIbN2at6native8internal12_GLOBAL__N_110LoadBoolOpEPKhlEEPS6_PKS6_NS0_5tupleIJPbS6_EEENSN_IJSK_SK_EEENS0_18inequality_wrapperINSA_8EqualityEEEPlJS6_EEE10hipError_tPvRmT3_T4_T5_T6_T7_T9_mT8_P12ihipStream_tbDpT10_ENKUlT_T0_E_clISt17integral_constantIbLb1EES1D_IbLb0EEEEDaS19_S1A_EUlS19_E_NS1_11comp_targetILNS1_3genE10ELNS1_11target_archE1200ELNS1_3gpuE4ELNS1_3repE0EEENS1_30default_config_static_selectorELNS0_4arch9wavefront6targetE0EEEvT1_
                                        ; -- End function
	.set _ZN7rocprim17ROCPRIM_400000_NS6detail17trampoline_kernelINS0_14default_configENS1_25partition_config_selectorILNS1_17partition_subalgoE8EbNS0_10empty_typeEbEEZZNS1_14partition_implILS5_8ELb0ES3_jN6hipcub16HIPCUB_304000_NS22TransformInputIteratorIbN2at6native8internal12_GLOBAL__N_110LoadBoolOpEPKhlEEPS6_PKS6_NS0_5tupleIJPbS6_EEENSN_IJSK_SK_EEENS0_18inequality_wrapperINSA_8EqualityEEEPlJS6_EEE10hipError_tPvRmT3_T4_T5_T6_T7_T9_mT8_P12ihipStream_tbDpT10_ENKUlT_T0_E_clISt17integral_constantIbLb1EES1D_IbLb0EEEEDaS19_S1A_EUlS19_E_NS1_11comp_targetILNS1_3genE10ELNS1_11target_archE1200ELNS1_3gpuE4ELNS1_3repE0EEENS1_30default_config_static_selectorELNS0_4arch9wavefront6targetE0EEEvT1_.num_vgpr, 0
	.set _ZN7rocprim17ROCPRIM_400000_NS6detail17trampoline_kernelINS0_14default_configENS1_25partition_config_selectorILNS1_17partition_subalgoE8EbNS0_10empty_typeEbEEZZNS1_14partition_implILS5_8ELb0ES3_jN6hipcub16HIPCUB_304000_NS22TransformInputIteratorIbN2at6native8internal12_GLOBAL__N_110LoadBoolOpEPKhlEEPS6_PKS6_NS0_5tupleIJPbS6_EEENSN_IJSK_SK_EEENS0_18inequality_wrapperINSA_8EqualityEEEPlJS6_EEE10hipError_tPvRmT3_T4_T5_T6_T7_T9_mT8_P12ihipStream_tbDpT10_ENKUlT_T0_E_clISt17integral_constantIbLb1EES1D_IbLb0EEEEDaS19_S1A_EUlS19_E_NS1_11comp_targetILNS1_3genE10ELNS1_11target_archE1200ELNS1_3gpuE4ELNS1_3repE0EEENS1_30default_config_static_selectorELNS0_4arch9wavefront6targetE0EEEvT1_.num_agpr, 0
	.set _ZN7rocprim17ROCPRIM_400000_NS6detail17trampoline_kernelINS0_14default_configENS1_25partition_config_selectorILNS1_17partition_subalgoE8EbNS0_10empty_typeEbEEZZNS1_14partition_implILS5_8ELb0ES3_jN6hipcub16HIPCUB_304000_NS22TransformInputIteratorIbN2at6native8internal12_GLOBAL__N_110LoadBoolOpEPKhlEEPS6_PKS6_NS0_5tupleIJPbS6_EEENSN_IJSK_SK_EEENS0_18inequality_wrapperINSA_8EqualityEEEPlJS6_EEE10hipError_tPvRmT3_T4_T5_T6_T7_T9_mT8_P12ihipStream_tbDpT10_ENKUlT_T0_E_clISt17integral_constantIbLb1EES1D_IbLb0EEEEDaS19_S1A_EUlS19_E_NS1_11comp_targetILNS1_3genE10ELNS1_11target_archE1200ELNS1_3gpuE4ELNS1_3repE0EEENS1_30default_config_static_selectorELNS0_4arch9wavefront6targetE0EEEvT1_.numbered_sgpr, 0
	.set _ZN7rocprim17ROCPRIM_400000_NS6detail17trampoline_kernelINS0_14default_configENS1_25partition_config_selectorILNS1_17partition_subalgoE8EbNS0_10empty_typeEbEEZZNS1_14partition_implILS5_8ELb0ES3_jN6hipcub16HIPCUB_304000_NS22TransformInputIteratorIbN2at6native8internal12_GLOBAL__N_110LoadBoolOpEPKhlEEPS6_PKS6_NS0_5tupleIJPbS6_EEENSN_IJSK_SK_EEENS0_18inequality_wrapperINSA_8EqualityEEEPlJS6_EEE10hipError_tPvRmT3_T4_T5_T6_T7_T9_mT8_P12ihipStream_tbDpT10_ENKUlT_T0_E_clISt17integral_constantIbLb1EES1D_IbLb0EEEEDaS19_S1A_EUlS19_E_NS1_11comp_targetILNS1_3genE10ELNS1_11target_archE1200ELNS1_3gpuE4ELNS1_3repE0EEENS1_30default_config_static_selectorELNS0_4arch9wavefront6targetE0EEEvT1_.num_named_barrier, 0
	.set _ZN7rocprim17ROCPRIM_400000_NS6detail17trampoline_kernelINS0_14default_configENS1_25partition_config_selectorILNS1_17partition_subalgoE8EbNS0_10empty_typeEbEEZZNS1_14partition_implILS5_8ELb0ES3_jN6hipcub16HIPCUB_304000_NS22TransformInputIteratorIbN2at6native8internal12_GLOBAL__N_110LoadBoolOpEPKhlEEPS6_PKS6_NS0_5tupleIJPbS6_EEENSN_IJSK_SK_EEENS0_18inequality_wrapperINSA_8EqualityEEEPlJS6_EEE10hipError_tPvRmT3_T4_T5_T6_T7_T9_mT8_P12ihipStream_tbDpT10_ENKUlT_T0_E_clISt17integral_constantIbLb1EES1D_IbLb0EEEEDaS19_S1A_EUlS19_E_NS1_11comp_targetILNS1_3genE10ELNS1_11target_archE1200ELNS1_3gpuE4ELNS1_3repE0EEENS1_30default_config_static_selectorELNS0_4arch9wavefront6targetE0EEEvT1_.private_seg_size, 0
	.set _ZN7rocprim17ROCPRIM_400000_NS6detail17trampoline_kernelINS0_14default_configENS1_25partition_config_selectorILNS1_17partition_subalgoE8EbNS0_10empty_typeEbEEZZNS1_14partition_implILS5_8ELb0ES3_jN6hipcub16HIPCUB_304000_NS22TransformInputIteratorIbN2at6native8internal12_GLOBAL__N_110LoadBoolOpEPKhlEEPS6_PKS6_NS0_5tupleIJPbS6_EEENSN_IJSK_SK_EEENS0_18inequality_wrapperINSA_8EqualityEEEPlJS6_EEE10hipError_tPvRmT3_T4_T5_T6_T7_T9_mT8_P12ihipStream_tbDpT10_ENKUlT_T0_E_clISt17integral_constantIbLb1EES1D_IbLb0EEEEDaS19_S1A_EUlS19_E_NS1_11comp_targetILNS1_3genE10ELNS1_11target_archE1200ELNS1_3gpuE4ELNS1_3repE0EEENS1_30default_config_static_selectorELNS0_4arch9wavefront6targetE0EEEvT1_.uses_vcc, 0
	.set _ZN7rocprim17ROCPRIM_400000_NS6detail17trampoline_kernelINS0_14default_configENS1_25partition_config_selectorILNS1_17partition_subalgoE8EbNS0_10empty_typeEbEEZZNS1_14partition_implILS5_8ELb0ES3_jN6hipcub16HIPCUB_304000_NS22TransformInputIteratorIbN2at6native8internal12_GLOBAL__N_110LoadBoolOpEPKhlEEPS6_PKS6_NS0_5tupleIJPbS6_EEENSN_IJSK_SK_EEENS0_18inequality_wrapperINSA_8EqualityEEEPlJS6_EEE10hipError_tPvRmT3_T4_T5_T6_T7_T9_mT8_P12ihipStream_tbDpT10_ENKUlT_T0_E_clISt17integral_constantIbLb1EES1D_IbLb0EEEEDaS19_S1A_EUlS19_E_NS1_11comp_targetILNS1_3genE10ELNS1_11target_archE1200ELNS1_3gpuE4ELNS1_3repE0EEENS1_30default_config_static_selectorELNS0_4arch9wavefront6targetE0EEEvT1_.uses_flat_scratch, 0
	.set _ZN7rocprim17ROCPRIM_400000_NS6detail17trampoline_kernelINS0_14default_configENS1_25partition_config_selectorILNS1_17partition_subalgoE8EbNS0_10empty_typeEbEEZZNS1_14partition_implILS5_8ELb0ES3_jN6hipcub16HIPCUB_304000_NS22TransformInputIteratorIbN2at6native8internal12_GLOBAL__N_110LoadBoolOpEPKhlEEPS6_PKS6_NS0_5tupleIJPbS6_EEENSN_IJSK_SK_EEENS0_18inequality_wrapperINSA_8EqualityEEEPlJS6_EEE10hipError_tPvRmT3_T4_T5_T6_T7_T9_mT8_P12ihipStream_tbDpT10_ENKUlT_T0_E_clISt17integral_constantIbLb1EES1D_IbLb0EEEEDaS19_S1A_EUlS19_E_NS1_11comp_targetILNS1_3genE10ELNS1_11target_archE1200ELNS1_3gpuE4ELNS1_3repE0EEENS1_30default_config_static_selectorELNS0_4arch9wavefront6targetE0EEEvT1_.has_dyn_sized_stack, 0
	.set _ZN7rocprim17ROCPRIM_400000_NS6detail17trampoline_kernelINS0_14default_configENS1_25partition_config_selectorILNS1_17partition_subalgoE8EbNS0_10empty_typeEbEEZZNS1_14partition_implILS5_8ELb0ES3_jN6hipcub16HIPCUB_304000_NS22TransformInputIteratorIbN2at6native8internal12_GLOBAL__N_110LoadBoolOpEPKhlEEPS6_PKS6_NS0_5tupleIJPbS6_EEENSN_IJSK_SK_EEENS0_18inequality_wrapperINSA_8EqualityEEEPlJS6_EEE10hipError_tPvRmT3_T4_T5_T6_T7_T9_mT8_P12ihipStream_tbDpT10_ENKUlT_T0_E_clISt17integral_constantIbLb1EES1D_IbLb0EEEEDaS19_S1A_EUlS19_E_NS1_11comp_targetILNS1_3genE10ELNS1_11target_archE1200ELNS1_3gpuE4ELNS1_3repE0EEENS1_30default_config_static_selectorELNS0_4arch9wavefront6targetE0EEEvT1_.has_recursion, 0
	.set _ZN7rocprim17ROCPRIM_400000_NS6detail17trampoline_kernelINS0_14default_configENS1_25partition_config_selectorILNS1_17partition_subalgoE8EbNS0_10empty_typeEbEEZZNS1_14partition_implILS5_8ELb0ES3_jN6hipcub16HIPCUB_304000_NS22TransformInputIteratorIbN2at6native8internal12_GLOBAL__N_110LoadBoolOpEPKhlEEPS6_PKS6_NS0_5tupleIJPbS6_EEENSN_IJSK_SK_EEENS0_18inequality_wrapperINSA_8EqualityEEEPlJS6_EEE10hipError_tPvRmT3_T4_T5_T6_T7_T9_mT8_P12ihipStream_tbDpT10_ENKUlT_T0_E_clISt17integral_constantIbLb1EES1D_IbLb0EEEEDaS19_S1A_EUlS19_E_NS1_11comp_targetILNS1_3genE10ELNS1_11target_archE1200ELNS1_3gpuE4ELNS1_3repE0EEENS1_30default_config_static_selectorELNS0_4arch9wavefront6targetE0EEEvT1_.has_indirect_call, 0
	.section	.AMDGPU.csdata,"",@progbits
; Kernel info:
; codeLenInByte = 0
; TotalNumSgprs: 0
; NumVgprs: 0
; ScratchSize: 0
; MemoryBound: 0
; FloatMode: 240
; IeeeMode: 1
; LDSByteSize: 0 bytes/workgroup (compile time only)
; SGPRBlocks: 0
; VGPRBlocks: 0
; NumSGPRsForWavesPerEU: 1
; NumVGPRsForWavesPerEU: 1
; NamedBarCnt: 0
; Occupancy: 16
; WaveLimiterHint : 0
; COMPUTE_PGM_RSRC2:SCRATCH_EN: 0
; COMPUTE_PGM_RSRC2:USER_SGPR: 2
; COMPUTE_PGM_RSRC2:TRAP_HANDLER: 0
; COMPUTE_PGM_RSRC2:TGID_X_EN: 1
; COMPUTE_PGM_RSRC2:TGID_Y_EN: 0
; COMPUTE_PGM_RSRC2:TGID_Z_EN: 0
; COMPUTE_PGM_RSRC2:TIDIG_COMP_CNT: 0
	.section	.text._ZN7rocprim17ROCPRIM_400000_NS6detail17trampoline_kernelINS0_14default_configENS1_25partition_config_selectorILNS1_17partition_subalgoE8EbNS0_10empty_typeEbEEZZNS1_14partition_implILS5_8ELb0ES3_jN6hipcub16HIPCUB_304000_NS22TransformInputIteratorIbN2at6native8internal12_GLOBAL__N_110LoadBoolOpEPKhlEEPS6_PKS6_NS0_5tupleIJPbS6_EEENSN_IJSK_SK_EEENS0_18inequality_wrapperINSA_8EqualityEEEPlJS6_EEE10hipError_tPvRmT3_T4_T5_T6_T7_T9_mT8_P12ihipStream_tbDpT10_ENKUlT_T0_E_clISt17integral_constantIbLb1EES1D_IbLb0EEEEDaS19_S1A_EUlS19_E_NS1_11comp_targetILNS1_3genE9ELNS1_11target_archE1100ELNS1_3gpuE3ELNS1_3repE0EEENS1_30default_config_static_selectorELNS0_4arch9wavefront6targetE0EEEvT1_,"axG",@progbits,_ZN7rocprim17ROCPRIM_400000_NS6detail17trampoline_kernelINS0_14default_configENS1_25partition_config_selectorILNS1_17partition_subalgoE8EbNS0_10empty_typeEbEEZZNS1_14partition_implILS5_8ELb0ES3_jN6hipcub16HIPCUB_304000_NS22TransformInputIteratorIbN2at6native8internal12_GLOBAL__N_110LoadBoolOpEPKhlEEPS6_PKS6_NS0_5tupleIJPbS6_EEENSN_IJSK_SK_EEENS0_18inequality_wrapperINSA_8EqualityEEEPlJS6_EEE10hipError_tPvRmT3_T4_T5_T6_T7_T9_mT8_P12ihipStream_tbDpT10_ENKUlT_T0_E_clISt17integral_constantIbLb1EES1D_IbLb0EEEEDaS19_S1A_EUlS19_E_NS1_11comp_targetILNS1_3genE9ELNS1_11target_archE1100ELNS1_3gpuE3ELNS1_3repE0EEENS1_30default_config_static_selectorELNS0_4arch9wavefront6targetE0EEEvT1_,comdat
	.globl	_ZN7rocprim17ROCPRIM_400000_NS6detail17trampoline_kernelINS0_14default_configENS1_25partition_config_selectorILNS1_17partition_subalgoE8EbNS0_10empty_typeEbEEZZNS1_14partition_implILS5_8ELb0ES3_jN6hipcub16HIPCUB_304000_NS22TransformInputIteratorIbN2at6native8internal12_GLOBAL__N_110LoadBoolOpEPKhlEEPS6_PKS6_NS0_5tupleIJPbS6_EEENSN_IJSK_SK_EEENS0_18inequality_wrapperINSA_8EqualityEEEPlJS6_EEE10hipError_tPvRmT3_T4_T5_T6_T7_T9_mT8_P12ihipStream_tbDpT10_ENKUlT_T0_E_clISt17integral_constantIbLb1EES1D_IbLb0EEEEDaS19_S1A_EUlS19_E_NS1_11comp_targetILNS1_3genE9ELNS1_11target_archE1100ELNS1_3gpuE3ELNS1_3repE0EEENS1_30default_config_static_selectorELNS0_4arch9wavefront6targetE0EEEvT1_ ; -- Begin function _ZN7rocprim17ROCPRIM_400000_NS6detail17trampoline_kernelINS0_14default_configENS1_25partition_config_selectorILNS1_17partition_subalgoE8EbNS0_10empty_typeEbEEZZNS1_14partition_implILS5_8ELb0ES3_jN6hipcub16HIPCUB_304000_NS22TransformInputIteratorIbN2at6native8internal12_GLOBAL__N_110LoadBoolOpEPKhlEEPS6_PKS6_NS0_5tupleIJPbS6_EEENSN_IJSK_SK_EEENS0_18inequality_wrapperINSA_8EqualityEEEPlJS6_EEE10hipError_tPvRmT3_T4_T5_T6_T7_T9_mT8_P12ihipStream_tbDpT10_ENKUlT_T0_E_clISt17integral_constantIbLb1EES1D_IbLb0EEEEDaS19_S1A_EUlS19_E_NS1_11comp_targetILNS1_3genE9ELNS1_11target_archE1100ELNS1_3gpuE3ELNS1_3repE0EEENS1_30default_config_static_selectorELNS0_4arch9wavefront6targetE0EEEvT1_
	.p2align	8
	.type	_ZN7rocprim17ROCPRIM_400000_NS6detail17trampoline_kernelINS0_14default_configENS1_25partition_config_selectorILNS1_17partition_subalgoE8EbNS0_10empty_typeEbEEZZNS1_14partition_implILS5_8ELb0ES3_jN6hipcub16HIPCUB_304000_NS22TransformInputIteratorIbN2at6native8internal12_GLOBAL__N_110LoadBoolOpEPKhlEEPS6_PKS6_NS0_5tupleIJPbS6_EEENSN_IJSK_SK_EEENS0_18inequality_wrapperINSA_8EqualityEEEPlJS6_EEE10hipError_tPvRmT3_T4_T5_T6_T7_T9_mT8_P12ihipStream_tbDpT10_ENKUlT_T0_E_clISt17integral_constantIbLb1EES1D_IbLb0EEEEDaS19_S1A_EUlS19_E_NS1_11comp_targetILNS1_3genE9ELNS1_11target_archE1100ELNS1_3gpuE3ELNS1_3repE0EEENS1_30default_config_static_selectorELNS0_4arch9wavefront6targetE0EEEvT1_,@function
_ZN7rocprim17ROCPRIM_400000_NS6detail17trampoline_kernelINS0_14default_configENS1_25partition_config_selectorILNS1_17partition_subalgoE8EbNS0_10empty_typeEbEEZZNS1_14partition_implILS5_8ELb0ES3_jN6hipcub16HIPCUB_304000_NS22TransformInputIteratorIbN2at6native8internal12_GLOBAL__N_110LoadBoolOpEPKhlEEPS6_PKS6_NS0_5tupleIJPbS6_EEENSN_IJSK_SK_EEENS0_18inequality_wrapperINSA_8EqualityEEEPlJS6_EEE10hipError_tPvRmT3_T4_T5_T6_T7_T9_mT8_P12ihipStream_tbDpT10_ENKUlT_T0_E_clISt17integral_constantIbLb1EES1D_IbLb0EEEEDaS19_S1A_EUlS19_E_NS1_11comp_targetILNS1_3genE9ELNS1_11target_archE1100ELNS1_3gpuE3ELNS1_3repE0EEENS1_30default_config_static_selectorELNS0_4arch9wavefront6targetE0EEEvT1_: ; @_ZN7rocprim17ROCPRIM_400000_NS6detail17trampoline_kernelINS0_14default_configENS1_25partition_config_selectorILNS1_17partition_subalgoE8EbNS0_10empty_typeEbEEZZNS1_14partition_implILS5_8ELb0ES3_jN6hipcub16HIPCUB_304000_NS22TransformInputIteratorIbN2at6native8internal12_GLOBAL__N_110LoadBoolOpEPKhlEEPS6_PKS6_NS0_5tupleIJPbS6_EEENSN_IJSK_SK_EEENS0_18inequality_wrapperINSA_8EqualityEEEPlJS6_EEE10hipError_tPvRmT3_T4_T5_T6_T7_T9_mT8_P12ihipStream_tbDpT10_ENKUlT_T0_E_clISt17integral_constantIbLb1EES1D_IbLb0EEEEDaS19_S1A_EUlS19_E_NS1_11comp_targetILNS1_3genE9ELNS1_11target_archE1100ELNS1_3gpuE3ELNS1_3repE0EEENS1_30default_config_static_selectorELNS0_4arch9wavefront6targetE0EEEvT1_
; %bb.0:
	.section	.rodata,"a",@progbits
	.p2align	6, 0x0
	.amdhsa_kernel _ZN7rocprim17ROCPRIM_400000_NS6detail17trampoline_kernelINS0_14default_configENS1_25partition_config_selectorILNS1_17partition_subalgoE8EbNS0_10empty_typeEbEEZZNS1_14partition_implILS5_8ELb0ES3_jN6hipcub16HIPCUB_304000_NS22TransformInputIteratorIbN2at6native8internal12_GLOBAL__N_110LoadBoolOpEPKhlEEPS6_PKS6_NS0_5tupleIJPbS6_EEENSN_IJSK_SK_EEENS0_18inequality_wrapperINSA_8EqualityEEEPlJS6_EEE10hipError_tPvRmT3_T4_T5_T6_T7_T9_mT8_P12ihipStream_tbDpT10_ENKUlT_T0_E_clISt17integral_constantIbLb1EES1D_IbLb0EEEEDaS19_S1A_EUlS19_E_NS1_11comp_targetILNS1_3genE9ELNS1_11target_archE1100ELNS1_3gpuE3ELNS1_3repE0EEENS1_30default_config_static_selectorELNS0_4arch9wavefront6targetE0EEEvT1_
		.amdhsa_group_segment_fixed_size 0
		.amdhsa_private_segment_fixed_size 0
		.amdhsa_kernarg_size 120
		.amdhsa_user_sgpr_count 2
		.amdhsa_user_sgpr_dispatch_ptr 0
		.amdhsa_user_sgpr_queue_ptr 0
		.amdhsa_user_sgpr_kernarg_segment_ptr 1
		.amdhsa_user_sgpr_dispatch_id 0
		.amdhsa_user_sgpr_kernarg_preload_length 0
		.amdhsa_user_sgpr_kernarg_preload_offset 0
		.amdhsa_user_sgpr_private_segment_size 0
		.amdhsa_wavefront_size32 1
		.amdhsa_uses_dynamic_stack 0
		.amdhsa_enable_private_segment 0
		.amdhsa_system_sgpr_workgroup_id_x 1
		.amdhsa_system_sgpr_workgroup_id_y 0
		.amdhsa_system_sgpr_workgroup_id_z 0
		.amdhsa_system_sgpr_workgroup_info 0
		.amdhsa_system_vgpr_workitem_id 0
		.amdhsa_next_free_vgpr 1
		.amdhsa_next_free_sgpr 1
		.amdhsa_named_barrier_count 0
		.amdhsa_reserve_vcc 0
		.amdhsa_float_round_mode_32 0
		.amdhsa_float_round_mode_16_64 0
		.amdhsa_float_denorm_mode_32 3
		.amdhsa_float_denorm_mode_16_64 3
		.amdhsa_fp16_overflow 0
		.amdhsa_memory_ordered 1
		.amdhsa_forward_progress 1
		.amdhsa_inst_pref_size 0
		.amdhsa_round_robin_scheduling 0
		.amdhsa_exception_fp_ieee_invalid_op 0
		.amdhsa_exception_fp_denorm_src 0
		.amdhsa_exception_fp_ieee_div_zero 0
		.amdhsa_exception_fp_ieee_overflow 0
		.amdhsa_exception_fp_ieee_underflow 0
		.amdhsa_exception_fp_ieee_inexact 0
		.amdhsa_exception_int_div_zero 0
	.end_amdhsa_kernel
	.section	.text._ZN7rocprim17ROCPRIM_400000_NS6detail17trampoline_kernelINS0_14default_configENS1_25partition_config_selectorILNS1_17partition_subalgoE8EbNS0_10empty_typeEbEEZZNS1_14partition_implILS5_8ELb0ES3_jN6hipcub16HIPCUB_304000_NS22TransformInputIteratorIbN2at6native8internal12_GLOBAL__N_110LoadBoolOpEPKhlEEPS6_PKS6_NS0_5tupleIJPbS6_EEENSN_IJSK_SK_EEENS0_18inequality_wrapperINSA_8EqualityEEEPlJS6_EEE10hipError_tPvRmT3_T4_T5_T6_T7_T9_mT8_P12ihipStream_tbDpT10_ENKUlT_T0_E_clISt17integral_constantIbLb1EES1D_IbLb0EEEEDaS19_S1A_EUlS19_E_NS1_11comp_targetILNS1_3genE9ELNS1_11target_archE1100ELNS1_3gpuE3ELNS1_3repE0EEENS1_30default_config_static_selectorELNS0_4arch9wavefront6targetE0EEEvT1_,"axG",@progbits,_ZN7rocprim17ROCPRIM_400000_NS6detail17trampoline_kernelINS0_14default_configENS1_25partition_config_selectorILNS1_17partition_subalgoE8EbNS0_10empty_typeEbEEZZNS1_14partition_implILS5_8ELb0ES3_jN6hipcub16HIPCUB_304000_NS22TransformInputIteratorIbN2at6native8internal12_GLOBAL__N_110LoadBoolOpEPKhlEEPS6_PKS6_NS0_5tupleIJPbS6_EEENSN_IJSK_SK_EEENS0_18inequality_wrapperINSA_8EqualityEEEPlJS6_EEE10hipError_tPvRmT3_T4_T5_T6_T7_T9_mT8_P12ihipStream_tbDpT10_ENKUlT_T0_E_clISt17integral_constantIbLb1EES1D_IbLb0EEEEDaS19_S1A_EUlS19_E_NS1_11comp_targetILNS1_3genE9ELNS1_11target_archE1100ELNS1_3gpuE3ELNS1_3repE0EEENS1_30default_config_static_selectorELNS0_4arch9wavefront6targetE0EEEvT1_,comdat
.Lfunc_end37:
	.size	_ZN7rocprim17ROCPRIM_400000_NS6detail17trampoline_kernelINS0_14default_configENS1_25partition_config_selectorILNS1_17partition_subalgoE8EbNS0_10empty_typeEbEEZZNS1_14partition_implILS5_8ELb0ES3_jN6hipcub16HIPCUB_304000_NS22TransformInputIteratorIbN2at6native8internal12_GLOBAL__N_110LoadBoolOpEPKhlEEPS6_PKS6_NS0_5tupleIJPbS6_EEENSN_IJSK_SK_EEENS0_18inequality_wrapperINSA_8EqualityEEEPlJS6_EEE10hipError_tPvRmT3_T4_T5_T6_T7_T9_mT8_P12ihipStream_tbDpT10_ENKUlT_T0_E_clISt17integral_constantIbLb1EES1D_IbLb0EEEEDaS19_S1A_EUlS19_E_NS1_11comp_targetILNS1_3genE9ELNS1_11target_archE1100ELNS1_3gpuE3ELNS1_3repE0EEENS1_30default_config_static_selectorELNS0_4arch9wavefront6targetE0EEEvT1_, .Lfunc_end37-_ZN7rocprim17ROCPRIM_400000_NS6detail17trampoline_kernelINS0_14default_configENS1_25partition_config_selectorILNS1_17partition_subalgoE8EbNS0_10empty_typeEbEEZZNS1_14partition_implILS5_8ELb0ES3_jN6hipcub16HIPCUB_304000_NS22TransformInputIteratorIbN2at6native8internal12_GLOBAL__N_110LoadBoolOpEPKhlEEPS6_PKS6_NS0_5tupleIJPbS6_EEENSN_IJSK_SK_EEENS0_18inequality_wrapperINSA_8EqualityEEEPlJS6_EEE10hipError_tPvRmT3_T4_T5_T6_T7_T9_mT8_P12ihipStream_tbDpT10_ENKUlT_T0_E_clISt17integral_constantIbLb1EES1D_IbLb0EEEEDaS19_S1A_EUlS19_E_NS1_11comp_targetILNS1_3genE9ELNS1_11target_archE1100ELNS1_3gpuE3ELNS1_3repE0EEENS1_30default_config_static_selectorELNS0_4arch9wavefront6targetE0EEEvT1_
                                        ; -- End function
	.set _ZN7rocprim17ROCPRIM_400000_NS6detail17trampoline_kernelINS0_14default_configENS1_25partition_config_selectorILNS1_17partition_subalgoE8EbNS0_10empty_typeEbEEZZNS1_14partition_implILS5_8ELb0ES3_jN6hipcub16HIPCUB_304000_NS22TransformInputIteratorIbN2at6native8internal12_GLOBAL__N_110LoadBoolOpEPKhlEEPS6_PKS6_NS0_5tupleIJPbS6_EEENSN_IJSK_SK_EEENS0_18inequality_wrapperINSA_8EqualityEEEPlJS6_EEE10hipError_tPvRmT3_T4_T5_T6_T7_T9_mT8_P12ihipStream_tbDpT10_ENKUlT_T0_E_clISt17integral_constantIbLb1EES1D_IbLb0EEEEDaS19_S1A_EUlS19_E_NS1_11comp_targetILNS1_3genE9ELNS1_11target_archE1100ELNS1_3gpuE3ELNS1_3repE0EEENS1_30default_config_static_selectorELNS0_4arch9wavefront6targetE0EEEvT1_.num_vgpr, 0
	.set _ZN7rocprim17ROCPRIM_400000_NS6detail17trampoline_kernelINS0_14default_configENS1_25partition_config_selectorILNS1_17partition_subalgoE8EbNS0_10empty_typeEbEEZZNS1_14partition_implILS5_8ELb0ES3_jN6hipcub16HIPCUB_304000_NS22TransformInputIteratorIbN2at6native8internal12_GLOBAL__N_110LoadBoolOpEPKhlEEPS6_PKS6_NS0_5tupleIJPbS6_EEENSN_IJSK_SK_EEENS0_18inequality_wrapperINSA_8EqualityEEEPlJS6_EEE10hipError_tPvRmT3_T4_T5_T6_T7_T9_mT8_P12ihipStream_tbDpT10_ENKUlT_T0_E_clISt17integral_constantIbLb1EES1D_IbLb0EEEEDaS19_S1A_EUlS19_E_NS1_11comp_targetILNS1_3genE9ELNS1_11target_archE1100ELNS1_3gpuE3ELNS1_3repE0EEENS1_30default_config_static_selectorELNS0_4arch9wavefront6targetE0EEEvT1_.num_agpr, 0
	.set _ZN7rocprim17ROCPRIM_400000_NS6detail17trampoline_kernelINS0_14default_configENS1_25partition_config_selectorILNS1_17partition_subalgoE8EbNS0_10empty_typeEbEEZZNS1_14partition_implILS5_8ELb0ES3_jN6hipcub16HIPCUB_304000_NS22TransformInputIteratorIbN2at6native8internal12_GLOBAL__N_110LoadBoolOpEPKhlEEPS6_PKS6_NS0_5tupleIJPbS6_EEENSN_IJSK_SK_EEENS0_18inequality_wrapperINSA_8EqualityEEEPlJS6_EEE10hipError_tPvRmT3_T4_T5_T6_T7_T9_mT8_P12ihipStream_tbDpT10_ENKUlT_T0_E_clISt17integral_constantIbLb1EES1D_IbLb0EEEEDaS19_S1A_EUlS19_E_NS1_11comp_targetILNS1_3genE9ELNS1_11target_archE1100ELNS1_3gpuE3ELNS1_3repE0EEENS1_30default_config_static_selectorELNS0_4arch9wavefront6targetE0EEEvT1_.numbered_sgpr, 0
	.set _ZN7rocprim17ROCPRIM_400000_NS6detail17trampoline_kernelINS0_14default_configENS1_25partition_config_selectorILNS1_17partition_subalgoE8EbNS0_10empty_typeEbEEZZNS1_14partition_implILS5_8ELb0ES3_jN6hipcub16HIPCUB_304000_NS22TransformInputIteratorIbN2at6native8internal12_GLOBAL__N_110LoadBoolOpEPKhlEEPS6_PKS6_NS0_5tupleIJPbS6_EEENSN_IJSK_SK_EEENS0_18inequality_wrapperINSA_8EqualityEEEPlJS6_EEE10hipError_tPvRmT3_T4_T5_T6_T7_T9_mT8_P12ihipStream_tbDpT10_ENKUlT_T0_E_clISt17integral_constantIbLb1EES1D_IbLb0EEEEDaS19_S1A_EUlS19_E_NS1_11comp_targetILNS1_3genE9ELNS1_11target_archE1100ELNS1_3gpuE3ELNS1_3repE0EEENS1_30default_config_static_selectorELNS0_4arch9wavefront6targetE0EEEvT1_.num_named_barrier, 0
	.set _ZN7rocprim17ROCPRIM_400000_NS6detail17trampoline_kernelINS0_14default_configENS1_25partition_config_selectorILNS1_17partition_subalgoE8EbNS0_10empty_typeEbEEZZNS1_14partition_implILS5_8ELb0ES3_jN6hipcub16HIPCUB_304000_NS22TransformInputIteratorIbN2at6native8internal12_GLOBAL__N_110LoadBoolOpEPKhlEEPS6_PKS6_NS0_5tupleIJPbS6_EEENSN_IJSK_SK_EEENS0_18inequality_wrapperINSA_8EqualityEEEPlJS6_EEE10hipError_tPvRmT3_T4_T5_T6_T7_T9_mT8_P12ihipStream_tbDpT10_ENKUlT_T0_E_clISt17integral_constantIbLb1EES1D_IbLb0EEEEDaS19_S1A_EUlS19_E_NS1_11comp_targetILNS1_3genE9ELNS1_11target_archE1100ELNS1_3gpuE3ELNS1_3repE0EEENS1_30default_config_static_selectorELNS0_4arch9wavefront6targetE0EEEvT1_.private_seg_size, 0
	.set _ZN7rocprim17ROCPRIM_400000_NS6detail17trampoline_kernelINS0_14default_configENS1_25partition_config_selectorILNS1_17partition_subalgoE8EbNS0_10empty_typeEbEEZZNS1_14partition_implILS5_8ELb0ES3_jN6hipcub16HIPCUB_304000_NS22TransformInputIteratorIbN2at6native8internal12_GLOBAL__N_110LoadBoolOpEPKhlEEPS6_PKS6_NS0_5tupleIJPbS6_EEENSN_IJSK_SK_EEENS0_18inequality_wrapperINSA_8EqualityEEEPlJS6_EEE10hipError_tPvRmT3_T4_T5_T6_T7_T9_mT8_P12ihipStream_tbDpT10_ENKUlT_T0_E_clISt17integral_constantIbLb1EES1D_IbLb0EEEEDaS19_S1A_EUlS19_E_NS1_11comp_targetILNS1_3genE9ELNS1_11target_archE1100ELNS1_3gpuE3ELNS1_3repE0EEENS1_30default_config_static_selectorELNS0_4arch9wavefront6targetE0EEEvT1_.uses_vcc, 0
	.set _ZN7rocprim17ROCPRIM_400000_NS6detail17trampoline_kernelINS0_14default_configENS1_25partition_config_selectorILNS1_17partition_subalgoE8EbNS0_10empty_typeEbEEZZNS1_14partition_implILS5_8ELb0ES3_jN6hipcub16HIPCUB_304000_NS22TransformInputIteratorIbN2at6native8internal12_GLOBAL__N_110LoadBoolOpEPKhlEEPS6_PKS6_NS0_5tupleIJPbS6_EEENSN_IJSK_SK_EEENS0_18inequality_wrapperINSA_8EqualityEEEPlJS6_EEE10hipError_tPvRmT3_T4_T5_T6_T7_T9_mT8_P12ihipStream_tbDpT10_ENKUlT_T0_E_clISt17integral_constantIbLb1EES1D_IbLb0EEEEDaS19_S1A_EUlS19_E_NS1_11comp_targetILNS1_3genE9ELNS1_11target_archE1100ELNS1_3gpuE3ELNS1_3repE0EEENS1_30default_config_static_selectorELNS0_4arch9wavefront6targetE0EEEvT1_.uses_flat_scratch, 0
	.set _ZN7rocprim17ROCPRIM_400000_NS6detail17trampoline_kernelINS0_14default_configENS1_25partition_config_selectorILNS1_17partition_subalgoE8EbNS0_10empty_typeEbEEZZNS1_14partition_implILS5_8ELb0ES3_jN6hipcub16HIPCUB_304000_NS22TransformInputIteratorIbN2at6native8internal12_GLOBAL__N_110LoadBoolOpEPKhlEEPS6_PKS6_NS0_5tupleIJPbS6_EEENSN_IJSK_SK_EEENS0_18inequality_wrapperINSA_8EqualityEEEPlJS6_EEE10hipError_tPvRmT3_T4_T5_T6_T7_T9_mT8_P12ihipStream_tbDpT10_ENKUlT_T0_E_clISt17integral_constantIbLb1EES1D_IbLb0EEEEDaS19_S1A_EUlS19_E_NS1_11comp_targetILNS1_3genE9ELNS1_11target_archE1100ELNS1_3gpuE3ELNS1_3repE0EEENS1_30default_config_static_selectorELNS0_4arch9wavefront6targetE0EEEvT1_.has_dyn_sized_stack, 0
	.set _ZN7rocprim17ROCPRIM_400000_NS6detail17trampoline_kernelINS0_14default_configENS1_25partition_config_selectorILNS1_17partition_subalgoE8EbNS0_10empty_typeEbEEZZNS1_14partition_implILS5_8ELb0ES3_jN6hipcub16HIPCUB_304000_NS22TransformInputIteratorIbN2at6native8internal12_GLOBAL__N_110LoadBoolOpEPKhlEEPS6_PKS6_NS0_5tupleIJPbS6_EEENSN_IJSK_SK_EEENS0_18inequality_wrapperINSA_8EqualityEEEPlJS6_EEE10hipError_tPvRmT3_T4_T5_T6_T7_T9_mT8_P12ihipStream_tbDpT10_ENKUlT_T0_E_clISt17integral_constantIbLb1EES1D_IbLb0EEEEDaS19_S1A_EUlS19_E_NS1_11comp_targetILNS1_3genE9ELNS1_11target_archE1100ELNS1_3gpuE3ELNS1_3repE0EEENS1_30default_config_static_selectorELNS0_4arch9wavefront6targetE0EEEvT1_.has_recursion, 0
	.set _ZN7rocprim17ROCPRIM_400000_NS6detail17trampoline_kernelINS0_14default_configENS1_25partition_config_selectorILNS1_17partition_subalgoE8EbNS0_10empty_typeEbEEZZNS1_14partition_implILS5_8ELb0ES3_jN6hipcub16HIPCUB_304000_NS22TransformInputIteratorIbN2at6native8internal12_GLOBAL__N_110LoadBoolOpEPKhlEEPS6_PKS6_NS0_5tupleIJPbS6_EEENSN_IJSK_SK_EEENS0_18inequality_wrapperINSA_8EqualityEEEPlJS6_EEE10hipError_tPvRmT3_T4_T5_T6_T7_T9_mT8_P12ihipStream_tbDpT10_ENKUlT_T0_E_clISt17integral_constantIbLb1EES1D_IbLb0EEEEDaS19_S1A_EUlS19_E_NS1_11comp_targetILNS1_3genE9ELNS1_11target_archE1100ELNS1_3gpuE3ELNS1_3repE0EEENS1_30default_config_static_selectorELNS0_4arch9wavefront6targetE0EEEvT1_.has_indirect_call, 0
	.section	.AMDGPU.csdata,"",@progbits
; Kernel info:
; codeLenInByte = 0
; TotalNumSgprs: 0
; NumVgprs: 0
; ScratchSize: 0
; MemoryBound: 0
; FloatMode: 240
; IeeeMode: 1
; LDSByteSize: 0 bytes/workgroup (compile time only)
; SGPRBlocks: 0
; VGPRBlocks: 0
; NumSGPRsForWavesPerEU: 1
; NumVGPRsForWavesPerEU: 1
; NamedBarCnt: 0
; Occupancy: 16
; WaveLimiterHint : 0
; COMPUTE_PGM_RSRC2:SCRATCH_EN: 0
; COMPUTE_PGM_RSRC2:USER_SGPR: 2
; COMPUTE_PGM_RSRC2:TRAP_HANDLER: 0
; COMPUTE_PGM_RSRC2:TGID_X_EN: 1
; COMPUTE_PGM_RSRC2:TGID_Y_EN: 0
; COMPUTE_PGM_RSRC2:TGID_Z_EN: 0
; COMPUTE_PGM_RSRC2:TIDIG_COMP_CNT: 0
	.section	.text._ZN7rocprim17ROCPRIM_400000_NS6detail17trampoline_kernelINS0_14default_configENS1_25partition_config_selectorILNS1_17partition_subalgoE8EbNS0_10empty_typeEbEEZZNS1_14partition_implILS5_8ELb0ES3_jN6hipcub16HIPCUB_304000_NS22TransformInputIteratorIbN2at6native8internal12_GLOBAL__N_110LoadBoolOpEPKhlEEPS6_PKS6_NS0_5tupleIJPbS6_EEENSN_IJSK_SK_EEENS0_18inequality_wrapperINSA_8EqualityEEEPlJS6_EEE10hipError_tPvRmT3_T4_T5_T6_T7_T9_mT8_P12ihipStream_tbDpT10_ENKUlT_T0_E_clISt17integral_constantIbLb1EES1D_IbLb0EEEEDaS19_S1A_EUlS19_E_NS1_11comp_targetILNS1_3genE8ELNS1_11target_archE1030ELNS1_3gpuE2ELNS1_3repE0EEENS1_30default_config_static_selectorELNS0_4arch9wavefront6targetE0EEEvT1_,"axG",@progbits,_ZN7rocprim17ROCPRIM_400000_NS6detail17trampoline_kernelINS0_14default_configENS1_25partition_config_selectorILNS1_17partition_subalgoE8EbNS0_10empty_typeEbEEZZNS1_14partition_implILS5_8ELb0ES3_jN6hipcub16HIPCUB_304000_NS22TransformInputIteratorIbN2at6native8internal12_GLOBAL__N_110LoadBoolOpEPKhlEEPS6_PKS6_NS0_5tupleIJPbS6_EEENSN_IJSK_SK_EEENS0_18inequality_wrapperINSA_8EqualityEEEPlJS6_EEE10hipError_tPvRmT3_T4_T5_T6_T7_T9_mT8_P12ihipStream_tbDpT10_ENKUlT_T0_E_clISt17integral_constantIbLb1EES1D_IbLb0EEEEDaS19_S1A_EUlS19_E_NS1_11comp_targetILNS1_3genE8ELNS1_11target_archE1030ELNS1_3gpuE2ELNS1_3repE0EEENS1_30default_config_static_selectorELNS0_4arch9wavefront6targetE0EEEvT1_,comdat
	.globl	_ZN7rocprim17ROCPRIM_400000_NS6detail17trampoline_kernelINS0_14default_configENS1_25partition_config_selectorILNS1_17partition_subalgoE8EbNS0_10empty_typeEbEEZZNS1_14partition_implILS5_8ELb0ES3_jN6hipcub16HIPCUB_304000_NS22TransformInputIteratorIbN2at6native8internal12_GLOBAL__N_110LoadBoolOpEPKhlEEPS6_PKS6_NS0_5tupleIJPbS6_EEENSN_IJSK_SK_EEENS0_18inequality_wrapperINSA_8EqualityEEEPlJS6_EEE10hipError_tPvRmT3_T4_T5_T6_T7_T9_mT8_P12ihipStream_tbDpT10_ENKUlT_T0_E_clISt17integral_constantIbLb1EES1D_IbLb0EEEEDaS19_S1A_EUlS19_E_NS1_11comp_targetILNS1_3genE8ELNS1_11target_archE1030ELNS1_3gpuE2ELNS1_3repE0EEENS1_30default_config_static_selectorELNS0_4arch9wavefront6targetE0EEEvT1_ ; -- Begin function _ZN7rocprim17ROCPRIM_400000_NS6detail17trampoline_kernelINS0_14default_configENS1_25partition_config_selectorILNS1_17partition_subalgoE8EbNS0_10empty_typeEbEEZZNS1_14partition_implILS5_8ELb0ES3_jN6hipcub16HIPCUB_304000_NS22TransformInputIteratorIbN2at6native8internal12_GLOBAL__N_110LoadBoolOpEPKhlEEPS6_PKS6_NS0_5tupleIJPbS6_EEENSN_IJSK_SK_EEENS0_18inequality_wrapperINSA_8EqualityEEEPlJS6_EEE10hipError_tPvRmT3_T4_T5_T6_T7_T9_mT8_P12ihipStream_tbDpT10_ENKUlT_T0_E_clISt17integral_constantIbLb1EES1D_IbLb0EEEEDaS19_S1A_EUlS19_E_NS1_11comp_targetILNS1_3genE8ELNS1_11target_archE1030ELNS1_3gpuE2ELNS1_3repE0EEENS1_30default_config_static_selectorELNS0_4arch9wavefront6targetE0EEEvT1_
	.p2align	8
	.type	_ZN7rocprim17ROCPRIM_400000_NS6detail17trampoline_kernelINS0_14default_configENS1_25partition_config_selectorILNS1_17partition_subalgoE8EbNS0_10empty_typeEbEEZZNS1_14partition_implILS5_8ELb0ES3_jN6hipcub16HIPCUB_304000_NS22TransformInputIteratorIbN2at6native8internal12_GLOBAL__N_110LoadBoolOpEPKhlEEPS6_PKS6_NS0_5tupleIJPbS6_EEENSN_IJSK_SK_EEENS0_18inequality_wrapperINSA_8EqualityEEEPlJS6_EEE10hipError_tPvRmT3_T4_T5_T6_T7_T9_mT8_P12ihipStream_tbDpT10_ENKUlT_T0_E_clISt17integral_constantIbLb1EES1D_IbLb0EEEEDaS19_S1A_EUlS19_E_NS1_11comp_targetILNS1_3genE8ELNS1_11target_archE1030ELNS1_3gpuE2ELNS1_3repE0EEENS1_30default_config_static_selectorELNS0_4arch9wavefront6targetE0EEEvT1_,@function
_ZN7rocprim17ROCPRIM_400000_NS6detail17trampoline_kernelINS0_14default_configENS1_25partition_config_selectorILNS1_17partition_subalgoE8EbNS0_10empty_typeEbEEZZNS1_14partition_implILS5_8ELb0ES3_jN6hipcub16HIPCUB_304000_NS22TransformInputIteratorIbN2at6native8internal12_GLOBAL__N_110LoadBoolOpEPKhlEEPS6_PKS6_NS0_5tupleIJPbS6_EEENSN_IJSK_SK_EEENS0_18inequality_wrapperINSA_8EqualityEEEPlJS6_EEE10hipError_tPvRmT3_T4_T5_T6_T7_T9_mT8_P12ihipStream_tbDpT10_ENKUlT_T0_E_clISt17integral_constantIbLb1EES1D_IbLb0EEEEDaS19_S1A_EUlS19_E_NS1_11comp_targetILNS1_3genE8ELNS1_11target_archE1030ELNS1_3gpuE2ELNS1_3repE0EEENS1_30default_config_static_selectorELNS0_4arch9wavefront6targetE0EEEvT1_: ; @_ZN7rocprim17ROCPRIM_400000_NS6detail17trampoline_kernelINS0_14default_configENS1_25partition_config_selectorILNS1_17partition_subalgoE8EbNS0_10empty_typeEbEEZZNS1_14partition_implILS5_8ELb0ES3_jN6hipcub16HIPCUB_304000_NS22TransformInputIteratorIbN2at6native8internal12_GLOBAL__N_110LoadBoolOpEPKhlEEPS6_PKS6_NS0_5tupleIJPbS6_EEENSN_IJSK_SK_EEENS0_18inequality_wrapperINSA_8EqualityEEEPlJS6_EEE10hipError_tPvRmT3_T4_T5_T6_T7_T9_mT8_P12ihipStream_tbDpT10_ENKUlT_T0_E_clISt17integral_constantIbLb1EES1D_IbLb0EEEEDaS19_S1A_EUlS19_E_NS1_11comp_targetILNS1_3genE8ELNS1_11target_archE1030ELNS1_3gpuE2ELNS1_3repE0EEENS1_30default_config_static_selectorELNS0_4arch9wavefront6targetE0EEEvT1_
; %bb.0:
	.section	.rodata,"a",@progbits
	.p2align	6, 0x0
	.amdhsa_kernel _ZN7rocprim17ROCPRIM_400000_NS6detail17trampoline_kernelINS0_14default_configENS1_25partition_config_selectorILNS1_17partition_subalgoE8EbNS0_10empty_typeEbEEZZNS1_14partition_implILS5_8ELb0ES3_jN6hipcub16HIPCUB_304000_NS22TransformInputIteratorIbN2at6native8internal12_GLOBAL__N_110LoadBoolOpEPKhlEEPS6_PKS6_NS0_5tupleIJPbS6_EEENSN_IJSK_SK_EEENS0_18inequality_wrapperINSA_8EqualityEEEPlJS6_EEE10hipError_tPvRmT3_T4_T5_T6_T7_T9_mT8_P12ihipStream_tbDpT10_ENKUlT_T0_E_clISt17integral_constantIbLb1EES1D_IbLb0EEEEDaS19_S1A_EUlS19_E_NS1_11comp_targetILNS1_3genE8ELNS1_11target_archE1030ELNS1_3gpuE2ELNS1_3repE0EEENS1_30default_config_static_selectorELNS0_4arch9wavefront6targetE0EEEvT1_
		.amdhsa_group_segment_fixed_size 0
		.amdhsa_private_segment_fixed_size 0
		.amdhsa_kernarg_size 120
		.amdhsa_user_sgpr_count 2
		.amdhsa_user_sgpr_dispatch_ptr 0
		.amdhsa_user_sgpr_queue_ptr 0
		.amdhsa_user_sgpr_kernarg_segment_ptr 1
		.amdhsa_user_sgpr_dispatch_id 0
		.amdhsa_user_sgpr_kernarg_preload_length 0
		.amdhsa_user_sgpr_kernarg_preload_offset 0
		.amdhsa_user_sgpr_private_segment_size 0
		.amdhsa_wavefront_size32 1
		.amdhsa_uses_dynamic_stack 0
		.amdhsa_enable_private_segment 0
		.amdhsa_system_sgpr_workgroup_id_x 1
		.amdhsa_system_sgpr_workgroup_id_y 0
		.amdhsa_system_sgpr_workgroup_id_z 0
		.amdhsa_system_sgpr_workgroup_info 0
		.amdhsa_system_vgpr_workitem_id 0
		.amdhsa_next_free_vgpr 1
		.amdhsa_next_free_sgpr 1
		.amdhsa_named_barrier_count 0
		.amdhsa_reserve_vcc 0
		.amdhsa_float_round_mode_32 0
		.amdhsa_float_round_mode_16_64 0
		.amdhsa_float_denorm_mode_32 3
		.amdhsa_float_denorm_mode_16_64 3
		.amdhsa_fp16_overflow 0
		.amdhsa_memory_ordered 1
		.amdhsa_forward_progress 1
		.amdhsa_inst_pref_size 0
		.amdhsa_round_robin_scheduling 0
		.amdhsa_exception_fp_ieee_invalid_op 0
		.amdhsa_exception_fp_denorm_src 0
		.amdhsa_exception_fp_ieee_div_zero 0
		.amdhsa_exception_fp_ieee_overflow 0
		.amdhsa_exception_fp_ieee_underflow 0
		.amdhsa_exception_fp_ieee_inexact 0
		.amdhsa_exception_int_div_zero 0
	.end_amdhsa_kernel
	.section	.text._ZN7rocprim17ROCPRIM_400000_NS6detail17trampoline_kernelINS0_14default_configENS1_25partition_config_selectorILNS1_17partition_subalgoE8EbNS0_10empty_typeEbEEZZNS1_14partition_implILS5_8ELb0ES3_jN6hipcub16HIPCUB_304000_NS22TransformInputIteratorIbN2at6native8internal12_GLOBAL__N_110LoadBoolOpEPKhlEEPS6_PKS6_NS0_5tupleIJPbS6_EEENSN_IJSK_SK_EEENS0_18inequality_wrapperINSA_8EqualityEEEPlJS6_EEE10hipError_tPvRmT3_T4_T5_T6_T7_T9_mT8_P12ihipStream_tbDpT10_ENKUlT_T0_E_clISt17integral_constantIbLb1EES1D_IbLb0EEEEDaS19_S1A_EUlS19_E_NS1_11comp_targetILNS1_3genE8ELNS1_11target_archE1030ELNS1_3gpuE2ELNS1_3repE0EEENS1_30default_config_static_selectorELNS0_4arch9wavefront6targetE0EEEvT1_,"axG",@progbits,_ZN7rocprim17ROCPRIM_400000_NS6detail17trampoline_kernelINS0_14default_configENS1_25partition_config_selectorILNS1_17partition_subalgoE8EbNS0_10empty_typeEbEEZZNS1_14partition_implILS5_8ELb0ES3_jN6hipcub16HIPCUB_304000_NS22TransformInputIteratorIbN2at6native8internal12_GLOBAL__N_110LoadBoolOpEPKhlEEPS6_PKS6_NS0_5tupleIJPbS6_EEENSN_IJSK_SK_EEENS0_18inequality_wrapperINSA_8EqualityEEEPlJS6_EEE10hipError_tPvRmT3_T4_T5_T6_T7_T9_mT8_P12ihipStream_tbDpT10_ENKUlT_T0_E_clISt17integral_constantIbLb1EES1D_IbLb0EEEEDaS19_S1A_EUlS19_E_NS1_11comp_targetILNS1_3genE8ELNS1_11target_archE1030ELNS1_3gpuE2ELNS1_3repE0EEENS1_30default_config_static_selectorELNS0_4arch9wavefront6targetE0EEEvT1_,comdat
.Lfunc_end38:
	.size	_ZN7rocprim17ROCPRIM_400000_NS6detail17trampoline_kernelINS0_14default_configENS1_25partition_config_selectorILNS1_17partition_subalgoE8EbNS0_10empty_typeEbEEZZNS1_14partition_implILS5_8ELb0ES3_jN6hipcub16HIPCUB_304000_NS22TransformInputIteratorIbN2at6native8internal12_GLOBAL__N_110LoadBoolOpEPKhlEEPS6_PKS6_NS0_5tupleIJPbS6_EEENSN_IJSK_SK_EEENS0_18inequality_wrapperINSA_8EqualityEEEPlJS6_EEE10hipError_tPvRmT3_T4_T5_T6_T7_T9_mT8_P12ihipStream_tbDpT10_ENKUlT_T0_E_clISt17integral_constantIbLb1EES1D_IbLb0EEEEDaS19_S1A_EUlS19_E_NS1_11comp_targetILNS1_3genE8ELNS1_11target_archE1030ELNS1_3gpuE2ELNS1_3repE0EEENS1_30default_config_static_selectorELNS0_4arch9wavefront6targetE0EEEvT1_, .Lfunc_end38-_ZN7rocprim17ROCPRIM_400000_NS6detail17trampoline_kernelINS0_14default_configENS1_25partition_config_selectorILNS1_17partition_subalgoE8EbNS0_10empty_typeEbEEZZNS1_14partition_implILS5_8ELb0ES3_jN6hipcub16HIPCUB_304000_NS22TransformInputIteratorIbN2at6native8internal12_GLOBAL__N_110LoadBoolOpEPKhlEEPS6_PKS6_NS0_5tupleIJPbS6_EEENSN_IJSK_SK_EEENS0_18inequality_wrapperINSA_8EqualityEEEPlJS6_EEE10hipError_tPvRmT3_T4_T5_T6_T7_T9_mT8_P12ihipStream_tbDpT10_ENKUlT_T0_E_clISt17integral_constantIbLb1EES1D_IbLb0EEEEDaS19_S1A_EUlS19_E_NS1_11comp_targetILNS1_3genE8ELNS1_11target_archE1030ELNS1_3gpuE2ELNS1_3repE0EEENS1_30default_config_static_selectorELNS0_4arch9wavefront6targetE0EEEvT1_
                                        ; -- End function
	.set _ZN7rocprim17ROCPRIM_400000_NS6detail17trampoline_kernelINS0_14default_configENS1_25partition_config_selectorILNS1_17partition_subalgoE8EbNS0_10empty_typeEbEEZZNS1_14partition_implILS5_8ELb0ES3_jN6hipcub16HIPCUB_304000_NS22TransformInputIteratorIbN2at6native8internal12_GLOBAL__N_110LoadBoolOpEPKhlEEPS6_PKS6_NS0_5tupleIJPbS6_EEENSN_IJSK_SK_EEENS0_18inequality_wrapperINSA_8EqualityEEEPlJS6_EEE10hipError_tPvRmT3_T4_T5_T6_T7_T9_mT8_P12ihipStream_tbDpT10_ENKUlT_T0_E_clISt17integral_constantIbLb1EES1D_IbLb0EEEEDaS19_S1A_EUlS19_E_NS1_11comp_targetILNS1_3genE8ELNS1_11target_archE1030ELNS1_3gpuE2ELNS1_3repE0EEENS1_30default_config_static_selectorELNS0_4arch9wavefront6targetE0EEEvT1_.num_vgpr, 0
	.set _ZN7rocprim17ROCPRIM_400000_NS6detail17trampoline_kernelINS0_14default_configENS1_25partition_config_selectorILNS1_17partition_subalgoE8EbNS0_10empty_typeEbEEZZNS1_14partition_implILS5_8ELb0ES3_jN6hipcub16HIPCUB_304000_NS22TransformInputIteratorIbN2at6native8internal12_GLOBAL__N_110LoadBoolOpEPKhlEEPS6_PKS6_NS0_5tupleIJPbS6_EEENSN_IJSK_SK_EEENS0_18inequality_wrapperINSA_8EqualityEEEPlJS6_EEE10hipError_tPvRmT3_T4_T5_T6_T7_T9_mT8_P12ihipStream_tbDpT10_ENKUlT_T0_E_clISt17integral_constantIbLb1EES1D_IbLb0EEEEDaS19_S1A_EUlS19_E_NS1_11comp_targetILNS1_3genE8ELNS1_11target_archE1030ELNS1_3gpuE2ELNS1_3repE0EEENS1_30default_config_static_selectorELNS0_4arch9wavefront6targetE0EEEvT1_.num_agpr, 0
	.set _ZN7rocprim17ROCPRIM_400000_NS6detail17trampoline_kernelINS0_14default_configENS1_25partition_config_selectorILNS1_17partition_subalgoE8EbNS0_10empty_typeEbEEZZNS1_14partition_implILS5_8ELb0ES3_jN6hipcub16HIPCUB_304000_NS22TransformInputIteratorIbN2at6native8internal12_GLOBAL__N_110LoadBoolOpEPKhlEEPS6_PKS6_NS0_5tupleIJPbS6_EEENSN_IJSK_SK_EEENS0_18inequality_wrapperINSA_8EqualityEEEPlJS6_EEE10hipError_tPvRmT3_T4_T5_T6_T7_T9_mT8_P12ihipStream_tbDpT10_ENKUlT_T0_E_clISt17integral_constantIbLb1EES1D_IbLb0EEEEDaS19_S1A_EUlS19_E_NS1_11comp_targetILNS1_3genE8ELNS1_11target_archE1030ELNS1_3gpuE2ELNS1_3repE0EEENS1_30default_config_static_selectorELNS0_4arch9wavefront6targetE0EEEvT1_.numbered_sgpr, 0
	.set _ZN7rocprim17ROCPRIM_400000_NS6detail17trampoline_kernelINS0_14default_configENS1_25partition_config_selectorILNS1_17partition_subalgoE8EbNS0_10empty_typeEbEEZZNS1_14partition_implILS5_8ELb0ES3_jN6hipcub16HIPCUB_304000_NS22TransformInputIteratorIbN2at6native8internal12_GLOBAL__N_110LoadBoolOpEPKhlEEPS6_PKS6_NS0_5tupleIJPbS6_EEENSN_IJSK_SK_EEENS0_18inequality_wrapperINSA_8EqualityEEEPlJS6_EEE10hipError_tPvRmT3_T4_T5_T6_T7_T9_mT8_P12ihipStream_tbDpT10_ENKUlT_T0_E_clISt17integral_constantIbLb1EES1D_IbLb0EEEEDaS19_S1A_EUlS19_E_NS1_11comp_targetILNS1_3genE8ELNS1_11target_archE1030ELNS1_3gpuE2ELNS1_3repE0EEENS1_30default_config_static_selectorELNS0_4arch9wavefront6targetE0EEEvT1_.num_named_barrier, 0
	.set _ZN7rocprim17ROCPRIM_400000_NS6detail17trampoline_kernelINS0_14default_configENS1_25partition_config_selectorILNS1_17partition_subalgoE8EbNS0_10empty_typeEbEEZZNS1_14partition_implILS5_8ELb0ES3_jN6hipcub16HIPCUB_304000_NS22TransformInputIteratorIbN2at6native8internal12_GLOBAL__N_110LoadBoolOpEPKhlEEPS6_PKS6_NS0_5tupleIJPbS6_EEENSN_IJSK_SK_EEENS0_18inequality_wrapperINSA_8EqualityEEEPlJS6_EEE10hipError_tPvRmT3_T4_T5_T6_T7_T9_mT8_P12ihipStream_tbDpT10_ENKUlT_T0_E_clISt17integral_constantIbLb1EES1D_IbLb0EEEEDaS19_S1A_EUlS19_E_NS1_11comp_targetILNS1_3genE8ELNS1_11target_archE1030ELNS1_3gpuE2ELNS1_3repE0EEENS1_30default_config_static_selectorELNS0_4arch9wavefront6targetE0EEEvT1_.private_seg_size, 0
	.set _ZN7rocprim17ROCPRIM_400000_NS6detail17trampoline_kernelINS0_14default_configENS1_25partition_config_selectorILNS1_17partition_subalgoE8EbNS0_10empty_typeEbEEZZNS1_14partition_implILS5_8ELb0ES3_jN6hipcub16HIPCUB_304000_NS22TransformInputIteratorIbN2at6native8internal12_GLOBAL__N_110LoadBoolOpEPKhlEEPS6_PKS6_NS0_5tupleIJPbS6_EEENSN_IJSK_SK_EEENS0_18inequality_wrapperINSA_8EqualityEEEPlJS6_EEE10hipError_tPvRmT3_T4_T5_T6_T7_T9_mT8_P12ihipStream_tbDpT10_ENKUlT_T0_E_clISt17integral_constantIbLb1EES1D_IbLb0EEEEDaS19_S1A_EUlS19_E_NS1_11comp_targetILNS1_3genE8ELNS1_11target_archE1030ELNS1_3gpuE2ELNS1_3repE0EEENS1_30default_config_static_selectorELNS0_4arch9wavefront6targetE0EEEvT1_.uses_vcc, 0
	.set _ZN7rocprim17ROCPRIM_400000_NS6detail17trampoline_kernelINS0_14default_configENS1_25partition_config_selectorILNS1_17partition_subalgoE8EbNS0_10empty_typeEbEEZZNS1_14partition_implILS5_8ELb0ES3_jN6hipcub16HIPCUB_304000_NS22TransformInputIteratorIbN2at6native8internal12_GLOBAL__N_110LoadBoolOpEPKhlEEPS6_PKS6_NS0_5tupleIJPbS6_EEENSN_IJSK_SK_EEENS0_18inequality_wrapperINSA_8EqualityEEEPlJS6_EEE10hipError_tPvRmT3_T4_T5_T6_T7_T9_mT8_P12ihipStream_tbDpT10_ENKUlT_T0_E_clISt17integral_constantIbLb1EES1D_IbLb0EEEEDaS19_S1A_EUlS19_E_NS1_11comp_targetILNS1_3genE8ELNS1_11target_archE1030ELNS1_3gpuE2ELNS1_3repE0EEENS1_30default_config_static_selectorELNS0_4arch9wavefront6targetE0EEEvT1_.uses_flat_scratch, 0
	.set _ZN7rocprim17ROCPRIM_400000_NS6detail17trampoline_kernelINS0_14default_configENS1_25partition_config_selectorILNS1_17partition_subalgoE8EbNS0_10empty_typeEbEEZZNS1_14partition_implILS5_8ELb0ES3_jN6hipcub16HIPCUB_304000_NS22TransformInputIteratorIbN2at6native8internal12_GLOBAL__N_110LoadBoolOpEPKhlEEPS6_PKS6_NS0_5tupleIJPbS6_EEENSN_IJSK_SK_EEENS0_18inequality_wrapperINSA_8EqualityEEEPlJS6_EEE10hipError_tPvRmT3_T4_T5_T6_T7_T9_mT8_P12ihipStream_tbDpT10_ENKUlT_T0_E_clISt17integral_constantIbLb1EES1D_IbLb0EEEEDaS19_S1A_EUlS19_E_NS1_11comp_targetILNS1_3genE8ELNS1_11target_archE1030ELNS1_3gpuE2ELNS1_3repE0EEENS1_30default_config_static_selectorELNS0_4arch9wavefront6targetE0EEEvT1_.has_dyn_sized_stack, 0
	.set _ZN7rocprim17ROCPRIM_400000_NS6detail17trampoline_kernelINS0_14default_configENS1_25partition_config_selectorILNS1_17partition_subalgoE8EbNS0_10empty_typeEbEEZZNS1_14partition_implILS5_8ELb0ES3_jN6hipcub16HIPCUB_304000_NS22TransformInputIteratorIbN2at6native8internal12_GLOBAL__N_110LoadBoolOpEPKhlEEPS6_PKS6_NS0_5tupleIJPbS6_EEENSN_IJSK_SK_EEENS0_18inequality_wrapperINSA_8EqualityEEEPlJS6_EEE10hipError_tPvRmT3_T4_T5_T6_T7_T9_mT8_P12ihipStream_tbDpT10_ENKUlT_T0_E_clISt17integral_constantIbLb1EES1D_IbLb0EEEEDaS19_S1A_EUlS19_E_NS1_11comp_targetILNS1_3genE8ELNS1_11target_archE1030ELNS1_3gpuE2ELNS1_3repE0EEENS1_30default_config_static_selectorELNS0_4arch9wavefront6targetE0EEEvT1_.has_recursion, 0
	.set _ZN7rocprim17ROCPRIM_400000_NS6detail17trampoline_kernelINS0_14default_configENS1_25partition_config_selectorILNS1_17partition_subalgoE8EbNS0_10empty_typeEbEEZZNS1_14partition_implILS5_8ELb0ES3_jN6hipcub16HIPCUB_304000_NS22TransformInputIteratorIbN2at6native8internal12_GLOBAL__N_110LoadBoolOpEPKhlEEPS6_PKS6_NS0_5tupleIJPbS6_EEENSN_IJSK_SK_EEENS0_18inequality_wrapperINSA_8EqualityEEEPlJS6_EEE10hipError_tPvRmT3_T4_T5_T6_T7_T9_mT8_P12ihipStream_tbDpT10_ENKUlT_T0_E_clISt17integral_constantIbLb1EES1D_IbLb0EEEEDaS19_S1A_EUlS19_E_NS1_11comp_targetILNS1_3genE8ELNS1_11target_archE1030ELNS1_3gpuE2ELNS1_3repE0EEENS1_30default_config_static_selectorELNS0_4arch9wavefront6targetE0EEEvT1_.has_indirect_call, 0
	.section	.AMDGPU.csdata,"",@progbits
; Kernel info:
; codeLenInByte = 0
; TotalNumSgprs: 0
; NumVgprs: 0
; ScratchSize: 0
; MemoryBound: 0
; FloatMode: 240
; IeeeMode: 1
; LDSByteSize: 0 bytes/workgroup (compile time only)
; SGPRBlocks: 0
; VGPRBlocks: 0
; NumSGPRsForWavesPerEU: 1
; NumVGPRsForWavesPerEU: 1
; NamedBarCnt: 0
; Occupancy: 16
; WaveLimiterHint : 0
; COMPUTE_PGM_RSRC2:SCRATCH_EN: 0
; COMPUTE_PGM_RSRC2:USER_SGPR: 2
; COMPUTE_PGM_RSRC2:TRAP_HANDLER: 0
; COMPUTE_PGM_RSRC2:TGID_X_EN: 1
; COMPUTE_PGM_RSRC2:TGID_Y_EN: 0
; COMPUTE_PGM_RSRC2:TGID_Z_EN: 0
; COMPUTE_PGM_RSRC2:TIDIG_COMP_CNT: 0
	.section	.text._ZN7rocprim17ROCPRIM_400000_NS6detail31init_lookback_scan_state_kernelINS1_19lookback_scan_stateIjLb0ELb1EEENS1_16block_id_wrapperIjLb1EEEEEvT_jT0_jPNS7_10value_typeE,"axG",@progbits,_ZN7rocprim17ROCPRIM_400000_NS6detail31init_lookback_scan_state_kernelINS1_19lookback_scan_stateIjLb0ELb1EEENS1_16block_id_wrapperIjLb1EEEEEvT_jT0_jPNS7_10value_typeE,comdat
	.protected	_ZN7rocprim17ROCPRIM_400000_NS6detail31init_lookback_scan_state_kernelINS1_19lookback_scan_stateIjLb0ELb1EEENS1_16block_id_wrapperIjLb1EEEEEvT_jT0_jPNS7_10value_typeE ; -- Begin function _ZN7rocprim17ROCPRIM_400000_NS6detail31init_lookback_scan_state_kernelINS1_19lookback_scan_stateIjLb0ELb1EEENS1_16block_id_wrapperIjLb1EEEEEvT_jT0_jPNS7_10value_typeE
	.globl	_ZN7rocprim17ROCPRIM_400000_NS6detail31init_lookback_scan_state_kernelINS1_19lookback_scan_stateIjLb0ELb1EEENS1_16block_id_wrapperIjLb1EEEEEvT_jT0_jPNS7_10value_typeE
	.p2align	8
	.type	_ZN7rocprim17ROCPRIM_400000_NS6detail31init_lookback_scan_state_kernelINS1_19lookback_scan_stateIjLb0ELb1EEENS1_16block_id_wrapperIjLb1EEEEEvT_jT0_jPNS7_10value_typeE,@function
_ZN7rocprim17ROCPRIM_400000_NS6detail31init_lookback_scan_state_kernelINS1_19lookback_scan_stateIjLb0ELb1EEENS1_16block_id_wrapperIjLb1EEEEEvT_jT0_jPNS7_10value_typeE: ; @_ZN7rocprim17ROCPRIM_400000_NS6detail31init_lookback_scan_state_kernelINS1_19lookback_scan_stateIjLb0ELb1EEENS1_16block_id_wrapperIjLb1EEEEEvT_jT0_jPNS7_10value_typeE
; %bb.0:
	s_clause 0x2
	s_load_b32 s7, s[0:1], 0x34
	s_load_b96 s[4:6], s[0:1], 0x0
	s_load_b64 s[2:3], s[0:1], 0x20
	s_bfe_u32 s8, ttmp6, 0x4000c
	s_and_b32 s9, ttmp6, 15
	s_add_co_i32 s8, s8, 1
	s_getreg_b32 s10, hwreg(HW_REG_IB_STS2, 6, 4)
	s_mul_i32 s8, ttmp9, s8
	s_delay_alu instid0(SALU_CYCLE_1)
	s_add_co_i32 s9, s9, s8
	s_wait_kmcnt 0x0
	s_and_b32 s7, s7, 0xffff
	s_cmp_eq_u32 s10, 0
	s_cselect_b32 s8, ttmp9, s9
	s_cmp_eq_u64 s[2:3], 0
	v_mad_u32 v4, s8, s7, v0
	s_cbranch_scc1 .LBB39_7
; %bb.1:
	s_load_b32 s8, s[0:1], 0x18
	s_wait_kmcnt 0x0
	s_cmp_lt_u32 s8, s6
	s_cselect_b32 s7, s8, 0
	s_delay_alu instid0(VALU_DEP_1) | instid1(SALU_CYCLE_1)
	v_cmp_eq_u32_e32 vcc_lo, s7, v4
	s_and_saveexec_b32 s7, vcc_lo
	s_cbranch_execz .LBB39_6
; %bb.2:
	s_add_co_i32 s8, s8, 32
	s_delay_alu instid0(SALU_CYCLE_1) | instskip(SKIP_3) | instid1(VALU_DEP_1)
	v_dual_mov_b32 v2, 0 :: v_dual_mov_b32 v0, s8
	global_load_b64 v[0:1], v0, s[4:5] scale_offset scope:SCOPE_DEV
	s_wait_loadcnt 0x0
	v_and_b32_e32 v3, 0xff, v1
	v_cmp_ne_u64_e32 vcc_lo, 0, v[2:3]
	s_cbranch_vccnz .LBB39_5
; %bb.3:
	s_mov_b32 s9, 0
	s_delay_alu instid0(SALU_CYCLE_1) | instskip(NEXT) | instid1(SALU_CYCLE_1)
	s_lshl_b64 s[8:9], s[8:9], 3
	s_add_nc_u64 s[8:9], s[4:5], s[8:9]
.LBB39_4:                               ; =>This Inner Loop Header: Depth=1
	global_load_b64 v[0:1], v2, s[8:9] scope:SCOPE_DEV
	s_wait_loadcnt 0x0
	v_and_b32_e32 v3, 0xff, v1
	s_delay_alu instid0(VALU_DEP_1)
	v_cmp_eq_u64_e32 vcc_lo, 0, v[2:3]
	s_cbranch_vccnz .LBB39_4
.LBB39_5:
	v_mov_b32_e32 v1, 0
	global_store_b32 v1, v0, s[2:3]
.LBB39_6:
	s_wait_xcnt 0x0
	s_or_b32 exec_lo, exec_lo, s7
.LBB39_7:
	s_delay_alu instid0(SALU_CYCLE_1) | instskip(NEXT) | instid1(VALU_DEP_1)
	s_mov_b32 s2, exec_lo
	v_cmpx_eq_u32_e32 0, v4
	s_cbranch_execz .LBB39_9
; %bb.8:
	s_load_b64 s[0:1], s[0:1], 0x10
	v_mov_b32_e32 v0, 0
	s_wait_kmcnt 0x0
	global_store_b32 v0, v0, s[0:1]
.LBB39_9:
	s_wait_xcnt 0x0
	s_or_b32 exec_lo, exec_lo, s2
	s_delay_alu instid0(SALU_CYCLE_1)
	s_mov_b32 s0, exec_lo
	v_cmpx_gt_u32_e64 s6, v4
	s_cbranch_execz .LBB39_11
; %bb.10:
	v_mov_b64_e32 v[0:1], 0
	v_add_nc_u32_e32 v2, 32, v4
	global_store_b64 v2, v[0:1], s[4:5] scale_offset
.LBB39_11:
	s_wait_xcnt 0x0
	s_or_b32 exec_lo, exec_lo, s0
	s_delay_alu instid0(SALU_CYCLE_1)
	s_mov_b32 s0, exec_lo
	v_cmpx_gt_u32_e32 32, v4
	s_cbranch_execz .LBB39_13
; %bb.12:
	v_mov_b64_e32 v[0:1], 0xff00000000
	global_store_b64 v4, v[0:1], s[4:5] scale_offset
.LBB39_13:
	s_endpgm
	.section	.rodata,"a",@progbits
	.p2align	6, 0x0
	.amdhsa_kernel _ZN7rocprim17ROCPRIM_400000_NS6detail31init_lookback_scan_state_kernelINS1_19lookback_scan_stateIjLb0ELb1EEENS1_16block_id_wrapperIjLb1EEEEEvT_jT0_jPNS7_10value_typeE
		.amdhsa_group_segment_fixed_size 0
		.amdhsa_private_segment_fixed_size 0
		.amdhsa_kernarg_size 296
		.amdhsa_user_sgpr_count 2
		.amdhsa_user_sgpr_dispatch_ptr 0
		.amdhsa_user_sgpr_queue_ptr 0
		.amdhsa_user_sgpr_kernarg_segment_ptr 1
		.amdhsa_user_sgpr_dispatch_id 0
		.amdhsa_user_sgpr_kernarg_preload_length 0
		.amdhsa_user_sgpr_kernarg_preload_offset 0
		.amdhsa_user_sgpr_private_segment_size 0
		.amdhsa_wavefront_size32 1
		.amdhsa_uses_dynamic_stack 0
		.amdhsa_enable_private_segment 0
		.amdhsa_system_sgpr_workgroup_id_x 1
		.amdhsa_system_sgpr_workgroup_id_y 0
		.amdhsa_system_sgpr_workgroup_id_z 0
		.amdhsa_system_sgpr_workgroup_info 0
		.amdhsa_system_vgpr_workitem_id 0
		.amdhsa_next_free_vgpr 5
		.amdhsa_next_free_sgpr 11
		.amdhsa_named_barrier_count 0
		.amdhsa_reserve_vcc 1
		.amdhsa_float_round_mode_32 0
		.amdhsa_float_round_mode_16_64 0
		.amdhsa_float_denorm_mode_32 3
		.amdhsa_float_denorm_mode_16_64 3
		.amdhsa_fp16_overflow 0
		.amdhsa_memory_ordered 1
		.amdhsa_forward_progress 1
		.amdhsa_inst_pref_size 4
		.amdhsa_round_robin_scheduling 0
		.amdhsa_exception_fp_ieee_invalid_op 0
		.amdhsa_exception_fp_denorm_src 0
		.amdhsa_exception_fp_ieee_div_zero 0
		.amdhsa_exception_fp_ieee_overflow 0
		.amdhsa_exception_fp_ieee_underflow 0
		.amdhsa_exception_fp_ieee_inexact 0
		.amdhsa_exception_int_div_zero 0
	.end_amdhsa_kernel
	.section	.text._ZN7rocprim17ROCPRIM_400000_NS6detail31init_lookback_scan_state_kernelINS1_19lookback_scan_stateIjLb0ELb1EEENS1_16block_id_wrapperIjLb1EEEEEvT_jT0_jPNS7_10value_typeE,"axG",@progbits,_ZN7rocprim17ROCPRIM_400000_NS6detail31init_lookback_scan_state_kernelINS1_19lookback_scan_stateIjLb0ELb1EEENS1_16block_id_wrapperIjLb1EEEEEvT_jT0_jPNS7_10value_typeE,comdat
.Lfunc_end39:
	.size	_ZN7rocprim17ROCPRIM_400000_NS6detail31init_lookback_scan_state_kernelINS1_19lookback_scan_stateIjLb0ELb1EEENS1_16block_id_wrapperIjLb1EEEEEvT_jT0_jPNS7_10value_typeE, .Lfunc_end39-_ZN7rocprim17ROCPRIM_400000_NS6detail31init_lookback_scan_state_kernelINS1_19lookback_scan_stateIjLb0ELb1EEENS1_16block_id_wrapperIjLb1EEEEEvT_jT0_jPNS7_10value_typeE
                                        ; -- End function
	.set _ZN7rocprim17ROCPRIM_400000_NS6detail31init_lookback_scan_state_kernelINS1_19lookback_scan_stateIjLb0ELb1EEENS1_16block_id_wrapperIjLb1EEEEEvT_jT0_jPNS7_10value_typeE.num_vgpr, 5
	.set _ZN7rocprim17ROCPRIM_400000_NS6detail31init_lookback_scan_state_kernelINS1_19lookback_scan_stateIjLb0ELb1EEENS1_16block_id_wrapperIjLb1EEEEEvT_jT0_jPNS7_10value_typeE.num_agpr, 0
	.set _ZN7rocprim17ROCPRIM_400000_NS6detail31init_lookback_scan_state_kernelINS1_19lookback_scan_stateIjLb0ELb1EEENS1_16block_id_wrapperIjLb1EEEEEvT_jT0_jPNS7_10value_typeE.numbered_sgpr, 11
	.set _ZN7rocprim17ROCPRIM_400000_NS6detail31init_lookback_scan_state_kernelINS1_19lookback_scan_stateIjLb0ELb1EEENS1_16block_id_wrapperIjLb1EEEEEvT_jT0_jPNS7_10value_typeE.num_named_barrier, 0
	.set _ZN7rocprim17ROCPRIM_400000_NS6detail31init_lookback_scan_state_kernelINS1_19lookback_scan_stateIjLb0ELb1EEENS1_16block_id_wrapperIjLb1EEEEEvT_jT0_jPNS7_10value_typeE.private_seg_size, 0
	.set _ZN7rocprim17ROCPRIM_400000_NS6detail31init_lookback_scan_state_kernelINS1_19lookback_scan_stateIjLb0ELb1EEENS1_16block_id_wrapperIjLb1EEEEEvT_jT0_jPNS7_10value_typeE.uses_vcc, 1
	.set _ZN7rocprim17ROCPRIM_400000_NS6detail31init_lookback_scan_state_kernelINS1_19lookback_scan_stateIjLb0ELb1EEENS1_16block_id_wrapperIjLb1EEEEEvT_jT0_jPNS7_10value_typeE.uses_flat_scratch, 0
	.set _ZN7rocprim17ROCPRIM_400000_NS6detail31init_lookback_scan_state_kernelINS1_19lookback_scan_stateIjLb0ELb1EEENS1_16block_id_wrapperIjLb1EEEEEvT_jT0_jPNS7_10value_typeE.has_dyn_sized_stack, 0
	.set _ZN7rocprim17ROCPRIM_400000_NS6detail31init_lookback_scan_state_kernelINS1_19lookback_scan_stateIjLb0ELb1EEENS1_16block_id_wrapperIjLb1EEEEEvT_jT0_jPNS7_10value_typeE.has_recursion, 0
	.set _ZN7rocprim17ROCPRIM_400000_NS6detail31init_lookback_scan_state_kernelINS1_19lookback_scan_stateIjLb0ELb1EEENS1_16block_id_wrapperIjLb1EEEEEvT_jT0_jPNS7_10value_typeE.has_indirect_call, 0
	.section	.AMDGPU.csdata,"",@progbits
; Kernel info:
; codeLenInByte = 404
; TotalNumSgprs: 13
; NumVgprs: 5
; ScratchSize: 0
; MemoryBound: 0
; FloatMode: 240
; IeeeMode: 1
; LDSByteSize: 0 bytes/workgroup (compile time only)
; SGPRBlocks: 0
; VGPRBlocks: 0
; NumSGPRsForWavesPerEU: 13
; NumVGPRsForWavesPerEU: 5
; NamedBarCnt: 0
; Occupancy: 16
; WaveLimiterHint : 0
; COMPUTE_PGM_RSRC2:SCRATCH_EN: 0
; COMPUTE_PGM_RSRC2:USER_SGPR: 2
; COMPUTE_PGM_RSRC2:TRAP_HANDLER: 0
; COMPUTE_PGM_RSRC2:TGID_X_EN: 1
; COMPUTE_PGM_RSRC2:TGID_Y_EN: 0
; COMPUTE_PGM_RSRC2:TGID_Z_EN: 0
; COMPUTE_PGM_RSRC2:TIDIG_COMP_CNT: 0
	.section	.text._ZN7rocprim17ROCPRIM_400000_NS6detail17trampoline_kernelINS0_14default_configENS1_25partition_config_selectorILNS1_17partition_subalgoE8EbNS0_10empty_typeEbEEZZNS1_14partition_implILS5_8ELb0ES3_jN6hipcub16HIPCUB_304000_NS22TransformInputIteratorIbN2at6native8internal12_GLOBAL__N_110LoadBoolOpEPKhlEEPS6_PKS6_NS0_5tupleIJPbS6_EEENSN_IJSK_SK_EEENS0_18inequality_wrapperINSA_8EqualityEEEPlJS6_EEE10hipError_tPvRmT3_T4_T5_T6_T7_T9_mT8_P12ihipStream_tbDpT10_ENKUlT_T0_E_clISt17integral_constantIbLb0EES1D_IbLb1EEEEDaS19_S1A_EUlS19_E_NS1_11comp_targetILNS1_3genE0ELNS1_11target_archE4294967295ELNS1_3gpuE0ELNS1_3repE0EEENS1_30default_config_static_selectorELNS0_4arch9wavefront6targetE0EEEvT1_,"axG",@progbits,_ZN7rocprim17ROCPRIM_400000_NS6detail17trampoline_kernelINS0_14default_configENS1_25partition_config_selectorILNS1_17partition_subalgoE8EbNS0_10empty_typeEbEEZZNS1_14partition_implILS5_8ELb0ES3_jN6hipcub16HIPCUB_304000_NS22TransformInputIteratorIbN2at6native8internal12_GLOBAL__N_110LoadBoolOpEPKhlEEPS6_PKS6_NS0_5tupleIJPbS6_EEENSN_IJSK_SK_EEENS0_18inequality_wrapperINSA_8EqualityEEEPlJS6_EEE10hipError_tPvRmT3_T4_T5_T6_T7_T9_mT8_P12ihipStream_tbDpT10_ENKUlT_T0_E_clISt17integral_constantIbLb0EES1D_IbLb1EEEEDaS19_S1A_EUlS19_E_NS1_11comp_targetILNS1_3genE0ELNS1_11target_archE4294967295ELNS1_3gpuE0ELNS1_3repE0EEENS1_30default_config_static_selectorELNS0_4arch9wavefront6targetE0EEEvT1_,comdat
	.globl	_ZN7rocprim17ROCPRIM_400000_NS6detail17trampoline_kernelINS0_14default_configENS1_25partition_config_selectorILNS1_17partition_subalgoE8EbNS0_10empty_typeEbEEZZNS1_14partition_implILS5_8ELb0ES3_jN6hipcub16HIPCUB_304000_NS22TransformInputIteratorIbN2at6native8internal12_GLOBAL__N_110LoadBoolOpEPKhlEEPS6_PKS6_NS0_5tupleIJPbS6_EEENSN_IJSK_SK_EEENS0_18inequality_wrapperINSA_8EqualityEEEPlJS6_EEE10hipError_tPvRmT3_T4_T5_T6_T7_T9_mT8_P12ihipStream_tbDpT10_ENKUlT_T0_E_clISt17integral_constantIbLb0EES1D_IbLb1EEEEDaS19_S1A_EUlS19_E_NS1_11comp_targetILNS1_3genE0ELNS1_11target_archE4294967295ELNS1_3gpuE0ELNS1_3repE0EEENS1_30default_config_static_selectorELNS0_4arch9wavefront6targetE0EEEvT1_ ; -- Begin function _ZN7rocprim17ROCPRIM_400000_NS6detail17trampoline_kernelINS0_14default_configENS1_25partition_config_selectorILNS1_17partition_subalgoE8EbNS0_10empty_typeEbEEZZNS1_14partition_implILS5_8ELb0ES3_jN6hipcub16HIPCUB_304000_NS22TransformInputIteratorIbN2at6native8internal12_GLOBAL__N_110LoadBoolOpEPKhlEEPS6_PKS6_NS0_5tupleIJPbS6_EEENSN_IJSK_SK_EEENS0_18inequality_wrapperINSA_8EqualityEEEPlJS6_EEE10hipError_tPvRmT3_T4_T5_T6_T7_T9_mT8_P12ihipStream_tbDpT10_ENKUlT_T0_E_clISt17integral_constantIbLb0EES1D_IbLb1EEEEDaS19_S1A_EUlS19_E_NS1_11comp_targetILNS1_3genE0ELNS1_11target_archE4294967295ELNS1_3gpuE0ELNS1_3repE0EEENS1_30default_config_static_selectorELNS0_4arch9wavefront6targetE0EEEvT1_
	.p2align	8
	.type	_ZN7rocprim17ROCPRIM_400000_NS6detail17trampoline_kernelINS0_14default_configENS1_25partition_config_selectorILNS1_17partition_subalgoE8EbNS0_10empty_typeEbEEZZNS1_14partition_implILS5_8ELb0ES3_jN6hipcub16HIPCUB_304000_NS22TransformInputIteratorIbN2at6native8internal12_GLOBAL__N_110LoadBoolOpEPKhlEEPS6_PKS6_NS0_5tupleIJPbS6_EEENSN_IJSK_SK_EEENS0_18inequality_wrapperINSA_8EqualityEEEPlJS6_EEE10hipError_tPvRmT3_T4_T5_T6_T7_T9_mT8_P12ihipStream_tbDpT10_ENKUlT_T0_E_clISt17integral_constantIbLb0EES1D_IbLb1EEEEDaS19_S1A_EUlS19_E_NS1_11comp_targetILNS1_3genE0ELNS1_11target_archE4294967295ELNS1_3gpuE0ELNS1_3repE0EEENS1_30default_config_static_selectorELNS0_4arch9wavefront6targetE0EEEvT1_,@function
_ZN7rocprim17ROCPRIM_400000_NS6detail17trampoline_kernelINS0_14default_configENS1_25partition_config_selectorILNS1_17partition_subalgoE8EbNS0_10empty_typeEbEEZZNS1_14partition_implILS5_8ELb0ES3_jN6hipcub16HIPCUB_304000_NS22TransformInputIteratorIbN2at6native8internal12_GLOBAL__N_110LoadBoolOpEPKhlEEPS6_PKS6_NS0_5tupleIJPbS6_EEENSN_IJSK_SK_EEENS0_18inequality_wrapperINSA_8EqualityEEEPlJS6_EEE10hipError_tPvRmT3_T4_T5_T6_T7_T9_mT8_P12ihipStream_tbDpT10_ENKUlT_T0_E_clISt17integral_constantIbLb0EES1D_IbLb1EEEEDaS19_S1A_EUlS19_E_NS1_11comp_targetILNS1_3genE0ELNS1_11target_archE4294967295ELNS1_3gpuE0ELNS1_3repE0EEENS1_30default_config_static_selectorELNS0_4arch9wavefront6targetE0EEEvT1_: ; @_ZN7rocprim17ROCPRIM_400000_NS6detail17trampoline_kernelINS0_14default_configENS1_25partition_config_selectorILNS1_17partition_subalgoE8EbNS0_10empty_typeEbEEZZNS1_14partition_implILS5_8ELb0ES3_jN6hipcub16HIPCUB_304000_NS22TransformInputIteratorIbN2at6native8internal12_GLOBAL__N_110LoadBoolOpEPKhlEEPS6_PKS6_NS0_5tupleIJPbS6_EEENSN_IJSK_SK_EEENS0_18inequality_wrapperINSA_8EqualityEEEPlJS6_EEE10hipError_tPvRmT3_T4_T5_T6_T7_T9_mT8_P12ihipStream_tbDpT10_ENKUlT_T0_E_clISt17integral_constantIbLb0EES1D_IbLb1EEEEDaS19_S1A_EUlS19_E_NS1_11comp_targetILNS1_3genE0ELNS1_11target_archE4294967295ELNS1_3gpuE0ELNS1_3repE0EEENS1_30default_config_static_selectorELNS0_4arch9wavefront6targetE0EEEvT1_
; %bb.0:
	s_clause 0x3
	s_load_b64 s[4:5], s[0:1], 0x18
	s_load_b128 s[28:31], s[0:1], 0x48
	s_load_b64 s[6:7], s[0:1], 0x58
	s_load_b64 s[36:37], s[0:1], 0x68
	v_cmp_ne_u32_e64 s3, 0, v0
	v_cmp_eq_u32_e64 s2, 0, v0
	s_and_saveexec_b32 s8, s2
	s_cbranch_execz .LBB40_4
; %bb.1:
	s_mov_b32 s10, exec_lo
	s_mov_b32 s9, exec_lo
	v_mbcnt_lo_u32_b32 v1, s10, 0
                                        ; implicit-def: $vgpr2
	s_delay_alu instid0(VALU_DEP_1)
	v_cmpx_eq_u32_e32 0, v1
	s_cbranch_execz .LBB40_3
; %bb.2:
	s_load_b64 s[12:13], s[0:1], 0x78
	s_bcnt1_i32_b32 s10, s10
	s_delay_alu instid0(SALU_CYCLE_1)
	v_dual_mov_b32 v2, 0 :: v_dual_mov_b32 v3, s10
	s_wait_xcnt 0x0
	s_wait_kmcnt 0x0
	global_atomic_add_u32 v2, v2, v3, s[12:13] th:TH_ATOMIC_RETURN scope:SCOPE_DEV
.LBB40_3:
	s_wait_xcnt 0x0
	s_or_b32 exec_lo, exec_lo, s9
	s_wait_loadcnt 0x0
	v_readfirstlane_b32 s9, v2
	s_delay_alu instid0(VALU_DEP_1)
	v_dual_mov_b32 v2, 0 :: v_dual_add_nc_u32 v1, s9, v1
	ds_store_b32 v2, v1
.LBB40_4:
	s_or_b32 exec_lo, exec_lo, s8
	v_mov_b32_e32 v3, 0
	s_clause 0x2
	s_load_b64 s[8:9], s[0:1], 0x8
	s_load_b64 s[34:35], s[0:1], 0x30
	s_load_b32 s10, s[0:1], 0x70
	s_wait_dscnt 0x0
	s_barrier_signal -1
	s_barrier_wait -1
	ds_load_b32 v1, v3
	s_wait_dscnt 0x0
	s_barrier_signal -1
	s_barrier_wait -1
	s_wait_kmcnt 0x0
	global_load_b64 v[16:17], v3, s[30:31]
	s_mov_b32 s1, 0
	s_mul_i32 s0, s10, 0x1c00
	s_add_co_i32 s10, s10, -1
	s_add_nc_u64 s[12:13], s[4:5], s[0:1]
	s_add_co_i32 s0, s0, s4
	v_cmp_le_u64_e64 s1, s[6:7], s[12:13]
	v_readfirstlane_b32 s33, v1
	v_mul_lo_u32 v2, 0x1c00, v1
	s_sub_co_i32 s39, s6, s0
	s_cmp_eq_u32 s33, s10
	s_wait_xcnt 0x0
	s_cselect_b32 s30, -1, 0
	s_delay_alu instid0(SALU_CYCLE_1) | instskip(SKIP_2) | instid1(VALU_DEP_1)
	s_and_b32 s38, s1, s30
	s_add_nc_u64 s[0:1], s[8:9], s[4:5]
	s_xor_b32 s31, s38, -1
	v_add_nc_u64_e32 v[10:11], s[0:1], v[2:3]
	s_and_b32 vcc_lo, exec_lo, s31
	s_mov_b32 s0, -1
	s_cbranch_vccz .LBB40_6
; %bb.5:
	s_delay_alu instid0(VALU_DEP_1) | instskip(NEXT) | instid1(VALU_DEP_2)
	v_readfirstlane_b32 s0, v10
	v_readfirstlane_b32 s1, v11
	s_clause 0x1b
	global_load_u8 v1, v0, s[0:1]
	global_load_u8 v2, v0, s[0:1] offset:256
	global_load_u8 v3, v0, s[0:1] offset:512
	;; [unrolled: 1-line block ×27, first 2 shown]
	s_wait_xcnt 0x0
	s_mov_b32 s0, 0
	s_wait_loadcnt 0x1b
	v_cmp_ne_u16_e32 vcc_lo, 0, v1
	v_cndmask_b32_e64 v1, 0, 1, vcc_lo
	s_wait_loadcnt 0x1a
	v_cmp_ne_u16_e32 vcc_lo, 0, v2
	v_cndmask_b32_e64 v2, 0, 1, vcc_lo
	;; [unrolled: 3-line block ×28, first 2 shown]
	ds_store_b8 v0, v1
	ds_store_b8 v0, v2 offset:256
	ds_store_b8 v0, v3 offset:512
	;; [unrolled: 1-line block ×27, first 2 shown]
	s_wait_dscnt 0x0
	s_barrier_signal -1
	s_barrier_wait -1
.LBB40_6:
	s_and_not1_b32 vcc_lo, exec_lo, s0
	s_addk_co_i32 s39, 0x1c00
	s_cbranch_vccnz .LBB40_64
; %bb.7:
	v_mov_b32_e32 v2, 0
	s_mov_b32 s0, exec_lo
	s_delay_alu instid0(VALU_DEP_1)
	v_dual_mov_b32 v3, v2 :: v_dual_mov_b32 v4, v2
	v_dual_mov_b32 v5, v2 :: v_dual_mov_b32 v6, v2
	;; [unrolled: 1-line block ×3, first 2 shown]
	v_cmpx_gt_u32_e64 s39, v0
	s_cbranch_execz .LBB40_9
; %bb.8:
	v_readfirstlane_b32 s6, v10
	v_readfirstlane_b32 s7, v11
	v_dual_mov_b32 v19, v2 :: v_dual_mov_b32 v20, v2
	v_dual_mov_b32 v21, v2 :: v_dual_mov_b32 v22, v2
	global_load_u8 v1, v0, s[6:7]
	v_dual_mov_b32 v23, v2 :: v_dual_mov_b32 v24, v2
	s_wait_loadcnt 0x0
	v_cmp_ne_u16_e32 vcc_lo, 0, v1
	v_cndmask_b32_e64 v1, 0, 1, vcc_lo
	s_delay_alu instid0(VALU_DEP_1) | instskip(NEXT) | instid1(VALU_DEP_1)
	v_and_b32_e32 v18, 0xffff, v1
	v_dual_mov_b32 v2, v18 :: v_dual_mov_b32 v3, v19
	v_dual_mov_b32 v4, v20 :: v_dual_mov_b32 v5, v21
	;; [unrolled: 1-line block ×3, first 2 shown]
	v_mov_b32_e32 v8, v24
.LBB40_9:
	s_or_b32 exec_lo, exec_lo, s0
	v_or_b32_e32 v1, 0x100, v0
	s_mov_b32 s0, exec_lo
	s_delay_alu instid0(VALU_DEP_1)
	v_cmpx_gt_u32_e64 s39, v1
	s_cbranch_execz .LBB40_11
; %bb.10:
	v_readfirstlane_b32 s6, v10
	v_readfirstlane_b32 s7, v11
	global_load_u8 v1, v0, s[6:7] offset:256
	s_wait_loadcnt 0x0
	v_cmp_ne_u16_e32 vcc_lo, 0, v1
	v_cndmask_b32_e64 v1, 0, 1, vcc_lo
	s_delay_alu instid0(VALU_DEP_1) | instskip(NEXT) | instid1(VALU_DEP_1)
	v_lshlrev_b16 v1, 8, v1
	v_bitop3_b16 v1, v2, v1, 0xff bitop3:0xec
	s_delay_alu instid0(VALU_DEP_1) | instskip(NEXT) | instid1(VALU_DEP_1)
	v_and_b32_e32 v1, 0xffff, v1
	v_and_or_b32 v2, 0xffff0000, v2, v1
.LBB40_11:
	s_or_b32 exec_lo, exec_lo, s0
	v_or_b32_e32 v1, 0x200, v0
	s_mov_b32 s0, exec_lo
	s_delay_alu instid0(VALU_DEP_1)
	v_cmpx_gt_u32_e64 s39, v1
	s_cbranch_execz .LBB40_13
; %bb.12:
	v_readfirstlane_b32 s6, v10
	v_readfirstlane_b32 s7, v11
	v_lshrrev_b32_e32 v9, 16, v2
	global_load_u8 v1, v0, s[6:7] offset:512
	s_wait_loadcnt 0x0
	v_cmp_ne_u16_e32 vcc_lo, 0, v1
	v_cndmask_b32_e64 v1, 0, 1, vcc_lo
	s_delay_alu instid0(VALU_DEP_1) | instskip(NEXT) | instid1(VALU_DEP_1)
	v_bitop3_b16 v1, v1, v9, 0xff00 bitop3:0xf8
	v_lshlrev_b32_e32 v1, 16, v1
	s_delay_alu instid0(VALU_DEP_1)
	v_and_or_b32 v2, 0xffff, v2, v1
.LBB40_13:
	s_or_b32 exec_lo, exec_lo, s0
	v_or_b32_e32 v1, 0x300, v0
	s_mov_b32 s0, exec_lo
	s_delay_alu instid0(VALU_DEP_1)
	v_cmpx_gt_u32_e64 s39, v1
	s_cbranch_execz .LBB40_15
; %bb.14:
	v_readfirstlane_b32 s6, v10
	v_readfirstlane_b32 s7, v11
	v_lshrrev_b32_e32 v9, 16, v2
	global_load_u8 v1, v0, s[6:7] offset:768
	s_wait_loadcnt 0x0
	v_cmp_ne_u16_e32 vcc_lo, 0, v1
	v_cndmask_b32_e64 v1, 0, 1, vcc_lo
	s_delay_alu instid0(VALU_DEP_1) | instskip(NEXT) | instid1(VALU_DEP_1)
	v_lshlrev_b16 v1, 8, v1
	v_bitop3_b16 v1, v9, v1, 0xff bitop3:0xec
	s_delay_alu instid0(VALU_DEP_1) | instskip(NEXT) | instid1(VALU_DEP_1)
	v_lshlrev_b32_e32 v1, 16, v1
	v_and_or_b32 v2, 0xffff, v2, v1
.LBB40_15:
	s_or_b32 exec_lo, exec_lo, s0
	v_or_b32_e32 v1, 0x400, v0
	s_mov_b32 s0, exec_lo
	s_delay_alu instid0(VALU_DEP_1)
	v_cmpx_gt_u32_e64 s39, v1
	s_cbranch_execz .LBB40_17
; %bb.16:
	v_readfirstlane_b32 s6, v10
	v_readfirstlane_b32 s7, v11
	global_load_u8 v1, v0, s[6:7] offset:1024
	s_wait_loadcnt 0x0
	v_cmp_ne_u16_e32 vcc_lo, 0, v1
	v_cndmask_b32_e64 v1, 0, 1, vcc_lo
	s_delay_alu instid0(VALU_DEP_1) | instskip(NEXT) | instid1(VALU_DEP_1)
	v_bitop3_b16 v1, v1, v3, 0xff00 bitop3:0xf8
	v_and_b32_e32 v1, 0xffff, v1
	s_delay_alu instid0(VALU_DEP_1)
	v_and_or_b32 v3, 0xffff0000, v3, v1
.LBB40_17:
	s_or_b32 exec_lo, exec_lo, s0
	v_or_b32_e32 v1, 0x500, v0
	s_mov_b32 s0, exec_lo
	s_delay_alu instid0(VALU_DEP_1)
	v_cmpx_gt_u32_e64 s39, v1
	s_cbranch_execz .LBB40_19
; %bb.18:
	v_readfirstlane_b32 s6, v10
	v_readfirstlane_b32 s7, v11
	global_load_u8 v1, v0, s[6:7] offset:1280
	s_wait_loadcnt 0x0
	v_cmp_ne_u16_e32 vcc_lo, 0, v1
	v_cndmask_b32_e64 v1, 0, 1, vcc_lo
	s_delay_alu instid0(VALU_DEP_1) | instskip(NEXT) | instid1(VALU_DEP_1)
	v_lshlrev_b16 v1, 8, v1
	v_bitop3_b16 v1, v3, v1, 0xff bitop3:0xec
	s_delay_alu instid0(VALU_DEP_1) | instskip(NEXT) | instid1(VALU_DEP_1)
	v_and_b32_e32 v1, 0xffff, v1
	v_and_or_b32 v3, 0xffff0000, v3, v1
.LBB40_19:
	s_or_b32 exec_lo, exec_lo, s0
	v_or_b32_e32 v1, 0x600, v0
	s_mov_b32 s0, exec_lo
	s_delay_alu instid0(VALU_DEP_1)
	v_cmpx_gt_u32_e64 s39, v1
	s_cbranch_execz .LBB40_21
; %bb.20:
	v_readfirstlane_b32 s6, v10
	v_readfirstlane_b32 s7, v11
	v_lshrrev_b32_e32 v9, 16, v3
	global_load_u8 v1, v0, s[6:7] offset:1536
	s_wait_loadcnt 0x0
	v_cmp_ne_u16_e32 vcc_lo, 0, v1
	v_cndmask_b32_e64 v1, 0, 1, vcc_lo
	s_delay_alu instid0(VALU_DEP_1) | instskip(NEXT) | instid1(VALU_DEP_1)
	v_bitop3_b16 v1, v1, v9, 0xff00 bitop3:0xf8
	v_lshlrev_b32_e32 v1, 16, v1
	s_delay_alu instid0(VALU_DEP_1)
	v_and_or_b32 v3, 0xffff, v3, v1
.LBB40_21:
	s_or_b32 exec_lo, exec_lo, s0
	v_or_b32_e32 v1, 0x700, v0
	s_mov_b32 s0, exec_lo
	s_delay_alu instid0(VALU_DEP_1)
	v_cmpx_gt_u32_e64 s39, v1
	s_cbranch_execz .LBB40_23
; %bb.22:
	v_readfirstlane_b32 s6, v10
	v_readfirstlane_b32 s7, v11
	v_lshrrev_b32_e32 v9, 16, v3
	global_load_u8 v1, v0, s[6:7] offset:1792
	s_wait_loadcnt 0x0
	v_cmp_ne_u16_e32 vcc_lo, 0, v1
	v_cndmask_b32_e64 v1, 0, 1, vcc_lo
	s_delay_alu instid0(VALU_DEP_1) | instskip(NEXT) | instid1(VALU_DEP_1)
	v_lshlrev_b16 v1, 8, v1
	v_bitop3_b16 v1, v9, v1, 0xff bitop3:0xec
	s_delay_alu instid0(VALU_DEP_1) | instskip(NEXT) | instid1(VALU_DEP_1)
	v_lshlrev_b32_e32 v1, 16, v1
	v_and_or_b32 v3, 0xffff, v3, v1
.LBB40_23:
	s_or_b32 exec_lo, exec_lo, s0
	v_or_b32_e32 v1, 0x800, v0
	s_mov_b32 s0, exec_lo
	s_delay_alu instid0(VALU_DEP_1)
	v_cmpx_gt_u32_e64 s39, v1
	s_cbranch_execz .LBB40_25
; %bb.24:
	v_readfirstlane_b32 s6, v10
	v_readfirstlane_b32 s7, v11
	global_load_u8 v1, v0, s[6:7] offset:2048
	s_wait_loadcnt 0x0
	v_cmp_ne_u16_e32 vcc_lo, 0, v1
	v_cndmask_b32_e64 v1, 0, 1, vcc_lo
	s_delay_alu instid0(VALU_DEP_1) | instskip(NEXT) | instid1(VALU_DEP_1)
	v_bitop3_b16 v1, v1, v4, 0xff00 bitop3:0xf8
	v_and_b32_e32 v1, 0xffff, v1
	s_delay_alu instid0(VALU_DEP_1)
	v_and_or_b32 v4, 0xffff0000, v4, v1
.LBB40_25:
	s_or_b32 exec_lo, exec_lo, s0
	v_or_b32_e32 v1, 0x900, v0
	s_mov_b32 s0, exec_lo
	s_delay_alu instid0(VALU_DEP_1)
	v_cmpx_gt_u32_e64 s39, v1
	s_cbranch_execz .LBB40_27
; %bb.26:
	v_readfirstlane_b32 s6, v10
	v_readfirstlane_b32 s7, v11
	global_load_u8 v1, v0, s[6:7] offset:2304
	s_wait_loadcnt 0x0
	v_cmp_ne_u16_e32 vcc_lo, 0, v1
	v_cndmask_b32_e64 v1, 0, 1, vcc_lo
	s_delay_alu instid0(VALU_DEP_1) | instskip(NEXT) | instid1(VALU_DEP_1)
	v_lshlrev_b16 v1, 8, v1
	v_bitop3_b16 v1, v4, v1, 0xff bitop3:0xec
	s_delay_alu instid0(VALU_DEP_1) | instskip(NEXT) | instid1(VALU_DEP_1)
	v_and_b32_e32 v1, 0xffff, v1
	v_and_or_b32 v4, 0xffff0000, v4, v1
.LBB40_27:
	s_or_b32 exec_lo, exec_lo, s0
	v_or_b32_e32 v1, 0xa00, v0
	s_mov_b32 s0, exec_lo
	s_delay_alu instid0(VALU_DEP_1)
	v_cmpx_gt_u32_e64 s39, v1
	s_cbranch_execz .LBB40_29
; %bb.28:
	v_readfirstlane_b32 s6, v10
	v_readfirstlane_b32 s7, v11
	v_lshrrev_b32_e32 v9, 16, v4
	global_load_u8 v1, v0, s[6:7] offset:2560
	s_wait_loadcnt 0x0
	v_cmp_ne_u16_e32 vcc_lo, 0, v1
	v_cndmask_b32_e64 v1, 0, 1, vcc_lo
	s_delay_alu instid0(VALU_DEP_1) | instskip(NEXT) | instid1(VALU_DEP_1)
	v_bitop3_b16 v1, v1, v9, 0xff00 bitop3:0xf8
	v_lshlrev_b32_e32 v1, 16, v1
	s_delay_alu instid0(VALU_DEP_1)
	v_and_or_b32 v4, 0xffff, v4, v1
.LBB40_29:
	s_or_b32 exec_lo, exec_lo, s0
	v_or_b32_e32 v1, 0xb00, v0
	s_mov_b32 s0, exec_lo
	s_delay_alu instid0(VALU_DEP_1)
	v_cmpx_gt_u32_e64 s39, v1
	s_cbranch_execz .LBB40_31
; %bb.30:
	v_readfirstlane_b32 s6, v10
	v_readfirstlane_b32 s7, v11
	v_lshrrev_b32_e32 v9, 16, v4
	global_load_u8 v1, v0, s[6:7] offset:2816
	s_wait_loadcnt 0x0
	v_cmp_ne_u16_e32 vcc_lo, 0, v1
	v_cndmask_b32_e64 v1, 0, 1, vcc_lo
	s_delay_alu instid0(VALU_DEP_1) | instskip(NEXT) | instid1(VALU_DEP_1)
	v_lshlrev_b16 v1, 8, v1
	v_bitop3_b16 v1, v9, v1, 0xff bitop3:0xec
	s_delay_alu instid0(VALU_DEP_1) | instskip(NEXT) | instid1(VALU_DEP_1)
	v_lshlrev_b32_e32 v1, 16, v1
	v_and_or_b32 v4, 0xffff, v4, v1
.LBB40_31:
	s_or_b32 exec_lo, exec_lo, s0
	v_or_b32_e32 v1, 0xc00, v0
	s_mov_b32 s0, exec_lo
	s_delay_alu instid0(VALU_DEP_1)
	v_cmpx_gt_u32_e64 s39, v1
	s_cbranch_execz .LBB40_33
; %bb.32:
	v_readfirstlane_b32 s6, v10
	v_readfirstlane_b32 s7, v11
	global_load_u8 v1, v0, s[6:7] offset:3072
	s_wait_loadcnt 0x0
	v_cmp_ne_u16_e32 vcc_lo, 0, v1
	v_cndmask_b32_e64 v1, 0, 1, vcc_lo
	s_delay_alu instid0(VALU_DEP_1) | instskip(NEXT) | instid1(VALU_DEP_1)
	v_bitop3_b16 v1, v1, v5, 0xff00 bitop3:0xf8
	v_and_b32_e32 v1, 0xffff, v1
	s_delay_alu instid0(VALU_DEP_1)
	v_and_or_b32 v5, 0xffff0000, v5, v1
.LBB40_33:
	s_or_b32 exec_lo, exec_lo, s0
	v_or_b32_e32 v1, 0xd00, v0
	s_mov_b32 s0, exec_lo
	s_delay_alu instid0(VALU_DEP_1)
	v_cmpx_gt_u32_e64 s39, v1
	s_cbranch_execz .LBB40_35
; %bb.34:
	v_readfirstlane_b32 s6, v10
	v_readfirstlane_b32 s7, v11
	global_load_u8 v1, v0, s[6:7] offset:3328
	s_wait_loadcnt 0x0
	v_cmp_ne_u16_e32 vcc_lo, 0, v1
	v_cndmask_b32_e64 v1, 0, 1, vcc_lo
	s_delay_alu instid0(VALU_DEP_1) | instskip(NEXT) | instid1(VALU_DEP_1)
	v_lshlrev_b16 v1, 8, v1
	v_bitop3_b16 v1, v5, v1, 0xff bitop3:0xec
	s_delay_alu instid0(VALU_DEP_1) | instskip(NEXT) | instid1(VALU_DEP_1)
	v_and_b32_e32 v1, 0xffff, v1
	v_and_or_b32 v5, 0xffff0000, v5, v1
.LBB40_35:
	s_or_b32 exec_lo, exec_lo, s0
	v_or_b32_e32 v1, 0xe00, v0
	s_mov_b32 s0, exec_lo
	s_delay_alu instid0(VALU_DEP_1)
	v_cmpx_gt_u32_e64 s39, v1
	s_cbranch_execz .LBB40_37
; %bb.36:
	v_readfirstlane_b32 s6, v10
	v_readfirstlane_b32 s7, v11
	v_lshrrev_b32_e32 v9, 16, v5
	global_load_u8 v1, v0, s[6:7] offset:3584
	s_wait_loadcnt 0x0
	v_cmp_ne_u16_e32 vcc_lo, 0, v1
	v_cndmask_b32_e64 v1, 0, 1, vcc_lo
	s_delay_alu instid0(VALU_DEP_1) | instskip(NEXT) | instid1(VALU_DEP_1)
	v_bitop3_b16 v1, v1, v9, 0xff00 bitop3:0xf8
	v_lshlrev_b32_e32 v1, 16, v1
	s_delay_alu instid0(VALU_DEP_1)
	v_and_or_b32 v5, 0xffff, v5, v1
.LBB40_37:
	s_or_b32 exec_lo, exec_lo, s0
	v_or_b32_e32 v1, 0xf00, v0
	s_mov_b32 s0, exec_lo
	s_delay_alu instid0(VALU_DEP_1)
	v_cmpx_gt_u32_e64 s39, v1
	s_cbranch_execz .LBB40_39
; %bb.38:
	v_readfirstlane_b32 s6, v10
	v_readfirstlane_b32 s7, v11
	v_lshrrev_b32_e32 v9, 16, v5
	global_load_u8 v1, v0, s[6:7] offset:3840
	s_wait_loadcnt 0x0
	v_cmp_ne_u16_e32 vcc_lo, 0, v1
	v_cndmask_b32_e64 v1, 0, 1, vcc_lo
	s_delay_alu instid0(VALU_DEP_1) | instskip(NEXT) | instid1(VALU_DEP_1)
	v_lshlrev_b16 v1, 8, v1
	v_bitop3_b16 v1, v9, v1, 0xff bitop3:0xec
	s_delay_alu instid0(VALU_DEP_1) | instskip(NEXT) | instid1(VALU_DEP_1)
	v_lshlrev_b32_e32 v1, 16, v1
	v_and_or_b32 v5, 0xffff, v5, v1
.LBB40_39:
	s_or_b32 exec_lo, exec_lo, s0
	v_or_b32_e32 v1, 0x1000, v0
	s_mov_b32 s0, exec_lo
	s_delay_alu instid0(VALU_DEP_1)
	v_cmpx_gt_u32_e64 s39, v1
	s_cbranch_execz .LBB40_41
; %bb.40:
	v_readfirstlane_b32 s6, v10
	v_readfirstlane_b32 s7, v11
	global_load_u8 v1, v0, s[6:7] offset:4096
	s_wait_loadcnt 0x0
	v_cmp_ne_u16_e32 vcc_lo, 0, v1
	v_cndmask_b32_e64 v1, 0, 1, vcc_lo
	s_delay_alu instid0(VALU_DEP_1) | instskip(NEXT) | instid1(VALU_DEP_1)
	v_bitop3_b16 v1, v1, v6, 0xff00 bitop3:0xf8
	v_and_b32_e32 v1, 0xffff, v1
	s_delay_alu instid0(VALU_DEP_1)
	v_and_or_b32 v6, 0xffff0000, v6, v1
.LBB40_41:
	s_or_b32 exec_lo, exec_lo, s0
	v_or_b32_e32 v1, 0x1100, v0
	s_mov_b32 s0, exec_lo
	s_delay_alu instid0(VALU_DEP_1)
	v_cmpx_gt_u32_e64 s39, v1
	s_cbranch_execz .LBB40_43
; %bb.42:
	v_readfirstlane_b32 s6, v10
	v_readfirstlane_b32 s7, v11
	global_load_u8 v1, v0, s[6:7] offset:4352
	s_wait_loadcnt 0x0
	v_cmp_ne_u16_e32 vcc_lo, 0, v1
	v_cndmask_b32_e64 v1, 0, 1, vcc_lo
	s_delay_alu instid0(VALU_DEP_1) | instskip(NEXT) | instid1(VALU_DEP_1)
	v_lshlrev_b16 v1, 8, v1
	v_bitop3_b16 v1, v6, v1, 0xff bitop3:0xec
	s_delay_alu instid0(VALU_DEP_1) | instskip(NEXT) | instid1(VALU_DEP_1)
	v_and_b32_e32 v1, 0xffff, v1
	v_and_or_b32 v6, 0xffff0000, v6, v1
.LBB40_43:
	s_or_b32 exec_lo, exec_lo, s0
	v_or_b32_e32 v1, 0x1200, v0
	s_mov_b32 s0, exec_lo
	s_delay_alu instid0(VALU_DEP_1)
	v_cmpx_gt_u32_e64 s39, v1
	s_cbranch_execz .LBB40_45
; %bb.44:
	v_readfirstlane_b32 s6, v10
	v_readfirstlane_b32 s7, v11
	v_lshrrev_b32_e32 v9, 16, v6
	global_load_u8 v1, v0, s[6:7] offset:4608
	s_wait_loadcnt 0x0
	v_cmp_ne_u16_e32 vcc_lo, 0, v1
	v_cndmask_b32_e64 v1, 0, 1, vcc_lo
	s_delay_alu instid0(VALU_DEP_1) | instskip(NEXT) | instid1(VALU_DEP_1)
	v_bitop3_b16 v1, v1, v9, 0xff00 bitop3:0xf8
	v_lshlrev_b32_e32 v1, 16, v1
	s_delay_alu instid0(VALU_DEP_1)
	v_and_or_b32 v6, 0xffff, v6, v1
.LBB40_45:
	s_or_b32 exec_lo, exec_lo, s0
	v_or_b32_e32 v1, 0x1300, v0
	s_mov_b32 s0, exec_lo
	s_delay_alu instid0(VALU_DEP_1)
	v_cmpx_gt_u32_e64 s39, v1
	s_cbranch_execz .LBB40_47
; %bb.46:
	v_readfirstlane_b32 s6, v10
	v_readfirstlane_b32 s7, v11
	v_lshrrev_b32_e32 v9, 16, v6
	global_load_u8 v1, v0, s[6:7] offset:4864
	s_wait_loadcnt 0x0
	v_cmp_ne_u16_e32 vcc_lo, 0, v1
	v_cndmask_b32_e64 v1, 0, 1, vcc_lo
	s_delay_alu instid0(VALU_DEP_1) | instskip(NEXT) | instid1(VALU_DEP_1)
	v_lshlrev_b16 v1, 8, v1
	v_bitop3_b16 v1, v9, v1, 0xff bitop3:0xec
	s_delay_alu instid0(VALU_DEP_1) | instskip(NEXT) | instid1(VALU_DEP_1)
	v_lshlrev_b32_e32 v1, 16, v1
	v_and_or_b32 v6, 0xffff, v6, v1
.LBB40_47:
	s_or_b32 exec_lo, exec_lo, s0
	v_or_b32_e32 v1, 0x1400, v0
	s_mov_b32 s0, exec_lo
	s_delay_alu instid0(VALU_DEP_1)
	v_cmpx_gt_u32_e64 s39, v1
	s_cbranch_execz .LBB40_49
; %bb.48:
	v_readfirstlane_b32 s6, v10
	v_readfirstlane_b32 s7, v11
	global_load_u8 v1, v0, s[6:7] offset:5120
	s_wait_loadcnt 0x0
	v_cmp_ne_u16_e32 vcc_lo, 0, v1
	v_cndmask_b32_e64 v1, 0, 1, vcc_lo
	s_delay_alu instid0(VALU_DEP_1) | instskip(NEXT) | instid1(VALU_DEP_1)
	v_bitop3_b16 v1, v1, v7, 0xff00 bitop3:0xf8
	v_and_b32_e32 v1, 0xffff, v1
	s_delay_alu instid0(VALU_DEP_1)
	v_and_or_b32 v7, 0xffff0000, v7, v1
.LBB40_49:
	s_or_b32 exec_lo, exec_lo, s0
	v_or_b32_e32 v1, 0x1500, v0
	s_mov_b32 s0, exec_lo
	s_delay_alu instid0(VALU_DEP_1)
	v_cmpx_gt_u32_e64 s39, v1
	s_cbranch_execz .LBB40_51
; %bb.50:
	v_readfirstlane_b32 s6, v10
	v_readfirstlane_b32 s7, v11
	global_load_u8 v1, v0, s[6:7] offset:5376
	s_wait_loadcnt 0x0
	v_cmp_ne_u16_e32 vcc_lo, 0, v1
	v_cndmask_b32_e64 v1, 0, 1, vcc_lo
	s_delay_alu instid0(VALU_DEP_1) | instskip(NEXT) | instid1(VALU_DEP_1)
	v_lshlrev_b16 v1, 8, v1
	v_bitop3_b16 v1, v7, v1, 0xff bitop3:0xec
	s_delay_alu instid0(VALU_DEP_1) | instskip(NEXT) | instid1(VALU_DEP_1)
	v_and_b32_e32 v1, 0xffff, v1
	v_and_or_b32 v7, 0xffff0000, v7, v1
.LBB40_51:
	s_or_b32 exec_lo, exec_lo, s0
	v_or_b32_e32 v1, 0x1600, v0
	s_mov_b32 s0, exec_lo
	s_delay_alu instid0(VALU_DEP_1)
	v_cmpx_gt_u32_e64 s39, v1
	s_cbranch_execz .LBB40_53
; %bb.52:
	v_readfirstlane_b32 s6, v10
	v_readfirstlane_b32 s7, v11
	v_lshrrev_b32_e32 v9, 16, v7
	global_load_u8 v1, v0, s[6:7] offset:5632
	s_wait_loadcnt 0x0
	v_cmp_ne_u16_e32 vcc_lo, 0, v1
	v_cndmask_b32_e64 v1, 0, 1, vcc_lo
	s_delay_alu instid0(VALU_DEP_1) | instskip(NEXT) | instid1(VALU_DEP_1)
	v_bitop3_b16 v1, v1, v9, 0xff00 bitop3:0xf8
	v_lshlrev_b32_e32 v1, 16, v1
	s_delay_alu instid0(VALU_DEP_1)
	v_and_or_b32 v7, 0xffff, v7, v1
.LBB40_53:
	s_or_b32 exec_lo, exec_lo, s0
	v_or_b32_e32 v1, 0x1700, v0
	s_mov_b32 s0, exec_lo
	s_delay_alu instid0(VALU_DEP_1)
	v_cmpx_gt_u32_e64 s39, v1
	s_cbranch_execz .LBB40_55
; %bb.54:
	v_readfirstlane_b32 s6, v10
	v_readfirstlane_b32 s7, v11
	v_lshrrev_b32_e32 v9, 16, v7
	global_load_u8 v1, v0, s[6:7] offset:5888
	s_wait_loadcnt 0x0
	v_cmp_ne_u16_e32 vcc_lo, 0, v1
	v_cndmask_b32_e64 v1, 0, 1, vcc_lo
	s_delay_alu instid0(VALU_DEP_1) | instskip(NEXT) | instid1(VALU_DEP_1)
	v_lshlrev_b16 v1, 8, v1
	v_bitop3_b16 v1, v9, v1, 0xff bitop3:0xec
	s_delay_alu instid0(VALU_DEP_1) | instskip(NEXT) | instid1(VALU_DEP_1)
	v_lshlrev_b32_e32 v1, 16, v1
	v_and_or_b32 v7, 0xffff, v7, v1
.LBB40_55:
	s_or_b32 exec_lo, exec_lo, s0
	v_or_b32_e32 v1, 0x1800, v0
	s_mov_b32 s0, exec_lo
	s_delay_alu instid0(VALU_DEP_1)
	v_cmpx_gt_u32_e64 s39, v1
	s_cbranch_execz .LBB40_57
; %bb.56:
	v_readfirstlane_b32 s6, v10
	v_readfirstlane_b32 s7, v11
	global_load_u8 v1, v0, s[6:7] offset:6144
	s_wait_loadcnt 0x0
	v_cmp_ne_u16_e32 vcc_lo, 0, v1
	v_cndmask_b32_e64 v1, 0, 1, vcc_lo
	s_delay_alu instid0(VALU_DEP_1) | instskip(NEXT) | instid1(VALU_DEP_1)
	v_bitop3_b16 v1, v1, v8, 0xff00 bitop3:0xf8
	v_and_b32_e32 v1, 0xffff, v1
	s_delay_alu instid0(VALU_DEP_1)
	v_and_or_b32 v8, 0xffff0000, v8, v1
.LBB40_57:
	s_or_b32 exec_lo, exec_lo, s0
	v_or_b32_e32 v1, 0x1900, v0
	s_mov_b32 s0, exec_lo
	s_delay_alu instid0(VALU_DEP_1)
	v_cmpx_gt_u32_e64 s39, v1
	s_cbranch_execz .LBB40_59
; %bb.58:
	v_readfirstlane_b32 s6, v10
	v_readfirstlane_b32 s7, v11
	global_load_u8 v1, v0, s[6:7] offset:6400
	s_wait_loadcnt 0x0
	v_cmp_ne_u16_e32 vcc_lo, 0, v1
	v_cndmask_b32_e64 v1, 0, 1, vcc_lo
	s_delay_alu instid0(VALU_DEP_1) | instskip(NEXT) | instid1(VALU_DEP_1)
	v_lshlrev_b16 v1, 8, v1
	v_bitop3_b16 v1, v8, v1, 0xff bitop3:0xec
	s_delay_alu instid0(VALU_DEP_1) | instskip(NEXT) | instid1(VALU_DEP_1)
	v_and_b32_e32 v1, 0xffff, v1
	v_and_or_b32 v8, 0xffff0000, v8, v1
.LBB40_59:
	s_or_b32 exec_lo, exec_lo, s0
	v_or_b32_e32 v1, 0x1a00, v0
	s_mov_b32 s0, exec_lo
	s_delay_alu instid0(VALU_DEP_1)
	v_cmpx_gt_u32_e64 s39, v1
	s_cbranch_execz .LBB40_61
; %bb.60:
	v_readfirstlane_b32 s6, v10
	v_readfirstlane_b32 s7, v11
	v_lshrrev_b32_e32 v9, 16, v8
	global_load_u8 v1, v0, s[6:7] offset:6656
	s_wait_loadcnt 0x0
	v_cmp_ne_u16_e32 vcc_lo, 0, v1
	v_cndmask_b32_e64 v1, 0, 1, vcc_lo
	s_delay_alu instid0(VALU_DEP_1) | instskip(NEXT) | instid1(VALU_DEP_1)
	v_bitop3_b16 v1, v1, v9, 0xff00 bitop3:0xf8
	v_lshlrev_b32_e32 v1, 16, v1
	s_delay_alu instid0(VALU_DEP_1)
	v_and_or_b32 v8, 0xffff, v8, v1
.LBB40_61:
	s_or_b32 exec_lo, exec_lo, s0
	v_or_b32_e32 v1, 0x1b00, v0
	s_mov_b32 s0, exec_lo
	s_delay_alu instid0(VALU_DEP_1)
	v_cmpx_gt_u32_e64 s39, v1
	s_cbranch_execz .LBB40_63
; %bb.62:
	v_readfirstlane_b32 s6, v10
	v_readfirstlane_b32 s7, v11
	v_lshrrev_b32_e32 v9, 16, v8
	global_load_u8 v1, v0, s[6:7] offset:6912
	s_wait_loadcnt 0x0
	v_cmp_ne_u16_e32 vcc_lo, 0, v1
	v_cndmask_b32_e64 v1, 0, 1, vcc_lo
	s_delay_alu instid0(VALU_DEP_1) | instskip(NEXT) | instid1(VALU_DEP_1)
	v_lshlrev_b16 v1, 8, v1
	v_bitop3_b16 v1, v9, v1, 0xff bitop3:0xec
	s_delay_alu instid0(VALU_DEP_1) | instskip(NEXT) | instid1(VALU_DEP_1)
	v_lshlrev_b32_e32 v1, 16, v1
	v_and_or_b32 v8, 0xffff, v8, v1
.LBB40_63:
	s_or_b32 exec_lo, exec_lo, s0
	v_dual_lshrrev_b32 v1, 8, v2 :: v_dual_lshrrev_b32 v9, 24, v2
	v_dual_lshrrev_b32 v12, 8, v3 :: v_dual_lshrrev_b32 v13, 24, v3
	ds_store_b8 v0, v2
	ds_store_b8 v0, v1 offset:256
	ds_store_b8_d16_hi v0, v2 offset:512
	ds_store_b8 v0, v9 offset:768
	ds_store_b8 v0, v3 offset:1024
	;; [unrolled: 1-line block ×3, first 2 shown]
	ds_store_b8_d16_hi v0, v3 offset:1536
	ds_store_b8 v0, v13 offset:1792
	v_dual_lshrrev_b32 v1, 8, v4 :: v_dual_lshrrev_b32 v2, 24, v4
	v_dual_lshrrev_b32 v3, 8, v5 :: v_dual_lshrrev_b32 v9, 24, v5
	ds_store_b8 v0, v4 offset:2048
	ds_store_b8 v0, v1 offset:2304
	ds_store_b8_d16_hi v0, v4 offset:2560
	ds_store_b8 v0, v2 offset:2816
	ds_store_b8 v0, v5 offset:3072
	;; [unrolled: 1-line block ×3, first 2 shown]
	ds_store_b8_d16_hi v0, v5 offset:3584
	ds_store_b8 v0, v9 offset:3840
	v_dual_lshrrev_b32 v1, 8, v6 :: v_dual_lshrrev_b32 v2, 24, v6
	v_dual_lshrrev_b32 v3, 8, v7 :: v_dual_lshrrev_b32 v4, 24, v7
	v_dual_lshrrev_b32 v5, 8, v8 :: v_dual_lshrrev_b32 v9, 24, v8
	ds_store_b8 v0, v6 offset:4096
	ds_store_b8 v0, v1 offset:4352
	ds_store_b8_d16_hi v0, v6 offset:4608
	ds_store_b8 v0, v2 offset:4864
	ds_store_b8 v0, v7 offset:5120
	ds_store_b8 v0, v3 offset:5376
	ds_store_b8_d16_hi v0, v7 offset:5632
	ds_store_b8 v0, v4 offset:5888
	;; [unrolled: 4-line block ×3, first 2 shown]
	s_wait_loadcnt_dscnt 0x0
	s_barrier_signal -1
	s_barrier_wait -1
.LBB40_64:
	v_mul_u32_u24_e32 v8, 28, v0
	s_wait_loadcnt 0x0
	s_cmp_lg_u32 s33, 0
	s_mov_b32 s41, 0
	s_cselect_b32 s40, -1, 0
	ds_load_2addr_b32 v[6:7], v8 offset1:1
	ds_load_2addr_b32 v[4:5], v8 offset0:2 offset1:3
	ds_load_2addr_b32 v[2:3], v8 offset0:4 offset1:5
	ds_load_b32 v22, v8 offset:24
	s_cmp_lg_u64 s[4:5], 0
	s_wait_dscnt 0x0
	s_cselect_b32 s0, -1, 0
	s_barrier_signal -1
	s_or_b32 s0, s0, s40
	s_barrier_wait -1
	s_and_b32 vcc_lo, exec_lo, s0
	v_dual_lshrrev_b32 v41, 8, v6 :: v_dual_lshrrev_b32 v40, 16, v6
	v_dual_lshrrev_b32 v39, 24, v6 :: v_dual_lshrrev_b32 v38, 8, v7
	;; [unrolled: 1-line block ×10, first 2 shown]
	v_lshrrev_b32_e32 v1, 24, v22
	s_cbranch_vccz .LBB40_69
; %bb.65:
	global_load_u8 v9, v[10:11], off offset:-1
	s_and_b32 vcc_lo, exec_lo, s31
	ds_store_b8 v0, v1
	s_wait_loadcnt 0x0
	v_cmp_ne_u32_e64 s0, 0, v9
	s_delay_alu instid0(VALU_DEP_1)
	v_cndmask_b32_e64 v9, 0, 1, s0
	s_cbranch_vccz .LBB40_70
; %bb.66:
	v_cndmask_b32_e64 v10, 0, 1, s0
	s_wait_dscnt 0x0
	s_barrier_signal -1
	s_barrier_wait -1
	s_and_saveexec_b32 s0, s3
; %bb.67:
	v_add_nc_u32_e32 v10, -1, v0
	ds_load_u8 v10, v10
; %bb.68:
	s_or_b32 exec_lo, exec_lo, s0
	v_and_b32_e32 v11, 0xff, v21
	v_and_b32_e32 v12, 0xff, v23
	;; [unrolled: 1-line block ×3, first 2 shown]
	s_wait_dscnt 0x0
	v_and_b32_e32 v10, 0xff, v10
	v_cmp_ne_u16_e32 vcc_lo, v11, v1
	v_cndmask_b32_e64 v42, 0, 1, vcc_lo
	v_cmp_ne_u16_e32 vcc_lo, v12, v11
	v_and_b32_e32 v11, 0xff, v25
	v_cndmask_b32_e64 v43, 0, 1, vcc_lo
	v_cmp_ne_u16_e32 vcc_lo, v13, v12
	v_and_b32_e32 v12, 0xff, v26
	v_cndmask_b32_e64 v44, 0, 1, vcc_lo
	v_cmp_ne_u16_e32 vcc_lo, v24, v13
	v_and_b32_e32 v13, 0xff, v3
	v_cndmask_b32_e64 v45, 0, 1, vcc_lo
	v_cmp_ne_u16_e32 vcc_lo, v11, v24
	v_cndmask_b32_e64 v46, 0, 1, vcc_lo
	v_cmp_ne_u16_e32 vcc_lo, v12, v11
	v_and_b32_e32 v11, 0xff, v28
	v_cndmask_b32_e64 v47, 0, 1, vcc_lo
	v_cmp_ne_u16_e32 vcc_lo, v13, v12
	v_and_b32_e32 v12, 0xff, v29
	v_cndmask_b32_e64 v48, 0, 1, vcc_lo
	v_cmp_ne_u16_e32 vcc_lo, v27, v13
	v_and_b32_e32 v13, 0xff, v2
	v_cndmask_b32_e64 v49, 0, 1, vcc_lo
	;; [unrolled: 11-line block ×6, first 2 shown]
	v_cmp_ne_u16_e32 vcc_lo, v11, v39
	s_delay_alu instid0(VALU_DEP_3)
	v_cmp_ne_u16_e64 s42, v10, v13
	v_cndmask_b32_e64 v66, 0, 1, vcc_lo
	v_cmp_ne_u16_e32 vcc_lo, v12, v11
	v_cndmask_b32_e64 v67, 0, 1, vcc_lo
	v_cmp_ne_u16_e32 vcc_lo, v13, v12
	v_cndmask_b32_e64 v68, 0, 1, vcc_lo
	s_branch .LBB40_74
.LBB40_69:
                                        ; implicit-def: $sgpr42
                                        ; implicit-def: $vgpr42
                                        ; implicit-def: $vgpr43
                                        ; implicit-def: $vgpr44
                                        ; implicit-def: $vgpr45
                                        ; implicit-def: $vgpr46
                                        ; implicit-def: $vgpr47
                                        ; implicit-def: $vgpr48
                                        ; implicit-def: $vgpr49
                                        ; implicit-def: $vgpr50
                                        ; implicit-def: $vgpr51
                                        ; implicit-def: $vgpr52
                                        ; implicit-def: $vgpr53
                                        ; implicit-def: $vgpr54
                                        ; implicit-def: $vgpr55
                                        ; implicit-def: $vgpr56
                                        ; implicit-def: $vgpr57
                                        ; implicit-def: $vgpr58
                                        ; implicit-def: $vgpr68
                                        ; implicit-def: $vgpr67
                                        ; implicit-def: $vgpr66
                                        ; implicit-def: $vgpr65
                                        ; implicit-def: $vgpr64
                                        ; implicit-def: $vgpr63
                                        ; implicit-def: $vgpr62
                                        ; implicit-def: $vgpr61
                                        ; implicit-def: $vgpr60
                                        ; implicit-def: $vgpr59
	s_branch .LBB40_75
.LBB40_70:
                                        ; implicit-def: $sgpr42
                                        ; implicit-def: $vgpr42
                                        ; implicit-def: $vgpr43
                                        ; implicit-def: $vgpr44
                                        ; implicit-def: $vgpr45
                                        ; implicit-def: $vgpr46
                                        ; implicit-def: $vgpr47
                                        ; implicit-def: $vgpr48
                                        ; implicit-def: $vgpr49
                                        ; implicit-def: $vgpr50
                                        ; implicit-def: $vgpr51
                                        ; implicit-def: $vgpr52
                                        ; implicit-def: $vgpr53
                                        ; implicit-def: $vgpr54
                                        ; implicit-def: $vgpr55
                                        ; implicit-def: $vgpr56
                                        ; implicit-def: $vgpr57
                                        ; implicit-def: $vgpr58
                                        ; implicit-def: $vgpr68
                                        ; implicit-def: $vgpr67
                                        ; implicit-def: $vgpr66
                                        ; implicit-def: $vgpr65
                                        ; implicit-def: $vgpr64
                                        ; implicit-def: $vgpr63
                                        ; implicit-def: $vgpr62
                                        ; implicit-def: $vgpr61
                                        ; implicit-def: $vgpr60
                                        ; implicit-def: $vgpr59
	s_cbranch_execz .LBB40_74
; %bb.71:
	s_wait_dscnt 0x0
	s_barrier_signal -1
	s_barrier_wait -1
	s_and_saveexec_b32 s0, s3
; %bb.72:
	v_add_nc_u32_e32 v9, -1, v0
	ds_load_u8 v9, v9
; %bb.73:
	s_or_b32 exec_lo, exec_lo, s0
	v_dual_add_nc_u32 v10, 27, v8 :: v_dual_add_nc_u32 v12, 26, v8
	v_and_b32_e32 v11, 0xff, v21
	v_and_b32_e32 v14, 0xff, v22
	v_dual_add_nc_u32 v13, 25, v8 :: v_dual_add_nc_u32 v15, 24, v8
	s_delay_alu instid0(VALU_DEP_4) | instskip(NEXT) | instid1(VALU_DEP_4)
	v_cmp_gt_u32_e32 vcc_lo, s39, v10
	v_cmp_ne_u16_e64 s0, v11, v1
	v_and_b32_e32 v10, 0xff, v23
	s_delay_alu instid0(VALU_DEP_4)
	v_cmp_gt_u32_e64 s1, s39, v13
	v_cmp_gt_u32_e64 s5, s39, v15
	v_cmp_ne_u16_e64 s6, v24, v14
	s_and_b32 s0, vcc_lo, s0
	v_cmp_gt_u32_e32 vcc_lo, s39, v12
	v_cndmask_b32_e64 v42, 0, 1, s0
	v_cmp_ne_u16_e64 s0, v10, v11
	v_cmp_ne_u16_e64 s4, v14, v10
	v_dual_add_nc_u32 v10, 23, v8 :: v_dual_add_nc_u32 v11, 22, v8
	v_and_b32_e32 v12, 0xff, v26
	s_and_b32 s0, vcc_lo, s0
	v_add_nc_u32_e32 v13, 21, v8
	s_delay_alu instid0(VALU_DEP_3)
	v_cmp_gt_u32_e32 vcc_lo, s39, v10
	v_and_b32_e32 v10, 0xff, v25
	v_cndmask_b32_e64 v43, 0, 1, s0
	s_and_b32 s0, s1, s4
	v_and_b32_e32 v14, 0xff, v3
	v_cndmask_b32_e64 v44, 0, 1, s0
	s_and_b32 s0, s5, s6
	v_cmp_gt_u32_e64 s1, s39, v11
	v_cndmask_b32_e64 v45, 0, 1, s0
	v_cmp_ne_u16_e64 s0, v10, v24
	v_cmp_ne_u16_e64 s4, v12, v10
	v_add_nc_u32_e32 v10, 20, v8
	v_cmp_gt_u32_e64 s5, s39, v13
	v_cmp_ne_u16_e64 s6, v14, v12
	s_and_b32 s0, vcc_lo, s0
	v_and_b32_e32 v11, 0xff, v28
	v_cndmask_b32_e64 v46, 0, 1, s0
	s_and_b32 s0, s1, s4
	v_cmp_gt_u32_e32 vcc_lo, s39, v10
	v_dual_add_nc_u32 v10, 19, v8 :: v_dual_add_nc_u32 v12, 18, v8
	v_cndmask_b32_e64 v47, 0, 1, s0
	s_and_b32 s0, s5, s6
	v_and_b32_e32 v13, 0xff, v29
	v_cndmask_b32_e64 v48, 0, 1, s0
	v_cmp_ne_u16_e64 s0, v27, v14
	v_cmp_gt_u32_e64 s1, s39, v10
	v_cmp_ne_u16_e64 s4, v11, v27
	v_cmp_gt_u32_e64 s5, s39, v12
	v_cmp_ne_u16_e64 s6, v13, v11
	s_and_b32 s0, vcc_lo, s0
	v_dual_add_nc_u32 v10, 17, v8 :: v_dual_add_nc_u32 v12, 16, v8
	v_and_b32_e32 v11, 0xff, v2
	v_cndmask_b32_e64 v49, 0, 1, s0
	s_and_b32 s0, s1, s4
	s_delay_alu instid0(VALU_DEP_3)
	v_cmp_gt_u32_e32 vcc_lo, s39, v10
	v_cndmask_b32_e64 v50, 0, 1, s0
	s_and_b32 s0, s5, s6
	v_add_nc_u32_e32 v10, 15, v8
	v_and_b32_e32 v14, 0xff, v31
	v_cndmask_b32_e64 v51, 0, 1, s0
	v_cmp_ne_u16_e64 s0, v11, v13
	v_cmp_gt_u32_e64 s1, s39, v12
	v_cmp_ne_u16_e64 s4, v30, v11
	v_cmp_ne_u16_e64 s6, v14, v30
	v_add_nc_u32_e32 v12, 13, v8
	v_cmp_gt_u32_e64 s5, s39, v10
	s_and_b32 s0, vcc_lo, s0
	v_dual_add_nc_u32 v10, 14, v8 :: v_dual_add_nc_u32 v15, 12, v8
	v_and_b32_e32 v11, 0xff, v32
	v_cndmask_b32_e64 v52, 0, 1, s0
	s_and_b32 s0, s1, s4
	v_and_b32_e32 v13, 0xff, v5
	v_cndmask_b32_e64 v53, 0, 1, s0
	s_and_b32 s0, s5, s6
	v_cmp_gt_u32_e32 vcc_lo, s39, v10
	v_cndmask_b32_e64 v54, 0, 1, s0
	v_cmp_ne_u16_e64 s0, v11, v14
	v_add_nc_u32_e32 v10, 11, v8
	v_cmp_gt_u32_e64 s1, s39, v12
	v_cmp_ne_u16_e64 s4, v13, v11
	v_cmp_gt_u32_e64 s5, s39, v15
	v_cmp_ne_u16_e64 s6, v33, v13
	s_and_b32 s0, vcc_lo, s0
	v_add_nc_u32_e32 v11, 10, v8
	v_cmp_gt_u32_e32 vcc_lo, s39, v10
	v_and_b32_e32 v10, 0xff, v34
	v_cndmask_b32_e64 v55, 0, 1, s0
	s_and_b32 s0, s1, s4
	v_and_b32_e32 v12, 0xff, v35
	v_cndmask_b32_e64 v56, 0, 1, s0
	s_and_b32 s0, s5, s6
	v_add_nc_u32_e32 v13, 9, v8
	v_and_b32_e32 v14, 0xff, v4
	v_cndmask_b32_e64 v57, 0, 1, s0
	v_cmp_ne_u16_e64 s0, v10, v33
	v_cmp_gt_u32_e64 s1, s39, v11
	v_cmp_ne_u16_e64 s4, v12, v10
	v_cmp_ne_u16_e64 s6, v14, v12
	v_add_nc_u32_e32 v10, 8, v8
	v_cmp_gt_u32_e64 s5, s39, v13
	s_and_b32 s0, vcc_lo, s0
	v_and_b32_e32 v11, 0xff, v37
	v_cndmask_b32_e64 v58, 0, 1, s0
	s_and_b32 s0, s1, s4
	v_cmp_gt_u32_e32 vcc_lo, s39, v10
	v_cndmask_b32_e64 v59, 0, 1, s0
	s_and_b32 s0, s5, s6
	v_dual_add_nc_u32 v10, 7, v8 :: v_dual_add_nc_u32 v12, 6, v8
	v_cndmask_b32_e64 v60, 0, 1, s0
	v_cmp_ne_u16_e64 s0, v36, v14
	v_and_b32_e32 v13, 0xff, v38
	s_wait_dscnt 0x0
	v_and_b32_e32 v9, 0xff, v9
	v_cmp_gt_u32_e64 s1, s39, v12
	v_add_nc_u32_e32 v12, 4, v8
	s_and_b32 s0, vcc_lo, s0
	v_cmp_gt_u32_e32 vcc_lo, s39, v10
	v_cndmask_b32_e64 v61, 0, 1, s0
	v_cmp_ne_u16_e64 s0, v11, v36
	v_cmp_ne_u16_e64 s4, v13, v11
	v_add_nc_u32_e32 v10, 5, v8
	v_and_b32_e32 v11, 0xff, v7
	s_and_b32 s0, vcc_lo, s0
	s_and_b32 s1, s1, s4
	v_cndmask_b32_e64 v62, 0, 1, s0
	v_cmp_gt_u32_e32 vcc_lo, s39, v10
	v_cmp_ne_u16_e64 s0, v11, v13
	v_cndmask_b32_e64 v63, 0, 1, s1
	v_cmp_gt_u32_e64 s1, s39, v12
	v_cmp_ne_u16_e64 s4, v39, v11
	v_or_b32_e32 v10, 3, v8
	v_and_b32_e32 v11, 0xff, v40
	s_and_b32 s0, vcc_lo, s0
	v_and_b32_e32 v13, 0xff, v41
	v_cndmask_b32_e64 v64, 0, 1, s0
	s_and_b32 s0, s1, s4
	v_or_b32_e32 v12, 2, v8
	v_cndmask_b32_e64 v65, 0, 1, s0
	v_cmp_gt_u32_e32 vcc_lo, s39, v10
	v_cmp_ne_u16_e64 s0, v11, v39
	v_or_b32_e32 v10, 1, v8
	v_cmp_ne_u16_e64 s4, v13, v11
	v_and_b32_e32 v11, 0xff, v6
	v_cmp_gt_u32_e64 s1, s39, v12
	s_and_b32 s0, vcc_lo, s0
	v_cmp_gt_u32_e32 vcc_lo, s39, v10
	v_cndmask_b32_e64 v66, 0, 1, s0
	v_cmp_ne_u16_e64 s0, v11, v13
	s_and_b32 s1, s1, s4
	v_cmp_ne_u16_e64 s4, v9, v11
	v_cndmask_b32_e64 v67, 0, 1, s1
	v_cmp_gt_u32_e64 s1, s39, v8
	s_and_b32 s0, vcc_lo, s0
	s_delay_alu instid0(SALU_CYCLE_1)
	v_cndmask_b32_e64 v68, 0, 1, s0
	s_and_b32 s42, s1, s4
.LBB40_74:
	s_mov_b32 s41, -1
	s_cbranch_execnz .LBB40_83
.LBB40_75:
	s_delay_alu instid0(VALU_DEP_2)
	v_and_b32_e32 v79, 0xff, v21
	v_and_b32_e32 v78, 0xff, v23
	;; [unrolled: 1-line block ×21, first 2 shown]
	s_and_b32 vcc_lo, exec_lo, s31
	ds_store_b8 v0, v1
	s_cbranch_vccz .LBB40_79
; %bb.76:
	v_cmp_ne_u16_e64 s0, v78, v79
	v_cmp_ne_u16_e64 s1, v77, v78
	;; [unrolled: 1-line block ×26, first 2 shown]
	v_cmp_ne_u16_e32 vcc_lo, v79, v1
	s_wait_dscnt 0x0
	s_barrier_signal -1
	s_barrier_wait -1
                                        ; implicit-def: $sgpr42
	s_and_saveexec_b32 s43, s3
	s_delay_alu instid0(SALU_CYCLE_1)
	s_xor_b32 s43, exec_lo, s43
	s_cbranch_execz .LBB40_78
; %bb.77:
	v_add_nc_u32_e32 v42, -1, v0
	s_or_b32 s41, s41, exec_lo
	ds_load_u8 v42, v42
	s_wait_dscnt 0x0
	v_cmp_ne_u16_e64 s42, v42, v9
.LBB40_78:
	s_or_b32 exec_lo, exec_lo, s43
	v_cndmask_b32_e64 v42, 0, 1, vcc_lo
	v_cndmask_b32_e64 v43, 0, 1, s0
	v_cndmask_b32_e64 v44, 0, 1, s1
	;; [unrolled: 1-line block ×26, first 2 shown]
	s_branch .LBB40_83
.LBB40_79:
                                        ; implicit-def: $sgpr42
                                        ; implicit-def: $vgpr42
                                        ; implicit-def: $vgpr43
                                        ; implicit-def: $vgpr44
                                        ; implicit-def: $vgpr45
                                        ; implicit-def: $vgpr46
                                        ; implicit-def: $vgpr47
                                        ; implicit-def: $vgpr48
                                        ; implicit-def: $vgpr49
                                        ; implicit-def: $vgpr50
                                        ; implicit-def: $vgpr51
                                        ; implicit-def: $vgpr52
                                        ; implicit-def: $vgpr53
                                        ; implicit-def: $vgpr54
                                        ; implicit-def: $vgpr55
                                        ; implicit-def: $vgpr56
                                        ; implicit-def: $vgpr57
                                        ; implicit-def: $vgpr58
                                        ; implicit-def: $vgpr68
                                        ; implicit-def: $vgpr67
                                        ; implicit-def: $vgpr66
                                        ; implicit-def: $vgpr65
                                        ; implicit-def: $vgpr64
                                        ; implicit-def: $vgpr63
                                        ; implicit-def: $vgpr62
                                        ; implicit-def: $vgpr61
                                        ; implicit-def: $vgpr60
                                        ; implicit-def: $vgpr59
	s_cbranch_execz .LBB40_83
; %bb.80:
	v_dual_add_nc_u32 v42, 27, v8 :: v_dual_add_nc_u32 v43, 26, v8
	v_cmp_ne_u16_e32 vcc_lo, v79, v1
	v_add_nc_u32_e32 v44, 25, v8
	v_cmp_ne_u16_e64 s0, v78, v79
	s_delay_alu instid0(VALU_DEP_4)
	v_cmp_gt_u32_e64 s1, s39, v42
	v_add_nc_u32_e32 v42, 24, v8
	v_cmp_ne_u16_e64 s4, v77, v78
	v_cmp_gt_u32_e64 s5, s39, v43
	v_cmp_gt_u32_e64 s6, s39, v44
	s_and_b32 s11, s1, vcc_lo
	v_cmp_gt_u32_e32 vcc_lo, s39, v42
	v_cmp_ne_u16_e64 s1, v24, v77
	v_dual_add_nc_u32 v42, 23, v8 :: v_dual_add_nc_u32 v43, 22, v8
	v_add_nc_u32_e32 v44, 21, v8
	s_and_b32 s12, s5, s0
	s_and_b32 s13, s6, s4
	s_and_b32 s14, vcc_lo, s1
	v_cmp_gt_u32_e32 vcc_lo, s39, v42
	v_cmp_ne_u16_e64 s0, v76, v24
	v_cmp_gt_u32_e64 s1, s39, v43
	v_cmp_ne_u16_e64 s4, v75, v76
	v_cmp_ne_u16_e64 s6, v74, v75
	v_add_nc_u32_e32 v42, 20, v8
	v_cmp_gt_u32_e64 s5, s39, v44
	v_dual_add_nc_u32 v43, 19, v8 :: v_dual_add_nc_u32 v44, 18, v8
	s_and_b32 s15, vcc_lo, s0
	s_and_b32 s16, s1, s4
	s_and_b32 s17, s5, s6
	v_cmp_gt_u32_e32 vcc_lo, s39, v42
	v_cmp_ne_u16_e64 s0, v27, v74
	v_cmp_gt_u32_e64 s1, s39, v43
	v_cmp_ne_u16_e64 s4, v73, v27
	v_cmp_gt_u32_e64 s5, s39, v44
	v_cmp_ne_u16_e64 s6, v72, v73
	v_dual_add_nc_u32 v42, 17, v8 :: v_dual_add_nc_u32 v43, 16, v8
	v_add_nc_u32_e32 v44, 15, v8
	s_and_b32 s18, vcc_lo, s0
	s_and_b32 s19, s1, s4
	s_and_b32 s20, s5, s6
	v_cmp_gt_u32_e32 vcc_lo, s39, v42
	v_cmp_ne_u16_e64 s0, v71, v72
	v_cmp_gt_u32_e64 s1, s39, v43
	v_cmp_ne_u16_e64 s4, v30, v71
	v_cmp_ne_u16_e64 s6, v70, v30
	v_add_nc_u32_e32 v42, 14, v8
	v_cmp_gt_u32_e64 s5, s39, v44
	v_dual_add_nc_u32 v43, 13, v8 :: v_dual_add_nc_u32 v44, 12, v8
	s_and_b32 s21, vcc_lo, s0
	s_and_b32 s22, s1, s4
	s_and_b32 s23, s5, s6
	v_cmp_gt_u32_e32 vcc_lo, s39, v42
	v_cmp_ne_u16_e64 s0, v69, v70
	v_cmp_gt_u32_e64 s1, s39, v43
	v_cmp_ne_u16_e64 s4, v20, v69
	v_cmp_gt_u32_e64 s5, s39, v44
	v_cmp_ne_u16_e64 s6, v33, v20
	v_dual_add_nc_u32 v20, 11, v8 :: v_dual_add_nc_u32 v42, 10, v8
	v_add_nc_u32_e32 v43, 9, v8
	s_and_b32 s24, vcc_lo, s0
	s_and_b32 s25, s1, s4
	s_and_b32 s26, s5, s6
	v_cmp_gt_u32_e32 vcc_lo, s39, v20
	v_cmp_ne_u16_e64 s0, v19, v33
	v_cmp_gt_u32_e64 s1, s39, v42
	v_cmp_ne_u16_e64 s4, v18, v19
	v_cmp_ne_u16_e64 s6, v15, v18
	v_add_nc_u32_e32 v18, 8, v8
	v_cmp_gt_u32_e64 s5, s39, v43
	v_dual_add_nc_u32 v19, 7, v8 :: v_dual_add_nc_u32 v20, 6, v8
	s_and_b32 s27, vcc_lo, s0
	s_and_b32 s43, s1, s4
	s_and_b32 s44, s5, s6
	v_cmp_gt_u32_e32 vcc_lo, s39, v18
	v_cmp_ne_u16_e64 s0, v36, v15
	v_cmp_gt_u32_e64 s1, s39, v19
	v_cmp_ne_u16_e64 s4, v14, v36
	v_cmp_ne_u16_e64 s6, v13, v14
	v_dual_add_nc_u32 v14, 5, v8 :: v_dual_add_nc_u32 v15, 4, v8
	v_cmp_gt_u32_e64 s5, s39, v20
	s_and_b32 s45, vcc_lo, s0
	s_and_b32 s46, s1, s4
	v_cmp_gt_u32_e32 vcc_lo, s39, v14
	v_cmp_ne_u16_e64 s0, v12, v13
	v_or_b32_e32 v13, 3, v8
	v_or_b32_e32 v14, 2, v8
	v_cmp_ne_u16_e64 s4, v39, v12
	v_or_b32_e32 v12, 1, v8
	s_and_b32 s47, s5, s6
	v_cmp_gt_u32_e64 s1, s39, v15
	v_cmp_gt_u32_e64 s5, s39, v13
	v_cmp_ne_u16_e64 s6, v11, v39
	v_cmp_gt_u32_e64 s7, s39, v14
	v_cmp_ne_u16_e64 s8, v10, v11
	;; [unrolled: 2-line block ×3, first 2 shown]
	s_and_b32 s48, vcc_lo, s0
	s_and_b32 s1, s1, s4
	s_and_b32 s4, s5, s6
	;; [unrolled: 1-line block ×4, first 2 shown]
	s_wait_dscnt 0x0
	s_barrier_signal -1
	s_barrier_wait -1
                                        ; implicit-def: $sgpr42
	s_and_saveexec_b32 s7, s3
	s_cbranch_execz .LBB40_82
; %bb.81:
	v_add_nc_u32_e32 v10, -1, v0
	v_cmp_gt_u32_e32 vcc_lo, s39, v8
	s_or_b32 s41, s41, exec_lo
	ds_load_u8 v10, v10
	s_wait_dscnt 0x0
	v_and_b32_e32 v10, 0xff, v10
	s_delay_alu instid0(VALU_DEP_1)
	v_cmp_ne_u16_e64 s0, v10, v9
	s_and_b32 s42, vcc_lo, s0
.LBB40_82:
	s_or_b32 exec_lo, exec_lo, s7
	v_cndmask_b32_e64 v42, 0, 1, s11
	v_cndmask_b32_e64 v43, 0, 1, s12
	;; [unrolled: 1-line block ×27, first 2 shown]
.LBB40_83:
	v_mov_b32_e32 v69, 1
	s_and_saveexec_b32 s0, s41
; %bb.84:
	v_cndmask_b32_e64 v69, 0, 1, s42
; %bb.85:
	s_or_b32 exec_lo, exec_lo, s0
	s_delay_alu instid0(SALU_CYCLE_1)
	s_and_not1_b32 vcc_lo, exec_lo, s38
	s_cbranch_vccnz .LBB40_87
; %bb.86:
	v_cmp_gt_u32_e32 vcc_lo, s39, v8
	v_or_b32_e32 v9, 1, v8
	v_or_b32_e32 v10, 2, v8
	v_dual_cndmask_b32 v69, 0, v69, vcc_lo :: v_dual_bitop2_b32 v11, 3, v8 bitop3:0x54
	s_delay_alu instid0(VALU_DEP_3)
	v_cmp_gt_u32_e32 vcc_lo, s39, v9
	v_add_nc_u32_e32 v9, 4, v8
	v_cndmask_b32_e32 v68, 0, v68, vcc_lo
	v_cmp_gt_u32_e32 vcc_lo, s39, v10
	v_dual_cndmask_b32 v67, 0, v67 :: v_dual_add_nc_u32 v10, 5, v8
	v_cmp_gt_u32_e32 vcc_lo, s39, v11
	v_dual_cndmask_b32 v66, 0, v66 :: v_dual_add_nc_u32 v11, 6, v8
	v_cmp_gt_u32_e32 vcc_lo, s39, v9
	v_dual_add_nc_u32 v9, 7, v8 :: v_dual_cndmask_b32 v65, 0, v65, vcc_lo
	v_cmp_gt_u32_e32 vcc_lo, s39, v10
	v_cndmask_b32_e32 v64, 0, v64, vcc_lo
	v_cmp_gt_u32_e32 vcc_lo, s39, v11
	v_dual_add_nc_u32 v11, 10, v8 :: v_dual_cndmask_b32 v63, 0, v63, vcc_lo
	v_cmp_gt_u32_e32 vcc_lo, s39, v9
	v_dual_add_nc_u32 v10, 8, v8 :: v_dual_add_nc_u32 v9, 9, v8
	v_cndmask_b32_e32 v62, 0, v62, vcc_lo
	s_delay_alu instid0(VALU_DEP_2) | instskip(SKIP_1) | instid1(VALU_DEP_4)
	v_cmp_gt_u32_e32 vcc_lo, s39, v10
	v_dual_cndmask_b32 v61, 0, v61 :: v_dual_add_nc_u32 v10, 11, v8
	v_cmp_gt_u32_e32 vcc_lo, s39, v9
	v_cndmask_b32_e32 v60, 0, v60, vcc_lo
	v_cmp_gt_u32_e32 vcc_lo, s39, v11
	v_dual_add_nc_u32 v11, 14, v8 :: v_dual_cndmask_b32 v59, 0, v59, vcc_lo
	v_cmp_gt_u32_e32 vcc_lo, s39, v10
	v_dual_add_nc_u32 v9, 12, v8 :: v_dual_add_nc_u32 v10, 13, v8
	v_cndmask_b32_e32 v58, 0, v58, vcc_lo
	s_delay_alu instid0(VALU_DEP_2) | instskip(SKIP_1) | instid1(VALU_DEP_4)
	v_cmp_gt_u32_e32 vcc_lo, s39, v9
	v_dual_add_nc_u32 v9, 15, v8 :: v_dual_cndmask_b32 v57, 0, v57, vcc_lo
	v_cmp_gt_u32_e32 vcc_lo, s39, v10
	v_cndmask_b32_e32 v56, 0, v56, vcc_lo
	v_cmp_gt_u32_e32 vcc_lo, s39, v11
	v_dual_add_nc_u32 v11, 18, v8 :: v_dual_cndmask_b32 v55, 0, v55, vcc_lo
	v_cmp_gt_u32_e32 vcc_lo, s39, v9
	v_dual_add_nc_u32 v10, 16, v8 :: v_dual_add_nc_u32 v9, 17, v8
	v_cndmask_b32_e32 v54, 0, v54, vcc_lo
	s_delay_alu instid0(VALU_DEP_2) | instskip(SKIP_1) | instid1(VALU_DEP_4)
	v_cmp_gt_u32_e32 vcc_lo, s39, v10
	v_dual_cndmask_b32 v53, 0, v53 :: v_dual_add_nc_u32 v10, 19, v8
	v_cmp_gt_u32_e32 vcc_lo, s39, v9
	v_cndmask_b32_e32 v52, 0, v52, vcc_lo
	v_cmp_gt_u32_e32 vcc_lo, s39, v11
	v_dual_add_nc_u32 v11, 22, v8 :: v_dual_cndmask_b32 v51, 0, v51, vcc_lo
	v_cmp_gt_u32_e32 vcc_lo, s39, v10
	v_dual_add_nc_u32 v9, 20, v8 :: v_dual_add_nc_u32 v10, 21, v8
	v_cndmask_b32_e32 v50, 0, v50, vcc_lo
	s_delay_alu instid0(VALU_DEP_2) | instskip(SKIP_1) | instid1(VALU_DEP_4)
	v_cmp_gt_u32_e32 vcc_lo, s39, v9
	v_dual_add_nc_u32 v9, 23, v8 :: v_dual_cndmask_b32 v49, 0, v49, vcc_lo
	v_cmp_gt_u32_e32 vcc_lo, s39, v10
	v_cndmask_b32_e32 v48, 0, v48, vcc_lo
	v_cmp_gt_u32_e32 vcc_lo, s39, v11
	v_dual_add_nc_u32 v11, 26, v8 :: v_dual_cndmask_b32 v47, 0, v47, vcc_lo
	v_cmp_gt_u32_e32 vcc_lo, s39, v9
	v_dual_add_nc_u32 v10, 24, v8 :: v_dual_add_nc_u32 v9, 25, v8
	v_dual_add_nc_u32 v8, 27, v8 :: v_dual_cndmask_b32 v46, 0, v46, vcc_lo
	s_delay_alu instid0(VALU_DEP_2) | instskip(SKIP_1) | instid1(VALU_DEP_4)
	v_cmp_gt_u32_e32 vcc_lo, s39, v10
	v_cndmask_b32_e32 v45, 0, v45, vcc_lo
	v_cmp_gt_u32_e32 vcc_lo, s39, v9
	v_cndmask_b32_e32 v44, 0, v44, vcc_lo
	;; [unrolled: 2-line block ×4, first 2 shown]
.LBB40_87:
	v_and_b32_e32 v70, 0xff, v60
	v_and_b32_e32 v71, 0xff, v59
	;; [unrolled: 1-line block ×6, first 2 shown]
	v_dual_add_nc_u32 v8, v70, v71 :: v_dual_bitop2_b32 v10, 31, v0 bitop3:0x54
	v_and_b32_e32 v77, 0xff, v66
	v_and_b32_e32 v78, 0xff, v65
	;; [unrolled: 1-line block ×3, first 2 shown]
	s_delay_alu instid0(VALU_DEP_4)
	v_add3_u32 v8, v8, v73, v72
	v_and_b32_e32 v80, 0xff, v67
	v_and_b32_e32 v81, 0xffff, v69
	v_and_b32_e32 v76, 0xff, v58
	v_and_b32_e32 v91, 0xff, v57
	v_add3_u32 v8, v8, v75, v74
	v_and_b32_e32 v92, 0xff, v56
	v_and_b32_e32 v93, 0xff, v55
	v_and_b32_e32 v94, 0xff, v54
	v_and_b32_e32 v95, 0xff, v53
	;; [unrolled: 5-line block ×4, first 2 shown]
	v_add3_u32 v8, v8, v81, v76
	v_and_b32_e32 v104, 0xff, v44
	v_mbcnt_lo_u32_b32 v82, -1, 0
	v_and_b32_e32 v105, 0xff, v43
	v_and_b32_e32 v9, 0xff, v42
	v_add3_u32 v8, v8, v91, v92
	s_delay_alu instid0(VALU_DEP_4) | instskip(SKIP_2) | instid1(VALU_DEP_4)
	v_dual_lshrrev_b32 v83, 5, v0 :: v_dual_bitop2_b32 v11, 15, v82 bitop3:0x40
	v_and_b32_e32 v12, 16, v82
	v_cmp_eq_u32_e64 s0, v0, v10
	v_add3_u32 v8, v8, v93, v94
	s_and_b32 vcc_lo, exec_lo, s40
	v_cmp_eq_u32_e64 s6, 0, v11
	v_cmp_lt_u32_e64 s5, 1, v11
	v_cmp_lt_u32_e64 s4, 3, v11
	v_add3_u32 v8, v8, v95, v96
	v_cmp_lt_u32_e64 s3, 7, v11
	v_cmp_eq_u32_e64 s1, 0, v12
	s_mov_b32 s7, -1
	s_wait_dscnt 0x0
	v_add3_u32 v8, v8, v97, v98
	s_barrier_signal -1
	s_barrier_wait -1
	s_delay_alu instid0(VALU_DEP_1) | instskip(NEXT) | instid1(VALU_DEP_1)
	v_add3_u32 v8, v8, v99, v100
	v_add3_u32 v8, v8, v101, v102
	s_delay_alu instid0(VALU_DEP_1) | instskip(NEXT) | instid1(VALU_DEP_1)
	v_add3_u32 v8, v8, v103, v104
	v_add3_u32 v84, v8, v105, v9
	s_cbranch_vccz .LBB40_109
; %bb.88:
	s_delay_alu instid0(VALU_DEP_1) | instskip(NEXT) | instid1(VALU_DEP_1)
	v_mov_b32_dpp v8, v84 row_shr:1 row_mask:0xf bank_mask:0xf
	v_cndmask_b32_e64 v8, v8, 0, s6
	s_delay_alu instid0(VALU_DEP_1) | instskip(NEXT) | instid1(VALU_DEP_1)
	v_add_nc_u32_e32 v8, v8, v84
	v_mov_b32_dpp v9, v8 row_shr:2 row_mask:0xf bank_mask:0xf
	s_delay_alu instid0(VALU_DEP_1) | instskip(NEXT) | instid1(VALU_DEP_1)
	v_cndmask_b32_e64 v9, 0, v9, s5
	v_add_nc_u32_e32 v8, v8, v9
	s_delay_alu instid0(VALU_DEP_1) | instskip(NEXT) | instid1(VALU_DEP_1)
	v_mov_b32_dpp v9, v8 row_shr:4 row_mask:0xf bank_mask:0xf
	v_cndmask_b32_e64 v9, 0, v9, s4
	s_delay_alu instid0(VALU_DEP_1) | instskip(NEXT) | instid1(VALU_DEP_1)
	v_add_nc_u32_e32 v8, v8, v9
	v_mov_b32_dpp v9, v8 row_shr:8 row_mask:0xf bank_mask:0xf
	s_delay_alu instid0(VALU_DEP_1) | instskip(NEXT) | instid1(VALU_DEP_1)
	v_cndmask_b32_e64 v9, 0, v9, s3
	v_add_nc_u32_e32 v8, v8, v9
	ds_swizzle_b32 v9, v8 offset:swizzle(BROADCAST,32,15)
	s_wait_dscnt 0x0
	v_cndmask_b32_e64 v9, v9, 0, s1
	s_delay_alu instid0(VALU_DEP_1)
	v_add_nc_u32_e32 v8, v8, v9
	s_and_saveexec_b32 s7, s0
; %bb.89:
	v_lshlrev_b32_e32 v9, 2, v83
	ds_store_b32 v9, v8
; %bb.90:
	s_or_b32 exec_lo, exec_lo, s7
	s_delay_alu instid0(SALU_CYCLE_1)
	s_mov_b32 s7, exec_lo
	s_wait_dscnt 0x0
	s_barrier_signal -1
	s_barrier_wait -1
	v_cmpx_gt_u32_e32 8, v0
	s_cbranch_execz .LBB40_92
; %bb.91:
	v_dual_lshlrev_b32 v9, 2, v0 :: v_dual_bitop2_b32 v11, 7, v82 bitop3:0x40
	ds_load_b32 v10, v9
	v_cmp_ne_u32_e32 vcc_lo, 0, v11
	s_wait_dscnt 0x0
	v_mov_b32_dpp v12, v10 row_shr:1 row_mask:0xf bank_mask:0xf
	s_delay_alu instid0(VALU_DEP_1) | instskip(SKIP_1) | instid1(VALU_DEP_2)
	v_cndmask_b32_e32 v12, 0, v12, vcc_lo
	v_cmp_lt_u32_e32 vcc_lo, 1, v11
	v_add_nc_u32_e32 v10, v12, v10
	s_delay_alu instid0(VALU_DEP_1) | instskip(NEXT) | instid1(VALU_DEP_1)
	v_mov_b32_dpp v12, v10 row_shr:2 row_mask:0xf bank_mask:0xf
	v_cndmask_b32_e32 v12, 0, v12, vcc_lo
	v_cmp_lt_u32_e32 vcc_lo, 3, v11
	s_delay_alu instid0(VALU_DEP_2) | instskip(NEXT) | instid1(VALU_DEP_1)
	v_add_nc_u32_e32 v10, v10, v12
	v_mov_b32_dpp v12, v10 row_shr:4 row_mask:0xf bank_mask:0xf
	s_delay_alu instid0(VALU_DEP_1) | instskip(NEXT) | instid1(VALU_DEP_1)
	v_cndmask_b32_e32 v11, 0, v12, vcc_lo
	v_add_nc_u32_e32 v10, v10, v11
	ds_store_b32 v9, v10
.LBB40_92:
	s_or_b32 exec_lo, exec_lo, s7
	s_delay_alu instid0(SALU_CYCLE_1)
	s_mov_b32 s8, exec_lo
	v_cmp_gt_u32_e32 vcc_lo, 32, v0
	s_wait_dscnt 0x0
	s_barrier_signal -1
	s_barrier_wait -1
                                        ; implicit-def: $vgpr20
	v_cmpx_lt_u32_e32 31, v0
	s_cbranch_execz .LBB40_94
; %bb.93:
	v_lshl_add_u32 v9, v83, 2, -4
	ds_load_b32 v20, v9
	s_wait_dscnt 0x0
	v_add_nc_u32_e32 v8, v20, v8
.LBB40_94:
	s_or_b32 exec_lo, exec_lo, s8
	v_sub_co_u32 v9, s7, v82, 1
	s_delay_alu instid0(VALU_DEP_1) | instskip(NEXT) | instid1(VALU_DEP_1)
	v_cmp_gt_i32_e64 s8, 0, v9
	v_cndmask_b32_e64 v9, v9, v82, s8
	s_delay_alu instid0(VALU_DEP_1)
	v_lshlrev_b32_e32 v9, 2, v9
	ds_bpermute_b32 v85, v9, v8
	s_and_saveexec_b32 s8, vcc_lo
	s_cbranch_execz .LBB40_114
; %bb.95:
	v_mov_b32_e32 v15, 0
	ds_load_b32 v8, v15 offset:28
	s_and_saveexec_b32 s9, s7
	s_cbranch_execz .LBB40_97
; %bb.96:
	s_add_co_i32 s10, s33, 32
	s_delay_alu instid0(SALU_CYCLE_1)
	v_dual_mov_b32 v9, 1 :: v_dual_mov_b32 v10, s10
	s_wait_dscnt 0x0
	global_store_b64 v10, v[8:9], s[36:37] scale_offset scope:SCOPE_DEV
.LBB40_97:
	s_wait_xcnt 0x0
	s_or_b32 exec_lo, exec_lo, s9
	v_xad_u32 v10, v82, -1, s33
	s_mov_b32 s10, 0
	s_mov_b32 s9, exec_lo
	s_delay_alu instid0(VALU_DEP_1) | instskip(SKIP_4) | instid1(VALU_DEP_1)
	v_add_nc_u32_e32 v14, 32, v10
	global_load_b64 v[12:13], v14, s[36:37] scale_offset scope:SCOPE_DEV
	s_wait_loadcnt 0x0
	v_and_b32_e32 v9, 0xff, v13
	s_wait_xcnt 0x0
	v_cmpx_eq_u16_e32 0, v9
	s_cbranch_execz .LBB40_101
; %bb.98:
	v_lshl_add_u64 v[14:15], v[14:15], 3, s[36:37]
.LBB40_99:                              ; =>This Inner Loop Header: Depth=1
	global_load_b64 v[12:13], v[14:15], off scope:SCOPE_DEV
	s_wait_loadcnt 0x0
	v_and_b32_e32 v9, 0xff, v13
	s_delay_alu instid0(VALU_DEP_1)
	v_cmp_ne_u16_e32 vcc_lo, 0, v9
	s_or_b32 s10, vcc_lo, s10
	s_wait_xcnt 0x0
	s_and_not1_b32 exec_lo, exec_lo, s10
	s_cbranch_execnz .LBB40_99
; %bb.100:
	s_or_b32 exec_lo, exec_lo, s10
.LBB40_101:
	s_delay_alu instid0(SALU_CYCLE_1)
	s_or_b32 exec_lo, exec_lo, s9
	v_cmp_ne_u32_e32 vcc_lo, 31, v82
	v_lshlrev_b32_e64 v19, v82, -1
	v_lshl_or_b32 v107, v82, 2, 64
	v_dual_add_nc_u32 v87, 2, v82 :: v_dual_add_nc_u32 v89, 4, v82
	v_add_co_ci_u32_e64 v9, null, 0, v82, vcc_lo
	v_dual_add_nc_u32 v106, 8, v82 :: v_dual_add_nc_u32 v108, 16, v82
	s_delay_alu instid0(VALU_DEP_2)
	v_lshlrev_b32_e32 v18, 2, v9
	v_and_b32_e32 v9, 0xff, v13
	ds_bpermute_b32 v11, v18, v12
	v_cmp_eq_u16_e32 vcc_lo, 2, v9
	v_and_or_b32 v9, vcc_lo, v19, 0x80000000
	v_cmp_gt_u32_e32 vcc_lo, 30, v82
	s_delay_alu instid0(VALU_DEP_2) | instskip(SKIP_1) | instid1(VALU_DEP_2)
	v_ctz_i32_b32_e32 v9, v9
	v_cndmask_b32_e64 v14, 0, 2, vcc_lo
	v_cmp_lt_u32_e32 vcc_lo, v82, v9
	s_delay_alu instid0(VALU_DEP_2) | instskip(SKIP_3) | instid1(VALU_DEP_2)
	v_add_lshl_u32 v86, v14, v82, 2
	s_wait_dscnt 0x0
	v_cndmask_b32_e32 v11, 0, v11, vcc_lo
	v_cmp_gt_u32_e32 vcc_lo, 28, v82
	v_add_nc_u32_e32 v11, v11, v12
	v_cndmask_b32_e64 v14, 0, 4, vcc_lo
	v_cmp_le_u32_e32 vcc_lo, v87, v9
	ds_bpermute_b32 v12, v86, v11
	v_add_lshl_u32 v88, v14, v82, 2
	s_wait_dscnt 0x0
	v_cndmask_b32_e32 v12, 0, v12, vcc_lo
	v_cmp_gt_u32_e32 vcc_lo, 24, v82
	v_cndmask_b32_e64 v14, 0, 8, vcc_lo
	v_cmp_le_u32_e32 vcc_lo, v89, v9
	s_delay_alu instid0(VALU_DEP_4) | instskip(NEXT) | instid1(VALU_DEP_3)
	v_add_nc_u32_e32 v11, v11, v12
	v_add_lshl_u32 v90, v14, v82, 2
	ds_bpermute_b32 v12, v88, v11
	s_wait_dscnt 0x0
	v_cndmask_b32_e32 v12, 0, v12, vcc_lo
	v_cmp_le_u32_e32 vcc_lo, v106, v9
	s_delay_alu instid0(VALU_DEP_2) | instskip(SKIP_4) | instid1(VALU_DEP_2)
	v_add_nc_u32_e32 v11, v11, v12
	ds_bpermute_b32 v12, v90, v11
	s_wait_dscnt 0x0
	v_cndmask_b32_e32 v12, 0, v12, vcc_lo
	v_cmp_le_u32_e32 vcc_lo, v108, v9
	v_add_nc_u32_e32 v11, v11, v12
	ds_bpermute_b32 v12, v107, v11
	s_wait_dscnt 0x0
	v_cndmask_b32_e32 v9, 0, v12, vcc_lo
	s_delay_alu instid0(VALU_DEP_1)
	v_dual_mov_b32 v11, 0 :: v_dual_add_nc_u32 v12, v11, v9
	s_branch .LBB40_104
.LBB40_102:                             ;   in Loop: Header=BB40_104 Depth=1
	s_or_b32 exec_lo, exec_lo, s9
	v_and_b32_e32 v14, 0xff, v13
	ds_bpermute_b32 v15, v18, v12
	v_subrev_nc_u32_e32 v10, 32, v10
	s_mov_b32 s9, 0
	v_cmp_eq_u16_e32 vcc_lo, 2, v14
	v_and_or_b32 v14, vcc_lo, v19, 0x80000000
	s_delay_alu instid0(VALU_DEP_1) | instskip(NEXT) | instid1(VALU_DEP_1)
	v_ctz_i32_b32_e32 v14, v14
	v_cmp_lt_u32_e32 vcc_lo, v82, v14
	s_wait_dscnt 0x0
	v_cndmask_b32_e32 v15, 0, v15, vcc_lo
	v_cmp_le_u32_e32 vcc_lo, v87, v14
	s_delay_alu instid0(VALU_DEP_2) | instskip(SKIP_4) | instid1(VALU_DEP_2)
	v_add_nc_u32_e32 v12, v15, v12
	ds_bpermute_b32 v15, v86, v12
	s_wait_dscnt 0x0
	v_cndmask_b32_e32 v15, 0, v15, vcc_lo
	v_cmp_le_u32_e32 vcc_lo, v89, v14
	v_add_nc_u32_e32 v12, v12, v15
	ds_bpermute_b32 v15, v88, v12
	s_wait_dscnt 0x0
	v_cndmask_b32_e32 v15, 0, v15, vcc_lo
	v_cmp_le_u32_e32 vcc_lo, v106, v14
	s_delay_alu instid0(VALU_DEP_2) | instskip(SKIP_4) | instid1(VALU_DEP_2)
	v_add_nc_u32_e32 v12, v12, v15
	ds_bpermute_b32 v15, v90, v12
	s_wait_dscnt 0x0
	v_cndmask_b32_e32 v15, 0, v15, vcc_lo
	v_cmp_le_u32_e32 vcc_lo, v108, v14
	v_add_nc_u32_e32 v12, v12, v15
	ds_bpermute_b32 v15, v107, v12
	s_wait_dscnt 0x0
	v_cndmask_b32_e32 v14, 0, v15, vcc_lo
	s_delay_alu instid0(VALU_DEP_1)
	v_add3_u32 v12, v14, v9, v12
.LBB40_103:                             ;   in Loop: Header=BB40_104 Depth=1
	s_and_b32 vcc_lo, exec_lo, s9
	s_cbranch_vccnz .LBB40_110
.LBB40_104:                             ; =>This Loop Header: Depth=1
                                        ;     Child Loop BB40_107 Depth 2
	v_and_b32_e32 v9, 0xff, v13
	s_mov_b32 s9, -1
                                        ; implicit-def: $vgpr13
	s_delay_alu instid0(VALU_DEP_1)
	v_cmp_ne_u16_e32 vcc_lo, 2, v9
	v_mov_b32_e32 v9, v12
                                        ; implicit-def: $vgpr12
	s_cmp_lg_u32 vcc_lo, exec_lo
	s_cbranch_scc1 .LBB40_103
; %bb.105:                              ;   in Loop: Header=BB40_104 Depth=1
	global_load_b64 v[12:13], v10, s[36:37] scale_offset scope:SCOPE_DEV
	s_mov_b32 s9, exec_lo
	s_wait_loadcnt 0x0
	v_and_b32_e32 v14, 0xff, v13
	s_wait_xcnt 0x0
	s_delay_alu instid0(VALU_DEP_1)
	v_cmpx_eq_u16_e32 0, v14
	s_cbranch_execz .LBB40_102
; %bb.106:                              ;   in Loop: Header=BB40_104 Depth=1
	v_lshl_add_u64 v[14:15], v[10:11], 3, s[36:37]
	s_mov_b32 s10, 0
.LBB40_107:                             ;   Parent Loop BB40_104 Depth=1
                                        ; =>  This Inner Loop Header: Depth=2
	global_load_b64 v[12:13], v[14:15], off scope:SCOPE_DEV
	s_wait_loadcnt 0x0
	v_and_b32_e32 v109, 0xff, v13
	s_delay_alu instid0(VALU_DEP_1)
	v_cmp_ne_u16_e32 vcc_lo, 0, v109
	s_or_b32 s10, vcc_lo, s10
	s_wait_xcnt 0x0
	s_and_not1_b32 exec_lo, exec_lo, s10
	s_cbranch_execnz .LBB40_107
; %bb.108:                              ;   in Loop: Header=BB40_104 Depth=1
	s_or_b32 exec_lo, exec_lo, s10
	s_branch .LBB40_102
.LBB40_109:
                                        ; implicit-def: $vgpr20
                                        ; implicit-def: $vgpr18
                                        ; implicit-def: $vgpr87
	s_and_b32 vcc_lo, exec_lo, s7
	s_cbranch_vccnz .LBB40_115
	s_branch .LBB40_124
.LBB40_110:
	s_and_saveexec_b32 s9, s7
	s_cbranch_execz .LBB40_112
; %bb.111:
	s_add_co_i32 s10, s33, 32
	v_dual_mov_b32 v11, 2 :: v_dual_add_nc_u32 v10, v9, v8
	v_dual_mov_b32 v12, s10 :: v_dual_mov_b32 v13, 0
	global_store_b64 v12, v[10:11], s[36:37] scale_offset scope:SCOPE_DEV
	ds_store_b64 v13, v[8:9] offset:7168
.LBB40_112:
	s_wait_xcnt 0x0
	s_or_b32 exec_lo, exec_lo, s9
	s_delay_alu instid0(SALU_CYCLE_1)
	s_and_b32 exec_lo, exec_lo, s2
; %bb.113:
	v_mov_b32_e32 v8, 0
	ds_store_b32 v8, v9 offset:28
.LBB40_114:
	s_or_b32 exec_lo, exec_lo, s8
	v_mov_b32_e32 v8, 0
	s_wait_storecnt_dscnt 0x0
	s_barrier_signal -1
	s_barrier_wait -1
	ds_load_b32 v9, v8 offset:28
	s_wait_dscnt 0x0
	s_barrier_signal -1
	s_barrier_wait -1
	ds_load_b64 v[18:19], v8 offset:7168
	v_cndmask_b32_e64 v8, v85, v20, s7
	s_delay_alu instid0(VALU_DEP_1) | instskip(SKIP_1) | instid1(VALU_DEP_1)
	v_cndmask_b32_e64 v8, v8, 0, s2
	s_wait_dscnt 0x0
	v_dual_mov_b32 v20, v19 :: v_dual_add_nc_u32 v87, v9, v8
	s_branch .LBB40_124
.LBB40_115:
	v_mov_b32_dpp v8, v84 row_shr:1 row_mask:0xf bank_mask:0xf
	s_delay_alu instid0(VALU_DEP_1) | instskip(NEXT) | instid1(VALU_DEP_1)
	v_cndmask_b32_e64 v8, v8, 0, s6
	v_add_nc_u32_e32 v8, v8, v84
	s_delay_alu instid0(VALU_DEP_1) | instskip(NEXT) | instid1(VALU_DEP_1)
	v_mov_b32_dpp v9, v8 row_shr:2 row_mask:0xf bank_mask:0xf
	v_cndmask_b32_e64 v9, 0, v9, s5
	s_delay_alu instid0(VALU_DEP_1) | instskip(NEXT) | instid1(VALU_DEP_1)
	v_add_nc_u32_e32 v8, v8, v9
	v_mov_b32_dpp v9, v8 row_shr:4 row_mask:0xf bank_mask:0xf
	s_delay_alu instid0(VALU_DEP_1) | instskip(NEXT) | instid1(VALU_DEP_1)
	v_cndmask_b32_e64 v9, 0, v9, s4
	v_add_nc_u32_e32 v8, v8, v9
	s_delay_alu instid0(VALU_DEP_1) | instskip(NEXT) | instid1(VALU_DEP_1)
	v_mov_b32_dpp v9, v8 row_shr:8 row_mask:0xf bank_mask:0xf
	v_cndmask_b32_e64 v9, 0, v9, s3
	s_delay_alu instid0(VALU_DEP_1) | instskip(SKIP_3) | instid1(VALU_DEP_1)
	v_add_nc_u32_e32 v8, v8, v9
	ds_swizzle_b32 v9, v8 offset:swizzle(BROADCAST,32,15)
	s_wait_dscnt 0x0
	v_cndmask_b32_e64 v9, v9, 0, s1
	v_add_nc_u32_e32 v8, v8, v9
	s_and_saveexec_b32 s1, s0
; %bb.116:
	v_lshlrev_b32_e32 v9, 2, v83
	ds_store_b32 v9, v8
; %bb.117:
	s_or_b32 exec_lo, exec_lo, s1
	s_delay_alu instid0(SALU_CYCLE_1)
	s_mov_b32 s0, exec_lo
	s_wait_dscnt 0x0
	s_barrier_signal -1
	s_barrier_wait -1
	v_cmpx_gt_u32_e32 8, v0
	s_cbranch_execz .LBB40_119
; %bb.118:
	v_dual_lshlrev_b32 v9, 2, v0 :: v_dual_bitop2_b32 v11, 7, v82 bitop3:0x40
	ds_load_b32 v10, v9
	v_cmp_ne_u32_e32 vcc_lo, 0, v11
	s_wait_dscnt 0x0
	v_mov_b32_dpp v12, v10 row_shr:1 row_mask:0xf bank_mask:0xf
	s_delay_alu instid0(VALU_DEP_1) | instskip(SKIP_1) | instid1(VALU_DEP_2)
	v_cndmask_b32_e32 v12, 0, v12, vcc_lo
	v_cmp_lt_u32_e32 vcc_lo, 1, v11
	v_add_nc_u32_e32 v10, v12, v10
	s_delay_alu instid0(VALU_DEP_1) | instskip(NEXT) | instid1(VALU_DEP_1)
	v_mov_b32_dpp v12, v10 row_shr:2 row_mask:0xf bank_mask:0xf
	v_cndmask_b32_e32 v12, 0, v12, vcc_lo
	v_cmp_lt_u32_e32 vcc_lo, 3, v11
	s_delay_alu instid0(VALU_DEP_2) | instskip(NEXT) | instid1(VALU_DEP_1)
	v_add_nc_u32_e32 v10, v10, v12
	v_mov_b32_dpp v12, v10 row_shr:4 row_mask:0xf bank_mask:0xf
	s_delay_alu instid0(VALU_DEP_1) | instskip(NEXT) | instid1(VALU_DEP_1)
	v_cndmask_b32_e32 v11, 0, v12, vcc_lo
	v_add_nc_u32_e32 v10, v10, v11
	ds_store_b32 v9, v10
.LBB40_119:
	s_or_b32 exec_lo, exec_lo, s0
	v_dual_mov_b32 v10, 0 :: v_dual_mov_b32 v9, 0
	s_mov_b32 s0, exec_lo
	s_wait_dscnt 0x0
	s_barrier_signal -1
	s_barrier_wait -1
	v_cmpx_lt_u32_e32 31, v0
; %bb.120:
	v_lshl_add_u32 v9, v83, 2, -4
	ds_load_b32 v9, v9
; %bb.121:
	s_or_b32 exec_lo, exec_lo, s0
	v_sub_co_u32 v11, vcc_lo, v82, 1
	ds_load_b32 v18, v10 offset:28
	s_wait_dscnt 0x1
	v_add_nc_u32_e32 v8, v9, v8
	v_cmp_gt_i32_e64 s0, 0, v11
	s_delay_alu instid0(VALU_DEP_1) | instskip(NEXT) | instid1(VALU_DEP_1)
	v_cndmask_b32_e64 v11, v11, v82, s0
	v_lshlrev_b32_e32 v11, 2, v11
	ds_bpermute_b32 v8, v11, v8
	s_and_saveexec_b32 s0, s2
	s_cbranch_execz .LBB40_123
; %bb.122:
	v_dual_mov_b32 v10, 0 :: v_dual_mov_b32 v19, 2
	s_wait_dscnt 0x1
	global_store_b64 v10, v[18:19], s[36:37] offset:256 scope:SCOPE_DEV
.LBB40_123:
	s_wait_xcnt 0x0
	s_or_b32 exec_lo, exec_lo, s0
	s_wait_dscnt 0x0
	v_dual_cndmask_b32 v8, v8, v9, vcc_lo :: v_dual_mov_b32 v20, 0
	s_wait_storecnt 0x0
	s_barrier_signal -1
	s_barrier_wait -1
	s_delay_alu instid0(VALU_DEP_1)
	v_cndmask_b32_e64 v87, v8, 0, s2
.LBB40_124:
	s_delay_alu instid0(VALU_DEP_1) | instskip(SKIP_3) | instid1(VALU_DEP_3)
	v_add_nc_u32_e32 v90, v87, v81
	v_cmp_gt_u32_e32 vcc_lo, 0x101, v18
	v_add_nc_u64_e32 v[8:9], s[34:35], v[16:17]
	s_mov_b32 s0, -1
	v_dual_add_nc_u32 v89, v90, v79 :: v_dual_bitop2_b32 v69, 1, v69 bitop3:0x40
	s_and_b32 vcc_lo, exec_lo, vcc_lo
	s_delay_alu instid0(VALU_DEP_1) | instskip(NEXT) | instid1(VALU_DEP_1)
	v_add_nc_u32_e32 v88, v89, v80
	v_add_nc_u32_e32 v86, v88, v77
	s_delay_alu instid0(VALU_DEP_1) | instskip(NEXT) | instid1(VALU_DEP_1)
	v_add_nc_u32_e32 v85, v86, v78
	v_add_nc_u32_e32 v84, v85, v74
	;; [unrolled: 3-line block ×12, first 2 shown]
	s_delay_alu instid0(VALU_DEP_1)
	v_add_nc_u32_e32 v10, v11, v105
	s_cbranch_vccnz .LBB40_128
; %bb.125:
	s_and_b32 vcc_lo, exec_lo, s0
	s_cbranch_vccnz .LBB40_185
.LBB40_126:
	s_and_b32 s0, s2, s30
	s_delay_alu instid0(SALU_CYCLE_1)
	s_and_saveexec_b32 s1, s0
	s_cbranch_execnz .LBB40_255
.LBB40_127:
	s_sendmsg sendmsg(MSG_DEALLOC_VGPRS)
	s_endpgm
.LBB40_128:
	v_add_nc_u32_e32 v91, v20, v18
	v_cmp_eq_u32_e64 s0, 1, v69
	s_delay_alu instid0(VALU_DEP_2) | instskip(SKIP_1) | instid1(SALU_CYCLE_1)
	v_cmp_lt_u32_e32 vcc_lo, v87, v91
	s_or_b32 s1, s31, vcc_lo
	s_and_b32 s1, s1, s0
	s_delay_alu instid0(SALU_CYCLE_1)
	s_and_saveexec_b32 s0, s1
	s_cbranch_execz .LBB40_130
; %bb.129:
	v_readfirstlane_b32 s4, v8
	v_readfirstlane_b32 s5, v9
	global_store_b8 v87, v6, s[4:5]
.LBB40_130:
	s_wait_xcnt 0x0
	s_or_b32 exec_lo, exec_lo, s0
	v_and_b32_e32 v92, 1, v68
	v_cmp_lt_u32_e32 vcc_lo, v90, v91
	s_delay_alu instid0(VALU_DEP_2) | instskip(SKIP_1) | instid1(SALU_CYCLE_1)
	v_cmp_eq_u32_e64 s0, 1, v92
	s_or_b32 s1, s31, vcc_lo
	s_and_b32 s1, s1, s0
	s_delay_alu instid0(SALU_CYCLE_1)
	s_and_saveexec_b32 s0, s1
	s_cbranch_execz .LBB40_132
; %bb.131:
	v_readfirstlane_b32 s4, v8
	v_readfirstlane_b32 s5, v9
	global_store_b8 v90, v41, s[4:5]
.LBB40_132:
	s_wait_xcnt 0x0
	s_or_b32 exec_lo, exec_lo, s0
	v_and_b32_e32 v92, 1, v67
	v_cmp_lt_u32_e32 vcc_lo, v89, v91
	s_delay_alu instid0(VALU_DEP_2) | instskip(SKIP_1) | instid1(SALU_CYCLE_1)
	v_cmp_eq_u32_e64 s0, 1, v92
	;; [unrolled: 16-line block ×27, first 2 shown]
	s_or_b32 s1, s31, vcc_lo
	s_and_b32 s1, s1, s0
	s_delay_alu instid0(SALU_CYCLE_1)
	s_and_saveexec_b32 s0, s1
	s_cbranch_execz .LBB40_184
; %bb.183:
	v_readfirstlane_b32 s4, v8
	v_readfirstlane_b32 s5, v9
	global_store_b8 v10, v1, s[4:5]
.LBB40_184:
	s_wait_xcnt 0x0
	s_or_b32 exec_lo, exec_lo, s0
	s_branch .LBB40_126
.LBB40_185:
	s_mov_b32 s0, exec_lo
	v_cmpx_eq_u32_e32 1, v69
; %bb.186:
	v_sub_nc_u32_e32 v69, v87, v20
	ds_store_b8 v69, v6
; %bb.187:
	s_or_b32 exec_lo, exec_lo, s0
	v_and_b32_e32 v6, 1, v68
	s_mov_b32 s0, exec_lo
	s_delay_alu instid0(VALU_DEP_1)
	v_cmpx_eq_u32_e32 1, v6
; %bb.188:
	v_sub_nc_u32_e32 v6, v90, v20
	ds_store_b8 v6, v41
; %bb.189:
	s_or_b32 exec_lo, exec_lo, s0
	v_and_b32_e32 v6, 1, v67
	s_mov_b32 s0, exec_lo
	s_delay_alu instid0(VALU_DEP_1)
	;; [unrolled: 9-line block ×27, first 2 shown]
	v_cmpx_eq_u32_e32 1, v2
; %bb.240:
	v_sub_nc_u32_e32 v2, v10, v20
	ds_store_b8 v2, v1
; %bb.241:
	s_or_b32 exec_lo, exec_lo, s0
	v_or_b32_e32 v1, 0x100, v0
	v_mov_b32_e32 v21, 0
	s_mov_b32 s4, -1
	s_mov_b32 s1, exec_lo
	s_wait_storecnt_dscnt 0x0
	v_max_u32_e32 v3, v18, v1
	v_add_nc_u64_e32 v[22:23], v[8:9], v[20:21]
	s_barrier_signal -1
	s_barrier_wait -1
	s_delay_alu instid0(VALU_DEP_2) | instskip(NEXT) | instid1(VALU_DEP_1)
	v_xad_u32 v2, v0, -1, v3
	v_cmp_gt_u32_e64 s0, 0x1f00, v2
	v_cmpx_lt_u32_e32 0x1eff, v2
	s_cbranch_execz .LBB40_251
; %bb.242:
	v_sub_nc_u32_e32 v3, v0, v3
	s_mov_b32 s3, exec_lo
	s_delay_alu instid0(VALU_DEP_1) | instskip(NEXT) | instid1(VALU_DEP_1)
	v_or_b32_e32 v3, 0xff, v3
	v_cmpx_ge_u32_e64 v3, v0
	s_cbranch_execz .LBB40_250
; %bb.243:
	v_or_b32_e32 v7, 0x700, v0
	v_or_b32_e32 v6, 0x600, v0
	v_dual_mov_b32 v24, 0 :: v_dual_lshrrev_b32 v19, 8, v2
	v_or_b32_e32 v5, 0x500, v0
	v_or_b32_e32 v4, 0x400, v0
	;; [unrolled: 1-line block ×4, first 2 shown]
	v_mov_b64_e32 v[14:15], v[6:7]
	v_mov_b64_e32 v[8:9], v[0:1]
	;; [unrolled: 1-line block ×3, first 2 shown]
	v_add_nc_u32_e32 v21, -7, v19
	v_mov_b64_e32 v[10:11], v[2:3]
	s_mov_b32 s4, exec_lo
	s_delay_alu instid0(VALU_DEP_2)
	v_cmpx_lt_u32_e32 7, v21
	s_cbranch_execz .LBB40_247
; %bb.244:
	v_dual_mov_b32 v25, 0 :: v_dual_lshrrev_b32 v8, 3, v21
	s_mov_b32 s5, 0
	s_mov_b32 s6, 0
	s_delay_alu instid0(VALU_DEP_1) | instskip(NEXT) | instid1(VALU_DEP_1)
	v_dual_mov_b32 v26, v0 :: v_dual_add_nc_u32 v8, 1, v8
	v_and_b32_e32 v27, 0x3ffffffe, v8
	v_mov_b64_e32 v[14:15], v[6:7]
	v_mov_b64_e32 v[12:13], v[4:5]
	;; [unrolled: 1-line block ×4, first 2 shown]
.LBB40_245:                             ; =>This Inner Loop Header: Depth=1
	s_delay_alu instid0(VALU_DEP_1)
	v_dual_mov_b32 v24, v8 :: v_dual_mov_b32 v35, v25
	v_add_nc_u32_e32 v27, -2, v27
	s_add_co_i32 s6, s6, 16
	s_delay_alu instid0(VALU_DEP_3) | instid1(SALU_CYCLE_1)
	v_dual_mov_b32 v1, s6 :: v_dual_add_nc_u32 v34, 0x800, v9
	s_delay_alu instid0(VALU_DEP_3)
	v_add_nc_u64_e32 v[36:37], v[22:23], v[24:25]
	v_dual_mov_b32 v24, v9 :: v_dual_add_nc_u32 v9, 0x1000, v9
	ds_load_u8 v44, v26
	ds_load_u8 v45, v26 offset:256
	ds_load_u8 v46, v26 offset:512
	ds_load_u8 v47, v26 offset:768
	ds_load_u8 v48, v26 offset:1024
	ds_load_u8 v49, v26 offset:1280
	ds_load_u8 v50, v26 offset:1536
	ds_load_u8 v51, v26 offset:1792
	v_dual_mov_b32 v5, v25 :: v_dual_add_nc_u32 v30, 0x800, v11
	v_add_nc_u64_e32 v[38:39], v[22:23], v[24:25]
	v_mov_b32_e32 v24, v10
	ds_load_u8 v52, v26 offset:2048
	ds_load_u8 v53, v26 offset:2304
	;; [unrolled: 1-line block ×8, first 2 shown]
	v_dual_mov_b32 v33, v25 :: v_dual_add_nc_u32 v2, 0x800, v15
	s_wait_dscnt 0xf
	global_store_b8 v[36:37], v44, off
	s_wait_dscnt 0xe
	global_store_b8 v[38:39], v45, off
	v_add_nc_u64_e32 v[40:41], v[22:23], v[24:25]
	v_dual_mov_b32 v24, v11 :: v_dual_add_nc_u32 v11, 0x1000, v11
	v_dual_mov_b32 v3, v25 :: v_dual_add_nc_u32 v32, 0x800, v10
	;; [unrolled: 1-line block ×3, first 2 shown]
	s_delay_alu instid0(VALU_DEP_3)
	v_add_nc_u64_e32 v[42:43], v[22:23], v[24:25]
	v_mov_b32_e32 v24, v12
	s_wait_dscnt 0xd
	global_store_b8 v[40:41], v46, off
	v_dual_mov_b32 v29, v25 :: v_dual_add_nc_u32 v6, 0x800, v13
	v_dual_mov_b32 v7, v25 :: v_dual_add_nc_u32 v28, 0x800, v12
	s_wait_xcnt 0x2
	v_add_nc_u64_e32 v[36:37], v[22:23], v[24:25]
	v_mov_b32_e32 v24, v13
	s_wait_dscnt 0xc
	global_store_b8 v[42:43], v47, off
	v_cmp_eq_u32_e32 vcc_lo, 0, v27
	v_add_nc_u32_e32 v26, 0x1000, v26
	v_add_nc_u64_e32 v[34:35], v[22:23], v[34:35]
	s_wait_xcnt 0x2
	v_add_nc_u64_e32 v[38:39], v[22:23], v[24:25]
	v_mov_b32_e32 v24, v14
	s_wait_dscnt 0xb
	global_store_b8 v[36:37], v48, off
	v_add_nc_u32_e32 v10, 0x1000, v10
	v_add_nc_u32_e32 v12, 0x1000, v12
	;; [unrolled: 1-line block ×3, first 2 shown]
	s_wait_xcnt 0x0
	v_add_nc_u64_e32 v[36:37], v[22:23], v[24:25]
	v_mov_b32_e32 v24, v15
	s_wait_dscnt 0xa
	global_store_b8 v[38:39], v49, off
	v_add_nc_u32_e32 v14, 0x1000, v14
	v_add_nc_u32_e32 v15, 0x1000, v15
	v_add_nc_u64_e32 v[32:33], v[22:23], v[32:33]
	s_wait_xcnt 0x0
	v_add_nc_u64_e32 v[38:39], v[22:23], v[24:25]
	v_add_nc_u32_e32 v24, 0x800, v8
	s_wait_dscnt 0x9
	global_store_b8 v[36:37], v50, off
	v_add_nc_u32_e32 v8, 0x1000, v8
	v_add_nc_u64_e32 v[30:31], v[22:23], v[30:31]
	v_add_nc_u64_e32 v[28:29], v[22:23], v[28:29]
	s_wait_xcnt 0x0
	v_add_nc_u64_e32 v[36:37], v[22:23], v[24:25]
	s_or_b32 s5, vcc_lo, s5
	v_add_nc_u64_e32 v[6:7], v[22:23], v[6:7]
	v_add_nc_u64_e32 v[4:5], v[22:23], v[4:5]
	;; [unrolled: 1-line block ×3, first 2 shown]
	s_wait_dscnt 0x8
	global_store_b8 v[38:39], v51, off
	s_wait_dscnt 0x7
	global_store_b8 v[36:37], v52, off
	;; [unrolled: 2-line block ×9, first 2 shown]
	s_wait_xcnt 0x0
	s_and_not1_b32 exec_lo, exec_lo, s5
	s_cbranch_execnz .LBB40_245
; %bb.246:
	s_or_b32 exec_lo, exec_lo, s5
	v_lshlrev_b32_e32 v24, 8, v1
.LBB40_247:
	s_or_b32 exec_lo, exec_lo, s4
	v_and_b32_e32 v1, 8, v21
	s_mov_b32 s4, exec_lo
	s_delay_alu instid0(VALU_DEP_1)
	v_cmpx_eq_u32_e32 0, v1
	s_cbranch_execz .LBB40_249
; %bb.248:
	v_dual_mov_b32 v3, 0 :: v_dual_mov_b32 v2, v8
	v_or_b32_e32 v1, v0, v24
	ds_load_u8 v21, v1
	ds_load_u8 v28, v1 offset:256
	ds_load_u8 v29, v1 offset:512
	;; [unrolled: 1-line block ×7, first 2 shown]
	v_add_nc_u64_e32 v[4:5], v[22:23], v[2:3]
	v_mov_b32_e32 v2, v9
	s_delay_alu instid0(VALU_DEP_1) | instskip(SKIP_1) | instid1(VALU_DEP_1)
	v_add_nc_u64_e32 v[6:7], v[22:23], v[2:3]
	v_mov_b32_e32 v2, v10
	v_add_nc_u64_e32 v[8:9], v[22:23], v[2:3]
	v_mov_b32_e32 v2, v11
	s_delay_alu instid0(VALU_DEP_1) | instskip(SKIP_1) | instid1(VALU_DEP_1)
	v_add_nc_u64_e32 v[10:11], v[22:23], v[2:3]
	v_mov_b32_e32 v2, v12
	;; [unrolled: 5-line block ×3, first 2 shown]
	v_add_nc_u64_e32 v[26:27], v[22:23], v[2:3]
	v_mov_b32_e32 v2, v15
	s_delay_alu instid0(VALU_DEP_1)
	v_add_nc_u64_e32 v[2:3], v[22:23], v[2:3]
	s_wait_dscnt 0x7
	global_store_b8 v[4:5], v21, off
	s_wait_dscnt 0x6
	global_store_b8 v[6:7], v28, off
	;; [unrolled: 2-line block ×8, first 2 shown]
.LBB40_249:
	s_wait_xcnt 0x0
	s_or_b32 exec_lo, exec_lo, s4
	v_add_nc_u32_e32 v1, 1, v19
	s_delay_alu instid0(VALU_DEP_1) | instskip(NEXT) | instid1(VALU_DEP_1)
	v_and_b32_e32 v2, 0x1fffff8, v1
	v_cmp_ne_u32_e32 vcc_lo, v1, v2
	v_lshl_or_b32 v0, v2, 8, v0
	s_or_not1_b32 s4, vcc_lo, exec_lo
.LBB40_250:
	s_or_b32 exec_lo, exec_lo, s3
	s_delay_alu instid0(SALU_CYCLE_1) | instskip(SKIP_1) | instid1(SALU_CYCLE_1)
	s_and_not1_b32 s0, s0, exec_lo
	s_and_b32 s3, s4, exec_lo
	s_or_b32 s0, s0, s3
.LBB40_251:
	s_or_b32 exec_lo, exec_lo, s1
	s_and_saveexec_b32 s1, s0
	s_cbranch_execz .LBB40_254
; %bb.252:
	s_mov_b32 s0, 0
.LBB40_253:                             ; =>This Inner Loop Header: Depth=1
	ds_load_u8 v1, v0
	v_readfirstlane_b32 s4, v22
	v_readfirstlane_b32 s5, v23
	s_wait_dscnt 0x0
	global_store_b8 v0, v1, s[4:5]
	s_wait_xcnt 0x0
	v_add_nc_u32_e32 v0, 0x100, v0
	s_delay_alu instid0(VALU_DEP_1) | instskip(SKIP_1) | instid1(SALU_CYCLE_1)
	v_cmp_ge_u32_e32 vcc_lo, v0, v18
	s_or_b32 s0, vcc_lo, s0
	s_and_not1_b32 exec_lo, exec_lo, s0
	s_cbranch_execnz .LBB40_253
.LBB40_254:
	s_or_b32 exec_lo, exec_lo, s1
	s_and_b32 s0, s2, s30
	s_delay_alu instid0(SALU_CYCLE_1)
	s_and_saveexec_b32 s1, s0
	s_cbranch_execz .LBB40_127
.LBB40_255:
	v_mov_b32_e32 v19, 0
	s_delay_alu instid0(VALU_DEP_1) | instskip(SKIP_1) | instid1(VALU_DEP_1)
	v_add_nc_u64_e32 v[0:1], v[16:17], v[18:19]
	v_mov_b32_e32 v21, v19
	v_add_nc_u64_e32 v[0:1], v[0:1], v[20:21]
	global_store_b64 v19, v[0:1], s[28:29]
	s_sendmsg sendmsg(MSG_DEALLOC_VGPRS)
	s_endpgm
	.section	.rodata,"a",@progbits
	.p2align	6, 0x0
	.amdhsa_kernel _ZN7rocprim17ROCPRIM_400000_NS6detail17trampoline_kernelINS0_14default_configENS1_25partition_config_selectorILNS1_17partition_subalgoE8EbNS0_10empty_typeEbEEZZNS1_14partition_implILS5_8ELb0ES3_jN6hipcub16HIPCUB_304000_NS22TransformInputIteratorIbN2at6native8internal12_GLOBAL__N_110LoadBoolOpEPKhlEEPS6_PKS6_NS0_5tupleIJPbS6_EEENSN_IJSK_SK_EEENS0_18inequality_wrapperINSA_8EqualityEEEPlJS6_EEE10hipError_tPvRmT3_T4_T5_T6_T7_T9_mT8_P12ihipStream_tbDpT10_ENKUlT_T0_E_clISt17integral_constantIbLb0EES1D_IbLb1EEEEDaS19_S1A_EUlS19_E_NS1_11comp_targetILNS1_3genE0ELNS1_11target_archE4294967295ELNS1_3gpuE0ELNS1_3repE0EEENS1_30default_config_static_selectorELNS0_4arch9wavefront6targetE0EEEvT1_
		.amdhsa_group_segment_fixed_size 7176
		.amdhsa_private_segment_fixed_size 0
		.amdhsa_kernarg_size 136
		.amdhsa_user_sgpr_count 2
		.amdhsa_user_sgpr_dispatch_ptr 0
		.amdhsa_user_sgpr_queue_ptr 0
		.amdhsa_user_sgpr_kernarg_segment_ptr 1
		.amdhsa_user_sgpr_dispatch_id 0
		.amdhsa_user_sgpr_kernarg_preload_length 0
		.amdhsa_user_sgpr_kernarg_preload_offset 0
		.amdhsa_user_sgpr_private_segment_size 0
		.amdhsa_wavefront_size32 1
		.amdhsa_uses_dynamic_stack 0
		.amdhsa_enable_private_segment 0
		.amdhsa_system_sgpr_workgroup_id_x 1
		.amdhsa_system_sgpr_workgroup_id_y 0
		.amdhsa_system_sgpr_workgroup_id_z 0
		.amdhsa_system_sgpr_workgroup_info 0
		.amdhsa_system_vgpr_workitem_id 0
		.amdhsa_next_free_vgpr 110
		.amdhsa_next_free_sgpr 49
		.amdhsa_named_barrier_count 0
		.amdhsa_reserve_vcc 1
		.amdhsa_float_round_mode_32 0
		.amdhsa_float_round_mode_16_64 0
		.amdhsa_float_denorm_mode_32 3
		.amdhsa_float_denorm_mode_16_64 3
		.amdhsa_fp16_overflow 0
		.amdhsa_memory_ordered 1
		.amdhsa_forward_progress 1
		.amdhsa_inst_pref_size 123
		.amdhsa_round_robin_scheduling 0
		.amdhsa_exception_fp_ieee_invalid_op 0
		.amdhsa_exception_fp_denorm_src 0
		.amdhsa_exception_fp_ieee_div_zero 0
		.amdhsa_exception_fp_ieee_overflow 0
		.amdhsa_exception_fp_ieee_underflow 0
		.amdhsa_exception_fp_ieee_inexact 0
		.amdhsa_exception_int_div_zero 0
	.end_amdhsa_kernel
	.section	.text._ZN7rocprim17ROCPRIM_400000_NS6detail17trampoline_kernelINS0_14default_configENS1_25partition_config_selectorILNS1_17partition_subalgoE8EbNS0_10empty_typeEbEEZZNS1_14partition_implILS5_8ELb0ES3_jN6hipcub16HIPCUB_304000_NS22TransformInputIteratorIbN2at6native8internal12_GLOBAL__N_110LoadBoolOpEPKhlEEPS6_PKS6_NS0_5tupleIJPbS6_EEENSN_IJSK_SK_EEENS0_18inequality_wrapperINSA_8EqualityEEEPlJS6_EEE10hipError_tPvRmT3_T4_T5_T6_T7_T9_mT8_P12ihipStream_tbDpT10_ENKUlT_T0_E_clISt17integral_constantIbLb0EES1D_IbLb1EEEEDaS19_S1A_EUlS19_E_NS1_11comp_targetILNS1_3genE0ELNS1_11target_archE4294967295ELNS1_3gpuE0ELNS1_3repE0EEENS1_30default_config_static_selectorELNS0_4arch9wavefront6targetE0EEEvT1_,"axG",@progbits,_ZN7rocprim17ROCPRIM_400000_NS6detail17trampoline_kernelINS0_14default_configENS1_25partition_config_selectorILNS1_17partition_subalgoE8EbNS0_10empty_typeEbEEZZNS1_14partition_implILS5_8ELb0ES3_jN6hipcub16HIPCUB_304000_NS22TransformInputIteratorIbN2at6native8internal12_GLOBAL__N_110LoadBoolOpEPKhlEEPS6_PKS6_NS0_5tupleIJPbS6_EEENSN_IJSK_SK_EEENS0_18inequality_wrapperINSA_8EqualityEEEPlJS6_EEE10hipError_tPvRmT3_T4_T5_T6_T7_T9_mT8_P12ihipStream_tbDpT10_ENKUlT_T0_E_clISt17integral_constantIbLb0EES1D_IbLb1EEEEDaS19_S1A_EUlS19_E_NS1_11comp_targetILNS1_3genE0ELNS1_11target_archE4294967295ELNS1_3gpuE0ELNS1_3repE0EEENS1_30default_config_static_selectorELNS0_4arch9wavefront6targetE0EEEvT1_,comdat
.Lfunc_end40:
	.size	_ZN7rocprim17ROCPRIM_400000_NS6detail17trampoline_kernelINS0_14default_configENS1_25partition_config_selectorILNS1_17partition_subalgoE8EbNS0_10empty_typeEbEEZZNS1_14partition_implILS5_8ELb0ES3_jN6hipcub16HIPCUB_304000_NS22TransformInputIteratorIbN2at6native8internal12_GLOBAL__N_110LoadBoolOpEPKhlEEPS6_PKS6_NS0_5tupleIJPbS6_EEENSN_IJSK_SK_EEENS0_18inequality_wrapperINSA_8EqualityEEEPlJS6_EEE10hipError_tPvRmT3_T4_T5_T6_T7_T9_mT8_P12ihipStream_tbDpT10_ENKUlT_T0_E_clISt17integral_constantIbLb0EES1D_IbLb1EEEEDaS19_S1A_EUlS19_E_NS1_11comp_targetILNS1_3genE0ELNS1_11target_archE4294967295ELNS1_3gpuE0ELNS1_3repE0EEENS1_30default_config_static_selectorELNS0_4arch9wavefront6targetE0EEEvT1_, .Lfunc_end40-_ZN7rocprim17ROCPRIM_400000_NS6detail17trampoline_kernelINS0_14default_configENS1_25partition_config_selectorILNS1_17partition_subalgoE8EbNS0_10empty_typeEbEEZZNS1_14partition_implILS5_8ELb0ES3_jN6hipcub16HIPCUB_304000_NS22TransformInputIteratorIbN2at6native8internal12_GLOBAL__N_110LoadBoolOpEPKhlEEPS6_PKS6_NS0_5tupleIJPbS6_EEENSN_IJSK_SK_EEENS0_18inequality_wrapperINSA_8EqualityEEEPlJS6_EEE10hipError_tPvRmT3_T4_T5_T6_T7_T9_mT8_P12ihipStream_tbDpT10_ENKUlT_T0_E_clISt17integral_constantIbLb0EES1D_IbLb1EEEEDaS19_S1A_EUlS19_E_NS1_11comp_targetILNS1_3genE0ELNS1_11target_archE4294967295ELNS1_3gpuE0ELNS1_3repE0EEENS1_30default_config_static_selectorELNS0_4arch9wavefront6targetE0EEEvT1_
                                        ; -- End function
	.set _ZN7rocprim17ROCPRIM_400000_NS6detail17trampoline_kernelINS0_14default_configENS1_25partition_config_selectorILNS1_17partition_subalgoE8EbNS0_10empty_typeEbEEZZNS1_14partition_implILS5_8ELb0ES3_jN6hipcub16HIPCUB_304000_NS22TransformInputIteratorIbN2at6native8internal12_GLOBAL__N_110LoadBoolOpEPKhlEEPS6_PKS6_NS0_5tupleIJPbS6_EEENSN_IJSK_SK_EEENS0_18inequality_wrapperINSA_8EqualityEEEPlJS6_EEE10hipError_tPvRmT3_T4_T5_T6_T7_T9_mT8_P12ihipStream_tbDpT10_ENKUlT_T0_E_clISt17integral_constantIbLb0EES1D_IbLb1EEEEDaS19_S1A_EUlS19_E_NS1_11comp_targetILNS1_3genE0ELNS1_11target_archE4294967295ELNS1_3gpuE0ELNS1_3repE0EEENS1_30default_config_static_selectorELNS0_4arch9wavefront6targetE0EEEvT1_.num_vgpr, 110
	.set _ZN7rocprim17ROCPRIM_400000_NS6detail17trampoline_kernelINS0_14default_configENS1_25partition_config_selectorILNS1_17partition_subalgoE8EbNS0_10empty_typeEbEEZZNS1_14partition_implILS5_8ELb0ES3_jN6hipcub16HIPCUB_304000_NS22TransformInputIteratorIbN2at6native8internal12_GLOBAL__N_110LoadBoolOpEPKhlEEPS6_PKS6_NS0_5tupleIJPbS6_EEENSN_IJSK_SK_EEENS0_18inequality_wrapperINSA_8EqualityEEEPlJS6_EEE10hipError_tPvRmT3_T4_T5_T6_T7_T9_mT8_P12ihipStream_tbDpT10_ENKUlT_T0_E_clISt17integral_constantIbLb0EES1D_IbLb1EEEEDaS19_S1A_EUlS19_E_NS1_11comp_targetILNS1_3genE0ELNS1_11target_archE4294967295ELNS1_3gpuE0ELNS1_3repE0EEENS1_30default_config_static_selectorELNS0_4arch9wavefront6targetE0EEEvT1_.num_agpr, 0
	.set _ZN7rocprim17ROCPRIM_400000_NS6detail17trampoline_kernelINS0_14default_configENS1_25partition_config_selectorILNS1_17partition_subalgoE8EbNS0_10empty_typeEbEEZZNS1_14partition_implILS5_8ELb0ES3_jN6hipcub16HIPCUB_304000_NS22TransformInputIteratorIbN2at6native8internal12_GLOBAL__N_110LoadBoolOpEPKhlEEPS6_PKS6_NS0_5tupleIJPbS6_EEENSN_IJSK_SK_EEENS0_18inequality_wrapperINSA_8EqualityEEEPlJS6_EEE10hipError_tPvRmT3_T4_T5_T6_T7_T9_mT8_P12ihipStream_tbDpT10_ENKUlT_T0_E_clISt17integral_constantIbLb0EES1D_IbLb1EEEEDaS19_S1A_EUlS19_E_NS1_11comp_targetILNS1_3genE0ELNS1_11target_archE4294967295ELNS1_3gpuE0ELNS1_3repE0EEENS1_30default_config_static_selectorELNS0_4arch9wavefront6targetE0EEEvT1_.numbered_sgpr, 49
	.set _ZN7rocprim17ROCPRIM_400000_NS6detail17trampoline_kernelINS0_14default_configENS1_25partition_config_selectorILNS1_17partition_subalgoE8EbNS0_10empty_typeEbEEZZNS1_14partition_implILS5_8ELb0ES3_jN6hipcub16HIPCUB_304000_NS22TransformInputIteratorIbN2at6native8internal12_GLOBAL__N_110LoadBoolOpEPKhlEEPS6_PKS6_NS0_5tupleIJPbS6_EEENSN_IJSK_SK_EEENS0_18inequality_wrapperINSA_8EqualityEEEPlJS6_EEE10hipError_tPvRmT3_T4_T5_T6_T7_T9_mT8_P12ihipStream_tbDpT10_ENKUlT_T0_E_clISt17integral_constantIbLb0EES1D_IbLb1EEEEDaS19_S1A_EUlS19_E_NS1_11comp_targetILNS1_3genE0ELNS1_11target_archE4294967295ELNS1_3gpuE0ELNS1_3repE0EEENS1_30default_config_static_selectorELNS0_4arch9wavefront6targetE0EEEvT1_.num_named_barrier, 0
	.set _ZN7rocprim17ROCPRIM_400000_NS6detail17trampoline_kernelINS0_14default_configENS1_25partition_config_selectorILNS1_17partition_subalgoE8EbNS0_10empty_typeEbEEZZNS1_14partition_implILS5_8ELb0ES3_jN6hipcub16HIPCUB_304000_NS22TransformInputIteratorIbN2at6native8internal12_GLOBAL__N_110LoadBoolOpEPKhlEEPS6_PKS6_NS0_5tupleIJPbS6_EEENSN_IJSK_SK_EEENS0_18inequality_wrapperINSA_8EqualityEEEPlJS6_EEE10hipError_tPvRmT3_T4_T5_T6_T7_T9_mT8_P12ihipStream_tbDpT10_ENKUlT_T0_E_clISt17integral_constantIbLb0EES1D_IbLb1EEEEDaS19_S1A_EUlS19_E_NS1_11comp_targetILNS1_3genE0ELNS1_11target_archE4294967295ELNS1_3gpuE0ELNS1_3repE0EEENS1_30default_config_static_selectorELNS0_4arch9wavefront6targetE0EEEvT1_.private_seg_size, 0
	.set _ZN7rocprim17ROCPRIM_400000_NS6detail17trampoline_kernelINS0_14default_configENS1_25partition_config_selectorILNS1_17partition_subalgoE8EbNS0_10empty_typeEbEEZZNS1_14partition_implILS5_8ELb0ES3_jN6hipcub16HIPCUB_304000_NS22TransformInputIteratorIbN2at6native8internal12_GLOBAL__N_110LoadBoolOpEPKhlEEPS6_PKS6_NS0_5tupleIJPbS6_EEENSN_IJSK_SK_EEENS0_18inequality_wrapperINSA_8EqualityEEEPlJS6_EEE10hipError_tPvRmT3_T4_T5_T6_T7_T9_mT8_P12ihipStream_tbDpT10_ENKUlT_T0_E_clISt17integral_constantIbLb0EES1D_IbLb1EEEEDaS19_S1A_EUlS19_E_NS1_11comp_targetILNS1_3genE0ELNS1_11target_archE4294967295ELNS1_3gpuE0ELNS1_3repE0EEENS1_30default_config_static_selectorELNS0_4arch9wavefront6targetE0EEEvT1_.uses_vcc, 1
	.set _ZN7rocprim17ROCPRIM_400000_NS6detail17trampoline_kernelINS0_14default_configENS1_25partition_config_selectorILNS1_17partition_subalgoE8EbNS0_10empty_typeEbEEZZNS1_14partition_implILS5_8ELb0ES3_jN6hipcub16HIPCUB_304000_NS22TransformInputIteratorIbN2at6native8internal12_GLOBAL__N_110LoadBoolOpEPKhlEEPS6_PKS6_NS0_5tupleIJPbS6_EEENSN_IJSK_SK_EEENS0_18inequality_wrapperINSA_8EqualityEEEPlJS6_EEE10hipError_tPvRmT3_T4_T5_T6_T7_T9_mT8_P12ihipStream_tbDpT10_ENKUlT_T0_E_clISt17integral_constantIbLb0EES1D_IbLb1EEEEDaS19_S1A_EUlS19_E_NS1_11comp_targetILNS1_3genE0ELNS1_11target_archE4294967295ELNS1_3gpuE0ELNS1_3repE0EEENS1_30default_config_static_selectorELNS0_4arch9wavefront6targetE0EEEvT1_.uses_flat_scratch, 0
	.set _ZN7rocprim17ROCPRIM_400000_NS6detail17trampoline_kernelINS0_14default_configENS1_25partition_config_selectorILNS1_17partition_subalgoE8EbNS0_10empty_typeEbEEZZNS1_14partition_implILS5_8ELb0ES3_jN6hipcub16HIPCUB_304000_NS22TransformInputIteratorIbN2at6native8internal12_GLOBAL__N_110LoadBoolOpEPKhlEEPS6_PKS6_NS0_5tupleIJPbS6_EEENSN_IJSK_SK_EEENS0_18inequality_wrapperINSA_8EqualityEEEPlJS6_EEE10hipError_tPvRmT3_T4_T5_T6_T7_T9_mT8_P12ihipStream_tbDpT10_ENKUlT_T0_E_clISt17integral_constantIbLb0EES1D_IbLb1EEEEDaS19_S1A_EUlS19_E_NS1_11comp_targetILNS1_3genE0ELNS1_11target_archE4294967295ELNS1_3gpuE0ELNS1_3repE0EEENS1_30default_config_static_selectorELNS0_4arch9wavefront6targetE0EEEvT1_.has_dyn_sized_stack, 0
	.set _ZN7rocprim17ROCPRIM_400000_NS6detail17trampoline_kernelINS0_14default_configENS1_25partition_config_selectorILNS1_17partition_subalgoE8EbNS0_10empty_typeEbEEZZNS1_14partition_implILS5_8ELb0ES3_jN6hipcub16HIPCUB_304000_NS22TransformInputIteratorIbN2at6native8internal12_GLOBAL__N_110LoadBoolOpEPKhlEEPS6_PKS6_NS0_5tupleIJPbS6_EEENSN_IJSK_SK_EEENS0_18inequality_wrapperINSA_8EqualityEEEPlJS6_EEE10hipError_tPvRmT3_T4_T5_T6_T7_T9_mT8_P12ihipStream_tbDpT10_ENKUlT_T0_E_clISt17integral_constantIbLb0EES1D_IbLb1EEEEDaS19_S1A_EUlS19_E_NS1_11comp_targetILNS1_3genE0ELNS1_11target_archE4294967295ELNS1_3gpuE0ELNS1_3repE0EEENS1_30default_config_static_selectorELNS0_4arch9wavefront6targetE0EEEvT1_.has_recursion, 0
	.set _ZN7rocprim17ROCPRIM_400000_NS6detail17trampoline_kernelINS0_14default_configENS1_25partition_config_selectorILNS1_17partition_subalgoE8EbNS0_10empty_typeEbEEZZNS1_14partition_implILS5_8ELb0ES3_jN6hipcub16HIPCUB_304000_NS22TransformInputIteratorIbN2at6native8internal12_GLOBAL__N_110LoadBoolOpEPKhlEEPS6_PKS6_NS0_5tupleIJPbS6_EEENSN_IJSK_SK_EEENS0_18inequality_wrapperINSA_8EqualityEEEPlJS6_EEE10hipError_tPvRmT3_T4_T5_T6_T7_T9_mT8_P12ihipStream_tbDpT10_ENKUlT_T0_E_clISt17integral_constantIbLb0EES1D_IbLb1EEEEDaS19_S1A_EUlS19_E_NS1_11comp_targetILNS1_3genE0ELNS1_11target_archE4294967295ELNS1_3gpuE0ELNS1_3repE0EEENS1_30default_config_static_selectorELNS0_4arch9wavefront6targetE0EEEvT1_.has_indirect_call, 0
	.section	.AMDGPU.csdata,"",@progbits
; Kernel info:
; codeLenInByte = 15724
; TotalNumSgprs: 51
; NumVgprs: 110
; ScratchSize: 0
; MemoryBound: 0
; FloatMode: 240
; IeeeMode: 1
; LDSByteSize: 7176 bytes/workgroup (compile time only)
; SGPRBlocks: 0
; VGPRBlocks: 6
; NumSGPRsForWavesPerEU: 51
; NumVGPRsForWavesPerEU: 110
; NamedBarCnt: 0
; Occupancy: 9
; WaveLimiterHint : 1
; COMPUTE_PGM_RSRC2:SCRATCH_EN: 0
; COMPUTE_PGM_RSRC2:USER_SGPR: 2
; COMPUTE_PGM_RSRC2:TRAP_HANDLER: 0
; COMPUTE_PGM_RSRC2:TGID_X_EN: 1
; COMPUTE_PGM_RSRC2:TGID_Y_EN: 0
; COMPUTE_PGM_RSRC2:TGID_Z_EN: 0
; COMPUTE_PGM_RSRC2:TIDIG_COMP_CNT: 0
	.section	.text._ZN7rocprim17ROCPRIM_400000_NS6detail17trampoline_kernelINS0_14default_configENS1_25partition_config_selectorILNS1_17partition_subalgoE8EbNS0_10empty_typeEbEEZZNS1_14partition_implILS5_8ELb0ES3_jN6hipcub16HIPCUB_304000_NS22TransformInputIteratorIbN2at6native8internal12_GLOBAL__N_110LoadBoolOpEPKhlEEPS6_PKS6_NS0_5tupleIJPbS6_EEENSN_IJSK_SK_EEENS0_18inequality_wrapperINSA_8EqualityEEEPlJS6_EEE10hipError_tPvRmT3_T4_T5_T6_T7_T9_mT8_P12ihipStream_tbDpT10_ENKUlT_T0_E_clISt17integral_constantIbLb0EES1D_IbLb1EEEEDaS19_S1A_EUlS19_E_NS1_11comp_targetILNS1_3genE5ELNS1_11target_archE942ELNS1_3gpuE9ELNS1_3repE0EEENS1_30default_config_static_selectorELNS0_4arch9wavefront6targetE0EEEvT1_,"axG",@progbits,_ZN7rocprim17ROCPRIM_400000_NS6detail17trampoline_kernelINS0_14default_configENS1_25partition_config_selectorILNS1_17partition_subalgoE8EbNS0_10empty_typeEbEEZZNS1_14partition_implILS5_8ELb0ES3_jN6hipcub16HIPCUB_304000_NS22TransformInputIteratorIbN2at6native8internal12_GLOBAL__N_110LoadBoolOpEPKhlEEPS6_PKS6_NS0_5tupleIJPbS6_EEENSN_IJSK_SK_EEENS0_18inequality_wrapperINSA_8EqualityEEEPlJS6_EEE10hipError_tPvRmT3_T4_T5_T6_T7_T9_mT8_P12ihipStream_tbDpT10_ENKUlT_T0_E_clISt17integral_constantIbLb0EES1D_IbLb1EEEEDaS19_S1A_EUlS19_E_NS1_11comp_targetILNS1_3genE5ELNS1_11target_archE942ELNS1_3gpuE9ELNS1_3repE0EEENS1_30default_config_static_selectorELNS0_4arch9wavefront6targetE0EEEvT1_,comdat
	.globl	_ZN7rocprim17ROCPRIM_400000_NS6detail17trampoline_kernelINS0_14default_configENS1_25partition_config_selectorILNS1_17partition_subalgoE8EbNS0_10empty_typeEbEEZZNS1_14partition_implILS5_8ELb0ES3_jN6hipcub16HIPCUB_304000_NS22TransformInputIteratorIbN2at6native8internal12_GLOBAL__N_110LoadBoolOpEPKhlEEPS6_PKS6_NS0_5tupleIJPbS6_EEENSN_IJSK_SK_EEENS0_18inequality_wrapperINSA_8EqualityEEEPlJS6_EEE10hipError_tPvRmT3_T4_T5_T6_T7_T9_mT8_P12ihipStream_tbDpT10_ENKUlT_T0_E_clISt17integral_constantIbLb0EES1D_IbLb1EEEEDaS19_S1A_EUlS19_E_NS1_11comp_targetILNS1_3genE5ELNS1_11target_archE942ELNS1_3gpuE9ELNS1_3repE0EEENS1_30default_config_static_selectorELNS0_4arch9wavefront6targetE0EEEvT1_ ; -- Begin function _ZN7rocprim17ROCPRIM_400000_NS6detail17trampoline_kernelINS0_14default_configENS1_25partition_config_selectorILNS1_17partition_subalgoE8EbNS0_10empty_typeEbEEZZNS1_14partition_implILS5_8ELb0ES3_jN6hipcub16HIPCUB_304000_NS22TransformInputIteratorIbN2at6native8internal12_GLOBAL__N_110LoadBoolOpEPKhlEEPS6_PKS6_NS0_5tupleIJPbS6_EEENSN_IJSK_SK_EEENS0_18inequality_wrapperINSA_8EqualityEEEPlJS6_EEE10hipError_tPvRmT3_T4_T5_T6_T7_T9_mT8_P12ihipStream_tbDpT10_ENKUlT_T0_E_clISt17integral_constantIbLb0EES1D_IbLb1EEEEDaS19_S1A_EUlS19_E_NS1_11comp_targetILNS1_3genE5ELNS1_11target_archE942ELNS1_3gpuE9ELNS1_3repE0EEENS1_30default_config_static_selectorELNS0_4arch9wavefront6targetE0EEEvT1_
	.p2align	8
	.type	_ZN7rocprim17ROCPRIM_400000_NS6detail17trampoline_kernelINS0_14default_configENS1_25partition_config_selectorILNS1_17partition_subalgoE8EbNS0_10empty_typeEbEEZZNS1_14partition_implILS5_8ELb0ES3_jN6hipcub16HIPCUB_304000_NS22TransformInputIteratorIbN2at6native8internal12_GLOBAL__N_110LoadBoolOpEPKhlEEPS6_PKS6_NS0_5tupleIJPbS6_EEENSN_IJSK_SK_EEENS0_18inequality_wrapperINSA_8EqualityEEEPlJS6_EEE10hipError_tPvRmT3_T4_T5_T6_T7_T9_mT8_P12ihipStream_tbDpT10_ENKUlT_T0_E_clISt17integral_constantIbLb0EES1D_IbLb1EEEEDaS19_S1A_EUlS19_E_NS1_11comp_targetILNS1_3genE5ELNS1_11target_archE942ELNS1_3gpuE9ELNS1_3repE0EEENS1_30default_config_static_selectorELNS0_4arch9wavefront6targetE0EEEvT1_,@function
_ZN7rocprim17ROCPRIM_400000_NS6detail17trampoline_kernelINS0_14default_configENS1_25partition_config_selectorILNS1_17partition_subalgoE8EbNS0_10empty_typeEbEEZZNS1_14partition_implILS5_8ELb0ES3_jN6hipcub16HIPCUB_304000_NS22TransformInputIteratorIbN2at6native8internal12_GLOBAL__N_110LoadBoolOpEPKhlEEPS6_PKS6_NS0_5tupleIJPbS6_EEENSN_IJSK_SK_EEENS0_18inequality_wrapperINSA_8EqualityEEEPlJS6_EEE10hipError_tPvRmT3_T4_T5_T6_T7_T9_mT8_P12ihipStream_tbDpT10_ENKUlT_T0_E_clISt17integral_constantIbLb0EES1D_IbLb1EEEEDaS19_S1A_EUlS19_E_NS1_11comp_targetILNS1_3genE5ELNS1_11target_archE942ELNS1_3gpuE9ELNS1_3repE0EEENS1_30default_config_static_selectorELNS0_4arch9wavefront6targetE0EEEvT1_: ; @_ZN7rocprim17ROCPRIM_400000_NS6detail17trampoline_kernelINS0_14default_configENS1_25partition_config_selectorILNS1_17partition_subalgoE8EbNS0_10empty_typeEbEEZZNS1_14partition_implILS5_8ELb0ES3_jN6hipcub16HIPCUB_304000_NS22TransformInputIteratorIbN2at6native8internal12_GLOBAL__N_110LoadBoolOpEPKhlEEPS6_PKS6_NS0_5tupleIJPbS6_EEENSN_IJSK_SK_EEENS0_18inequality_wrapperINSA_8EqualityEEEPlJS6_EEE10hipError_tPvRmT3_T4_T5_T6_T7_T9_mT8_P12ihipStream_tbDpT10_ENKUlT_T0_E_clISt17integral_constantIbLb0EES1D_IbLb1EEEEDaS19_S1A_EUlS19_E_NS1_11comp_targetILNS1_3genE5ELNS1_11target_archE942ELNS1_3gpuE9ELNS1_3repE0EEENS1_30default_config_static_selectorELNS0_4arch9wavefront6targetE0EEEvT1_
; %bb.0:
	.section	.rodata,"a",@progbits
	.p2align	6, 0x0
	.amdhsa_kernel _ZN7rocprim17ROCPRIM_400000_NS6detail17trampoline_kernelINS0_14default_configENS1_25partition_config_selectorILNS1_17partition_subalgoE8EbNS0_10empty_typeEbEEZZNS1_14partition_implILS5_8ELb0ES3_jN6hipcub16HIPCUB_304000_NS22TransformInputIteratorIbN2at6native8internal12_GLOBAL__N_110LoadBoolOpEPKhlEEPS6_PKS6_NS0_5tupleIJPbS6_EEENSN_IJSK_SK_EEENS0_18inequality_wrapperINSA_8EqualityEEEPlJS6_EEE10hipError_tPvRmT3_T4_T5_T6_T7_T9_mT8_P12ihipStream_tbDpT10_ENKUlT_T0_E_clISt17integral_constantIbLb0EES1D_IbLb1EEEEDaS19_S1A_EUlS19_E_NS1_11comp_targetILNS1_3genE5ELNS1_11target_archE942ELNS1_3gpuE9ELNS1_3repE0EEENS1_30default_config_static_selectorELNS0_4arch9wavefront6targetE0EEEvT1_
		.amdhsa_group_segment_fixed_size 0
		.amdhsa_private_segment_fixed_size 0
		.amdhsa_kernarg_size 136
		.amdhsa_user_sgpr_count 2
		.amdhsa_user_sgpr_dispatch_ptr 0
		.amdhsa_user_sgpr_queue_ptr 0
		.amdhsa_user_sgpr_kernarg_segment_ptr 1
		.amdhsa_user_sgpr_dispatch_id 0
		.amdhsa_user_sgpr_kernarg_preload_length 0
		.amdhsa_user_sgpr_kernarg_preload_offset 0
		.amdhsa_user_sgpr_private_segment_size 0
		.amdhsa_wavefront_size32 1
		.amdhsa_uses_dynamic_stack 0
		.amdhsa_enable_private_segment 0
		.amdhsa_system_sgpr_workgroup_id_x 1
		.amdhsa_system_sgpr_workgroup_id_y 0
		.amdhsa_system_sgpr_workgroup_id_z 0
		.amdhsa_system_sgpr_workgroup_info 0
		.amdhsa_system_vgpr_workitem_id 0
		.amdhsa_next_free_vgpr 1
		.amdhsa_next_free_sgpr 1
		.amdhsa_named_barrier_count 0
		.amdhsa_reserve_vcc 0
		.amdhsa_float_round_mode_32 0
		.amdhsa_float_round_mode_16_64 0
		.amdhsa_float_denorm_mode_32 3
		.amdhsa_float_denorm_mode_16_64 3
		.amdhsa_fp16_overflow 0
		.amdhsa_memory_ordered 1
		.amdhsa_forward_progress 1
		.amdhsa_inst_pref_size 0
		.amdhsa_round_robin_scheduling 0
		.amdhsa_exception_fp_ieee_invalid_op 0
		.amdhsa_exception_fp_denorm_src 0
		.amdhsa_exception_fp_ieee_div_zero 0
		.amdhsa_exception_fp_ieee_overflow 0
		.amdhsa_exception_fp_ieee_underflow 0
		.amdhsa_exception_fp_ieee_inexact 0
		.amdhsa_exception_int_div_zero 0
	.end_amdhsa_kernel
	.section	.text._ZN7rocprim17ROCPRIM_400000_NS6detail17trampoline_kernelINS0_14default_configENS1_25partition_config_selectorILNS1_17partition_subalgoE8EbNS0_10empty_typeEbEEZZNS1_14partition_implILS5_8ELb0ES3_jN6hipcub16HIPCUB_304000_NS22TransformInputIteratorIbN2at6native8internal12_GLOBAL__N_110LoadBoolOpEPKhlEEPS6_PKS6_NS0_5tupleIJPbS6_EEENSN_IJSK_SK_EEENS0_18inequality_wrapperINSA_8EqualityEEEPlJS6_EEE10hipError_tPvRmT3_T4_T5_T6_T7_T9_mT8_P12ihipStream_tbDpT10_ENKUlT_T0_E_clISt17integral_constantIbLb0EES1D_IbLb1EEEEDaS19_S1A_EUlS19_E_NS1_11comp_targetILNS1_3genE5ELNS1_11target_archE942ELNS1_3gpuE9ELNS1_3repE0EEENS1_30default_config_static_selectorELNS0_4arch9wavefront6targetE0EEEvT1_,"axG",@progbits,_ZN7rocprim17ROCPRIM_400000_NS6detail17trampoline_kernelINS0_14default_configENS1_25partition_config_selectorILNS1_17partition_subalgoE8EbNS0_10empty_typeEbEEZZNS1_14partition_implILS5_8ELb0ES3_jN6hipcub16HIPCUB_304000_NS22TransformInputIteratorIbN2at6native8internal12_GLOBAL__N_110LoadBoolOpEPKhlEEPS6_PKS6_NS0_5tupleIJPbS6_EEENSN_IJSK_SK_EEENS0_18inequality_wrapperINSA_8EqualityEEEPlJS6_EEE10hipError_tPvRmT3_T4_T5_T6_T7_T9_mT8_P12ihipStream_tbDpT10_ENKUlT_T0_E_clISt17integral_constantIbLb0EES1D_IbLb1EEEEDaS19_S1A_EUlS19_E_NS1_11comp_targetILNS1_3genE5ELNS1_11target_archE942ELNS1_3gpuE9ELNS1_3repE0EEENS1_30default_config_static_selectorELNS0_4arch9wavefront6targetE0EEEvT1_,comdat
.Lfunc_end41:
	.size	_ZN7rocprim17ROCPRIM_400000_NS6detail17trampoline_kernelINS0_14default_configENS1_25partition_config_selectorILNS1_17partition_subalgoE8EbNS0_10empty_typeEbEEZZNS1_14partition_implILS5_8ELb0ES3_jN6hipcub16HIPCUB_304000_NS22TransformInputIteratorIbN2at6native8internal12_GLOBAL__N_110LoadBoolOpEPKhlEEPS6_PKS6_NS0_5tupleIJPbS6_EEENSN_IJSK_SK_EEENS0_18inequality_wrapperINSA_8EqualityEEEPlJS6_EEE10hipError_tPvRmT3_T4_T5_T6_T7_T9_mT8_P12ihipStream_tbDpT10_ENKUlT_T0_E_clISt17integral_constantIbLb0EES1D_IbLb1EEEEDaS19_S1A_EUlS19_E_NS1_11comp_targetILNS1_3genE5ELNS1_11target_archE942ELNS1_3gpuE9ELNS1_3repE0EEENS1_30default_config_static_selectorELNS0_4arch9wavefront6targetE0EEEvT1_, .Lfunc_end41-_ZN7rocprim17ROCPRIM_400000_NS6detail17trampoline_kernelINS0_14default_configENS1_25partition_config_selectorILNS1_17partition_subalgoE8EbNS0_10empty_typeEbEEZZNS1_14partition_implILS5_8ELb0ES3_jN6hipcub16HIPCUB_304000_NS22TransformInputIteratorIbN2at6native8internal12_GLOBAL__N_110LoadBoolOpEPKhlEEPS6_PKS6_NS0_5tupleIJPbS6_EEENSN_IJSK_SK_EEENS0_18inequality_wrapperINSA_8EqualityEEEPlJS6_EEE10hipError_tPvRmT3_T4_T5_T6_T7_T9_mT8_P12ihipStream_tbDpT10_ENKUlT_T0_E_clISt17integral_constantIbLb0EES1D_IbLb1EEEEDaS19_S1A_EUlS19_E_NS1_11comp_targetILNS1_3genE5ELNS1_11target_archE942ELNS1_3gpuE9ELNS1_3repE0EEENS1_30default_config_static_selectorELNS0_4arch9wavefront6targetE0EEEvT1_
                                        ; -- End function
	.set _ZN7rocprim17ROCPRIM_400000_NS6detail17trampoline_kernelINS0_14default_configENS1_25partition_config_selectorILNS1_17partition_subalgoE8EbNS0_10empty_typeEbEEZZNS1_14partition_implILS5_8ELb0ES3_jN6hipcub16HIPCUB_304000_NS22TransformInputIteratorIbN2at6native8internal12_GLOBAL__N_110LoadBoolOpEPKhlEEPS6_PKS6_NS0_5tupleIJPbS6_EEENSN_IJSK_SK_EEENS0_18inequality_wrapperINSA_8EqualityEEEPlJS6_EEE10hipError_tPvRmT3_T4_T5_T6_T7_T9_mT8_P12ihipStream_tbDpT10_ENKUlT_T0_E_clISt17integral_constantIbLb0EES1D_IbLb1EEEEDaS19_S1A_EUlS19_E_NS1_11comp_targetILNS1_3genE5ELNS1_11target_archE942ELNS1_3gpuE9ELNS1_3repE0EEENS1_30default_config_static_selectorELNS0_4arch9wavefront6targetE0EEEvT1_.num_vgpr, 0
	.set _ZN7rocprim17ROCPRIM_400000_NS6detail17trampoline_kernelINS0_14default_configENS1_25partition_config_selectorILNS1_17partition_subalgoE8EbNS0_10empty_typeEbEEZZNS1_14partition_implILS5_8ELb0ES3_jN6hipcub16HIPCUB_304000_NS22TransformInputIteratorIbN2at6native8internal12_GLOBAL__N_110LoadBoolOpEPKhlEEPS6_PKS6_NS0_5tupleIJPbS6_EEENSN_IJSK_SK_EEENS0_18inequality_wrapperINSA_8EqualityEEEPlJS6_EEE10hipError_tPvRmT3_T4_T5_T6_T7_T9_mT8_P12ihipStream_tbDpT10_ENKUlT_T0_E_clISt17integral_constantIbLb0EES1D_IbLb1EEEEDaS19_S1A_EUlS19_E_NS1_11comp_targetILNS1_3genE5ELNS1_11target_archE942ELNS1_3gpuE9ELNS1_3repE0EEENS1_30default_config_static_selectorELNS0_4arch9wavefront6targetE0EEEvT1_.num_agpr, 0
	.set _ZN7rocprim17ROCPRIM_400000_NS6detail17trampoline_kernelINS0_14default_configENS1_25partition_config_selectorILNS1_17partition_subalgoE8EbNS0_10empty_typeEbEEZZNS1_14partition_implILS5_8ELb0ES3_jN6hipcub16HIPCUB_304000_NS22TransformInputIteratorIbN2at6native8internal12_GLOBAL__N_110LoadBoolOpEPKhlEEPS6_PKS6_NS0_5tupleIJPbS6_EEENSN_IJSK_SK_EEENS0_18inequality_wrapperINSA_8EqualityEEEPlJS6_EEE10hipError_tPvRmT3_T4_T5_T6_T7_T9_mT8_P12ihipStream_tbDpT10_ENKUlT_T0_E_clISt17integral_constantIbLb0EES1D_IbLb1EEEEDaS19_S1A_EUlS19_E_NS1_11comp_targetILNS1_3genE5ELNS1_11target_archE942ELNS1_3gpuE9ELNS1_3repE0EEENS1_30default_config_static_selectorELNS0_4arch9wavefront6targetE0EEEvT1_.numbered_sgpr, 0
	.set _ZN7rocprim17ROCPRIM_400000_NS6detail17trampoline_kernelINS0_14default_configENS1_25partition_config_selectorILNS1_17partition_subalgoE8EbNS0_10empty_typeEbEEZZNS1_14partition_implILS5_8ELb0ES3_jN6hipcub16HIPCUB_304000_NS22TransformInputIteratorIbN2at6native8internal12_GLOBAL__N_110LoadBoolOpEPKhlEEPS6_PKS6_NS0_5tupleIJPbS6_EEENSN_IJSK_SK_EEENS0_18inequality_wrapperINSA_8EqualityEEEPlJS6_EEE10hipError_tPvRmT3_T4_T5_T6_T7_T9_mT8_P12ihipStream_tbDpT10_ENKUlT_T0_E_clISt17integral_constantIbLb0EES1D_IbLb1EEEEDaS19_S1A_EUlS19_E_NS1_11comp_targetILNS1_3genE5ELNS1_11target_archE942ELNS1_3gpuE9ELNS1_3repE0EEENS1_30default_config_static_selectorELNS0_4arch9wavefront6targetE0EEEvT1_.num_named_barrier, 0
	.set _ZN7rocprim17ROCPRIM_400000_NS6detail17trampoline_kernelINS0_14default_configENS1_25partition_config_selectorILNS1_17partition_subalgoE8EbNS0_10empty_typeEbEEZZNS1_14partition_implILS5_8ELb0ES3_jN6hipcub16HIPCUB_304000_NS22TransformInputIteratorIbN2at6native8internal12_GLOBAL__N_110LoadBoolOpEPKhlEEPS6_PKS6_NS0_5tupleIJPbS6_EEENSN_IJSK_SK_EEENS0_18inequality_wrapperINSA_8EqualityEEEPlJS6_EEE10hipError_tPvRmT3_T4_T5_T6_T7_T9_mT8_P12ihipStream_tbDpT10_ENKUlT_T0_E_clISt17integral_constantIbLb0EES1D_IbLb1EEEEDaS19_S1A_EUlS19_E_NS1_11comp_targetILNS1_3genE5ELNS1_11target_archE942ELNS1_3gpuE9ELNS1_3repE0EEENS1_30default_config_static_selectorELNS0_4arch9wavefront6targetE0EEEvT1_.private_seg_size, 0
	.set _ZN7rocprim17ROCPRIM_400000_NS6detail17trampoline_kernelINS0_14default_configENS1_25partition_config_selectorILNS1_17partition_subalgoE8EbNS0_10empty_typeEbEEZZNS1_14partition_implILS5_8ELb0ES3_jN6hipcub16HIPCUB_304000_NS22TransformInputIteratorIbN2at6native8internal12_GLOBAL__N_110LoadBoolOpEPKhlEEPS6_PKS6_NS0_5tupleIJPbS6_EEENSN_IJSK_SK_EEENS0_18inequality_wrapperINSA_8EqualityEEEPlJS6_EEE10hipError_tPvRmT3_T4_T5_T6_T7_T9_mT8_P12ihipStream_tbDpT10_ENKUlT_T0_E_clISt17integral_constantIbLb0EES1D_IbLb1EEEEDaS19_S1A_EUlS19_E_NS1_11comp_targetILNS1_3genE5ELNS1_11target_archE942ELNS1_3gpuE9ELNS1_3repE0EEENS1_30default_config_static_selectorELNS0_4arch9wavefront6targetE0EEEvT1_.uses_vcc, 0
	.set _ZN7rocprim17ROCPRIM_400000_NS6detail17trampoline_kernelINS0_14default_configENS1_25partition_config_selectorILNS1_17partition_subalgoE8EbNS0_10empty_typeEbEEZZNS1_14partition_implILS5_8ELb0ES3_jN6hipcub16HIPCUB_304000_NS22TransformInputIteratorIbN2at6native8internal12_GLOBAL__N_110LoadBoolOpEPKhlEEPS6_PKS6_NS0_5tupleIJPbS6_EEENSN_IJSK_SK_EEENS0_18inequality_wrapperINSA_8EqualityEEEPlJS6_EEE10hipError_tPvRmT3_T4_T5_T6_T7_T9_mT8_P12ihipStream_tbDpT10_ENKUlT_T0_E_clISt17integral_constantIbLb0EES1D_IbLb1EEEEDaS19_S1A_EUlS19_E_NS1_11comp_targetILNS1_3genE5ELNS1_11target_archE942ELNS1_3gpuE9ELNS1_3repE0EEENS1_30default_config_static_selectorELNS0_4arch9wavefront6targetE0EEEvT1_.uses_flat_scratch, 0
	.set _ZN7rocprim17ROCPRIM_400000_NS6detail17trampoline_kernelINS0_14default_configENS1_25partition_config_selectorILNS1_17partition_subalgoE8EbNS0_10empty_typeEbEEZZNS1_14partition_implILS5_8ELb0ES3_jN6hipcub16HIPCUB_304000_NS22TransformInputIteratorIbN2at6native8internal12_GLOBAL__N_110LoadBoolOpEPKhlEEPS6_PKS6_NS0_5tupleIJPbS6_EEENSN_IJSK_SK_EEENS0_18inequality_wrapperINSA_8EqualityEEEPlJS6_EEE10hipError_tPvRmT3_T4_T5_T6_T7_T9_mT8_P12ihipStream_tbDpT10_ENKUlT_T0_E_clISt17integral_constantIbLb0EES1D_IbLb1EEEEDaS19_S1A_EUlS19_E_NS1_11comp_targetILNS1_3genE5ELNS1_11target_archE942ELNS1_3gpuE9ELNS1_3repE0EEENS1_30default_config_static_selectorELNS0_4arch9wavefront6targetE0EEEvT1_.has_dyn_sized_stack, 0
	.set _ZN7rocprim17ROCPRIM_400000_NS6detail17trampoline_kernelINS0_14default_configENS1_25partition_config_selectorILNS1_17partition_subalgoE8EbNS0_10empty_typeEbEEZZNS1_14partition_implILS5_8ELb0ES3_jN6hipcub16HIPCUB_304000_NS22TransformInputIteratorIbN2at6native8internal12_GLOBAL__N_110LoadBoolOpEPKhlEEPS6_PKS6_NS0_5tupleIJPbS6_EEENSN_IJSK_SK_EEENS0_18inequality_wrapperINSA_8EqualityEEEPlJS6_EEE10hipError_tPvRmT3_T4_T5_T6_T7_T9_mT8_P12ihipStream_tbDpT10_ENKUlT_T0_E_clISt17integral_constantIbLb0EES1D_IbLb1EEEEDaS19_S1A_EUlS19_E_NS1_11comp_targetILNS1_3genE5ELNS1_11target_archE942ELNS1_3gpuE9ELNS1_3repE0EEENS1_30default_config_static_selectorELNS0_4arch9wavefront6targetE0EEEvT1_.has_recursion, 0
	.set _ZN7rocprim17ROCPRIM_400000_NS6detail17trampoline_kernelINS0_14default_configENS1_25partition_config_selectorILNS1_17partition_subalgoE8EbNS0_10empty_typeEbEEZZNS1_14partition_implILS5_8ELb0ES3_jN6hipcub16HIPCUB_304000_NS22TransformInputIteratorIbN2at6native8internal12_GLOBAL__N_110LoadBoolOpEPKhlEEPS6_PKS6_NS0_5tupleIJPbS6_EEENSN_IJSK_SK_EEENS0_18inequality_wrapperINSA_8EqualityEEEPlJS6_EEE10hipError_tPvRmT3_T4_T5_T6_T7_T9_mT8_P12ihipStream_tbDpT10_ENKUlT_T0_E_clISt17integral_constantIbLb0EES1D_IbLb1EEEEDaS19_S1A_EUlS19_E_NS1_11comp_targetILNS1_3genE5ELNS1_11target_archE942ELNS1_3gpuE9ELNS1_3repE0EEENS1_30default_config_static_selectorELNS0_4arch9wavefront6targetE0EEEvT1_.has_indirect_call, 0
	.section	.AMDGPU.csdata,"",@progbits
; Kernel info:
; codeLenInByte = 0
; TotalNumSgprs: 0
; NumVgprs: 0
; ScratchSize: 0
; MemoryBound: 0
; FloatMode: 240
; IeeeMode: 1
; LDSByteSize: 0 bytes/workgroup (compile time only)
; SGPRBlocks: 0
; VGPRBlocks: 0
; NumSGPRsForWavesPerEU: 1
; NumVGPRsForWavesPerEU: 1
; NamedBarCnt: 0
; Occupancy: 16
; WaveLimiterHint : 0
; COMPUTE_PGM_RSRC2:SCRATCH_EN: 0
; COMPUTE_PGM_RSRC2:USER_SGPR: 2
; COMPUTE_PGM_RSRC2:TRAP_HANDLER: 0
; COMPUTE_PGM_RSRC2:TGID_X_EN: 1
; COMPUTE_PGM_RSRC2:TGID_Y_EN: 0
; COMPUTE_PGM_RSRC2:TGID_Z_EN: 0
; COMPUTE_PGM_RSRC2:TIDIG_COMP_CNT: 0
	.section	.text._ZN7rocprim17ROCPRIM_400000_NS6detail17trampoline_kernelINS0_14default_configENS1_25partition_config_selectorILNS1_17partition_subalgoE8EbNS0_10empty_typeEbEEZZNS1_14partition_implILS5_8ELb0ES3_jN6hipcub16HIPCUB_304000_NS22TransformInputIteratorIbN2at6native8internal12_GLOBAL__N_110LoadBoolOpEPKhlEEPS6_PKS6_NS0_5tupleIJPbS6_EEENSN_IJSK_SK_EEENS0_18inequality_wrapperINSA_8EqualityEEEPlJS6_EEE10hipError_tPvRmT3_T4_T5_T6_T7_T9_mT8_P12ihipStream_tbDpT10_ENKUlT_T0_E_clISt17integral_constantIbLb0EES1D_IbLb1EEEEDaS19_S1A_EUlS19_E_NS1_11comp_targetILNS1_3genE4ELNS1_11target_archE910ELNS1_3gpuE8ELNS1_3repE0EEENS1_30default_config_static_selectorELNS0_4arch9wavefront6targetE0EEEvT1_,"axG",@progbits,_ZN7rocprim17ROCPRIM_400000_NS6detail17trampoline_kernelINS0_14default_configENS1_25partition_config_selectorILNS1_17partition_subalgoE8EbNS0_10empty_typeEbEEZZNS1_14partition_implILS5_8ELb0ES3_jN6hipcub16HIPCUB_304000_NS22TransformInputIteratorIbN2at6native8internal12_GLOBAL__N_110LoadBoolOpEPKhlEEPS6_PKS6_NS0_5tupleIJPbS6_EEENSN_IJSK_SK_EEENS0_18inequality_wrapperINSA_8EqualityEEEPlJS6_EEE10hipError_tPvRmT3_T4_T5_T6_T7_T9_mT8_P12ihipStream_tbDpT10_ENKUlT_T0_E_clISt17integral_constantIbLb0EES1D_IbLb1EEEEDaS19_S1A_EUlS19_E_NS1_11comp_targetILNS1_3genE4ELNS1_11target_archE910ELNS1_3gpuE8ELNS1_3repE0EEENS1_30default_config_static_selectorELNS0_4arch9wavefront6targetE0EEEvT1_,comdat
	.globl	_ZN7rocprim17ROCPRIM_400000_NS6detail17trampoline_kernelINS0_14default_configENS1_25partition_config_selectorILNS1_17partition_subalgoE8EbNS0_10empty_typeEbEEZZNS1_14partition_implILS5_8ELb0ES3_jN6hipcub16HIPCUB_304000_NS22TransformInputIteratorIbN2at6native8internal12_GLOBAL__N_110LoadBoolOpEPKhlEEPS6_PKS6_NS0_5tupleIJPbS6_EEENSN_IJSK_SK_EEENS0_18inequality_wrapperINSA_8EqualityEEEPlJS6_EEE10hipError_tPvRmT3_T4_T5_T6_T7_T9_mT8_P12ihipStream_tbDpT10_ENKUlT_T0_E_clISt17integral_constantIbLb0EES1D_IbLb1EEEEDaS19_S1A_EUlS19_E_NS1_11comp_targetILNS1_3genE4ELNS1_11target_archE910ELNS1_3gpuE8ELNS1_3repE0EEENS1_30default_config_static_selectorELNS0_4arch9wavefront6targetE0EEEvT1_ ; -- Begin function _ZN7rocprim17ROCPRIM_400000_NS6detail17trampoline_kernelINS0_14default_configENS1_25partition_config_selectorILNS1_17partition_subalgoE8EbNS0_10empty_typeEbEEZZNS1_14partition_implILS5_8ELb0ES3_jN6hipcub16HIPCUB_304000_NS22TransformInputIteratorIbN2at6native8internal12_GLOBAL__N_110LoadBoolOpEPKhlEEPS6_PKS6_NS0_5tupleIJPbS6_EEENSN_IJSK_SK_EEENS0_18inequality_wrapperINSA_8EqualityEEEPlJS6_EEE10hipError_tPvRmT3_T4_T5_T6_T7_T9_mT8_P12ihipStream_tbDpT10_ENKUlT_T0_E_clISt17integral_constantIbLb0EES1D_IbLb1EEEEDaS19_S1A_EUlS19_E_NS1_11comp_targetILNS1_3genE4ELNS1_11target_archE910ELNS1_3gpuE8ELNS1_3repE0EEENS1_30default_config_static_selectorELNS0_4arch9wavefront6targetE0EEEvT1_
	.p2align	8
	.type	_ZN7rocprim17ROCPRIM_400000_NS6detail17trampoline_kernelINS0_14default_configENS1_25partition_config_selectorILNS1_17partition_subalgoE8EbNS0_10empty_typeEbEEZZNS1_14partition_implILS5_8ELb0ES3_jN6hipcub16HIPCUB_304000_NS22TransformInputIteratorIbN2at6native8internal12_GLOBAL__N_110LoadBoolOpEPKhlEEPS6_PKS6_NS0_5tupleIJPbS6_EEENSN_IJSK_SK_EEENS0_18inequality_wrapperINSA_8EqualityEEEPlJS6_EEE10hipError_tPvRmT3_T4_T5_T6_T7_T9_mT8_P12ihipStream_tbDpT10_ENKUlT_T0_E_clISt17integral_constantIbLb0EES1D_IbLb1EEEEDaS19_S1A_EUlS19_E_NS1_11comp_targetILNS1_3genE4ELNS1_11target_archE910ELNS1_3gpuE8ELNS1_3repE0EEENS1_30default_config_static_selectorELNS0_4arch9wavefront6targetE0EEEvT1_,@function
_ZN7rocprim17ROCPRIM_400000_NS6detail17trampoline_kernelINS0_14default_configENS1_25partition_config_selectorILNS1_17partition_subalgoE8EbNS0_10empty_typeEbEEZZNS1_14partition_implILS5_8ELb0ES3_jN6hipcub16HIPCUB_304000_NS22TransformInputIteratorIbN2at6native8internal12_GLOBAL__N_110LoadBoolOpEPKhlEEPS6_PKS6_NS0_5tupleIJPbS6_EEENSN_IJSK_SK_EEENS0_18inequality_wrapperINSA_8EqualityEEEPlJS6_EEE10hipError_tPvRmT3_T4_T5_T6_T7_T9_mT8_P12ihipStream_tbDpT10_ENKUlT_T0_E_clISt17integral_constantIbLb0EES1D_IbLb1EEEEDaS19_S1A_EUlS19_E_NS1_11comp_targetILNS1_3genE4ELNS1_11target_archE910ELNS1_3gpuE8ELNS1_3repE0EEENS1_30default_config_static_selectorELNS0_4arch9wavefront6targetE0EEEvT1_: ; @_ZN7rocprim17ROCPRIM_400000_NS6detail17trampoline_kernelINS0_14default_configENS1_25partition_config_selectorILNS1_17partition_subalgoE8EbNS0_10empty_typeEbEEZZNS1_14partition_implILS5_8ELb0ES3_jN6hipcub16HIPCUB_304000_NS22TransformInputIteratorIbN2at6native8internal12_GLOBAL__N_110LoadBoolOpEPKhlEEPS6_PKS6_NS0_5tupleIJPbS6_EEENSN_IJSK_SK_EEENS0_18inequality_wrapperINSA_8EqualityEEEPlJS6_EEE10hipError_tPvRmT3_T4_T5_T6_T7_T9_mT8_P12ihipStream_tbDpT10_ENKUlT_T0_E_clISt17integral_constantIbLb0EES1D_IbLb1EEEEDaS19_S1A_EUlS19_E_NS1_11comp_targetILNS1_3genE4ELNS1_11target_archE910ELNS1_3gpuE8ELNS1_3repE0EEENS1_30default_config_static_selectorELNS0_4arch9wavefront6targetE0EEEvT1_
; %bb.0:
	.section	.rodata,"a",@progbits
	.p2align	6, 0x0
	.amdhsa_kernel _ZN7rocprim17ROCPRIM_400000_NS6detail17trampoline_kernelINS0_14default_configENS1_25partition_config_selectorILNS1_17partition_subalgoE8EbNS0_10empty_typeEbEEZZNS1_14partition_implILS5_8ELb0ES3_jN6hipcub16HIPCUB_304000_NS22TransformInputIteratorIbN2at6native8internal12_GLOBAL__N_110LoadBoolOpEPKhlEEPS6_PKS6_NS0_5tupleIJPbS6_EEENSN_IJSK_SK_EEENS0_18inequality_wrapperINSA_8EqualityEEEPlJS6_EEE10hipError_tPvRmT3_T4_T5_T6_T7_T9_mT8_P12ihipStream_tbDpT10_ENKUlT_T0_E_clISt17integral_constantIbLb0EES1D_IbLb1EEEEDaS19_S1A_EUlS19_E_NS1_11comp_targetILNS1_3genE4ELNS1_11target_archE910ELNS1_3gpuE8ELNS1_3repE0EEENS1_30default_config_static_selectorELNS0_4arch9wavefront6targetE0EEEvT1_
		.amdhsa_group_segment_fixed_size 0
		.amdhsa_private_segment_fixed_size 0
		.amdhsa_kernarg_size 136
		.amdhsa_user_sgpr_count 2
		.amdhsa_user_sgpr_dispatch_ptr 0
		.amdhsa_user_sgpr_queue_ptr 0
		.amdhsa_user_sgpr_kernarg_segment_ptr 1
		.amdhsa_user_sgpr_dispatch_id 0
		.amdhsa_user_sgpr_kernarg_preload_length 0
		.amdhsa_user_sgpr_kernarg_preload_offset 0
		.amdhsa_user_sgpr_private_segment_size 0
		.amdhsa_wavefront_size32 1
		.amdhsa_uses_dynamic_stack 0
		.amdhsa_enable_private_segment 0
		.amdhsa_system_sgpr_workgroup_id_x 1
		.amdhsa_system_sgpr_workgroup_id_y 0
		.amdhsa_system_sgpr_workgroup_id_z 0
		.amdhsa_system_sgpr_workgroup_info 0
		.amdhsa_system_vgpr_workitem_id 0
		.amdhsa_next_free_vgpr 1
		.amdhsa_next_free_sgpr 1
		.amdhsa_named_barrier_count 0
		.amdhsa_reserve_vcc 0
		.amdhsa_float_round_mode_32 0
		.amdhsa_float_round_mode_16_64 0
		.amdhsa_float_denorm_mode_32 3
		.amdhsa_float_denorm_mode_16_64 3
		.amdhsa_fp16_overflow 0
		.amdhsa_memory_ordered 1
		.amdhsa_forward_progress 1
		.amdhsa_inst_pref_size 0
		.amdhsa_round_robin_scheduling 0
		.amdhsa_exception_fp_ieee_invalid_op 0
		.amdhsa_exception_fp_denorm_src 0
		.amdhsa_exception_fp_ieee_div_zero 0
		.amdhsa_exception_fp_ieee_overflow 0
		.amdhsa_exception_fp_ieee_underflow 0
		.amdhsa_exception_fp_ieee_inexact 0
		.amdhsa_exception_int_div_zero 0
	.end_amdhsa_kernel
	.section	.text._ZN7rocprim17ROCPRIM_400000_NS6detail17trampoline_kernelINS0_14default_configENS1_25partition_config_selectorILNS1_17partition_subalgoE8EbNS0_10empty_typeEbEEZZNS1_14partition_implILS5_8ELb0ES3_jN6hipcub16HIPCUB_304000_NS22TransformInputIteratorIbN2at6native8internal12_GLOBAL__N_110LoadBoolOpEPKhlEEPS6_PKS6_NS0_5tupleIJPbS6_EEENSN_IJSK_SK_EEENS0_18inequality_wrapperINSA_8EqualityEEEPlJS6_EEE10hipError_tPvRmT3_T4_T5_T6_T7_T9_mT8_P12ihipStream_tbDpT10_ENKUlT_T0_E_clISt17integral_constantIbLb0EES1D_IbLb1EEEEDaS19_S1A_EUlS19_E_NS1_11comp_targetILNS1_3genE4ELNS1_11target_archE910ELNS1_3gpuE8ELNS1_3repE0EEENS1_30default_config_static_selectorELNS0_4arch9wavefront6targetE0EEEvT1_,"axG",@progbits,_ZN7rocprim17ROCPRIM_400000_NS6detail17trampoline_kernelINS0_14default_configENS1_25partition_config_selectorILNS1_17partition_subalgoE8EbNS0_10empty_typeEbEEZZNS1_14partition_implILS5_8ELb0ES3_jN6hipcub16HIPCUB_304000_NS22TransformInputIteratorIbN2at6native8internal12_GLOBAL__N_110LoadBoolOpEPKhlEEPS6_PKS6_NS0_5tupleIJPbS6_EEENSN_IJSK_SK_EEENS0_18inequality_wrapperINSA_8EqualityEEEPlJS6_EEE10hipError_tPvRmT3_T4_T5_T6_T7_T9_mT8_P12ihipStream_tbDpT10_ENKUlT_T0_E_clISt17integral_constantIbLb0EES1D_IbLb1EEEEDaS19_S1A_EUlS19_E_NS1_11comp_targetILNS1_3genE4ELNS1_11target_archE910ELNS1_3gpuE8ELNS1_3repE0EEENS1_30default_config_static_selectorELNS0_4arch9wavefront6targetE0EEEvT1_,comdat
.Lfunc_end42:
	.size	_ZN7rocprim17ROCPRIM_400000_NS6detail17trampoline_kernelINS0_14default_configENS1_25partition_config_selectorILNS1_17partition_subalgoE8EbNS0_10empty_typeEbEEZZNS1_14partition_implILS5_8ELb0ES3_jN6hipcub16HIPCUB_304000_NS22TransformInputIteratorIbN2at6native8internal12_GLOBAL__N_110LoadBoolOpEPKhlEEPS6_PKS6_NS0_5tupleIJPbS6_EEENSN_IJSK_SK_EEENS0_18inequality_wrapperINSA_8EqualityEEEPlJS6_EEE10hipError_tPvRmT3_T4_T5_T6_T7_T9_mT8_P12ihipStream_tbDpT10_ENKUlT_T0_E_clISt17integral_constantIbLb0EES1D_IbLb1EEEEDaS19_S1A_EUlS19_E_NS1_11comp_targetILNS1_3genE4ELNS1_11target_archE910ELNS1_3gpuE8ELNS1_3repE0EEENS1_30default_config_static_selectorELNS0_4arch9wavefront6targetE0EEEvT1_, .Lfunc_end42-_ZN7rocprim17ROCPRIM_400000_NS6detail17trampoline_kernelINS0_14default_configENS1_25partition_config_selectorILNS1_17partition_subalgoE8EbNS0_10empty_typeEbEEZZNS1_14partition_implILS5_8ELb0ES3_jN6hipcub16HIPCUB_304000_NS22TransformInputIteratorIbN2at6native8internal12_GLOBAL__N_110LoadBoolOpEPKhlEEPS6_PKS6_NS0_5tupleIJPbS6_EEENSN_IJSK_SK_EEENS0_18inequality_wrapperINSA_8EqualityEEEPlJS6_EEE10hipError_tPvRmT3_T4_T5_T6_T7_T9_mT8_P12ihipStream_tbDpT10_ENKUlT_T0_E_clISt17integral_constantIbLb0EES1D_IbLb1EEEEDaS19_S1A_EUlS19_E_NS1_11comp_targetILNS1_3genE4ELNS1_11target_archE910ELNS1_3gpuE8ELNS1_3repE0EEENS1_30default_config_static_selectorELNS0_4arch9wavefront6targetE0EEEvT1_
                                        ; -- End function
	.set _ZN7rocprim17ROCPRIM_400000_NS6detail17trampoline_kernelINS0_14default_configENS1_25partition_config_selectorILNS1_17partition_subalgoE8EbNS0_10empty_typeEbEEZZNS1_14partition_implILS5_8ELb0ES3_jN6hipcub16HIPCUB_304000_NS22TransformInputIteratorIbN2at6native8internal12_GLOBAL__N_110LoadBoolOpEPKhlEEPS6_PKS6_NS0_5tupleIJPbS6_EEENSN_IJSK_SK_EEENS0_18inequality_wrapperINSA_8EqualityEEEPlJS6_EEE10hipError_tPvRmT3_T4_T5_T6_T7_T9_mT8_P12ihipStream_tbDpT10_ENKUlT_T0_E_clISt17integral_constantIbLb0EES1D_IbLb1EEEEDaS19_S1A_EUlS19_E_NS1_11comp_targetILNS1_3genE4ELNS1_11target_archE910ELNS1_3gpuE8ELNS1_3repE0EEENS1_30default_config_static_selectorELNS0_4arch9wavefront6targetE0EEEvT1_.num_vgpr, 0
	.set _ZN7rocprim17ROCPRIM_400000_NS6detail17trampoline_kernelINS0_14default_configENS1_25partition_config_selectorILNS1_17partition_subalgoE8EbNS0_10empty_typeEbEEZZNS1_14partition_implILS5_8ELb0ES3_jN6hipcub16HIPCUB_304000_NS22TransformInputIteratorIbN2at6native8internal12_GLOBAL__N_110LoadBoolOpEPKhlEEPS6_PKS6_NS0_5tupleIJPbS6_EEENSN_IJSK_SK_EEENS0_18inequality_wrapperINSA_8EqualityEEEPlJS6_EEE10hipError_tPvRmT3_T4_T5_T6_T7_T9_mT8_P12ihipStream_tbDpT10_ENKUlT_T0_E_clISt17integral_constantIbLb0EES1D_IbLb1EEEEDaS19_S1A_EUlS19_E_NS1_11comp_targetILNS1_3genE4ELNS1_11target_archE910ELNS1_3gpuE8ELNS1_3repE0EEENS1_30default_config_static_selectorELNS0_4arch9wavefront6targetE0EEEvT1_.num_agpr, 0
	.set _ZN7rocprim17ROCPRIM_400000_NS6detail17trampoline_kernelINS0_14default_configENS1_25partition_config_selectorILNS1_17partition_subalgoE8EbNS0_10empty_typeEbEEZZNS1_14partition_implILS5_8ELb0ES3_jN6hipcub16HIPCUB_304000_NS22TransformInputIteratorIbN2at6native8internal12_GLOBAL__N_110LoadBoolOpEPKhlEEPS6_PKS6_NS0_5tupleIJPbS6_EEENSN_IJSK_SK_EEENS0_18inequality_wrapperINSA_8EqualityEEEPlJS6_EEE10hipError_tPvRmT3_T4_T5_T6_T7_T9_mT8_P12ihipStream_tbDpT10_ENKUlT_T0_E_clISt17integral_constantIbLb0EES1D_IbLb1EEEEDaS19_S1A_EUlS19_E_NS1_11comp_targetILNS1_3genE4ELNS1_11target_archE910ELNS1_3gpuE8ELNS1_3repE0EEENS1_30default_config_static_selectorELNS0_4arch9wavefront6targetE0EEEvT1_.numbered_sgpr, 0
	.set _ZN7rocprim17ROCPRIM_400000_NS6detail17trampoline_kernelINS0_14default_configENS1_25partition_config_selectorILNS1_17partition_subalgoE8EbNS0_10empty_typeEbEEZZNS1_14partition_implILS5_8ELb0ES3_jN6hipcub16HIPCUB_304000_NS22TransformInputIteratorIbN2at6native8internal12_GLOBAL__N_110LoadBoolOpEPKhlEEPS6_PKS6_NS0_5tupleIJPbS6_EEENSN_IJSK_SK_EEENS0_18inequality_wrapperINSA_8EqualityEEEPlJS6_EEE10hipError_tPvRmT3_T4_T5_T6_T7_T9_mT8_P12ihipStream_tbDpT10_ENKUlT_T0_E_clISt17integral_constantIbLb0EES1D_IbLb1EEEEDaS19_S1A_EUlS19_E_NS1_11comp_targetILNS1_3genE4ELNS1_11target_archE910ELNS1_3gpuE8ELNS1_3repE0EEENS1_30default_config_static_selectorELNS0_4arch9wavefront6targetE0EEEvT1_.num_named_barrier, 0
	.set _ZN7rocprim17ROCPRIM_400000_NS6detail17trampoline_kernelINS0_14default_configENS1_25partition_config_selectorILNS1_17partition_subalgoE8EbNS0_10empty_typeEbEEZZNS1_14partition_implILS5_8ELb0ES3_jN6hipcub16HIPCUB_304000_NS22TransformInputIteratorIbN2at6native8internal12_GLOBAL__N_110LoadBoolOpEPKhlEEPS6_PKS6_NS0_5tupleIJPbS6_EEENSN_IJSK_SK_EEENS0_18inequality_wrapperINSA_8EqualityEEEPlJS6_EEE10hipError_tPvRmT3_T4_T5_T6_T7_T9_mT8_P12ihipStream_tbDpT10_ENKUlT_T0_E_clISt17integral_constantIbLb0EES1D_IbLb1EEEEDaS19_S1A_EUlS19_E_NS1_11comp_targetILNS1_3genE4ELNS1_11target_archE910ELNS1_3gpuE8ELNS1_3repE0EEENS1_30default_config_static_selectorELNS0_4arch9wavefront6targetE0EEEvT1_.private_seg_size, 0
	.set _ZN7rocprim17ROCPRIM_400000_NS6detail17trampoline_kernelINS0_14default_configENS1_25partition_config_selectorILNS1_17partition_subalgoE8EbNS0_10empty_typeEbEEZZNS1_14partition_implILS5_8ELb0ES3_jN6hipcub16HIPCUB_304000_NS22TransformInputIteratorIbN2at6native8internal12_GLOBAL__N_110LoadBoolOpEPKhlEEPS6_PKS6_NS0_5tupleIJPbS6_EEENSN_IJSK_SK_EEENS0_18inequality_wrapperINSA_8EqualityEEEPlJS6_EEE10hipError_tPvRmT3_T4_T5_T6_T7_T9_mT8_P12ihipStream_tbDpT10_ENKUlT_T0_E_clISt17integral_constantIbLb0EES1D_IbLb1EEEEDaS19_S1A_EUlS19_E_NS1_11comp_targetILNS1_3genE4ELNS1_11target_archE910ELNS1_3gpuE8ELNS1_3repE0EEENS1_30default_config_static_selectorELNS0_4arch9wavefront6targetE0EEEvT1_.uses_vcc, 0
	.set _ZN7rocprim17ROCPRIM_400000_NS6detail17trampoline_kernelINS0_14default_configENS1_25partition_config_selectorILNS1_17partition_subalgoE8EbNS0_10empty_typeEbEEZZNS1_14partition_implILS5_8ELb0ES3_jN6hipcub16HIPCUB_304000_NS22TransformInputIteratorIbN2at6native8internal12_GLOBAL__N_110LoadBoolOpEPKhlEEPS6_PKS6_NS0_5tupleIJPbS6_EEENSN_IJSK_SK_EEENS0_18inequality_wrapperINSA_8EqualityEEEPlJS6_EEE10hipError_tPvRmT3_T4_T5_T6_T7_T9_mT8_P12ihipStream_tbDpT10_ENKUlT_T0_E_clISt17integral_constantIbLb0EES1D_IbLb1EEEEDaS19_S1A_EUlS19_E_NS1_11comp_targetILNS1_3genE4ELNS1_11target_archE910ELNS1_3gpuE8ELNS1_3repE0EEENS1_30default_config_static_selectorELNS0_4arch9wavefront6targetE0EEEvT1_.uses_flat_scratch, 0
	.set _ZN7rocprim17ROCPRIM_400000_NS6detail17trampoline_kernelINS0_14default_configENS1_25partition_config_selectorILNS1_17partition_subalgoE8EbNS0_10empty_typeEbEEZZNS1_14partition_implILS5_8ELb0ES3_jN6hipcub16HIPCUB_304000_NS22TransformInputIteratorIbN2at6native8internal12_GLOBAL__N_110LoadBoolOpEPKhlEEPS6_PKS6_NS0_5tupleIJPbS6_EEENSN_IJSK_SK_EEENS0_18inequality_wrapperINSA_8EqualityEEEPlJS6_EEE10hipError_tPvRmT3_T4_T5_T6_T7_T9_mT8_P12ihipStream_tbDpT10_ENKUlT_T0_E_clISt17integral_constantIbLb0EES1D_IbLb1EEEEDaS19_S1A_EUlS19_E_NS1_11comp_targetILNS1_3genE4ELNS1_11target_archE910ELNS1_3gpuE8ELNS1_3repE0EEENS1_30default_config_static_selectorELNS0_4arch9wavefront6targetE0EEEvT1_.has_dyn_sized_stack, 0
	.set _ZN7rocprim17ROCPRIM_400000_NS6detail17trampoline_kernelINS0_14default_configENS1_25partition_config_selectorILNS1_17partition_subalgoE8EbNS0_10empty_typeEbEEZZNS1_14partition_implILS5_8ELb0ES3_jN6hipcub16HIPCUB_304000_NS22TransformInputIteratorIbN2at6native8internal12_GLOBAL__N_110LoadBoolOpEPKhlEEPS6_PKS6_NS0_5tupleIJPbS6_EEENSN_IJSK_SK_EEENS0_18inequality_wrapperINSA_8EqualityEEEPlJS6_EEE10hipError_tPvRmT3_T4_T5_T6_T7_T9_mT8_P12ihipStream_tbDpT10_ENKUlT_T0_E_clISt17integral_constantIbLb0EES1D_IbLb1EEEEDaS19_S1A_EUlS19_E_NS1_11comp_targetILNS1_3genE4ELNS1_11target_archE910ELNS1_3gpuE8ELNS1_3repE0EEENS1_30default_config_static_selectorELNS0_4arch9wavefront6targetE0EEEvT1_.has_recursion, 0
	.set _ZN7rocprim17ROCPRIM_400000_NS6detail17trampoline_kernelINS0_14default_configENS1_25partition_config_selectorILNS1_17partition_subalgoE8EbNS0_10empty_typeEbEEZZNS1_14partition_implILS5_8ELb0ES3_jN6hipcub16HIPCUB_304000_NS22TransformInputIteratorIbN2at6native8internal12_GLOBAL__N_110LoadBoolOpEPKhlEEPS6_PKS6_NS0_5tupleIJPbS6_EEENSN_IJSK_SK_EEENS0_18inequality_wrapperINSA_8EqualityEEEPlJS6_EEE10hipError_tPvRmT3_T4_T5_T6_T7_T9_mT8_P12ihipStream_tbDpT10_ENKUlT_T0_E_clISt17integral_constantIbLb0EES1D_IbLb1EEEEDaS19_S1A_EUlS19_E_NS1_11comp_targetILNS1_3genE4ELNS1_11target_archE910ELNS1_3gpuE8ELNS1_3repE0EEENS1_30default_config_static_selectorELNS0_4arch9wavefront6targetE0EEEvT1_.has_indirect_call, 0
	.section	.AMDGPU.csdata,"",@progbits
; Kernel info:
; codeLenInByte = 0
; TotalNumSgprs: 0
; NumVgprs: 0
; ScratchSize: 0
; MemoryBound: 0
; FloatMode: 240
; IeeeMode: 1
; LDSByteSize: 0 bytes/workgroup (compile time only)
; SGPRBlocks: 0
; VGPRBlocks: 0
; NumSGPRsForWavesPerEU: 1
; NumVGPRsForWavesPerEU: 1
; NamedBarCnt: 0
; Occupancy: 16
; WaveLimiterHint : 0
; COMPUTE_PGM_RSRC2:SCRATCH_EN: 0
; COMPUTE_PGM_RSRC2:USER_SGPR: 2
; COMPUTE_PGM_RSRC2:TRAP_HANDLER: 0
; COMPUTE_PGM_RSRC2:TGID_X_EN: 1
; COMPUTE_PGM_RSRC2:TGID_Y_EN: 0
; COMPUTE_PGM_RSRC2:TGID_Z_EN: 0
; COMPUTE_PGM_RSRC2:TIDIG_COMP_CNT: 0
	.section	.text._ZN7rocprim17ROCPRIM_400000_NS6detail17trampoline_kernelINS0_14default_configENS1_25partition_config_selectorILNS1_17partition_subalgoE8EbNS0_10empty_typeEbEEZZNS1_14partition_implILS5_8ELb0ES3_jN6hipcub16HIPCUB_304000_NS22TransformInputIteratorIbN2at6native8internal12_GLOBAL__N_110LoadBoolOpEPKhlEEPS6_PKS6_NS0_5tupleIJPbS6_EEENSN_IJSK_SK_EEENS0_18inequality_wrapperINSA_8EqualityEEEPlJS6_EEE10hipError_tPvRmT3_T4_T5_T6_T7_T9_mT8_P12ihipStream_tbDpT10_ENKUlT_T0_E_clISt17integral_constantIbLb0EES1D_IbLb1EEEEDaS19_S1A_EUlS19_E_NS1_11comp_targetILNS1_3genE3ELNS1_11target_archE908ELNS1_3gpuE7ELNS1_3repE0EEENS1_30default_config_static_selectorELNS0_4arch9wavefront6targetE0EEEvT1_,"axG",@progbits,_ZN7rocprim17ROCPRIM_400000_NS6detail17trampoline_kernelINS0_14default_configENS1_25partition_config_selectorILNS1_17partition_subalgoE8EbNS0_10empty_typeEbEEZZNS1_14partition_implILS5_8ELb0ES3_jN6hipcub16HIPCUB_304000_NS22TransformInputIteratorIbN2at6native8internal12_GLOBAL__N_110LoadBoolOpEPKhlEEPS6_PKS6_NS0_5tupleIJPbS6_EEENSN_IJSK_SK_EEENS0_18inequality_wrapperINSA_8EqualityEEEPlJS6_EEE10hipError_tPvRmT3_T4_T5_T6_T7_T9_mT8_P12ihipStream_tbDpT10_ENKUlT_T0_E_clISt17integral_constantIbLb0EES1D_IbLb1EEEEDaS19_S1A_EUlS19_E_NS1_11comp_targetILNS1_3genE3ELNS1_11target_archE908ELNS1_3gpuE7ELNS1_3repE0EEENS1_30default_config_static_selectorELNS0_4arch9wavefront6targetE0EEEvT1_,comdat
	.globl	_ZN7rocprim17ROCPRIM_400000_NS6detail17trampoline_kernelINS0_14default_configENS1_25partition_config_selectorILNS1_17partition_subalgoE8EbNS0_10empty_typeEbEEZZNS1_14partition_implILS5_8ELb0ES3_jN6hipcub16HIPCUB_304000_NS22TransformInputIteratorIbN2at6native8internal12_GLOBAL__N_110LoadBoolOpEPKhlEEPS6_PKS6_NS0_5tupleIJPbS6_EEENSN_IJSK_SK_EEENS0_18inequality_wrapperINSA_8EqualityEEEPlJS6_EEE10hipError_tPvRmT3_T4_T5_T6_T7_T9_mT8_P12ihipStream_tbDpT10_ENKUlT_T0_E_clISt17integral_constantIbLb0EES1D_IbLb1EEEEDaS19_S1A_EUlS19_E_NS1_11comp_targetILNS1_3genE3ELNS1_11target_archE908ELNS1_3gpuE7ELNS1_3repE0EEENS1_30default_config_static_selectorELNS0_4arch9wavefront6targetE0EEEvT1_ ; -- Begin function _ZN7rocprim17ROCPRIM_400000_NS6detail17trampoline_kernelINS0_14default_configENS1_25partition_config_selectorILNS1_17partition_subalgoE8EbNS0_10empty_typeEbEEZZNS1_14partition_implILS5_8ELb0ES3_jN6hipcub16HIPCUB_304000_NS22TransformInputIteratorIbN2at6native8internal12_GLOBAL__N_110LoadBoolOpEPKhlEEPS6_PKS6_NS0_5tupleIJPbS6_EEENSN_IJSK_SK_EEENS0_18inequality_wrapperINSA_8EqualityEEEPlJS6_EEE10hipError_tPvRmT3_T4_T5_T6_T7_T9_mT8_P12ihipStream_tbDpT10_ENKUlT_T0_E_clISt17integral_constantIbLb0EES1D_IbLb1EEEEDaS19_S1A_EUlS19_E_NS1_11comp_targetILNS1_3genE3ELNS1_11target_archE908ELNS1_3gpuE7ELNS1_3repE0EEENS1_30default_config_static_selectorELNS0_4arch9wavefront6targetE0EEEvT1_
	.p2align	8
	.type	_ZN7rocprim17ROCPRIM_400000_NS6detail17trampoline_kernelINS0_14default_configENS1_25partition_config_selectorILNS1_17partition_subalgoE8EbNS0_10empty_typeEbEEZZNS1_14partition_implILS5_8ELb0ES3_jN6hipcub16HIPCUB_304000_NS22TransformInputIteratorIbN2at6native8internal12_GLOBAL__N_110LoadBoolOpEPKhlEEPS6_PKS6_NS0_5tupleIJPbS6_EEENSN_IJSK_SK_EEENS0_18inequality_wrapperINSA_8EqualityEEEPlJS6_EEE10hipError_tPvRmT3_T4_T5_T6_T7_T9_mT8_P12ihipStream_tbDpT10_ENKUlT_T0_E_clISt17integral_constantIbLb0EES1D_IbLb1EEEEDaS19_S1A_EUlS19_E_NS1_11comp_targetILNS1_3genE3ELNS1_11target_archE908ELNS1_3gpuE7ELNS1_3repE0EEENS1_30default_config_static_selectorELNS0_4arch9wavefront6targetE0EEEvT1_,@function
_ZN7rocprim17ROCPRIM_400000_NS6detail17trampoline_kernelINS0_14default_configENS1_25partition_config_selectorILNS1_17partition_subalgoE8EbNS0_10empty_typeEbEEZZNS1_14partition_implILS5_8ELb0ES3_jN6hipcub16HIPCUB_304000_NS22TransformInputIteratorIbN2at6native8internal12_GLOBAL__N_110LoadBoolOpEPKhlEEPS6_PKS6_NS0_5tupleIJPbS6_EEENSN_IJSK_SK_EEENS0_18inequality_wrapperINSA_8EqualityEEEPlJS6_EEE10hipError_tPvRmT3_T4_T5_T6_T7_T9_mT8_P12ihipStream_tbDpT10_ENKUlT_T0_E_clISt17integral_constantIbLb0EES1D_IbLb1EEEEDaS19_S1A_EUlS19_E_NS1_11comp_targetILNS1_3genE3ELNS1_11target_archE908ELNS1_3gpuE7ELNS1_3repE0EEENS1_30default_config_static_selectorELNS0_4arch9wavefront6targetE0EEEvT1_: ; @_ZN7rocprim17ROCPRIM_400000_NS6detail17trampoline_kernelINS0_14default_configENS1_25partition_config_selectorILNS1_17partition_subalgoE8EbNS0_10empty_typeEbEEZZNS1_14partition_implILS5_8ELb0ES3_jN6hipcub16HIPCUB_304000_NS22TransformInputIteratorIbN2at6native8internal12_GLOBAL__N_110LoadBoolOpEPKhlEEPS6_PKS6_NS0_5tupleIJPbS6_EEENSN_IJSK_SK_EEENS0_18inequality_wrapperINSA_8EqualityEEEPlJS6_EEE10hipError_tPvRmT3_T4_T5_T6_T7_T9_mT8_P12ihipStream_tbDpT10_ENKUlT_T0_E_clISt17integral_constantIbLb0EES1D_IbLb1EEEEDaS19_S1A_EUlS19_E_NS1_11comp_targetILNS1_3genE3ELNS1_11target_archE908ELNS1_3gpuE7ELNS1_3repE0EEENS1_30default_config_static_selectorELNS0_4arch9wavefront6targetE0EEEvT1_
; %bb.0:
	.section	.rodata,"a",@progbits
	.p2align	6, 0x0
	.amdhsa_kernel _ZN7rocprim17ROCPRIM_400000_NS6detail17trampoline_kernelINS0_14default_configENS1_25partition_config_selectorILNS1_17partition_subalgoE8EbNS0_10empty_typeEbEEZZNS1_14partition_implILS5_8ELb0ES3_jN6hipcub16HIPCUB_304000_NS22TransformInputIteratorIbN2at6native8internal12_GLOBAL__N_110LoadBoolOpEPKhlEEPS6_PKS6_NS0_5tupleIJPbS6_EEENSN_IJSK_SK_EEENS0_18inequality_wrapperINSA_8EqualityEEEPlJS6_EEE10hipError_tPvRmT3_T4_T5_T6_T7_T9_mT8_P12ihipStream_tbDpT10_ENKUlT_T0_E_clISt17integral_constantIbLb0EES1D_IbLb1EEEEDaS19_S1A_EUlS19_E_NS1_11comp_targetILNS1_3genE3ELNS1_11target_archE908ELNS1_3gpuE7ELNS1_3repE0EEENS1_30default_config_static_selectorELNS0_4arch9wavefront6targetE0EEEvT1_
		.amdhsa_group_segment_fixed_size 0
		.amdhsa_private_segment_fixed_size 0
		.amdhsa_kernarg_size 136
		.amdhsa_user_sgpr_count 2
		.amdhsa_user_sgpr_dispatch_ptr 0
		.amdhsa_user_sgpr_queue_ptr 0
		.amdhsa_user_sgpr_kernarg_segment_ptr 1
		.amdhsa_user_sgpr_dispatch_id 0
		.amdhsa_user_sgpr_kernarg_preload_length 0
		.amdhsa_user_sgpr_kernarg_preload_offset 0
		.amdhsa_user_sgpr_private_segment_size 0
		.amdhsa_wavefront_size32 1
		.amdhsa_uses_dynamic_stack 0
		.amdhsa_enable_private_segment 0
		.amdhsa_system_sgpr_workgroup_id_x 1
		.amdhsa_system_sgpr_workgroup_id_y 0
		.amdhsa_system_sgpr_workgroup_id_z 0
		.amdhsa_system_sgpr_workgroup_info 0
		.amdhsa_system_vgpr_workitem_id 0
		.amdhsa_next_free_vgpr 1
		.amdhsa_next_free_sgpr 1
		.amdhsa_named_barrier_count 0
		.amdhsa_reserve_vcc 0
		.amdhsa_float_round_mode_32 0
		.amdhsa_float_round_mode_16_64 0
		.amdhsa_float_denorm_mode_32 3
		.amdhsa_float_denorm_mode_16_64 3
		.amdhsa_fp16_overflow 0
		.amdhsa_memory_ordered 1
		.amdhsa_forward_progress 1
		.amdhsa_inst_pref_size 0
		.amdhsa_round_robin_scheduling 0
		.amdhsa_exception_fp_ieee_invalid_op 0
		.amdhsa_exception_fp_denorm_src 0
		.amdhsa_exception_fp_ieee_div_zero 0
		.amdhsa_exception_fp_ieee_overflow 0
		.amdhsa_exception_fp_ieee_underflow 0
		.amdhsa_exception_fp_ieee_inexact 0
		.amdhsa_exception_int_div_zero 0
	.end_amdhsa_kernel
	.section	.text._ZN7rocprim17ROCPRIM_400000_NS6detail17trampoline_kernelINS0_14default_configENS1_25partition_config_selectorILNS1_17partition_subalgoE8EbNS0_10empty_typeEbEEZZNS1_14partition_implILS5_8ELb0ES3_jN6hipcub16HIPCUB_304000_NS22TransformInputIteratorIbN2at6native8internal12_GLOBAL__N_110LoadBoolOpEPKhlEEPS6_PKS6_NS0_5tupleIJPbS6_EEENSN_IJSK_SK_EEENS0_18inequality_wrapperINSA_8EqualityEEEPlJS6_EEE10hipError_tPvRmT3_T4_T5_T6_T7_T9_mT8_P12ihipStream_tbDpT10_ENKUlT_T0_E_clISt17integral_constantIbLb0EES1D_IbLb1EEEEDaS19_S1A_EUlS19_E_NS1_11comp_targetILNS1_3genE3ELNS1_11target_archE908ELNS1_3gpuE7ELNS1_3repE0EEENS1_30default_config_static_selectorELNS0_4arch9wavefront6targetE0EEEvT1_,"axG",@progbits,_ZN7rocprim17ROCPRIM_400000_NS6detail17trampoline_kernelINS0_14default_configENS1_25partition_config_selectorILNS1_17partition_subalgoE8EbNS0_10empty_typeEbEEZZNS1_14partition_implILS5_8ELb0ES3_jN6hipcub16HIPCUB_304000_NS22TransformInputIteratorIbN2at6native8internal12_GLOBAL__N_110LoadBoolOpEPKhlEEPS6_PKS6_NS0_5tupleIJPbS6_EEENSN_IJSK_SK_EEENS0_18inequality_wrapperINSA_8EqualityEEEPlJS6_EEE10hipError_tPvRmT3_T4_T5_T6_T7_T9_mT8_P12ihipStream_tbDpT10_ENKUlT_T0_E_clISt17integral_constantIbLb0EES1D_IbLb1EEEEDaS19_S1A_EUlS19_E_NS1_11comp_targetILNS1_3genE3ELNS1_11target_archE908ELNS1_3gpuE7ELNS1_3repE0EEENS1_30default_config_static_selectorELNS0_4arch9wavefront6targetE0EEEvT1_,comdat
.Lfunc_end43:
	.size	_ZN7rocprim17ROCPRIM_400000_NS6detail17trampoline_kernelINS0_14default_configENS1_25partition_config_selectorILNS1_17partition_subalgoE8EbNS0_10empty_typeEbEEZZNS1_14partition_implILS5_8ELb0ES3_jN6hipcub16HIPCUB_304000_NS22TransformInputIteratorIbN2at6native8internal12_GLOBAL__N_110LoadBoolOpEPKhlEEPS6_PKS6_NS0_5tupleIJPbS6_EEENSN_IJSK_SK_EEENS0_18inequality_wrapperINSA_8EqualityEEEPlJS6_EEE10hipError_tPvRmT3_T4_T5_T6_T7_T9_mT8_P12ihipStream_tbDpT10_ENKUlT_T0_E_clISt17integral_constantIbLb0EES1D_IbLb1EEEEDaS19_S1A_EUlS19_E_NS1_11comp_targetILNS1_3genE3ELNS1_11target_archE908ELNS1_3gpuE7ELNS1_3repE0EEENS1_30default_config_static_selectorELNS0_4arch9wavefront6targetE0EEEvT1_, .Lfunc_end43-_ZN7rocprim17ROCPRIM_400000_NS6detail17trampoline_kernelINS0_14default_configENS1_25partition_config_selectorILNS1_17partition_subalgoE8EbNS0_10empty_typeEbEEZZNS1_14partition_implILS5_8ELb0ES3_jN6hipcub16HIPCUB_304000_NS22TransformInputIteratorIbN2at6native8internal12_GLOBAL__N_110LoadBoolOpEPKhlEEPS6_PKS6_NS0_5tupleIJPbS6_EEENSN_IJSK_SK_EEENS0_18inequality_wrapperINSA_8EqualityEEEPlJS6_EEE10hipError_tPvRmT3_T4_T5_T6_T7_T9_mT8_P12ihipStream_tbDpT10_ENKUlT_T0_E_clISt17integral_constantIbLb0EES1D_IbLb1EEEEDaS19_S1A_EUlS19_E_NS1_11comp_targetILNS1_3genE3ELNS1_11target_archE908ELNS1_3gpuE7ELNS1_3repE0EEENS1_30default_config_static_selectorELNS0_4arch9wavefront6targetE0EEEvT1_
                                        ; -- End function
	.set _ZN7rocprim17ROCPRIM_400000_NS6detail17trampoline_kernelINS0_14default_configENS1_25partition_config_selectorILNS1_17partition_subalgoE8EbNS0_10empty_typeEbEEZZNS1_14partition_implILS5_8ELb0ES3_jN6hipcub16HIPCUB_304000_NS22TransformInputIteratorIbN2at6native8internal12_GLOBAL__N_110LoadBoolOpEPKhlEEPS6_PKS6_NS0_5tupleIJPbS6_EEENSN_IJSK_SK_EEENS0_18inequality_wrapperINSA_8EqualityEEEPlJS6_EEE10hipError_tPvRmT3_T4_T5_T6_T7_T9_mT8_P12ihipStream_tbDpT10_ENKUlT_T0_E_clISt17integral_constantIbLb0EES1D_IbLb1EEEEDaS19_S1A_EUlS19_E_NS1_11comp_targetILNS1_3genE3ELNS1_11target_archE908ELNS1_3gpuE7ELNS1_3repE0EEENS1_30default_config_static_selectorELNS0_4arch9wavefront6targetE0EEEvT1_.num_vgpr, 0
	.set _ZN7rocprim17ROCPRIM_400000_NS6detail17trampoline_kernelINS0_14default_configENS1_25partition_config_selectorILNS1_17partition_subalgoE8EbNS0_10empty_typeEbEEZZNS1_14partition_implILS5_8ELb0ES3_jN6hipcub16HIPCUB_304000_NS22TransformInputIteratorIbN2at6native8internal12_GLOBAL__N_110LoadBoolOpEPKhlEEPS6_PKS6_NS0_5tupleIJPbS6_EEENSN_IJSK_SK_EEENS0_18inequality_wrapperINSA_8EqualityEEEPlJS6_EEE10hipError_tPvRmT3_T4_T5_T6_T7_T9_mT8_P12ihipStream_tbDpT10_ENKUlT_T0_E_clISt17integral_constantIbLb0EES1D_IbLb1EEEEDaS19_S1A_EUlS19_E_NS1_11comp_targetILNS1_3genE3ELNS1_11target_archE908ELNS1_3gpuE7ELNS1_3repE0EEENS1_30default_config_static_selectorELNS0_4arch9wavefront6targetE0EEEvT1_.num_agpr, 0
	.set _ZN7rocprim17ROCPRIM_400000_NS6detail17trampoline_kernelINS0_14default_configENS1_25partition_config_selectorILNS1_17partition_subalgoE8EbNS0_10empty_typeEbEEZZNS1_14partition_implILS5_8ELb0ES3_jN6hipcub16HIPCUB_304000_NS22TransformInputIteratorIbN2at6native8internal12_GLOBAL__N_110LoadBoolOpEPKhlEEPS6_PKS6_NS0_5tupleIJPbS6_EEENSN_IJSK_SK_EEENS0_18inequality_wrapperINSA_8EqualityEEEPlJS6_EEE10hipError_tPvRmT3_T4_T5_T6_T7_T9_mT8_P12ihipStream_tbDpT10_ENKUlT_T0_E_clISt17integral_constantIbLb0EES1D_IbLb1EEEEDaS19_S1A_EUlS19_E_NS1_11comp_targetILNS1_3genE3ELNS1_11target_archE908ELNS1_3gpuE7ELNS1_3repE0EEENS1_30default_config_static_selectorELNS0_4arch9wavefront6targetE0EEEvT1_.numbered_sgpr, 0
	.set _ZN7rocprim17ROCPRIM_400000_NS6detail17trampoline_kernelINS0_14default_configENS1_25partition_config_selectorILNS1_17partition_subalgoE8EbNS0_10empty_typeEbEEZZNS1_14partition_implILS5_8ELb0ES3_jN6hipcub16HIPCUB_304000_NS22TransformInputIteratorIbN2at6native8internal12_GLOBAL__N_110LoadBoolOpEPKhlEEPS6_PKS6_NS0_5tupleIJPbS6_EEENSN_IJSK_SK_EEENS0_18inequality_wrapperINSA_8EqualityEEEPlJS6_EEE10hipError_tPvRmT3_T4_T5_T6_T7_T9_mT8_P12ihipStream_tbDpT10_ENKUlT_T0_E_clISt17integral_constantIbLb0EES1D_IbLb1EEEEDaS19_S1A_EUlS19_E_NS1_11comp_targetILNS1_3genE3ELNS1_11target_archE908ELNS1_3gpuE7ELNS1_3repE0EEENS1_30default_config_static_selectorELNS0_4arch9wavefront6targetE0EEEvT1_.num_named_barrier, 0
	.set _ZN7rocprim17ROCPRIM_400000_NS6detail17trampoline_kernelINS0_14default_configENS1_25partition_config_selectorILNS1_17partition_subalgoE8EbNS0_10empty_typeEbEEZZNS1_14partition_implILS5_8ELb0ES3_jN6hipcub16HIPCUB_304000_NS22TransformInputIteratorIbN2at6native8internal12_GLOBAL__N_110LoadBoolOpEPKhlEEPS6_PKS6_NS0_5tupleIJPbS6_EEENSN_IJSK_SK_EEENS0_18inequality_wrapperINSA_8EqualityEEEPlJS6_EEE10hipError_tPvRmT3_T4_T5_T6_T7_T9_mT8_P12ihipStream_tbDpT10_ENKUlT_T0_E_clISt17integral_constantIbLb0EES1D_IbLb1EEEEDaS19_S1A_EUlS19_E_NS1_11comp_targetILNS1_3genE3ELNS1_11target_archE908ELNS1_3gpuE7ELNS1_3repE0EEENS1_30default_config_static_selectorELNS0_4arch9wavefront6targetE0EEEvT1_.private_seg_size, 0
	.set _ZN7rocprim17ROCPRIM_400000_NS6detail17trampoline_kernelINS0_14default_configENS1_25partition_config_selectorILNS1_17partition_subalgoE8EbNS0_10empty_typeEbEEZZNS1_14partition_implILS5_8ELb0ES3_jN6hipcub16HIPCUB_304000_NS22TransformInputIteratorIbN2at6native8internal12_GLOBAL__N_110LoadBoolOpEPKhlEEPS6_PKS6_NS0_5tupleIJPbS6_EEENSN_IJSK_SK_EEENS0_18inequality_wrapperINSA_8EqualityEEEPlJS6_EEE10hipError_tPvRmT3_T4_T5_T6_T7_T9_mT8_P12ihipStream_tbDpT10_ENKUlT_T0_E_clISt17integral_constantIbLb0EES1D_IbLb1EEEEDaS19_S1A_EUlS19_E_NS1_11comp_targetILNS1_3genE3ELNS1_11target_archE908ELNS1_3gpuE7ELNS1_3repE0EEENS1_30default_config_static_selectorELNS0_4arch9wavefront6targetE0EEEvT1_.uses_vcc, 0
	.set _ZN7rocprim17ROCPRIM_400000_NS6detail17trampoline_kernelINS0_14default_configENS1_25partition_config_selectorILNS1_17partition_subalgoE8EbNS0_10empty_typeEbEEZZNS1_14partition_implILS5_8ELb0ES3_jN6hipcub16HIPCUB_304000_NS22TransformInputIteratorIbN2at6native8internal12_GLOBAL__N_110LoadBoolOpEPKhlEEPS6_PKS6_NS0_5tupleIJPbS6_EEENSN_IJSK_SK_EEENS0_18inequality_wrapperINSA_8EqualityEEEPlJS6_EEE10hipError_tPvRmT3_T4_T5_T6_T7_T9_mT8_P12ihipStream_tbDpT10_ENKUlT_T0_E_clISt17integral_constantIbLb0EES1D_IbLb1EEEEDaS19_S1A_EUlS19_E_NS1_11comp_targetILNS1_3genE3ELNS1_11target_archE908ELNS1_3gpuE7ELNS1_3repE0EEENS1_30default_config_static_selectorELNS0_4arch9wavefront6targetE0EEEvT1_.uses_flat_scratch, 0
	.set _ZN7rocprim17ROCPRIM_400000_NS6detail17trampoline_kernelINS0_14default_configENS1_25partition_config_selectorILNS1_17partition_subalgoE8EbNS0_10empty_typeEbEEZZNS1_14partition_implILS5_8ELb0ES3_jN6hipcub16HIPCUB_304000_NS22TransformInputIteratorIbN2at6native8internal12_GLOBAL__N_110LoadBoolOpEPKhlEEPS6_PKS6_NS0_5tupleIJPbS6_EEENSN_IJSK_SK_EEENS0_18inequality_wrapperINSA_8EqualityEEEPlJS6_EEE10hipError_tPvRmT3_T4_T5_T6_T7_T9_mT8_P12ihipStream_tbDpT10_ENKUlT_T0_E_clISt17integral_constantIbLb0EES1D_IbLb1EEEEDaS19_S1A_EUlS19_E_NS1_11comp_targetILNS1_3genE3ELNS1_11target_archE908ELNS1_3gpuE7ELNS1_3repE0EEENS1_30default_config_static_selectorELNS0_4arch9wavefront6targetE0EEEvT1_.has_dyn_sized_stack, 0
	.set _ZN7rocprim17ROCPRIM_400000_NS6detail17trampoline_kernelINS0_14default_configENS1_25partition_config_selectorILNS1_17partition_subalgoE8EbNS0_10empty_typeEbEEZZNS1_14partition_implILS5_8ELb0ES3_jN6hipcub16HIPCUB_304000_NS22TransformInputIteratorIbN2at6native8internal12_GLOBAL__N_110LoadBoolOpEPKhlEEPS6_PKS6_NS0_5tupleIJPbS6_EEENSN_IJSK_SK_EEENS0_18inequality_wrapperINSA_8EqualityEEEPlJS6_EEE10hipError_tPvRmT3_T4_T5_T6_T7_T9_mT8_P12ihipStream_tbDpT10_ENKUlT_T0_E_clISt17integral_constantIbLb0EES1D_IbLb1EEEEDaS19_S1A_EUlS19_E_NS1_11comp_targetILNS1_3genE3ELNS1_11target_archE908ELNS1_3gpuE7ELNS1_3repE0EEENS1_30default_config_static_selectorELNS0_4arch9wavefront6targetE0EEEvT1_.has_recursion, 0
	.set _ZN7rocprim17ROCPRIM_400000_NS6detail17trampoline_kernelINS0_14default_configENS1_25partition_config_selectorILNS1_17partition_subalgoE8EbNS0_10empty_typeEbEEZZNS1_14partition_implILS5_8ELb0ES3_jN6hipcub16HIPCUB_304000_NS22TransformInputIteratorIbN2at6native8internal12_GLOBAL__N_110LoadBoolOpEPKhlEEPS6_PKS6_NS0_5tupleIJPbS6_EEENSN_IJSK_SK_EEENS0_18inequality_wrapperINSA_8EqualityEEEPlJS6_EEE10hipError_tPvRmT3_T4_T5_T6_T7_T9_mT8_P12ihipStream_tbDpT10_ENKUlT_T0_E_clISt17integral_constantIbLb0EES1D_IbLb1EEEEDaS19_S1A_EUlS19_E_NS1_11comp_targetILNS1_3genE3ELNS1_11target_archE908ELNS1_3gpuE7ELNS1_3repE0EEENS1_30default_config_static_selectorELNS0_4arch9wavefront6targetE0EEEvT1_.has_indirect_call, 0
	.section	.AMDGPU.csdata,"",@progbits
; Kernel info:
; codeLenInByte = 0
; TotalNumSgprs: 0
; NumVgprs: 0
; ScratchSize: 0
; MemoryBound: 0
; FloatMode: 240
; IeeeMode: 1
; LDSByteSize: 0 bytes/workgroup (compile time only)
; SGPRBlocks: 0
; VGPRBlocks: 0
; NumSGPRsForWavesPerEU: 1
; NumVGPRsForWavesPerEU: 1
; NamedBarCnt: 0
; Occupancy: 16
; WaveLimiterHint : 0
; COMPUTE_PGM_RSRC2:SCRATCH_EN: 0
; COMPUTE_PGM_RSRC2:USER_SGPR: 2
; COMPUTE_PGM_RSRC2:TRAP_HANDLER: 0
; COMPUTE_PGM_RSRC2:TGID_X_EN: 1
; COMPUTE_PGM_RSRC2:TGID_Y_EN: 0
; COMPUTE_PGM_RSRC2:TGID_Z_EN: 0
; COMPUTE_PGM_RSRC2:TIDIG_COMP_CNT: 0
	.section	.text._ZN7rocprim17ROCPRIM_400000_NS6detail17trampoline_kernelINS0_14default_configENS1_25partition_config_selectorILNS1_17partition_subalgoE8EbNS0_10empty_typeEbEEZZNS1_14partition_implILS5_8ELb0ES3_jN6hipcub16HIPCUB_304000_NS22TransformInputIteratorIbN2at6native8internal12_GLOBAL__N_110LoadBoolOpEPKhlEEPS6_PKS6_NS0_5tupleIJPbS6_EEENSN_IJSK_SK_EEENS0_18inequality_wrapperINSA_8EqualityEEEPlJS6_EEE10hipError_tPvRmT3_T4_T5_T6_T7_T9_mT8_P12ihipStream_tbDpT10_ENKUlT_T0_E_clISt17integral_constantIbLb0EES1D_IbLb1EEEEDaS19_S1A_EUlS19_E_NS1_11comp_targetILNS1_3genE2ELNS1_11target_archE906ELNS1_3gpuE6ELNS1_3repE0EEENS1_30default_config_static_selectorELNS0_4arch9wavefront6targetE0EEEvT1_,"axG",@progbits,_ZN7rocprim17ROCPRIM_400000_NS6detail17trampoline_kernelINS0_14default_configENS1_25partition_config_selectorILNS1_17partition_subalgoE8EbNS0_10empty_typeEbEEZZNS1_14partition_implILS5_8ELb0ES3_jN6hipcub16HIPCUB_304000_NS22TransformInputIteratorIbN2at6native8internal12_GLOBAL__N_110LoadBoolOpEPKhlEEPS6_PKS6_NS0_5tupleIJPbS6_EEENSN_IJSK_SK_EEENS0_18inequality_wrapperINSA_8EqualityEEEPlJS6_EEE10hipError_tPvRmT3_T4_T5_T6_T7_T9_mT8_P12ihipStream_tbDpT10_ENKUlT_T0_E_clISt17integral_constantIbLb0EES1D_IbLb1EEEEDaS19_S1A_EUlS19_E_NS1_11comp_targetILNS1_3genE2ELNS1_11target_archE906ELNS1_3gpuE6ELNS1_3repE0EEENS1_30default_config_static_selectorELNS0_4arch9wavefront6targetE0EEEvT1_,comdat
	.globl	_ZN7rocprim17ROCPRIM_400000_NS6detail17trampoline_kernelINS0_14default_configENS1_25partition_config_selectorILNS1_17partition_subalgoE8EbNS0_10empty_typeEbEEZZNS1_14partition_implILS5_8ELb0ES3_jN6hipcub16HIPCUB_304000_NS22TransformInputIteratorIbN2at6native8internal12_GLOBAL__N_110LoadBoolOpEPKhlEEPS6_PKS6_NS0_5tupleIJPbS6_EEENSN_IJSK_SK_EEENS0_18inequality_wrapperINSA_8EqualityEEEPlJS6_EEE10hipError_tPvRmT3_T4_T5_T6_T7_T9_mT8_P12ihipStream_tbDpT10_ENKUlT_T0_E_clISt17integral_constantIbLb0EES1D_IbLb1EEEEDaS19_S1A_EUlS19_E_NS1_11comp_targetILNS1_3genE2ELNS1_11target_archE906ELNS1_3gpuE6ELNS1_3repE0EEENS1_30default_config_static_selectorELNS0_4arch9wavefront6targetE0EEEvT1_ ; -- Begin function _ZN7rocprim17ROCPRIM_400000_NS6detail17trampoline_kernelINS0_14default_configENS1_25partition_config_selectorILNS1_17partition_subalgoE8EbNS0_10empty_typeEbEEZZNS1_14partition_implILS5_8ELb0ES3_jN6hipcub16HIPCUB_304000_NS22TransformInputIteratorIbN2at6native8internal12_GLOBAL__N_110LoadBoolOpEPKhlEEPS6_PKS6_NS0_5tupleIJPbS6_EEENSN_IJSK_SK_EEENS0_18inequality_wrapperINSA_8EqualityEEEPlJS6_EEE10hipError_tPvRmT3_T4_T5_T6_T7_T9_mT8_P12ihipStream_tbDpT10_ENKUlT_T0_E_clISt17integral_constantIbLb0EES1D_IbLb1EEEEDaS19_S1A_EUlS19_E_NS1_11comp_targetILNS1_3genE2ELNS1_11target_archE906ELNS1_3gpuE6ELNS1_3repE0EEENS1_30default_config_static_selectorELNS0_4arch9wavefront6targetE0EEEvT1_
	.p2align	8
	.type	_ZN7rocprim17ROCPRIM_400000_NS6detail17trampoline_kernelINS0_14default_configENS1_25partition_config_selectorILNS1_17partition_subalgoE8EbNS0_10empty_typeEbEEZZNS1_14partition_implILS5_8ELb0ES3_jN6hipcub16HIPCUB_304000_NS22TransformInputIteratorIbN2at6native8internal12_GLOBAL__N_110LoadBoolOpEPKhlEEPS6_PKS6_NS0_5tupleIJPbS6_EEENSN_IJSK_SK_EEENS0_18inequality_wrapperINSA_8EqualityEEEPlJS6_EEE10hipError_tPvRmT3_T4_T5_T6_T7_T9_mT8_P12ihipStream_tbDpT10_ENKUlT_T0_E_clISt17integral_constantIbLb0EES1D_IbLb1EEEEDaS19_S1A_EUlS19_E_NS1_11comp_targetILNS1_3genE2ELNS1_11target_archE906ELNS1_3gpuE6ELNS1_3repE0EEENS1_30default_config_static_selectorELNS0_4arch9wavefront6targetE0EEEvT1_,@function
_ZN7rocprim17ROCPRIM_400000_NS6detail17trampoline_kernelINS0_14default_configENS1_25partition_config_selectorILNS1_17partition_subalgoE8EbNS0_10empty_typeEbEEZZNS1_14partition_implILS5_8ELb0ES3_jN6hipcub16HIPCUB_304000_NS22TransformInputIteratorIbN2at6native8internal12_GLOBAL__N_110LoadBoolOpEPKhlEEPS6_PKS6_NS0_5tupleIJPbS6_EEENSN_IJSK_SK_EEENS0_18inequality_wrapperINSA_8EqualityEEEPlJS6_EEE10hipError_tPvRmT3_T4_T5_T6_T7_T9_mT8_P12ihipStream_tbDpT10_ENKUlT_T0_E_clISt17integral_constantIbLb0EES1D_IbLb1EEEEDaS19_S1A_EUlS19_E_NS1_11comp_targetILNS1_3genE2ELNS1_11target_archE906ELNS1_3gpuE6ELNS1_3repE0EEENS1_30default_config_static_selectorELNS0_4arch9wavefront6targetE0EEEvT1_: ; @_ZN7rocprim17ROCPRIM_400000_NS6detail17trampoline_kernelINS0_14default_configENS1_25partition_config_selectorILNS1_17partition_subalgoE8EbNS0_10empty_typeEbEEZZNS1_14partition_implILS5_8ELb0ES3_jN6hipcub16HIPCUB_304000_NS22TransformInputIteratorIbN2at6native8internal12_GLOBAL__N_110LoadBoolOpEPKhlEEPS6_PKS6_NS0_5tupleIJPbS6_EEENSN_IJSK_SK_EEENS0_18inequality_wrapperINSA_8EqualityEEEPlJS6_EEE10hipError_tPvRmT3_T4_T5_T6_T7_T9_mT8_P12ihipStream_tbDpT10_ENKUlT_T0_E_clISt17integral_constantIbLb0EES1D_IbLb1EEEEDaS19_S1A_EUlS19_E_NS1_11comp_targetILNS1_3genE2ELNS1_11target_archE906ELNS1_3gpuE6ELNS1_3repE0EEENS1_30default_config_static_selectorELNS0_4arch9wavefront6targetE0EEEvT1_
; %bb.0:
	.section	.rodata,"a",@progbits
	.p2align	6, 0x0
	.amdhsa_kernel _ZN7rocprim17ROCPRIM_400000_NS6detail17trampoline_kernelINS0_14default_configENS1_25partition_config_selectorILNS1_17partition_subalgoE8EbNS0_10empty_typeEbEEZZNS1_14partition_implILS5_8ELb0ES3_jN6hipcub16HIPCUB_304000_NS22TransformInputIteratorIbN2at6native8internal12_GLOBAL__N_110LoadBoolOpEPKhlEEPS6_PKS6_NS0_5tupleIJPbS6_EEENSN_IJSK_SK_EEENS0_18inequality_wrapperINSA_8EqualityEEEPlJS6_EEE10hipError_tPvRmT3_T4_T5_T6_T7_T9_mT8_P12ihipStream_tbDpT10_ENKUlT_T0_E_clISt17integral_constantIbLb0EES1D_IbLb1EEEEDaS19_S1A_EUlS19_E_NS1_11comp_targetILNS1_3genE2ELNS1_11target_archE906ELNS1_3gpuE6ELNS1_3repE0EEENS1_30default_config_static_selectorELNS0_4arch9wavefront6targetE0EEEvT1_
		.amdhsa_group_segment_fixed_size 0
		.amdhsa_private_segment_fixed_size 0
		.amdhsa_kernarg_size 136
		.amdhsa_user_sgpr_count 2
		.amdhsa_user_sgpr_dispatch_ptr 0
		.amdhsa_user_sgpr_queue_ptr 0
		.amdhsa_user_sgpr_kernarg_segment_ptr 1
		.amdhsa_user_sgpr_dispatch_id 0
		.amdhsa_user_sgpr_kernarg_preload_length 0
		.amdhsa_user_sgpr_kernarg_preload_offset 0
		.amdhsa_user_sgpr_private_segment_size 0
		.amdhsa_wavefront_size32 1
		.amdhsa_uses_dynamic_stack 0
		.amdhsa_enable_private_segment 0
		.amdhsa_system_sgpr_workgroup_id_x 1
		.amdhsa_system_sgpr_workgroup_id_y 0
		.amdhsa_system_sgpr_workgroup_id_z 0
		.amdhsa_system_sgpr_workgroup_info 0
		.amdhsa_system_vgpr_workitem_id 0
		.amdhsa_next_free_vgpr 1
		.amdhsa_next_free_sgpr 1
		.amdhsa_named_barrier_count 0
		.amdhsa_reserve_vcc 0
		.amdhsa_float_round_mode_32 0
		.amdhsa_float_round_mode_16_64 0
		.amdhsa_float_denorm_mode_32 3
		.amdhsa_float_denorm_mode_16_64 3
		.amdhsa_fp16_overflow 0
		.amdhsa_memory_ordered 1
		.amdhsa_forward_progress 1
		.amdhsa_inst_pref_size 0
		.amdhsa_round_robin_scheduling 0
		.amdhsa_exception_fp_ieee_invalid_op 0
		.amdhsa_exception_fp_denorm_src 0
		.amdhsa_exception_fp_ieee_div_zero 0
		.amdhsa_exception_fp_ieee_overflow 0
		.amdhsa_exception_fp_ieee_underflow 0
		.amdhsa_exception_fp_ieee_inexact 0
		.amdhsa_exception_int_div_zero 0
	.end_amdhsa_kernel
	.section	.text._ZN7rocprim17ROCPRIM_400000_NS6detail17trampoline_kernelINS0_14default_configENS1_25partition_config_selectorILNS1_17partition_subalgoE8EbNS0_10empty_typeEbEEZZNS1_14partition_implILS5_8ELb0ES3_jN6hipcub16HIPCUB_304000_NS22TransformInputIteratorIbN2at6native8internal12_GLOBAL__N_110LoadBoolOpEPKhlEEPS6_PKS6_NS0_5tupleIJPbS6_EEENSN_IJSK_SK_EEENS0_18inequality_wrapperINSA_8EqualityEEEPlJS6_EEE10hipError_tPvRmT3_T4_T5_T6_T7_T9_mT8_P12ihipStream_tbDpT10_ENKUlT_T0_E_clISt17integral_constantIbLb0EES1D_IbLb1EEEEDaS19_S1A_EUlS19_E_NS1_11comp_targetILNS1_3genE2ELNS1_11target_archE906ELNS1_3gpuE6ELNS1_3repE0EEENS1_30default_config_static_selectorELNS0_4arch9wavefront6targetE0EEEvT1_,"axG",@progbits,_ZN7rocprim17ROCPRIM_400000_NS6detail17trampoline_kernelINS0_14default_configENS1_25partition_config_selectorILNS1_17partition_subalgoE8EbNS0_10empty_typeEbEEZZNS1_14partition_implILS5_8ELb0ES3_jN6hipcub16HIPCUB_304000_NS22TransformInputIteratorIbN2at6native8internal12_GLOBAL__N_110LoadBoolOpEPKhlEEPS6_PKS6_NS0_5tupleIJPbS6_EEENSN_IJSK_SK_EEENS0_18inequality_wrapperINSA_8EqualityEEEPlJS6_EEE10hipError_tPvRmT3_T4_T5_T6_T7_T9_mT8_P12ihipStream_tbDpT10_ENKUlT_T0_E_clISt17integral_constantIbLb0EES1D_IbLb1EEEEDaS19_S1A_EUlS19_E_NS1_11comp_targetILNS1_3genE2ELNS1_11target_archE906ELNS1_3gpuE6ELNS1_3repE0EEENS1_30default_config_static_selectorELNS0_4arch9wavefront6targetE0EEEvT1_,comdat
.Lfunc_end44:
	.size	_ZN7rocprim17ROCPRIM_400000_NS6detail17trampoline_kernelINS0_14default_configENS1_25partition_config_selectorILNS1_17partition_subalgoE8EbNS0_10empty_typeEbEEZZNS1_14partition_implILS5_8ELb0ES3_jN6hipcub16HIPCUB_304000_NS22TransformInputIteratorIbN2at6native8internal12_GLOBAL__N_110LoadBoolOpEPKhlEEPS6_PKS6_NS0_5tupleIJPbS6_EEENSN_IJSK_SK_EEENS0_18inequality_wrapperINSA_8EqualityEEEPlJS6_EEE10hipError_tPvRmT3_T4_T5_T6_T7_T9_mT8_P12ihipStream_tbDpT10_ENKUlT_T0_E_clISt17integral_constantIbLb0EES1D_IbLb1EEEEDaS19_S1A_EUlS19_E_NS1_11comp_targetILNS1_3genE2ELNS1_11target_archE906ELNS1_3gpuE6ELNS1_3repE0EEENS1_30default_config_static_selectorELNS0_4arch9wavefront6targetE0EEEvT1_, .Lfunc_end44-_ZN7rocprim17ROCPRIM_400000_NS6detail17trampoline_kernelINS0_14default_configENS1_25partition_config_selectorILNS1_17partition_subalgoE8EbNS0_10empty_typeEbEEZZNS1_14partition_implILS5_8ELb0ES3_jN6hipcub16HIPCUB_304000_NS22TransformInputIteratorIbN2at6native8internal12_GLOBAL__N_110LoadBoolOpEPKhlEEPS6_PKS6_NS0_5tupleIJPbS6_EEENSN_IJSK_SK_EEENS0_18inequality_wrapperINSA_8EqualityEEEPlJS6_EEE10hipError_tPvRmT3_T4_T5_T6_T7_T9_mT8_P12ihipStream_tbDpT10_ENKUlT_T0_E_clISt17integral_constantIbLb0EES1D_IbLb1EEEEDaS19_S1A_EUlS19_E_NS1_11comp_targetILNS1_3genE2ELNS1_11target_archE906ELNS1_3gpuE6ELNS1_3repE0EEENS1_30default_config_static_selectorELNS0_4arch9wavefront6targetE0EEEvT1_
                                        ; -- End function
	.set _ZN7rocprim17ROCPRIM_400000_NS6detail17trampoline_kernelINS0_14default_configENS1_25partition_config_selectorILNS1_17partition_subalgoE8EbNS0_10empty_typeEbEEZZNS1_14partition_implILS5_8ELb0ES3_jN6hipcub16HIPCUB_304000_NS22TransformInputIteratorIbN2at6native8internal12_GLOBAL__N_110LoadBoolOpEPKhlEEPS6_PKS6_NS0_5tupleIJPbS6_EEENSN_IJSK_SK_EEENS0_18inequality_wrapperINSA_8EqualityEEEPlJS6_EEE10hipError_tPvRmT3_T4_T5_T6_T7_T9_mT8_P12ihipStream_tbDpT10_ENKUlT_T0_E_clISt17integral_constantIbLb0EES1D_IbLb1EEEEDaS19_S1A_EUlS19_E_NS1_11comp_targetILNS1_3genE2ELNS1_11target_archE906ELNS1_3gpuE6ELNS1_3repE0EEENS1_30default_config_static_selectorELNS0_4arch9wavefront6targetE0EEEvT1_.num_vgpr, 0
	.set _ZN7rocprim17ROCPRIM_400000_NS6detail17trampoline_kernelINS0_14default_configENS1_25partition_config_selectorILNS1_17partition_subalgoE8EbNS0_10empty_typeEbEEZZNS1_14partition_implILS5_8ELb0ES3_jN6hipcub16HIPCUB_304000_NS22TransformInputIteratorIbN2at6native8internal12_GLOBAL__N_110LoadBoolOpEPKhlEEPS6_PKS6_NS0_5tupleIJPbS6_EEENSN_IJSK_SK_EEENS0_18inequality_wrapperINSA_8EqualityEEEPlJS6_EEE10hipError_tPvRmT3_T4_T5_T6_T7_T9_mT8_P12ihipStream_tbDpT10_ENKUlT_T0_E_clISt17integral_constantIbLb0EES1D_IbLb1EEEEDaS19_S1A_EUlS19_E_NS1_11comp_targetILNS1_3genE2ELNS1_11target_archE906ELNS1_3gpuE6ELNS1_3repE0EEENS1_30default_config_static_selectorELNS0_4arch9wavefront6targetE0EEEvT1_.num_agpr, 0
	.set _ZN7rocprim17ROCPRIM_400000_NS6detail17trampoline_kernelINS0_14default_configENS1_25partition_config_selectorILNS1_17partition_subalgoE8EbNS0_10empty_typeEbEEZZNS1_14partition_implILS5_8ELb0ES3_jN6hipcub16HIPCUB_304000_NS22TransformInputIteratorIbN2at6native8internal12_GLOBAL__N_110LoadBoolOpEPKhlEEPS6_PKS6_NS0_5tupleIJPbS6_EEENSN_IJSK_SK_EEENS0_18inequality_wrapperINSA_8EqualityEEEPlJS6_EEE10hipError_tPvRmT3_T4_T5_T6_T7_T9_mT8_P12ihipStream_tbDpT10_ENKUlT_T0_E_clISt17integral_constantIbLb0EES1D_IbLb1EEEEDaS19_S1A_EUlS19_E_NS1_11comp_targetILNS1_3genE2ELNS1_11target_archE906ELNS1_3gpuE6ELNS1_3repE0EEENS1_30default_config_static_selectorELNS0_4arch9wavefront6targetE0EEEvT1_.numbered_sgpr, 0
	.set _ZN7rocprim17ROCPRIM_400000_NS6detail17trampoline_kernelINS0_14default_configENS1_25partition_config_selectorILNS1_17partition_subalgoE8EbNS0_10empty_typeEbEEZZNS1_14partition_implILS5_8ELb0ES3_jN6hipcub16HIPCUB_304000_NS22TransformInputIteratorIbN2at6native8internal12_GLOBAL__N_110LoadBoolOpEPKhlEEPS6_PKS6_NS0_5tupleIJPbS6_EEENSN_IJSK_SK_EEENS0_18inequality_wrapperINSA_8EqualityEEEPlJS6_EEE10hipError_tPvRmT3_T4_T5_T6_T7_T9_mT8_P12ihipStream_tbDpT10_ENKUlT_T0_E_clISt17integral_constantIbLb0EES1D_IbLb1EEEEDaS19_S1A_EUlS19_E_NS1_11comp_targetILNS1_3genE2ELNS1_11target_archE906ELNS1_3gpuE6ELNS1_3repE0EEENS1_30default_config_static_selectorELNS0_4arch9wavefront6targetE0EEEvT1_.num_named_barrier, 0
	.set _ZN7rocprim17ROCPRIM_400000_NS6detail17trampoline_kernelINS0_14default_configENS1_25partition_config_selectorILNS1_17partition_subalgoE8EbNS0_10empty_typeEbEEZZNS1_14partition_implILS5_8ELb0ES3_jN6hipcub16HIPCUB_304000_NS22TransformInputIteratorIbN2at6native8internal12_GLOBAL__N_110LoadBoolOpEPKhlEEPS6_PKS6_NS0_5tupleIJPbS6_EEENSN_IJSK_SK_EEENS0_18inequality_wrapperINSA_8EqualityEEEPlJS6_EEE10hipError_tPvRmT3_T4_T5_T6_T7_T9_mT8_P12ihipStream_tbDpT10_ENKUlT_T0_E_clISt17integral_constantIbLb0EES1D_IbLb1EEEEDaS19_S1A_EUlS19_E_NS1_11comp_targetILNS1_3genE2ELNS1_11target_archE906ELNS1_3gpuE6ELNS1_3repE0EEENS1_30default_config_static_selectorELNS0_4arch9wavefront6targetE0EEEvT1_.private_seg_size, 0
	.set _ZN7rocprim17ROCPRIM_400000_NS6detail17trampoline_kernelINS0_14default_configENS1_25partition_config_selectorILNS1_17partition_subalgoE8EbNS0_10empty_typeEbEEZZNS1_14partition_implILS5_8ELb0ES3_jN6hipcub16HIPCUB_304000_NS22TransformInputIteratorIbN2at6native8internal12_GLOBAL__N_110LoadBoolOpEPKhlEEPS6_PKS6_NS0_5tupleIJPbS6_EEENSN_IJSK_SK_EEENS0_18inequality_wrapperINSA_8EqualityEEEPlJS6_EEE10hipError_tPvRmT3_T4_T5_T6_T7_T9_mT8_P12ihipStream_tbDpT10_ENKUlT_T0_E_clISt17integral_constantIbLb0EES1D_IbLb1EEEEDaS19_S1A_EUlS19_E_NS1_11comp_targetILNS1_3genE2ELNS1_11target_archE906ELNS1_3gpuE6ELNS1_3repE0EEENS1_30default_config_static_selectorELNS0_4arch9wavefront6targetE0EEEvT1_.uses_vcc, 0
	.set _ZN7rocprim17ROCPRIM_400000_NS6detail17trampoline_kernelINS0_14default_configENS1_25partition_config_selectorILNS1_17partition_subalgoE8EbNS0_10empty_typeEbEEZZNS1_14partition_implILS5_8ELb0ES3_jN6hipcub16HIPCUB_304000_NS22TransformInputIteratorIbN2at6native8internal12_GLOBAL__N_110LoadBoolOpEPKhlEEPS6_PKS6_NS0_5tupleIJPbS6_EEENSN_IJSK_SK_EEENS0_18inequality_wrapperINSA_8EqualityEEEPlJS6_EEE10hipError_tPvRmT3_T4_T5_T6_T7_T9_mT8_P12ihipStream_tbDpT10_ENKUlT_T0_E_clISt17integral_constantIbLb0EES1D_IbLb1EEEEDaS19_S1A_EUlS19_E_NS1_11comp_targetILNS1_3genE2ELNS1_11target_archE906ELNS1_3gpuE6ELNS1_3repE0EEENS1_30default_config_static_selectorELNS0_4arch9wavefront6targetE0EEEvT1_.uses_flat_scratch, 0
	.set _ZN7rocprim17ROCPRIM_400000_NS6detail17trampoline_kernelINS0_14default_configENS1_25partition_config_selectorILNS1_17partition_subalgoE8EbNS0_10empty_typeEbEEZZNS1_14partition_implILS5_8ELb0ES3_jN6hipcub16HIPCUB_304000_NS22TransformInputIteratorIbN2at6native8internal12_GLOBAL__N_110LoadBoolOpEPKhlEEPS6_PKS6_NS0_5tupleIJPbS6_EEENSN_IJSK_SK_EEENS0_18inequality_wrapperINSA_8EqualityEEEPlJS6_EEE10hipError_tPvRmT3_T4_T5_T6_T7_T9_mT8_P12ihipStream_tbDpT10_ENKUlT_T0_E_clISt17integral_constantIbLb0EES1D_IbLb1EEEEDaS19_S1A_EUlS19_E_NS1_11comp_targetILNS1_3genE2ELNS1_11target_archE906ELNS1_3gpuE6ELNS1_3repE0EEENS1_30default_config_static_selectorELNS0_4arch9wavefront6targetE0EEEvT1_.has_dyn_sized_stack, 0
	.set _ZN7rocprim17ROCPRIM_400000_NS6detail17trampoline_kernelINS0_14default_configENS1_25partition_config_selectorILNS1_17partition_subalgoE8EbNS0_10empty_typeEbEEZZNS1_14partition_implILS5_8ELb0ES3_jN6hipcub16HIPCUB_304000_NS22TransformInputIteratorIbN2at6native8internal12_GLOBAL__N_110LoadBoolOpEPKhlEEPS6_PKS6_NS0_5tupleIJPbS6_EEENSN_IJSK_SK_EEENS0_18inequality_wrapperINSA_8EqualityEEEPlJS6_EEE10hipError_tPvRmT3_T4_T5_T6_T7_T9_mT8_P12ihipStream_tbDpT10_ENKUlT_T0_E_clISt17integral_constantIbLb0EES1D_IbLb1EEEEDaS19_S1A_EUlS19_E_NS1_11comp_targetILNS1_3genE2ELNS1_11target_archE906ELNS1_3gpuE6ELNS1_3repE0EEENS1_30default_config_static_selectorELNS0_4arch9wavefront6targetE0EEEvT1_.has_recursion, 0
	.set _ZN7rocprim17ROCPRIM_400000_NS6detail17trampoline_kernelINS0_14default_configENS1_25partition_config_selectorILNS1_17partition_subalgoE8EbNS0_10empty_typeEbEEZZNS1_14partition_implILS5_8ELb0ES3_jN6hipcub16HIPCUB_304000_NS22TransformInputIteratorIbN2at6native8internal12_GLOBAL__N_110LoadBoolOpEPKhlEEPS6_PKS6_NS0_5tupleIJPbS6_EEENSN_IJSK_SK_EEENS0_18inequality_wrapperINSA_8EqualityEEEPlJS6_EEE10hipError_tPvRmT3_T4_T5_T6_T7_T9_mT8_P12ihipStream_tbDpT10_ENKUlT_T0_E_clISt17integral_constantIbLb0EES1D_IbLb1EEEEDaS19_S1A_EUlS19_E_NS1_11comp_targetILNS1_3genE2ELNS1_11target_archE906ELNS1_3gpuE6ELNS1_3repE0EEENS1_30default_config_static_selectorELNS0_4arch9wavefront6targetE0EEEvT1_.has_indirect_call, 0
	.section	.AMDGPU.csdata,"",@progbits
; Kernel info:
; codeLenInByte = 0
; TotalNumSgprs: 0
; NumVgprs: 0
; ScratchSize: 0
; MemoryBound: 0
; FloatMode: 240
; IeeeMode: 1
; LDSByteSize: 0 bytes/workgroup (compile time only)
; SGPRBlocks: 0
; VGPRBlocks: 0
; NumSGPRsForWavesPerEU: 1
; NumVGPRsForWavesPerEU: 1
; NamedBarCnt: 0
; Occupancy: 16
; WaveLimiterHint : 0
; COMPUTE_PGM_RSRC2:SCRATCH_EN: 0
; COMPUTE_PGM_RSRC2:USER_SGPR: 2
; COMPUTE_PGM_RSRC2:TRAP_HANDLER: 0
; COMPUTE_PGM_RSRC2:TGID_X_EN: 1
; COMPUTE_PGM_RSRC2:TGID_Y_EN: 0
; COMPUTE_PGM_RSRC2:TGID_Z_EN: 0
; COMPUTE_PGM_RSRC2:TIDIG_COMP_CNT: 0
	.section	.text._ZN7rocprim17ROCPRIM_400000_NS6detail17trampoline_kernelINS0_14default_configENS1_25partition_config_selectorILNS1_17partition_subalgoE8EbNS0_10empty_typeEbEEZZNS1_14partition_implILS5_8ELb0ES3_jN6hipcub16HIPCUB_304000_NS22TransformInputIteratorIbN2at6native8internal12_GLOBAL__N_110LoadBoolOpEPKhlEEPS6_PKS6_NS0_5tupleIJPbS6_EEENSN_IJSK_SK_EEENS0_18inequality_wrapperINSA_8EqualityEEEPlJS6_EEE10hipError_tPvRmT3_T4_T5_T6_T7_T9_mT8_P12ihipStream_tbDpT10_ENKUlT_T0_E_clISt17integral_constantIbLb0EES1D_IbLb1EEEEDaS19_S1A_EUlS19_E_NS1_11comp_targetILNS1_3genE10ELNS1_11target_archE1200ELNS1_3gpuE4ELNS1_3repE0EEENS1_30default_config_static_selectorELNS0_4arch9wavefront6targetE0EEEvT1_,"axG",@progbits,_ZN7rocprim17ROCPRIM_400000_NS6detail17trampoline_kernelINS0_14default_configENS1_25partition_config_selectorILNS1_17partition_subalgoE8EbNS0_10empty_typeEbEEZZNS1_14partition_implILS5_8ELb0ES3_jN6hipcub16HIPCUB_304000_NS22TransformInputIteratorIbN2at6native8internal12_GLOBAL__N_110LoadBoolOpEPKhlEEPS6_PKS6_NS0_5tupleIJPbS6_EEENSN_IJSK_SK_EEENS0_18inequality_wrapperINSA_8EqualityEEEPlJS6_EEE10hipError_tPvRmT3_T4_T5_T6_T7_T9_mT8_P12ihipStream_tbDpT10_ENKUlT_T0_E_clISt17integral_constantIbLb0EES1D_IbLb1EEEEDaS19_S1A_EUlS19_E_NS1_11comp_targetILNS1_3genE10ELNS1_11target_archE1200ELNS1_3gpuE4ELNS1_3repE0EEENS1_30default_config_static_selectorELNS0_4arch9wavefront6targetE0EEEvT1_,comdat
	.globl	_ZN7rocprim17ROCPRIM_400000_NS6detail17trampoline_kernelINS0_14default_configENS1_25partition_config_selectorILNS1_17partition_subalgoE8EbNS0_10empty_typeEbEEZZNS1_14partition_implILS5_8ELb0ES3_jN6hipcub16HIPCUB_304000_NS22TransformInputIteratorIbN2at6native8internal12_GLOBAL__N_110LoadBoolOpEPKhlEEPS6_PKS6_NS0_5tupleIJPbS6_EEENSN_IJSK_SK_EEENS0_18inequality_wrapperINSA_8EqualityEEEPlJS6_EEE10hipError_tPvRmT3_T4_T5_T6_T7_T9_mT8_P12ihipStream_tbDpT10_ENKUlT_T0_E_clISt17integral_constantIbLb0EES1D_IbLb1EEEEDaS19_S1A_EUlS19_E_NS1_11comp_targetILNS1_3genE10ELNS1_11target_archE1200ELNS1_3gpuE4ELNS1_3repE0EEENS1_30default_config_static_selectorELNS0_4arch9wavefront6targetE0EEEvT1_ ; -- Begin function _ZN7rocprim17ROCPRIM_400000_NS6detail17trampoline_kernelINS0_14default_configENS1_25partition_config_selectorILNS1_17partition_subalgoE8EbNS0_10empty_typeEbEEZZNS1_14partition_implILS5_8ELb0ES3_jN6hipcub16HIPCUB_304000_NS22TransformInputIteratorIbN2at6native8internal12_GLOBAL__N_110LoadBoolOpEPKhlEEPS6_PKS6_NS0_5tupleIJPbS6_EEENSN_IJSK_SK_EEENS0_18inequality_wrapperINSA_8EqualityEEEPlJS6_EEE10hipError_tPvRmT3_T4_T5_T6_T7_T9_mT8_P12ihipStream_tbDpT10_ENKUlT_T0_E_clISt17integral_constantIbLb0EES1D_IbLb1EEEEDaS19_S1A_EUlS19_E_NS1_11comp_targetILNS1_3genE10ELNS1_11target_archE1200ELNS1_3gpuE4ELNS1_3repE0EEENS1_30default_config_static_selectorELNS0_4arch9wavefront6targetE0EEEvT1_
	.p2align	8
	.type	_ZN7rocprim17ROCPRIM_400000_NS6detail17trampoline_kernelINS0_14default_configENS1_25partition_config_selectorILNS1_17partition_subalgoE8EbNS0_10empty_typeEbEEZZNS1_14partition_implILS5_8ELb0ES3_jN6hipcub16HIPCUB_304000_NS22TransformInputIteratorIbN2at6native8internal12_GLOBAL__N_110LoadBoolOpEPKhlEEPS6_PKS6_NS0_5tupleIJPbS6_EEENSN_IJSK_SK_EEENS0_18inequality_wrapperINSA_8EqualityEEEPlJS6_EEE10hipError_tPvRmT3_T4_T5_T6_T7_T9_mT8_P12ihipStream_tbDpT10_ENKUlT_T0_E_clISt17integral_constantIbLb0EES1D_IbLb1EEEEDaS19_S1A_EUlS19_E_NS1_11comp_targetILNS1_3genE10ELNS1_11target_archE1200ELNS1_3gpuE4ELNS1_3repE0EEENS1_30default_config_static_selectorELNS0_4arch9wavefront6targetE0EEEvT1_,@function
_ZN7rocprim17ROCPRIM_400000_NS6detail17trampoline_kernelINS0_14default_configENS1_25partition_config_selectorILNS1_17partition_subalgoE8EbNS0_10empty_typeEbEEZZNS1_14partition_implILS5_8ELb0ES3_jN6hipcub16HIPCUB_304000_NS22TransformInputIteratorIbN2at6native8internal12_GLOBAL__N_110LoadBoolOpEPKhlEEPS6_PKS6_NS0_5tupleIJPbS6_EEENSN_IJSK_SK_EEENS0_18inequality_wrapperINSA_8EqualityEEEPlJS6_EEE10hipError_tPvRmT3_T4_T5_T6_T7_T9_mT8_P12ihipStream_tbDpT10_ENKUlT_T0_E_clISt17integral_constantIbLb0EES1D_IbLb1EEEEDaS19_S1A_EUlS19_E_NS1_11comp_targetILNS1_3genE10ELNS1_11target_archE1200ELNS1_3gpuE4ELNS1_3repE0EEENS1_30default_config_static_selectorELNS0_4arch9wavefront6targetE0EEEvT1_: ; @_ZN7rocprim17ROCPRIM_400000_NS6detail17trampoline_kernelINS0_14default_configENS1_25partition_config_selectorILNS1_17partition_subalgoE8EbNS0_10empty_typeEbEEZZNS1_14partition_implILS5_8ELb0ES3_jN6hipcub16HIPCUB_304000_NS22TransformInputIteratorIbN2at6native8internal12_GLOBAL__N_110LoadBoolOpEPKhlEEPS6_PKS6_NS0_5tupleIJPbS6_EEENSN_IJSK_SK_EEENS0_18inequality_wrapperINSA_8EqualityEEEPlJS6_EEE10hipError_tPvRmT3_T4_T5_T6_T7_T9_mT8_P12ihipStream_tbDpT10_ENKUlT_T0_E_clISt17integral_constantIbLb0EES1D_IbLb1EEEEDaS19_S1A_EUlS19_E_NS1_11comp_targetILNS1_3genE10ELNS1_11target_archE1200ELNS1_3gpuE4ELNS1_3repE0EEENS1_30default_config_static_selectorELNS0_4arch9wavefront6targetE0EEEvT1_
; %bb.0:
	.section	.rodata,"a",@progbits
	.p2align	6, 0x0
	.amdhsa_kernel _ZN7rocprim17ROCPRIM_400000_NS6detail17trampoline_kernelINS0_14default_configENS1_25partition_config_selectorILNS1_17partition_subalgoE8EbNS0_10empty_typeEbEEZZNS1_14partition_implILS5_8ELb0ES3_jN6hipcub16HIPCUB_304000_NS22TransformInputIteratorIbN2at6native8internal12_GLOBAL__N_110LoadBoolOpEPKhlEEPS6_PKS6_NS0_5tupleIJPbS6_EEENSN_IJSK_SK_EEENS0_18inequality_wrapperINSA_8EqualityEEEPlJS6_EEE10hipError_tPvRmT3_T4_T5_T6_T7_T9_mT8_P12ihipStream_tbDpT10_ENKUlT_T0_E_clISt17integral_constantIbLb0EES1D_IbLb1EEEEDaS19_S1A_EUlS19_E_NS1_11comp_targetILNS1_3genE10ELNS1_11target_archE1200ELNS1_3gpuE4ELNS1_3repE0EEENS1_30default_config_static_selectorELNS0_4arch9wavefront6targetE0EEEvT1_
		.amdhsa_group_segment_fixed_size 0
		.amdhsa_private_segment_fixed_size 0
		.amdhsa_kernarg_size 136
		.amdhsa_user_sgpr_count 2
		.amdhsa_user_sgpr_dispatch_ptr 0
		.amdhsa_user_sgpr_queue_ptr 0
		.amdhsa_user_sgpr_kernarg_segment_ptr 1
		.amdhsa_user_sgpr_dispatch_id 0
		.amdhsa_user_sgpr_kernarg_preload_length 0
		.amdhsa_user_sgpr_kernarg_preload_offset 0
		.amdhsa_user_sgpr_private_segment_size 0
		.amdhsa_wavefront_size32 1
		.amdhsa_uses_dynamic_stack 0
		.amdhsa_enable_private_segment 0
		.amdhsa_system_sgpr_workgroup_id_x 1
		.amdhsa_system_sgpr_workgroup_id_y 0
		.amdhsa_system_sgpr_workgroup_id_z 0
		.amdhsa_system_sgpr_workgroup_info 0
		.amdhsa_system_vgpr_workitem_id 0
		.amdhsa_next_free_vgpr 1
		.amdhsa_next_free_sgpr 1
		.amdhsa_named_barrier_count 0
		.amdhsa_reserve_vcc 0
		.amdhsa_float_round_mode_32 0
		.amdhsa_float_round_mode_16_64 0
		.amdhsa_float_denorm_mode_32 3
		.amdhsa_float_denorm_mode_16_64 3
		.amdhsa_fp16_overflow 0
		.amdhsa_memory_ordered 1
		.amdhsa_forward_progress 1
		.amdhsa_inst_pref_size 0
		.amdhsa_round_robin_scheduling 0
		.amdhsa_exception_fp_ieee_invalid_op 0
		.amdhsa_exception_fp_denorm_src 0
		.amdhsa_exception_fp_ieee_div_zero 0
		.amdhsa_exception_fp_ieee_overflow 0
		.amdhsa_exception_fp_ieee_underflow 0
		.amdhsa_exception_fp_ieee_inexact 0
		.amdhsa_exception_int_div_zero 0
	.end_amdhsa_kernel
	.section	.text._ZN7rocprim17ROCPRIM_400000_NS6detail17trampoline_kernelINS0_14default_configENS1_25partition_config_selectorILNS1_17partition_subalgoE8EbNS0_10empty_typeEbEEZZNS1_14partition_implILS5_8ELb0ES3_jN6hipcub16HIPCUB_304000_NS22TransformInputIteratorIbN2at6native8internal12_GLOBAL__N_110LoadBoolOpEPKhlEEPS6_PKS6_NS0_5tupleIJPbS6_EEENSN_IJSK_SK_EEENS0_18inequality_wrapperINSA_8EqualityEEEPlJS6_EEE10hipError_tPvRmT3_T4_T5_T6_T7_T9_mT8_P12ihipStream_tbDpT10_ENKUlT_T0_E_clISt17integral_constantIbLb0EES1D_IbLb1EEEEDaS19_S1A_EUlS19_E_NS1_11comp_targetILNS1_3genE10ELNS1_11target_archE1200ELNS1_3gpuE4ELNS1_3repE0EEENS1_30default_config_static_selectorELNS0_4arch9wavefront6targetE0EEEvT1_,"axG",@progbits,_ZN7rocprim17ROCPRIM_400000_NS6detail17trampoline_kernelINS0_14default_configENS1_25partition_config_selectorILNS1_17partition_subalgoE8EbNS0_10empty_typeEbEEZZNS1_14partition_implILS5_8ELb0ES3_jN6hipcub16HIPCUB_304000_NS22TransformInputIteratorIbN2at6native8internal12_GLOBAL__N_110LoadBoolOpEPKhlEEPS6_PKS6_NS0_5tupleIJPbS6_EEENSN_IJSK_SK_EEENS0_18inequality_wrapperINSA_8EqualityEEEPlJS6_EEE10hipError_tPvRmT3_T4_T5_T6_T7_T9_mT8_P12ihipStream_tbDpT10_ENKUlT_T0_E_clISt17integral_constantIbLb0EES1D_IbLb1EEEEDaS19_S1A_EUlS19_E_NS1_11comp_targetILNS1_3genE10ELNS1_11target_archE1200ELNS1_3gpuE4ELNS1_3repE0EEENS1_30default_config_static_selectorELNS0_4arch9wavefront6targetE0EEEvT1_,comdat
.Lfunc_end45:
	.size	_ZN7rocprim17ROCPRIM_400000_NS6detail17trampoline_kernelINS0_14default_configENS1_25partition_config_selectorILNS1_17partition_subalgoE8EbNS0_10empty_typeEbEEZZNS1_14partition_implILS5_8ELb0ES3_jN6hipcub16HIPCUB_304000_NS22TransformInputIteratorIbN2at6native8internal12_GLOBAL__N_110LoadBoolOpEPKhlEEPS6_PKS6_NS0_5tupleIJPbS6_EEENSN_IJSK_SK_EEENS0_18inequality_wrapperINSA_8EqualityEEEPlJS6_EEE10hipError_tPvRmT3_T4_T5_T6_T7_T9_mT8_P12ihipStream_tbDpT10_ENKUlT_T0_E_clISt17integral_constantIbLb0EES1D_IbLb1EEEEDaS19_S1A_EUlS19_E_NS1_11comp_targetILNS1_3genE10ELNS1_11target_archE1200ELNS1_3gpuE4ELNS1_3repE0EEENS1_30default_config_static_selectorELNS0_4arch9wavefront6targetE0EEEvT1_, .Lfunc_end45-_ZN7rocprim17ROCPRIM_400000_NS6detail17trampoline_kernelINS0_14default_configENS1_25partition_config_selectorILNS1_17partition_subalgoE8EbNS0_10empty_typeEbEEZZNS1_14partition_implILS5_8ELb0ES3_jN6hipcub16HIPCUB_304000_NS22TransformInputIteratorIbN2at6native8internal12_GLOBAL__N_110LoadBoolOpEPKhlEEPS6_PKS6_NS0_5tupleIJPbS6_EEENSN_IJSK_SK_EEENS0_18inequality_wrapperINSA_8EqualityEEEPlJS6_EEE10hipError_tPvRmT3_T4_T5_T6_T7_T9_mT8_P12ihipStream_tbDpT10_ENKUlT_T0_E_clISt17integral_constantIbLb0EES1D_IbLb1EEEEDaS19_S1A_EUlS19_E_NS1_11comp_targetILNS1_3genE10ELNS1_11target_archE1200ELNS1_3gpuE4ELNS1_3repE0EEENS1_30default_config_static_selectorELNS0_4arch9wavefront6targetE0EEEvT1_
                                        ; -- End function
	.set _ZN7rocprim17ROCPRIM_400000_NS6detail17trampoline_kernelINS0_14default_configENS1_25partition_config_selectorILNS1_17partition_subalgoE8EbNS0_10empty_typeEbEEZZNS1_14partition_implILS5_8ELb0ES3_jN6hipcub16HIPCUB_304000_NS22TransformInputIteratorIbN2at6native8internal12_GLOBAL__N_110LoadBoolOpEPKhlEEPS6_PKS6_NS0_5tupleIJPbS6_EEENSN_IJSK_SK_EEENS0_18inequality_wrapperINSA_8EqualityEEEPlJS6_EEE10hipError_tPvRmT3_T4_T5_T6_T7_T9_mT8_P12ihipStream_tbDpT10_ENKUlT_T0_E_clISt17integral_constantIbLb0EES1D_IbLb1EEEEDaS19_S1A_EUlS19_E_NS1_11comp_targetILNS1_3genE10ELNS1_11target_archE1200ELNS1_3gpuE4ELNS1_3repE0EEENS1_30default_config_static_selectorELNS0_4arch9wavefront6targetE0EEEvT1_.num_vgpr, 0
	.set _ZN7rocprim17ROCPRIM_400000_NS6detail17trampoline_kernelINS0_14default_configENS1_25partition_config_selectorILNS1_17partition_subalgoE8EbNS0_10empty_typeEbEEZZNS1_14partition_implILS5_8ELb0ES3_jN6hipcub16HIPCUB_304000_NS22TransformInputIteratorIbN2at6native8internal12_GLOBAL__N_110LoadBoolOpEPKhlEEPS6_PKS6_NS0_5tupleIJPbS6_EEENSN_IJSK_SK_EEENS0_18inequality_wrapperINSA_8EqualityEEEPlJS6_EEE10hipError_tPvRmT3_T4_T5_T6_T7_T9_mT8_P12ihipStream_tbDpT10_ENKUlT_T0_E_clISt17integral_constantIbLb0EES1D_IbLb1EEEEDaS19_S1A_EUlS19_E_NS1_11comp_targetILNS1_3genE10ELNS1_11target_archE1200ELNS1_3gpuE4ELNS1_3repE0EEENS1_30default_config_static_selectorELNS0_4arch9wavefront6targetE0EEEvT1_.num_agpr, 0
	.set _ZN7rocprim17ROCPRIM_400000_NS6detail17trampoline_kernelINS0_14default_configENS1_25partition_config_selectorILNS1_17partition_subalgoE8EbNS0_10empty_typeEbEEZZNS1_14partition_implILS5_8ELb0ES3_jN6hipcub16HIPCUB_304000_NS22TransformInputIteratorIbN2at6native8internal12_GLOBAL__N_110LoadBoolOpEPKhlEEPS6_PKS6_NS0_5tupleIJPbS6_EEENSN_IJSK_SK_EEENS0_18inequality_wrapperINSA_8EqualityEEEPlJS6_EEE10hipError_tPvRmT3_T4_T5_T6_T7_T9_mT8_P12ihipStream_tbDpT10_ENKUlT_T0_E_clISt17integral_constantIbLb0EES1D_IbLb1EEEEDaS19_S1A_EUlS19_E_NS1_11comp_targetILNS1_3genE10ELNS1_11target_archE1200ELNS1_3gpuE4ELNS1_3repE0EEENS1_30default_config_static_selectorELNS0_4arch9wavefront6targetE0EEEvT1_.numbered_sgpr, 0
	.set _ZN7rocprim17ROCPRIM_400000_NS6detail17trampoline_kernelINS0_14default_configENS1_25partition_config_selectorILNS1_17partition_subalgoE8EbNS0_10empty_typeEbEEZZNS1_14partition_implILS5_8ELb0ES3_jN6hipcub16HIPCUB_304000_NS22TransformInputIteratorIbN2at6native8internal12_GLOBAL__N_110LoadBoolOpEPKhlEEPS6_PKS6_NS0_5tupleIJPbS6_EEENSN_IJSK_SK_EEENS0_18inequality_wrapperINSA_8EqualityEEEPlJS6_EEE10hipError_tPvRmT3_T4_T5_T6_T7_T9_mT8_P12ihipStream_tbDpT10_ENKUlT_T0_E_clISt17integral_constantIbLb0EES1D_IbLb1EEEEDaS19_S1A_EUlS19_E_NS1_11comp_targetILNS1_3genE10ELNS1_11target_archE1200ELNS1_3gpuE4ELNS1_3repE0EEENS1_30default_config_static_selectorELNS0_4arch9wavefront6targetE0EEEvT1_.num_named_barrier, 0
	.set _ZN7rocprim17ROCPRIM_400000_NS6detail17trampoline_kernelINS0_14default_configENS1_25partition_config_selectorILNS1_17partition_subalgoE8EbNS0_10empty_typeEbEEZZNS1_14partition_implILS5_8ELb0ES3_jN6hipcub16HIPCUB_304000_NS22TransformInputIteratorIbN2at6native8internal12_GLOBAL__N_110LoadBoolOpEPKhlEEPS6_PKS6_NS0_5tupleIJPbS6_EEENSN_IJSK_SK_EEENS0_18inequality_wrapperINSA_8EqualityEEEPlJS6_EEE10hipError_tPvRmT3_T4_T5_T6_T7_T9_mT8_P12ihipStream_tbDpT10_ENKUlT_T0_E_clISt17integral_constantIbLb0EES1D_IbLb1EEEEDaS19_S1A_EUlS19_E_NS1_11comp_targetILNS1_3genE10ELNS1_11target_archE1200ELNS1_3gpuE4ELNS1_3repE0EEENS1_30default_config_static_selectorELNS0_4arch9wavefront6targetE0EEEvT1_.private_seg_size, 0
	.set _ZN7rocprim17ROCPRIM_400000_NS6detail17trampoline_kernelINS0_14default_configENS1_25partition_config_selectorILNS1_17partition_subalgoE8EbNS0_10empty_typeEbEEZZNS1_14partition_implILS5_8ELb0ES3_jN6hipcub16HIPCUB_304000_NS22TransformInputIteratorIbN2at6native8internal12_GLOBAL__N_110LoadBoolOpEPKhlEEPS6_PKS6_NS0_5tupleIJPbS6_EEENSN_IJSK_SK_EEENS0_18inequality_wrapperINSA_8EqualityEEEPlJS6_EEE10hipError_tPvRmT3_T4_T5_T6_T7_T9_mT8_P12ihipStream_tbDpT10_ENKUlT_T0_E_clISt17integral_constantIbLb0EES1D_IbLb1EEEEDaS19_S1A_EUlS19_E_NS1_11comp_targetILNS1_3genE10ELNS1_11target_archE1200ELNS1_3gpuE4ELNS1_3repE0EEENS1_30default_config_static_selectorELNS0_4arch9wavefront6targetE0EEEvT1_.uses_vcc, 0
	.set _ZN7rocprim17ROCPRIM_400000_NS6detail17trampoline_kernelINS0_14default_configENS1_25partition_config_selectorILNS1_17partition_subalgoE8EbNS0_10empty_typeEbEEZZNS1_14partition_implILS5_8ELb0ES3_jN6hipcub16HIPCUB_304000_NS22TransformInputIteratorIbN2at6native8internal12_GLOBAL__N_110LoadBoolOpEPKhlEEPS6_PKS6_NS0_5tupleIJPbS6_EEENSN_IJSK_SK_EEENS0_18inequality_wrapperINSA_8EqualityEEEPlJS6_EEE10hipError_tPvRmT3_T4_T5_T6_T7_T9_mT8_P12ihipStream_tbDpT10_ENKUlT_T0_E_clISt17integral_constantIbLb0EES1D_IbLb1EEEEDaS19_S1A_EUlS19_E_NS1_11comp_targetILNS1_3genE10ELNS1_11target_archE1200ELNS1_3gpuE4ELNS1_3repE0EEENS1_30default_config_static_selectorELNS0_4arch9wavefront6targetE0EEEvT1_.uses_flat_scratch, 0
	.set _ZN7rocprim17ROCPRIM_400000_NS6detail17trampoline_kernelINS0_14default_configENS1_25partition_config_selectorILNS1_17partition_subalgoE8EbNS0_10empty_typeEbEEZZNS1_14partition_implILS5_8ELb0ES3_jN6hipcub16HIPCUB_304000_NS22TransformInputIteratorIbN2at6native8internal12_GLOBAL__N_110LoadBoolOpEPKhlEEPS6_PKS6_NS0_5tupleIJPbS6_EEENSN_IJSK_SK_EEENS0_18inequality_wrapperINSA_8EqualityEEEPlJS6_EEE10hipError_tPvRmT3_T4_T5_T6_T7_T9_mT8_P12ihipStream_tbDpT10_ENKUlT_T0_E_clISt17integral_constantIbLb0EES1D_IbLb1EEEEDaS19_S1A_EUlS19_E_NS1_11comp_targetILNS1_3genE10ELNS1_11target_archE1200ELNS1_3gpuE4ELNS1_3repE0EEENS1_30default_config_static_selectorELNS0_4arch9wavefront6targetE0EEEvT1_.has_dyn_sized_stack, 0
	.set _ZN7rocprim17ROCPRIM_400000_NS6detail17trampoline_kernelINS0_14default_configENS1_25partition_config_selectorILNS1_17partition_subalgoE8EbNS0_10empty_typeEbEEZZNS1_14partition_implILS5_8ELb0ES3_jN6hipcub16HIPCUB_304000_NS22TransformInputIteratorIbN2at6native8internal12_GLOBAL__N_110LoadBoolOpEPKhlEEPS6_PKS6_NS0_5tupleIJPbS6_EEENSN_IJSK_SK_EEENS0_18inequality_wrapperINSA_8EqualityEEEPlJS6_EEE10hipError_tPvRmT3_T4_T5_T6_T7_T9_mT8_P12ihipStream_tbDpT10_ENKUlT_T0_E_clISt17integral_constantIbLb0EES1D_IbLb1EEEEDaS19_S1A_EUlS19_E_NS1_11comp_targetILNS1_3genE10ELNS1_11target_archE1200ELNS1_3gpuE4ELNS1_3repE0EEENS1_30default_config_static_selectorELNS0_4arch9wavefront6targetE0EEEvT1_.has_recursion, 0
	.set _ZN7rocprim17ROCPRIM_400000_NS6detail17trampoline_kernelINS0_14default_configENS1_25partition_config_selectorILNS1_17partition_subalgoE8EbNS0_10empty_typeEbEEZZNS1_14partition_implILS5_8ELb0ES3_jN6hipcub16HIPCUB_304000_NS22TransformInputIteratorIbN2at6native8internal12_GLOBAL__N_110LoadBoolOpEPKhlEEPS6_PKS6_NS0_5tupleIJPbS6_EEENSN_IJSK_SK_EEENS0_18inequality_wrapperINSA_8EqualityEEEPlJS6_EEE10hipError_tPvRmT3_T4_T5_T6_T7_T9_mT8_P12ihipStream_tbDpT10_ENKUlT_T0_E_clISt17integral_constantIbLb0EES1D_IbLb1EEEEDaS19_S1A_EUlS19_E_NS1_11comp_targetILNS1_3genE10ELNS1_11target_archE1200ELNS1_3gpuE4ELNS1_3repE0EEENS1_30default_config_static_selectorELNS0_4arch9wavefront6targetE0EEEvT1_.has_indirect_call, 0
	.section	.AMDGPU.csdata,"",@progbits
; Kernel info:
; codeLenInByte = 0
; TotalNumSgprs: 0
; NumVgprs: 0
; ScratchSize: 0
; MemoryBound: 0
; FloatMode: 240
; IeeeMode: 1
; LDSByteSize: 0 bytes/workgroup (compile time only)
; SGPRBlocks: 0
; VGPRBlocks: 0
; NumSGPRsForWavesPerEU: 1
; NumVGPRsForWavesPerEU: 1
; NamedBarCnt: 0
; Occupancy: 16
; WaveLimiterHint : 0
; COMPUTE_PGM_RSRC2:SCRATCH_EN: 0
; COMPUTE_PGM_RSRC2:USER_SGPR: 2
; COMPUTE_PGM_RSRC2:TRAP_HANDLER: 0
; COMPUTE_PGM_RSRC2:TGID_X_EN: 1
; COMPUTE_PGM_RSRC2:TGID_Y_EN: 0
; COMPUTE_PGM_RSRC2:TGID_Z_EN: 0
; COMPUTE_PGM_RSRC2:TIDIG_COMP_CNT: 0
	.section	.text._ZN7rocprim17ROCPRIM_400000_NS6detail17trampoline_kernelINS0_14default_configENS1_25partition_config_selectorILNS1_17partition_subalgoE8EbNS0_10empty_typeEbEEZZNS1_14partition_implILS5_8ELb0ES3_jN6hipcub16HIPCUB_304000_NS22TransformInputIteratorIbN2at6native8internal12_GLOBAL__N_110LoadBoolOpEPKhlEEPS6_PKS6_NS0_5tupleIJPbS6_EEENSN_IJSK_SK_EEENS0_18inequality_wrapperINSA_8EqualityEEEPlJS6_EEE10hipError_tPvRmT3_T4_T5_T6_T7_T9_mT8_P12ihipStream_tbDpT10_ENKUlT_T0_E_clISt17integral_constantIbLb0EES1D_IbLb1EEEEDaS19_S1A_EUlS19_E_NS1_11comp_targetILNS1_3genE9ELNS1_11target_archE1100ELNS1_3gpuE3ELNS1_3repE0EEENS1_30default_config_static_selectorELNS0_4arch9wavefront6targetE0EEEvT1_,"axG",@progbits,_ZN7rocprim17ROCPRIM_400000_NS6detail17trampoline_kernelINS0_14default_configENS1_25partition_config_selectorILNS1_17partition_subalgoE8EbNS0_10empty_typeEbEEZZNS1_14partition_implILS5_8ELb0ES3_jN6hipcub16HIPCUB_304000_NS22TransformInputIteratorIbN2at6native8internal12_GLOBAL__N_110LoadBoolOpEPKhlEEPS6_PKS6_NS0_5tupleIJPbS6_EEENSN_IJSK_SK_EEENS0_18inequality_wrapperINSA_8EqualityEEEPlJS6_EEE10hipError_tPvRmT3_T4_T5_T6_T7_T9_mT8_P12ihipStream_tbDpT10_ENKUlT_T0_E_clISt17integral_constantIbLb0EES1D_IbLb1EEEEDaS19_S1A_EUlS19_E_NS1_11comp_targetILNS1_3genE9ELNS1_11target_archE1100ELNS1_3gpuE3ELNS1_3repE0EEENS1_30default_config_static_selectorELNS0_4arch9wavefront6targetE0EEEvT1_,comdat
	.globl	_ZN7rocprim17ROCPRIM_400000_NS6detail17trampoline_kernelINS0_14default_configENS1_25partition_config_selectorILNS1_17partition_subalgoE8EbNS0_10empty_typeEbEEZZNS1_14partition_implILS5_8ELb0ES3_jN6hipcub16HIPCUB_304000_NS22TransformInputIteratorIbN2at6native8internal12_GLOBAL__N_110LoadBoolOpEPKhlEEPS6_PKS6_NS0_5tupleIJPbS6_EEENSN_IJSK_SK_EEENS0_18inequality_wrapperINSA_8EqualityEEEPlJS6_EEE10hipError_tPvRmT3_T4_T5_T6_T7_T9_mT8_P12ihipStream_tbDpT10_ENKUlT_T0_E_clISt17integral_constantIbLb0EES1D_IbLb1EEEEDaS19_S1A_EUlS19_E_NS1_11comp_targetILNS1_3genE9ELNS1_11target_archE1100ELNS1_3gpuE3ELNS1_3repE0EEENS1_30default_config_static_selectorELNS0_4arch9wavefront6targetE0EEEvT1_ ; -- Begin function _ZN7rocprim17ROCPRIM_400000_NS6detail17trampoline_kernelINS0_14default_configENS1_25partition_config_selectorILNS1_17partition_subalgoE8EbNS0_10empty_typeEbEEZZNS1_14partition_implILS5_8ELb0ES3_jN6hipcub16HIPCUB_304000_NS22TransformInputIteratorIbN2at6native8internal12_GLOBAL__N_110LoadBoolOpEPKhlEEPS6_PKS6_NS0_5tupleIJPbS6_EEENSN_IJSK_SK_EEENS0_18inequality_wrapperINSA_8EqualityEEEPlJS6_EEE10hipError_tPvRmT3_T4_T5_T6_T7_T9_mT8_P12ihipStream_tbDpT10_ENKUlT_T0_E_clISt17integral_constantIbLb0EES1D_IbLb1EEEEDaS19_S1A_EUlS19_E_NS1_11comp_targetILNS1_3genE9ELNS1_11target_archE1100ELNS1_3gpuE3ELNS1_3repE0EEENS1_30default_config_static_selectorELNS0_4arch9wavefront6targetE0EEEvT1_
	.p2align	8
	.type	_ZN7rocprim17ROCPRIM_400000_NS6detail17trampoline_kernelINS0_14default_configENS1_25partition_config_selectorILNS1_17partition_subalgoE8EbNS0_10empty_typeEbEEZZNS1_14partition_implILS5_8ELb0ES3_jN6hipcub16HIPCUB_304000_NS22TransformInputIteratorIbN2at6native8internal12_GLOBAL__N_110LoadBoolOpEPKhlEEPS6_PKS6_NS0_5tupleIJPbS6_EEENSN_IJSK_SK_EEENS0_18inequality_wrapperINSA_8EqualityEEEPlJS6_EEE10hipError_tPvRmT3_T4_T5_T6_T7_T9_mT8_P12ihipStream_tbDpT10_ENKUlT_T0_E_clISt17integral_constantIbLb0EES1D_IbLb1EEEEDaS19_S1A_EUlS19_E_NS1_11comp_targetILNS1_3genE9ELNS1_11target_archE1100ELNS1_3gpuE3ELNS1_3repE0EEENS1_30default_config_static_selectorELNS0_4arch9wavefront6targetE0EEEvT1_,@function
_ZN7rocprim17ROCPRIM_400000_NS6detail17trampoline_kernelINS0_14default_configENS1_25partition_config_selectorILNS1_17partition_subalgoE8EbNS0_10empty_typeEbEEZZNS1_14partition_implILS5_8ELb0ES3_jN6hipcub16HIPCUB_304000_NS22TransformInputIteratorIbN2at6native8internal12_GLOBAL__N_110LoadBoolOpEPKhlEEPS6_PKS6_NS0_5tupleIJPbS6_EEENSN_IJSK_SK_EEENS0_18inequality_wrapperINSA_8EqualityEEEPlJS6_EEE10hipError_tPvRmT3_T4_T5_T6_T7_T9_mT8_P12ihipStream_tbDpT10_ENKUlT_T0_E_clISt17integral_constantIbLb0EES1D_IbLb1EEEEDaS19_S1A_EUlS19_E_NS1_11comp_targetILNS1_3genE9ELNS1_11target_archE1100ELNS1_3gpuE3ELNS1_3repE0EEENS1_30default_config_static_selectorELNS0_4arch9wavefront6targetE0EEEvT1_: ; @_ZN7rocprim17ROCPRIM_400000_NS6detail17trampoline_kernelINS0_14default_configENS1_25partition_config_selectorILNS1_17partition_subalgoE8EbNS0_10empty_typeEbEEZZNS1_14partition_implILS5_8ELb0ES3_jN6hipcub16HIPCUB_304000_NS22TransformInputIteratorIbN2at6native8internal12_GLOBAL__N_110LoadBoolOpEPKhlEEPS6_PKS6_NS0_5tupleIJPbS6_EEENSN_IJSK_SK_EEENS0_18inequality_wrapperINSA_8EqualityEEEPlJS6_EEE10hipError_tPvRmT3_T4_T5_T6_T7_T9_mT8_P12ihipStream_tbDpT10_ENKUlT_T0_E_clISt17integral_constantIbLb0EES1D_IbLb1EEEEDaS19_S1A_EUlS19_E_NS1_11comp_targetILNS1_3genE9ELNS1_11target_archE1100ELNS1_3gpuE3ELNS1_3repE0EEENS1_30default_config_static_selectorELNS0_4arch9wavefront6targetE0EEEvT1_
; %bb.0:
	.section	.rodata,"a",@progbits
	.p2align	6, 0x0
	.amdhsa_kernel _ZN7rocprim17ROCPRIM_400000_NS6detail17trampoline_kernelINS0_14default_configENS1_25partition_config_selectorILNS1_17partition_subalgoE8EbNS0_10empty_typeEbEEZZNS1_14partition_implILS5_8ELb0ES3_jN6hipcub16HIPCUB_304000_NS22TransformInputIteratorIbN2at6native8internal12_GLOBAL__N_110LoadBoolOpEPKhlEEPS6_PKS6_NS0_5tupleIJPbS6_EEENSN_IJSK_SK_EEENS0_18inequality_wrapperINSA_8EqualityEEEPlJS6_EEE10hipError_tPvRmT3_T4_T5_T6_T7_T9_mT8_P12ihipStream_tbDpT10_ENKUlT_T0_E_clISt17integral_constantIbLb0EES1D_IbLb1EEEEDaS19_S1A_EUlS19_E_NS1_11comp_targetILNS1_3genE9ELNS1_11target_archE1100ELNS1_3gpuE3ELNS1_3repE0EEENS1_30default_config_static_selectorELNS0_4arch9wavefront6targetE0EEEvT1_
		.amdhsa_group_segment_fixed_size 0
		.amdhsa_private_segment_fixed_size 0
		.amdhsa_kernarg_size 136
		.amdhsa_user_sgpr_count 2
		.amdhsa_user_sgpr_dispatch_ptr 0
		.amdhsa_user_sgpr_queue_ptr 0
		.amdhsa_user_sgpr_kernarg_segment_ptr 1
		.amdhsa_user_sgpr_dispatch_id 0
		.amdhsa_user_sgpr_kernarg_preload_length 0
		.amdhsa_user_sgpr_kernarg_preload_offset 0
		.amdhsa_user_sgpr_private_segment_size 0
		.amdhsa_wavefront_size32 1
		.amdhsa_uses_dynamic_stack 0
		.amdhsa_enable_private_segment 0
		.amdhsa_system_sgpr_workgroup_id_x 1
		.amdhsa_system_sgpr_workgroup_id_y 0
		.amdhsa_system_sgpr_workgroup_id_z 0
		.amdhsa_system_sgpr_workgroup_info 0
		.amdhsa_system_vgpr_workitem_id 0
		.amdhsa_next_free_vgpr 1
		.amdhsa_next_free_sgpr 1
		.amdhsa_named_barrier_count 0
		.amdhsa_reserve_vcc 0
		.amdhsa_float_round_mode_32 0
		.amdhsa_float_round_mode_16_64 0
		.amdhsa_float_denorm_mode_32 3
		.amdhsa_float_denorm_mode_16_64 3
		.amdhsa_fp16_overflow 0
		.amdhsa_memory_ordered 1
		.amdhsa_forward_progress 1
		.amdhsa_inst_pref_size 0
		.amdhsa_round_robin_scheduling 0
		.amdhsa_exception_fp_ieee_invalid_op 0
		.amdhsa_exception_fp_denorm_src 0
		.amdhsa_exception_fp_ieee_div_zero 0
		.amdhsa_exception_fp_ieee_overflow 0
		.amdhsa_exception_fp_ieee_underflow 0
		.amdhsa_exception_fp_ieee_inexact 0
		.amdhsa_exception_int_div_zero 0
	.end_amdhsa_kernel
	.section	.text._ZN7rocprim17ROCPRIM_400000_NS6detail17trampoline_kernelINS0_14default_configENS1_25partition_config_selectorILNS1_17partition_subalgoE8EbNS0_10empty_typeEbEEZZNS1_14partition_implILS5_8ELb0ES3_jN6hipcub16HIPCUB_304000_NS22TransformInputIteratorIbN2at6native8internal12_GLOBAL__N_110LoadBoolOpEPKhlEEPS6_PKS6_NS0_5tupleIJPbS6_EEENSN_IJSK_SK_EEENS0_18inequality_wrapperINSA_8EqualityEEEPlJS6_EEE10hipError_tPvRmT3_T4_T5_T6_T7_T9_mT8_P12ihipStream_tbDpT10_ENKUlT_T0_E_clISt17integral_constantIbLb0EES1D_IbLb1EEEEDaS19_S1A_EUlS19_E_NS1_11comp_targetILNS1_3genE9ELNS1_11target_archE1100ELNS1_3gpuE3ELNS1_3repE0EEENS1_30default_config_static_selectorELNS0_4arch9wavefront6targetE0EEEvT1_,"axG",@progbits,_ZN7rocprim17ROCPRIM_400000_NS6detail17trampoline_kernelINS0_14default_configENS1_25partition_config_selectorILNS1_17partition_subalgoE8EbNS0_10empty_typeEbEEZZNS1_14partition_implILS5_8ELb0ES3_jN6hipcub16HIPCUB_304000_NS22TransformInputIteratorIbN2at6native8internal12_GLOBAL__N_110LoadBoolOpEPKhlEEPS6_PKS6_NS0_5tupleIJPbS6_EEENSN_IJSK_SK_EEENS0_18inequality_wrapperINSA_8EqualityEEEPlJS6_EEE10hipError_tPvRmT3_T4_T5_T6_T7_T9_mT8_P12ihipStream_tbDpT10_ENKUlT_T0_E_clISt17integral_constantIbLb0EES1D_IbLb1EEEEDaS19_S1A_EUlS19_E_NS1_11comp_targetILNS1_3genE9ELNS1_11target_archE1100ELNS1_3gpuE3ELNS1_3repE0EEENS1_30default_config_static_selectorELNS0_4arch9wavefront6targetE0EEEvT1_,comdat
.Lfunc_end46:
	.size	_ZN7rocprim17ROCPRIM_400000_NS6detail17trampoline_kernelINS0_14default_configENS1_25partition_config_selectorILNS1_17partition_subalgoE8EbNS0_10empty_typeEbEEZZNS1_14partition_implILS5_8ELb0ES3_jN6hipcub16HIPCUB_304000_NS22TransformInputIteratorIbN2at6native8internal12_GLOBAL__N_110LoadBoolOpEPKhlEEPS6_PKS6_NS0_5tupleIJPbS6_EEENSN_IJSK_SK_EEENS0_18inequality_wrapperINSA_8EqualityEEEPlJS6_EEE10hipError_tPvRmT3_T4_T5_T6_T7_T9_mT8_P12ihipStream_tbDpT10_ENKUlT_T0_E_clISt17integral_constantIbLb0EES1D_IbLb1EEEEDaS19_S1A_EUlS19_E_NS1_11comp_targetILNS1_3genE9ELNS1_11target_archE1100ELNS1_3gpuE3ELNS1_3repE0EEENS1_30default_config_static_selectorELNS0_4arch9wavefront6targetE0EEEvT1_, .Lfunc_end46-_ZN7rocprim17ROCPRIM_400000_NS6detail17trampoline_kernelINS0_14default_configENS1_25partition_config_selectorILNS1_17partition_subalgoE8EbNS0_10empty_typeEbEEZZNS1_14partition_implILS5_8ELb0ES3_jN6hipcub16HIPCUB_304000_NS22TransformInputIteratorIbN2at6native8internal12_GLOBAL__N_110LoadBoolOpEPKhlEEPS6_PKS6_NS0_5tupleIJPbS6_EEENSN_IJSK_SK_EEENS0_18inequality_wrapperINSA_8EqualityEEEPlJS6_EEE10hipError_tPvRmT3_T4_T5_T6_T7_T9_mT8_P12ihipStream_tbDpT10_ENKUlT_T0_E_clISt17integral_constantIbLb0EES1D_IbLb1EEEEDaS19_S1A_EUlS19_E_NS1_11comp_targetILNS1_3genE9ELNS1_11target_archE1100ELNS1_3gpuE3ELNS1_3repE0EEENS1_30default_config_static_selectorELNS0_4arch9wavefront6targetE0EEEvT1_
                                        ; -- End function
	.set _ZN7rocprim17ROCPRIM_400000_NS6detail17trampoline_kernelINS0_14default_configENS1_25partition_config_selectorILNS1_17partition_subalgoE8EbNS0_10empty_typeEbEEZZNS1_14partition_implILS5_8ELb0ES3_jN6hipcub16HIPCUB_304000_NS22TransformInputIteratorIbN2at6native8internal12_GLOBAL__N_110LoadBoolOpEPKhlEEPS6_PKS6_NS0_5tupleIJPbS6_EEENSN_IJSK_SK_EEENS0_18inequality_wrapperINSA_8EqualityEEEPlJS6_EEE10hipError_tPvRmT3_T4_T5_T6_T7_T9_mT8_P12ihipStream_tbDpT10_ENKUlT_T0_E_clISt17integral_constantIbLb0EES1D_IbLb1EEEEDaS19_S1A_EUlS19_E_NS1_11comp_targetILNS1_3genE9ELNS1_11target_archE1100ELNS1_3gpuE3ELNS1_3repE0EEENS1_30default_config_static_selectorELNS0_4arch9wavefront6targetE0EEEvT1_.num_vgpr, 0
	.set _ZN7rocprim17ROCPRIM_400000_NS6detail17trampoline_kernelINS0_14default_configENS1_25partition_config_selectorILNS1_17partition_subalgoE8EbNS0_10empty_typeEbEEZZNS1_14partition_implILS5_8ELb0ES3_jN6hipcub16HIPCUB_304000_NS22TransformInputIteratorIbN2at6native8internal12_GLOBAL__N_110LoadBoolOpEPKhlEEPS6_PKS6_NS0_5tupleIJPbS6_EEENSN_IJSK_SK_EEENS0_18inequality_wrapperINSA_8EqualityEEEPlJS6_EEE10hipError_tPvRmT3_T4_T5_T6_T7_T9_mT8_P12ihipStream_tbDpT10_ENKUlT_T0_E_clISt17integral_constantIbLb0EES1D_IbLb1EEEEDaS19_S1A_EUlS19_E_NS1_11comp_targetILNS1_3genE9ELNS1_11target_archE1100ELNS1_3gpuE3ELNS1_3repE0EEENS1_30default_config_static_selectorELNS0_4arch9wavefront6targetE0EEEvT1_.num_agpr, 0
	.set _ZN7rocprim17ROCPRIM_400000_NS6detail17trampoline_kernelINS0_14default_configENS1_25partition_config_selectorILNS1_17partition_subalgoE8EbNS0_10empty_typeEbEEZZNS1_14partition_implILS5_8ELb0ES3_jN6hipcub16HIPCUB_304000_NS22TransformInputIteratorIbN2at6native8internal12_GLOBAL__N_110LoadBoolOpEPKhlEEPS6_PKS6_NS0_5tupleIJPbS6_EEENSN_IJSK_SK_EEENS0_18inequality_wrapperINSA_8EqualityEEEPlJS6_EEE10hipError_tPvRmT3_T4_T5_T6_T7_T9_mT8_P12ihipStream_tbDpT10_ENKUlT_T0_E_clISt17integral_constantIbLb0EES1D_IbLb1EEEEDaS19_S1A_EUlS19_E_NS1_11comp_targetILNS1_3genE9ELNS1_11target_archE1100ELNS1_3gpuE3ELNS1_3repE0EEENS1_30default_config_static_selectorELNS0_4arch9wavefront6targetE0EEEvT1_.numbered_sgpr, 0
	.set _ZN7rocprim17ROCPRIM_400000_NS6detail17trampoline_kernelINS0_14default_configENS1_25partition_config_selectorILNS1_17partition_subalgoE8EbNS0_10empty_typeEbEEZZNS1_14partition_implILS5_8ELb0ES3_jN6hipcub16HIPCUB_304000_NS22TransformInputIteratorIbN2at6native8internal12_GLOBAL__N_110LoadBoolOpEPKhlEEPS6_PKS6_NS0_5tupleIJPbS6_EEENSN_IJSK_SK_EEENS0_18inequality_wrapperINSA_8EqualityEEEPlJS6_EEE10hipError_tPvRmT3_T4_T5_T6_T7_T9_mT8_P12ihipStream_tbDpT10_ENKUlT_T0_E_clISt17integral_constantIbLb0EES1D_IbLb1EEEEDaS19_S1A_EUlS19_E_NS1_11comp_targetILNS1_3genE9ELNS1_11target_archE1100ELNS1_3gpuE3ELNS1_3repE0EEENS1_30default_config_static_selectorELNS0_4arch9wavefront6targetE0EEEvT1_.num_named_barrier, 0
	.set _ZN7rocprim17ROCPRIM_400000_NS6detail17trampoline_kernelINS0_14default_configENS1_25partition_config_selectorILNS1_17partition_subalgoE8EbNS0_10empty_typeEbEEZZNS1_14partition_implILS5_8ELb0ES3_jN6hipcub16HIPCUB_304000_NS22TransformInputIteratorIbN2at6native8internal12_GLOBAL__N_110LoadBoolOpEPKhlEEPS6_PKS6_NS0_5tupleIJPbS6_EEENSN_IJSK_SK_EEENS0_18inequality_wrapperINSA_8EqualityEEEPlJS6_EEE10hipError_tPvRmT3_T4_T5_T6_T7_T9_mT8_P12ihipStream_tbDpT10_ENKUlT_T0_E_clISt17integral_constantIbLb0EES1D_IbLb1EEEEDaS19_S1A_EUlS19_E_NS1_11comp_targetILNS1_3genE9ELNS1_11target_archE1100ELNS1_3gpuE3ELNS1_3repE0EEENS1_30default_config_static_selectorELNS0_4arch9wavefront6targetE0EEEvT1_.private_seg_size, 0
	.set _ZN7rocprim17ROCPRIM_400000_NS6detail17trampoline_kernelINS0_14default_configENS1_25partition_config_selectorILNS1_17partition_subalgoE8EbNS0_10empty_typeEbEEZZNS1_14partition_implILS5_8ELb0ES3_jN6hipcub16HIPCUB_304000_NS22TransformInputIteratorIbN2at6native8internal12_GLOBAL__N_110LoadBoolOpEPKhlEEPS6_PKS6_NS0_5tupleIJPbS6_EEENSN_IJSK_SK_EEENS0_18inequality_wrapperINSA_8EqualityEEEPlJS6_EEE10hipError_tPvRmT3_T4_T5_T6_T7_T9_mT8_P12ihipStream_tbDpT10_ENKUlT_T0_E_clISt17integral_constantIbLb0EES1D_IbLb1EEEEDaS19_S1A_EUlS19_E_NS1_11comp_targetILNS1_3genE9ELNS1_11target_archE1100ELNS1_3gpuE3ELNS1_3repE0EEENS1_30default_config_static_selectorELNS0_4arch9wavefront6targetE0EEEvT1_.uses_vcc, 0
	.set _ZN7rocprim17ROCPRIM_400000_NS6detail17trampoline_kernelINS0_14default_configENS1_25partition_config_selectorILNS1_17partition_subalgoE8EbNS0_10empty_typeEbEEZZNS1_14partition_implILS5_8ELb0ES3_jN6hipcub16HIPCUB_304000_NS22TransformInputIteratorIbN2at6native8internal12_GLOBAL__N_110LoadBoolOpEPKhlEEPS6_PKS6_NS0_5tupleIJPbS6_EEENSN_IJSK_SK_EEENS0_18inequality_wrapperINSA_8EqualityEEEPlJS6_EEE10hipError_tPvRmT3_T4_T5_T6_T7_T9_mT8_P12ihipStream_tbDpT10_ENKUlT_T0_E_clISt17integral_constantIbLb0EES1D_IbLb1EEEEDaS19_S1A_EUlS19_E_NS1_11comp_targetILNS1_3genE9ELNS1_11target_archE1100ELNS1_3gpuE3ELNS1_3repE0EEENS1_30default_config_static_selectorELNS0_4arch9wavefront6targetE0EEEvT1_.uses_flat_scratch, 0
	.set _ZN7rocprim17ROCPRIM_400000_NS6detail17trampoline_kernelINS0_14default_configENS1_25partition_config_selectorILNS1_17partition_subalgoE8EbNS0_10empty_typeEbEEZZNS1_14partition_implILS5_8ELb0ES3_jN6hipcub16HIPCUB_304000_NS22TransformInputIteratorIbN2at6native8internal12_GLOBAL__N_110LoadBoolOpEPKhlEEPS6_PKS6_NS0_5tupleIJPbS6_EEENSN_IJSK_SK_EEENS0_18inequality_wrapperINSA_8EqualityEEEPlJS6_EEE10hipError_tPvRmT3_T4_T5_T6_T7_T9_mT8_P12ihipStream_tbDpT10_ENKUlT_T0_E_clISt17integral_constantIbLb0EES1D_IbLb1EEEEDaS19_S1A_EUlS19_E_NS1_11comp_targetILNS1_3genE9ELNS1_11target_archE1100ELNS1_3gpuE3ELNS1_3repE0EEENS1_30default_config_static_selectorELNS0_4arch9wavefront6targetE0EEEvT1_.has_dyn_sized_stack, 0
	.set _ZN7rocprim17ROCPRIM_400000_NS6detail17trampoline_kernelINS0_14default_configENS1_25partition_config_selectorILNS1_17partition_subalgoE8EbNS0_10empty_typeEbEEZZNS1_14partition_implILS5_8ELb0ES3_jN6hipcub16HIPCUB_304000_NS22TransformInputIteratorIbN2at6native8internal12_GLOBAL__N_110LoadBoolOpEPKhlEEPS6_PKS6_NS0_5tupleIJPbS6_EEENSN_IJSK_SK_EEENS0_18inequality_wrapperINSA_8EqualityEEEPlJS6_EEE10hipError_tPvRmT3_T4_T5_T6_T7_T9_mT8_P12ihipStream_tbDpT10_ENKUlT_T0_E_clISt17integral_constantIbLb0EES1D_IbLb1EEEEDaS19_S1A_EUlS19_E_NS1_11comp_targetILNS1_3genE9ELNS1_11target_archE1100ELNS1_3gpuE3ELNS1_3repE0EEENS1_30default_config_static_selectorELNS0_4arch9wavefront6targetE0EEEvT1_.has_recursion, 0
	.set _ZN7rocprim17ROCPRIM_400000_NS6detail17trampoline_kernelINS0_14default_configENS1_25partition_config_selectorILNS1_17partition_subalgoE8EbNS0_10empty_typeEbEEZZNS1_14partition_implILS5_8ELb0ES3_jN6hipcub16HIPCUB_304000_NS22TransformInputIteratorIbN2at6native8internal12_GLOBAL__N_110LoadBoolOpEPKhlEEPS6_PKS6_NS0_5tupleIJPbS6_EEENSN_IJSK_SK_EEENS0_18inequality_wrapperINSA_8EqualityEEEPlJS6_EEE10hipError_tPvRmT3_T4_T5_T6_T7_T9_mT8_P12ihipStream_tbDpT10_ENKUlT_T0_E_clISt17integral_constantIbLb0EES1D_IbLb1EEEEDaS19_S1A_EUlS19_E_NS1_11comp_targetILNS1_3genE9ELNS1_11target_archE1100ELNS1_3gpuE3ELNS1_3repE0EEENS1_30default_config_static_selectorELNS0_4arch9wavefront6targetE0EEEvT1_.has_indirect_call, 0
	.section	.AMDGPU.csdata,"",@progbits
; Kernel info:
; codeLenInByte = 0
; TotalNumSgprs: 0
; NumVgprs: 0
; ScratchSize: 0
; MemoryBound: 0
; FloatMode: 240
; IeeeMode: 1
; LDSByteSize: 0 bytes/workgroup (compile time only)
; SGPRBlocks: 0
; VGPRBlocks: 0
; NumSGPRsForWavesPerEU: 1
; NumVGPRsForWavesPerEU: 1
; NamedBarCnt: 0
; Occupancy: 16
; WaveLimiterHint : 0
; COMPUTE_PGM_RSRC2:SCRATCH_EN: 0
; COMPUTE_PGM_RSRC2:USER_SGPR: 2
; COMPUTE_PGM_RSRC2:TRAP_HANDLER: 0
; COMPUTE_PGM_RSRC2:TGID_X_EN: 1
; COMPUTE_PGM_RSRC2:TGID_Y_EN: 0
; COMPUTE_PGM_RSRC2:TGID_Z_EN: 0
; COMPUTE_PGM_RSRC2:TIDIG_COMP_CNT: 0
	.section	.text._ZN7rocprim17ROCPRIM_400000_NS6detail17trampoline_kernelINS0_14default_configENS1_25partition_config_selectorILNS1_17partition_subalgoE8EbNS0_10empty_typeEbEEZZNS1_14partition_implILS5_8ELb0ES3_jN6hipcub16HIPCUB_304000_NS22TransformInputIteratorIbN2at6native8internal12_GLOBAL__N_110LoadBoolOpEPKhlEEPS6_PKS6_NS0_5tupleIJPbS6_EEENSN_IJSK_SK_EEENS0_18inequality_wrapperINSA_8EqualityEEEPlJS6_EEE10hipError_tPvRmT3_T4_T5_T6_T7_T9_mT8_P12ihipStream_tbDpT10_ENKUlT_T0_E_clISt17integral_constantIbLb0EES1D_IbLb1EEEEDaS19_S1A_EUlS19_E_NS1_11comp_targetILNS1_3genE8ELNS1_11target_archE1030ELNS1_3gpuE2ELNS1_3repE0EEENS1_30default_config_static_selectorELNS0_4arch9wavefront6targetE0EEEvT1_,"axG",@progbits,_ZN7rocprim17ROCPRIM_400000_NS6detail17trampoline_kernelINS0_14default_configENS1_25partition_config_selectorILNS1_17partition_subalgoE8EbNS0_10empty_typeEbEEZZNS1_14partition_implILS5_8ELb0ES3_jN6hipcub16HIPCUB_304000_NS22TransformInputIteratorIbN2at6native8internal12_GLOBAL__N_110LoadBoolOpEPKhlEEPS6_PKS6_NS0_5tupleIJPbS6_EEENSN_IJSK_SK_EEENS0_18inequality_wrapperINSA_8EqualityEEEPlJS6_EEE10hipError_tPvRmT3_T4_T5_T6_T7_T9_mT8_P12ihipStream_tbDpT10_ENKUlT_T0_E_clISt17integral_constantIbLb0EES1D_IbLb1EEEEDaS19_S1A_EUlS19_E_NS1_11comp_targetILNS1_3genE8ELNS1_11target_archE1030ELNS1_3gpuE2ELNS1_3repE0EEENS1_30default_config_static_selectorELNS0_4arch9wavefront6targetE0EEEvT1_,comdat
	.globl	_ZN7rocprim17ROCPRIM_400000_NS6detail17trampoline_kernelINS0_14default_configENS1_25partition_config_selectorILNS1_17partition_subalgoE8EbNS0_10empty_typeEbEEZZNS1_14partition_implILS5_8ELb0ES3_jN6hipcub16HIPCUB_304000_NS22TransformInputIteratorIbN2at6native8internal12_GLOBAL__N_110LoadBoolOpEPKhlEEPS6_PKS6_NS0_5tupleIJPbS6_EEENSN_IJSK_SK_EEENS0_18inequality_wrapperINSA_8EqualityEEEPlJS6_EEE10hipError_tPvRmT3_T4_T5_T6_T7_T9_mT8_P12ihipStream_tbDpT10_ENKUlT_T0_E_clISt17integral_constantIbLb0EES1D_IbLb1EEEEDaS19_S1A_EUlS19_E_NS1_11comp_targetILNS1_3genE8ELNS1_11target_archE1030ELNS1_3gpuE2ELNS1_3repE0EEENS1_30default_config_static_selectorELNS0_4arch9wavefront6targetE0EEEvT1_ ; -- Begin function _ZN7rocprim17ROCPRIM_400000_NS6detail17trampoline_kernelINS0_14default_configENS1_25partition_config_selectorILNS1_17partition_subalgoE8EbNS0_10empty_typeEbEEZZNS1_14partition_implILS5_8ELb0ES3_jN6hipcub16HIPCUB_304000_NS22TransformInputIteratorIbN2at6native8internal12_GLOBAL__N_110LoadBoolOpEPKhlEEPS6_PKS6_NS0_5tupleIJPbS6_EEENSN_IJSK_SK_EEENS0_18inequality_wrapperINSA_8EqualityEEEPlJS6_EEE10hipError_tPvRmT3_T4_T5_T6_T7_T9_mT8_P12ihipStream_tbDpT10_ENKUlT_T0_E_clISt17integral_constantIbLb0EES1D_IbLb1EEEEDaS19_S1A_EUlS19_E_NS1_11comp_targetILNS1_3genE8ELNS1_11target_archE1030ELNS1_3gpuE2ELNS1_3repE0EEENS1_30default_config_static_selectorELNS0_4arch9wavefront6targetE0EEEvT1_
	.p2align	8
	.type	_ZN7rocprim17ROCPRIM_400000_NS6detail17trampoline_kernelINS0_14default_configENS1_25partition_config_selectorILNS1_17partition_subalgoE8EbNS0_10empty_typeEbEEZZNS1_14partition_implILS5_8ELb0ES3_jN6hipcub16HIPCUB_304000_NS22TransformInputIteratorIbN2at6native8internal12_GLOBAL__N_110LoadBoolOpEPKhlEEPS6_PKS6_NS0_5tupleIJPbS6_EEENSN_IJSK_SK_EEENS0_18inequality_wrapperINSA_8EqualityEEEPlJS6_EEE10hipError_tPvRmT3_T4_T5_T6_T7_T9_mT8_P12ihipStream_tbDpT10_ENKUlT_T0_E_clISt17integral_constantIbLb0EES1D_IbLb1EEEEDaS19_S1A_EUlS19_E_NS1_11comp_targetILNS1_3genE8ELNS1_11target_archE1030ELNS1_3gpuE2ELNS1_3repE0EEENS1_30default_config_static_selectorELNS0_4arch9wavefront6targetE0EEEvT1_,@function
_ZN7rocprim17ROCPRIM_400000_NS6detail17trampoline_kernelINS0_14default_configENS1_25partition_config_selectorILNS1_17partition_subalgoE8EbNS0_10empty_typeEbEEZZNS1_14partition_implILS5_8ELb0ES3_jN6hipcub16HIPCUB_304000_NS22TransformInputIteratorIbN2at6native8internal12_GLOBAL__N_110LoadBoolOpEPKhlEEPS6_PKS6_NS0_5tupleIJPbS6_EEENSN_IJSK_SK_EEENS0_18inequality_wrapperINSA_8EqualityEEEPlJS6_EEE10hipError_tPvRmT3_T4_T5_T6_T7_T9_mT8_P12ihipStream_tbDpT10_ENKUlT_T0_E_clISt17integral_constantIbLb0EES1D_IbLb1EEEEDaS19_S1A_EUlS19_E_NS1_11comp_targetILNS1_3genE8ELNS1_11target_archE1030ELNS1_3gpuE2ELNS1_3repE0EEENS1_30default_config_static_selectorELNS0_4arch9wavefront6targetE0EEEvT1_: ; @_ZN7rocprim17ROCPRIM_400000_NS6detail17trampoline_kernelINS0_14default_configENS1_25partition_config_selectorILNS1_17partition_subalgoE8EbNS0_10empty_typeEbEEZZNS1_14partition_implILS5_8ELb0ES3_jN6hipcub16HIPCUB_304000_NS22TransformInputIteratorIbN2at6native8internal12_GLOBAL__N_110LoadBoolOpEPKhlEEPS6_PKS6_NS0_5tupleIJPbS6_EEENSN_IJSK_SK_EEENS0_18inequality_wrapperINSA_8EqualityEEEPlJS6_EEE10hipError_tPvRmT3_T4_T5_T6_T7_T9_mT8_P12ihipStream_tbDpT10_ENKUlT_T0_E_clISt17integral_constantIbLb0EES1D_IbLb1EEEEDaS19_S1A_EUlS19_E_NS1_11comp_targetILNS1_3genE8ELNS1_11target_archE1030ELNS1_3gpuE2ELNS1_3repE0EEENS1_30default_config_static_selectorELNS0_4arch9wavefront6targetE0EEEvT1_
; %bb.0:
	.section	.rodata,"a",@progbits
	.p2align	6, 0x0
	.amdhsa_kernel _ZN7rocprim17ROCPRIM_400000_NS6detail17trampoline_kernelINS0_14default_configENS1_25partition_config_selectorILNS1_17partition_subalgoE8EbNS0_10empty_typeEbEEZZNS1_14partition_implILS5_8ELb0ES3_jN6hipcub16HIPCUB_304000_NS22TransformInputIteratorIbN2at6native8internal12_GLOBAL__N_110LoadBoolOpEPKhlEEPS6_PKS6_NS0_5tupleIJPbS6_EEENSN_IJSK_SK_EEENS0_18inequality_wrapperINSA_8EqualityEEEPlJS6_EEE10hipError_tPvRmT3_T4_T5_T6_T7_T9_mT8_P12ihipStream_tbDpT10_ENKUlT_T0_E_clISt17integral_constantIbLb0EES1D_IbLb1EEEEDaS19_S1A_EUlS19_E_NS1_11comp_targetILNS1_3genE8ELNS1_11target_archE1030ELNS1_3gpuE2ELNS1_3repE0EEENS1_30default_config_static_selectorELNS0_4arch9wavefront6targetE0EEEvT1_
		.amdhsa_group_segment_fixed_size 0
		.amdhsa_private_segment_fixed_size 0
		.amdhsa_kernarg_size 136
		.amdhsa_user_sgpr_count 2
		.amdhsa_user_sgpr_dispatch_ptr 0
		.amdhsa_user_sgpr_queue_ptr 0
		.amdhsa_user_sgpr_kernarg_segment_ptr 1
		.amdhsa_user_sgpr_dispatch_id 0
		.amdhsa_user_sgpr_kernarg_preload_length 0
		.amdhsa_user_sgpr_kernarg_preload_offset 0
		.amdhsa_user_sgpr_private_segment_size 0
		.amdhsa_wavefront_size32 1
		.amdhsa_uses_dynamic_stack 0
		.amdhsa_enable_private_segment 0
		.amdhsa_system_sgpr_workgroup_id_x 1
		.amdhsa_system_sgpr_workgroup_id_y 0
		.amdhsa_system_sgpr_workgroup_id_z 0
		.amdhsa_system_sgpr_workgroup_info 0
		.amdhsa_system_vgpr_workitem_id 0
		.amdhsa_next_free_vgpr 1
		.amdhsa_next_free_sgpr 1
		.amdhsa_named_barrier_count 0
		.amdhsa_reserve_vcc 0
		.amdhsa_float_round_mode_32 0
		.amdhsa_float_round_mode_16_64 0
		.amdhsa_float_denorm_mode_32 3
		.amdhsa_float_denorm_mode_16_64 3
		.amdhsa_fp16_overflow 0
		.amdhsa_memory_ordered 1
		.amdhsa_forward_progress 1
		.amdhsa_inst_pref_size 0
		.amdhsa_round_robin_scheduling 0
		.amdhsa_exception_fp_ieee_invalid_op 0
		.amdhsa_exception_fp_denorm_src 0
		.amdhsa_exception_fp_ieee_div_zero 0
		.amdhsa_exception_fp_ieee_overflow 0
		.amdhsa_exception_fp_ieee_underflow 0
		.amdhsa_exception_fp_ieee_inexact 0
		.amdhsa_exception_int_div_zero 0
	.end_amdhsa_kernel
	.section	.text._ZN7rocprim17ROCPRIM_400000_NS6detail17trampoline_kernelINS0_14default_configENS1_25partition_config_selectorILNS1_17partition_subalgoE8EbNS0_10empty_typeEbEEZZNS1_14partition_implILS5_8ELb0ES3_jN6hipcub16HIPCUB_304000_NS22TransformInputIteratorIbN2at6native8internal12_GLOBAL__N_110LoadBoolOpEPKhlEEPS6_PKS6_NS0_5tupleIJPbS6_EEENSN_IJSK_SK_EEENS0_18inequality_wrapperINSA_8EqualityEEEPlJS6_EEE10hipError_tPvRmT3_T4_T5_T6_T7_T9_mT8_P12ihipStream_tbDpT10_ENKUlT_T0_E_clISt17integral_constantIbLb0EES1D_IbLb1EEEEDaS19_S1A_EUlS19_E_NS1_11comp_targetILNS1_3genE8ELNS1_11target_archE1030ELNS1_3gpuE2ELNS1_3repE0EEENS1_30default_config_static_selectorELNS0_4arch9wavefront6targetE0EEEvT1_,"axG",@progbits,_ZN7rocprim17ROCPRIM_400000_NS6detail17trampoline_kernelINS0_14default_configENS1_25partition_config_selectorILNS1_17partition_subalgoE8EbNS0_10empty_typeEbEEZZNS1_14partition_implILS5_8ELb0ES3_jN6hipcub16HIPCUB_304000_NS22TransformInputIteratorIbN2at6native8internal12_GLOBAL__N_110LoadBoolOpEPKhlEEPS6_PKS6_NS0_5tupleIJPbS6_EEENSN_IJSK_SK_EEENS0_18inequality_wrapperINSA_8EqualityEEEPlJS6_EEE10hipError_tPvRmT3_T4_T5_T6_T7_T9_mT8_P12ihipStream_tbDpT10_ENKUlT_T0_E_clISt17integral_constantIbLb0EES1D_IbLb1EEEEDaS19_S1A_EUlS19_E_NS1_11comp_targetILNS1_3genE8ELNS1_11target_archE1030ELNS1_3gpuE2ELNS1_3repE0EEENS1_30default_config_static_selectorELNS0_4arch9wavefront6targetE0EEEvT1_,comdat
.Lfunc_end47:
	.size	_ZN7rocprim17ROCPRIM_400000_NS6detail17trampoline_kernelINS0_14default_configENS1_25partition_config_selectorILNS1_17partition_subalgoE8EbNS0_10empty_typeEbEEZZNS1_14partition_implILS5_8ELb0ES3_jN6hipcub16HIPCUB_304000_NS22TransformInputIteratorIbN2at6native8internal12_GLOBAL__N_110LoadBoolOpEPKhlEEPS6_PKS6_NS0_5tupleIJPbS6_EEENSN_IJSK_SK_EEENS0_18inequality_wrapperINSA_8EqualityEEEPlJS6_EEE10hipError_tPvRmT3_T4_T5_T6_T7_T9_mT8_P12ihipStream_tbDpT10_ENKUlT_T0_E_clISt17integral_constantIbLb0EES1D_IbLb1EEEEDaS19_S1A_EUlS19_E_NS1_11comp_targetILNS1_3genE8ELNS1_11target_archE1030ELNS1_3gpuE2ELNS1_3repE0EEENS1_30default_config_static_selectorELNS0_4arch9wavefront6targetE0EEEvT1_, .Lfunc_end47-_ZN7rocprim17ROCPRIM_400000_NS6detail17trampoline_kernelINS0_14default_configENS1_25partition_config_selectorILNS1_17partition_subalgoE8EbNS0_10empty_typeEbEEZZNS1_14partition_implILS5_8ELb0ES3_jN6hipcub16HIPCUB_304000_NS22TransformInputIteratorIbN2at6native8internal12_GLOBAL__N_110LoadBoolOpEPKhlEEPS6_PKS6_NS0_5tupleIJPbS6_EEENSN_IJSK_SK_EEENS0_18inequality_wrapperINSA_8EqualityEEEPlJS6_EEE10hipError_tPvRmT3_T4_T5_T6_T7_T9_mT8_P12ihipStream_tbDpT10_ENKUlT_T0_E_clISt17integral_constantIbLb0EES1D_IbLb1EEEEDaS19_S1A_EUlS19_E_NS1_11comp_targetILNS1_3genE8ELNS1_11target_archE1030ELNS1_3gpuE2ELNS1_3repE0EEENS1_30default_config_static_selectorELNS0_4arch9wavefront6targetE0EEEvT1_
                                        ; -- End function
	.set _ZN7rocprim17ROCPRIM_400000_NS6detail17trampoline_kernelINS0_14default_configENS1_25partition_config_selectorILNS1_17partition_subalgoE8EbNS0_10empty_typeEbEEZZNS1_14partition_implILS5_8ELb0ES3_jN6hipcub16HIPCUB_304000_NS22TransformInputIteratorIbN2at6native8internal12_GLOBAL__N_110LoadBoolOpEPKhlEEPS6_PKS6_NS0_5tupleIJPbS6_EEENSN_IJSK_SK_EEENS0_18inequality_wrapperINSA_8EqualityEEEPlJS6_EEE10hipError_tPvRmT3_T4_T5_T6_T7_T9_mT8_P12ihipStream_tbDpT10_ENKUlT_T0_E_clISt17integral_constantIbLb0EES1D_IbLb1EEEEDaS19_S1A_EUlS19_E_NS1_11comp_targetILNS1_3genE8ELNS1_11target_archE1030ELNS1_3gpuE2ELNS1_3repE0EEENS1_30default_config_static_selectorELNS0_4arch9wavefront6targetE0EEEvT1_.num_vgpr, 0
	.set _ZN7rocprim17ROCPRIM_400000_NS6detail17trampoline_kernelINS0_14default_configENS1_25partition_config_selectorILNS1_17partition_subalgoE8EbNS0_10empty_typeEbEEZZNS1_14partition_implILS5_8ELb0ES3_jN6hipcub16HIPCUB_304000_NS22TransformInputIteratorIbN2at6native8internal12_GLOBAL__N_110LoadBoolOpEPKhlEEPS6_PKS6_NS0_5tupleIJPbS6_EEENSN_IJSK_SK_EEENS0_18inequality_wrapperINSA_8EqualityEEEPlJS6_EEE10hipError_tPvRmT3_T4_T5_T6_T7_T9_mT8_P12ihipStream_tbDpT10_ENKUlT_T0_E_clISt17integral_constantIbLb0EES1D_IbLb1EEEEDaS19_S1A_EUlS19_E_NS1_11comp_targetILNS1_3genE8ELNS1_11target_archE1030ELNS1_3gpuE2ELNS1_3repE0EEENS1_30default_config_static_selectorELNS0_4arch9wavefront6targetE0EEEvT1_.num_agpr, 0
	.set _ZN7rocprim17ROCPRIM_400000_NS6detail17trampoline_kernelINS0_14default_configENS1_25partition_config_selectorILNS1_17partition_subalgoE8EbNS0_10empty_typeEbEEZZNS1_14partition_implILS5_8ELb0ES3_jN6hipcub16HIPCUB_304000_NS22TransformInputIteratorIbN2at6native8internal12_GLOBAL__N_110LoadBoolOpEPKhlEEPS6_PKS6_NS0_5tupleIJPbS6_EEENSN_IJSK_SK_EEENS0_18inequality_wrapperINSA_8EqualityEEEPlJS6_EEE10hipError_tPvRmT3_T4_T5_T6_T7_T9_mT8_P12ihipStream_tbDpT10_ENKUlT_T0_E_clISt17integral_constantIbLb0EES1D_IbLb1EEEEDaS19_S1A_EUlS19_E_NS1_11comp_targetILNS1_3genE8ELNS1_11target_archE1030ELNS1_3gpuE2ELNS1_3repE0EEENS1_30default_config_static_selectorELNS0_4arch9wavefront6targetE0EEEvT1_.numbered_sgpr, 0
	.set _ZN7rocprim17ROCPRIM_400000_NS6detail17trampoline_kernelINS0_14default_configENS1_25partition_config_selectorILNS1_17partition_subalgoE8EbNS0_10empty_typeEbEEZZNS1_14partition_implILS5_8ELb0ES3_jN6hipcub16HIPCUB_304000_NS22TransformInputIteratorIbN2at6native8internal12_GLOBAL__N_110LoadBoolOpEPKhlEEPS6_PKS6_NS0_5tupleIJPbS6_EEENSN_IJSK_SK_EEENS0_18inequality_wrapperINSA_8EqualityEEEPlJS6_EEE10hipError_tPvRmT3_T4_T5_T6_T7_T9_mT8_P12ihipStream_tbDpT10_ENKUlT_T0_E_clISt17integral_constantIbLb0EES1D_IbLb1EEEEDaS19_S1A_EUlS19_E_NS1_11comp_targetILNS1_3genE8ELNS1_11target_archE1030ELNS1_3gpuE2ELNS1_3repE0EEENS1_30default_config_static_selectorELNS0_4arch9wavefront6targetE0EEEvT1_.num_named_barrier, 0
	.set _ZN7rocprim17ROCPRIM_400000_NS6detail17trampoline_kernelINS0_14default_configENS1_25partition_config_selectorILNS1_17partition_subalgoE8EbNS0_10empty_typeEbEEZZNS1_14partition_implILS5_8ELb0ES3_jN6hipcub16HIPCUB_304000_NS22TransformInputIteratorIbN2at6native8internal12_GLOBAL__N_110LoadBoolOpEPKhlEEPS6_PKS6_NS0_5tupleIJPbS6_EEENSN_IJSK_SK_EEENS0_18inequality_wrapperINSA_8EqualityEEEPlJS6_EEE10hipError_tPvRmT3_T4_T5_T6_T7_T9_mT8_P12ihipStream_tbDpT10_ENKUlT_T0_E_clISt17integral_constantIbLb0EES1D_IbLb1EEEEDaS19_S1A_EUlS19_E_NS1_11comp_targetILNS1_3genE8ELNS1_11target_archE1030ELNS1_3gpuE2ELNS1_3repE0EEENS1_30default_config_static_selectorELNS0_4arch9wavefront6targetE0EEEvT1_.private_seg_size, 0
	.set _ZN7rocprim17ROCPRIM_400000_NS6detail17trampoline_kernelINS0_14default_configENS1_25partition_config_selectorILNS1_17partition_subalgoE8EbNS0_10empty_typeEbEEZZNS1_14partition_implILS5_8ELb0ES3_jN6hipcub16HIPCUB_304000_NS22TransformInputIteratorIbN2at6native8internal12_GLOBAL__N_110LoadBoolOpEPKhlEEPS6_PKS6_NS0_5tupleIJPbS6_EEENSN_IJSK_SK_EEENS0_18inequality_wrapperINSA_8EqualityEEEPlJS6_EEE10hipError_tPvRmT3_T4_T5_T6_T7_T9_mT8_P12ihipStream_tbDpT10_ENKUlT_T0_E_clISt17integral_constantIbLb0EES1D_IbLb1EEEEDaS19_S1A_EUlS19_E_NS1_11comp_targetILNS1_3genE8ELNS1_11target_archE1030ELNS1_3gpuE2ELNS1_3repE0EEENS1_30default_config_static_selectorELNS0_4arch9wavefront6targetE0EEEvT1_.uses_vcc, 0
	.set _ZN7rocprim17ROCPRIM_400000_NS6detail17trampoline_kernelINS0_14default_configENS1_25partition_config_selectorILNS1_17partition_subalgoE8EbNS0_10empty_typeEbEEZZNS1_14partition_implILS5_8ELb0ES3_jN6hipcub16HIPCUB_304000_NS22TransformInputIteratorIbN2at6native8internal12_GLOBAL__N_110LoadBoolOpEPKhlEEPS6_PKS6_NS0_5tupleIJPbS6_EEENSN_IJSK_SK_EEENS0_18inequality_wrapperINSA_8EqualityEEEPlJS6_EEE10hipError_tPvRmT3_T4_T5_T6_T7_T9_mT8_P12ihipStream_tbDpT10_ENKUlT_T0_E_clISt17integral_constantIbLb0EES1D_IbLb1EEEEDaS19_S1A_EUlS19_E_NS1_11comp_targetILNS1_3genE8ELNS1_11target_archE1030ELNS1_3gpuE2ELNS1_3repE0EEENS1_30default_config_static_selectorELNS0_4arch9wavefront6targetE0EEEvT1_.uses_flat_scratch, 0
	.set _ZN7rocprim17ROCPRIM_400000_NS6detail17trampoline_kernelINS0_14default_configENS1_25partition_config_selectorILNS1_17partition_subalgoE8EbNS0_10empty_typeEbEEZZNS1_14partition_implILS5_8ELb0ES3_jN6hipcub16HIPCUB_304000_NS22TransformInputIteratorIbN2at6native8internal12_GLOBAL__N_110LoadBoolOpEPKhlEEPS6_PKS6_NS0_5tupleIJPbS6_EEENSN_IJSK_SK_EEENS0_18inequality_wrapperINSA_8EqualityEEEPlJS6_EEE10hipError_tPvRmT3_T4_T5_T6_T7_T9_mT8_P12ihipStream_tbDpT10_ENKUlT_T0_E_clISt17integral_constantIbLb0EES1D_IbLb1EEEEDaS19_S1A_EUlS19_E_NS1_11comp_targetILNS1_3genE8ELNS1_11target_archE1030ELNS1_3gpuE2ELNS1_3repE0EEENS1_30default_config_static_selectorELNS0_4arch9wavefront6targetE0EEEvT1_.has_dyn_sized_stack, 0
	.set _ZN7rocprim17ROCPRIM_400000_NS6detail17trampoline_kernelINS0_14default_configENS1_25partition_config_selectorILNS1_17partition_subalgoE8EbNS0_10empty_typeEbEEZZNS1_14partition_implILS5_8ELb0ES3_jN6hipcub16HIPCUB_304000_NS22TransformInputIteratorIbN2at6native8internal12_GLOBAL__N_110LoadBoolOpEPKhlEEPS6_PKS6_NS0_5tupleIJPbS6_EEENSN_IJSK_SK_EEENS0_18inequality_wrapperINSA_8EqualityEEEPlJS6_EEE10hipError_tPvRmT3_T4_T5_T6_T7_T9_mT8_P12ihipStream_tbDpT10_ENKUlT_T0_E_clISt17integral_constantIbLb0EES1D_IbLb1EEEEDaS19_S1A_EUlS19_E_NS1_11comp_targetILNS1_3genE8ELNS1_11target_archE1030ELNS1_3gpuE2ELNS1_3repE0EEENS1_30default_config_static_selectorELNS0_4arch9wavefront6targetE0EEEvT1_.has_recursion, 0
	.set _ZN7rocprim17ROCPRIM_400000_NS6detail17trampoline_kernelINS0_14default_configENS1_25partition_config_selectorILNS1_17partition_subalgoE8EbNS0_10empty_typeEbEEZZNS1_14partition_implILS5_8ELb0ES3_jN6hipcub16HIPCUB_304000_NS22TransformInputIteratorIbN2at6native8internal12_GLOBAL__N_110LoadBoolOpEPKhlEEPS6_PKS6_NS0_5tupleIJPbS6_EEENSN_IJSK_SK_EEENS0_18inequality_wrapperINSA_8EqualityEEEPlJS6_EEE10hipError_tPvRmT3_T4_T5_T6_T7_T9_mT8_P12ihipStream_tbDpT10_ENKUlT_T0_E_clISt17integral_constantIbLb0EES1D_IbLb1EEEEDaS19_S1A_EUlS19_E_NS1_11comp_targetILNS1_3genE8ELNS1_11target_archE1030ELNS1_3gpuE2ELNS1_3repE0EEENS1_30default_config_static_selectorELNS0_4arch9wavefront6targetE0EEEvT1_.has_indirect_call, 0
	.section	.AMDGPU.csdata,"",@progbits
; Kernel info:
; codeLenInByte = 0
; TotalNumSgprs: 0
; NumVgprs: 0
; ScratchSize: 0
; MemoryBound: 0
; FloatMode: 240
; IeeeMode: 1
; LDSByteSize: 0 bytes/workgroup (compile time only)
; SGPRBlocks: 0
; VGPRBlocks: 0
; NumSGPRsForWavesPerEU: 1
; NumVGPRsForWavesPerEU: 1
; NamedBarCnt: 0
; Occupancy: 16
; WaveLimiterHint : 0
; COMPUTE_PGM_RSRC2:SCRATCH_EN: 0
; COMPUTE_PGM_RSRC2:USER_SGPR: 2
; COMPUTE_PGM_RSRC2:TRAP_HANDLER: 0
; COMPUTE_PGM_RSRC2:TGID_X_EN: 1
; COMPUTE_PGM_RSRC2:TGID_Y_EN: 0
; COMPUTE_PGM_RSRC2:TGID_Z_EN: 0
; COMPUTE_PGM_RSRC2:TIDIG_COMP_CNT: 0
	.section	.text._ZN7rocprim17ROCPRIM_400000_NS6detail17trampoline_kernelINS0_14default_configENS1_25transform_config_selectorImLb0EEEZNS1_14transform_implILb0ES3_S5_NS0_17constant_iteratorImlEEPlNS0_8identityImEEEE10hipError_tT2_T3_mT4_P12ihipStream_tbEUlT_E_NS1_11comp_targetILNS1_3genE0ELNS1_11target_archE4294967295ELNS1_3gpuE0ELNS1_3repE0EEENS1_30default_config_static_selectorELNS0_4arch9wavefront6targetE0EEEvT1_,"axG",@progbits,_ZN7rocprim17ROCPRIM_400000_NS6detail17trampoline_kernelINS0_14default_configENS1_25transform_config_selectorImLb0EEEZNS1_14transform_implILb0ES3_S5_NS0_17constant_iteratorImlEEPlNS0_8identityImEEEE10hipError_tT2_T3_mT4_P12ihipStream_tbEUlT_E_NS1_11comp_targetILNS1_3genE0ELNS1_11target_archE4294967295ELNS1_3gpuE0ELNS1_3repE0EEENS1_30default_config_static_selectorELNS0_4arch9wavefront6targetE0EEEvT1_,comdat
	.protected	_ZN7rocprim17ROCPRIM_400000_NS6detail17trampoline_kernelINS0_14default_configENS1_25transform_config_selectorImLb0EEEZNS1_14transform_implILb0ES3_S5_NS0_17constant_iteratorImlEEPlNS0_8identityImEEEE10hipError_tT2_T3_mT4_P12ihipStream_tbEUlT_E_NS1_11comp_targetILNS1_3genE0ELNS1_11target_archE4294967295ELNS1_3gpuE0ELNS1_3repE0EEENS1_30default_config_static_selectorELNS0_4arch9wavefront6targetE0EEEvT1_ ; -- Begin function _ZN7rocprim17ROCPRIM_400000_NS6detail17trampoline_kernelINS0_14default_configENS1_25transform_config_selectorImLb0EEEZNS1_14transform_implILb0ES3_S5_NS0_17constant_iteratorImlEEPlNS0_8identityImEEEE10hipError_tT2_T3_mT4_P12ihipStream_tbEUlT_E_NS1_11comp_targetILNS1_3genE0ELNS1_11target_archE4294967295ELNS1_3gpuE0ELNS1_3repE0EEENS1_30default_config_static_selectorELNS0_4arch9wavefront6targetE0EEEvT1_
	.globl	_ZN7rocprim17ROCPRIM_400000_NS6detail17trampoline_kernelINS0_14default_configENS1_25transform_config_selectorImLb0EEEZNS1_14transform_implILb0ES3_S5_NS0_17constant_iteratorImlEEPlNS0_8identityImEEEE10hipError_tT2_T3_mT4_P12ihipStream_tbEUlT_E_NS1_11comp_targetILNS1_3genE0ELNS1_11target_archE4294967295ELNS1_3gpuE0ELNS1_3repE0EEENS1_30default_config_static_selectorELNS0_4arch9wavefront6targetE0EEEvT1_
	.p2align	8
	.type	_ZN7rocprim17ROCPRIM_400000_NS6detail17trampoline_kernelINS0_14default_configENS1_25transform_config_selectorImLb0EEEZNS1_14transform_implILb0ES3_S5_NS0_17constant_iteratorImlEEPlNS0_8identityImEEEE10hipError_tT2_T3_mT4_P12ihipStream_tbEUlT_E_NS1_11comp_targetILNS1_3genE0ELNS1_11target_archE4294967295ELNS1_3gpuE0ELNS1_3repE0EEENS1_30default_config_static_selectorELNS0_4arch9wavefront6targetE0EEEvT1_,@function
_ZN7rocprim17ROCPRIM_400000_NS6detail17trampoline_kernelINS0_14default_configENS1_25transform_config_selectorImLb0EEEZNS1_14transform_implILb0ES3_S5_NS0_17constant_iteratorImlEEPlNS0_8identityImEEEE10hipError_tT2_T3_mT4_P12ihipStream_tbEUlT_E_NS1_11comp_targetILNS1_3genE0ELNS1_11target_archE4294967295ELNS1_3gpuE0ELNS1_3repE0EEENS1_30default_config_static_selectorELNS0_4arch9wavefront6targetE0EEEvT1_: ; @_ZN7rocprim17ROCPRIM_400000_NS6detail17trampoline_kernelINS0_14default_configENS1_25transform_config_selectorImLb0EEEZNS1_14transform_implILb0ES3_S5_NS0_17constant_iteratorImlEEPlNS0_8identityImEEEE10hipError_tT2_T3_mT4_P12ihipStream_tbEUlT_E_NS1_11comp_targetILNS1_3genE0ELNS1_11target_archE4294967295ELNS1_3gpuE0ELNS1_3repE0EEENS1_30default_config_static_selectorELNS0_4arch9wavefront6targetE0EEEvT1_
; %bb.0:
	s_clause 0x1
	s_load_b32 s2, s[0:1], 0x30
	s_load_b32 s3, s[0:1], 0x18
	s_bfe_u32 s4, ttmp6, 0x4000c
	s_and_b32 s5, ttmp6, 15
	s_add_co_i32 s4, s4, 1
	s_getreg_b32 s6, hwreg(HW_REG_IB_STS2, 6, 4)
	s_mul_i32 s4, ttmp9, s4
	s_delay_alu instid0(SALU_CYCLE_1)
	s_add_co_i32 s5, s5, s4
	s_cmp_eq_u32 s6, 0
	s_cselect_b32 s4, ttmp9, s5
	s_wait_kmcnt 0x0
	s_add_co_i32 s5, s2, -1
	s_lshl_b32 s2, s4, 7
	s_cmp_lg_u32 s4, s5
	s_cselect_b32 s4, -1, 0
	s_sub_co_i32 s3, s3, s2
	s_delay_alu instid0(SALU_CYCLE_1) | instskip(SKIP_2) | instid1(SALU_CYCLE_1)
	v_cmp_gt_u32_e32 vcc_lo, s3, v0
	s_mov_b32 s3, 0
	s_or_b32 s4, vcc_lo, s4
	s_and_saveexec_b32 s5, s4
	s_cbranch_execz .LBB48_2
; %bb.1:
	s_clause 0x2
	s_load_b64 s[4:5], s[0:1], 0x10
	s_load_b64 s[6:7], s[0:1], 0x0
	;; [unrolled: 1-line block ×3, first 2 shown]
	s_lshl_b64 s[2:3], s[2:3], 3
	s_wait_kmcnt 0x0
	s_lshl_b64 s[0:1], s[4:5], 3
	v_mov_b64_e32 v[2:3], s[6:7]
	s_add_nc_u64 s[0:1], s[8:9], s[0:1]
	s_delay_alu instid0(SALU_CYCLE_1)
	s_add_nc_u64 s[0:1], s[0:1], s[2:3]
	global_store_b64 v0, v[2:3], s[0:1] scale_offset
.LBB48_2:
	s_endpgm
	.section	.rodata,"a",@progbits
	.p2align	6, 0x0
	.amdhsa_kernel _ZN7rocprim17ROCPRIM_400000_NS6detail17trampoline_kernelINS0_14default_configENS1_25transform_config_selectorImLb0EEEZNS1_14transform_implILb0ES3_S5_NS0_17constant_iteratorImlEEPlNS0_8identityImEEEE10hipError_tT2_T3_mT4_P12ihipStream_tbEUlT_E_NS1_11comp_targetILNS1_3genE0ELNS1_11target_archE4294967295ELNS1_3gpuE0ELNS1_3repE0EEENS1_30default_config_static_selectorELNS0_4arch9wavefront6targetE0EEEvT1_
		.amdhsa_group_segment_fixed_size 0
		.amdhsa_private_segment_fixed_size 0
		.amdhsa_kernarg_size 304
		.amdhsa_user_sgpr_count 2
		.amdhsa_user_sgpr_dispatch_ptr 0
		.amdhsa_user_sgpr_queue_ptr 0
		.amdhsa_user_sgpr_kernarg_segment_ptr 1
		.amdhsa_user_sgpr_dispatch_id 0
		.amdhsa_user_sgpr_kernarg_preload_length 0
		.amdhsa_user_sgpr_kernarg_preload_offset 0
		.amdhsa_user_sgpr_private_segment_size 0
		.amdhsa_wavefront_size32 1
		.amdhsa_uses_dynamic_stack 0
		.amdhsa_enable_private_segment 0
		.amdhsa_system_sgpr_workgroup_id_x 1
		.amdhsa_system_sgpr_workgroup_id_y 0
		.amdhsa_system_sgpr_workgroup_id_z 0
		.amdhsa_system_sgpr_workgroup_info 0
		.amdhsa_system_vgpr_workitem_id 0
		.amdhsa_next_free_vgpr 4
		.amdhsa_next_free_sgpr 10
		.amdhsa_named_barrier_count 0
		.amdhsa_reserve_vcc 1
		.amdhsa_float_round_mode_32 0
		.amdhsa_float_round_mode_16_64 0
		.amdhsa_float_denorm_mode_32 3
		.amdhsa_float_denorm_mode_16_64 3
		.amdhsa_fp16_overflow 0
		.amdhsa_memory_ordered 1
		.amdhsa_forward_progress 1
		.amdhsa_inst_pref_size 2
		.amdhsa_round_robin_scheduling 0
		.amdhsa_exception_fp_ieee_invalid_op 0
		.amdhsa_exception_fp_denorm_src 0
		.amdhsa_exception_fp_ieee_div_zero 0
		.amdhsa_exception_fp_ieee_overflow 0
		.amdhsa_exception_fp_ieee_underflow 0
		.amdhsa_exception_fp_ieee_inexact 0
		.amdhsa_exception_int_div_zero 0
	.end_amdhsa_kernel
	.section	.text._ZN7rocprim17ROCPRIM_400000_NS6detail17trampoline_kernelINS0_14default_configENS1_25transform_config_selectorImLb0EEEZNS1_14transform_implILb0ES3_S5_NS0_17constant_iteratorImlEEPlNS0_8identityImEEEE10hipError_tT2_T3_mT4_P12ihipStream_tbEUlT_E_NS1_11comp_targetILNS1_3genE0ELNS1_11target_archE4294967295ELNS1_3gpuE0ELNS1_3repE0EEENS1_30default_config_static_selectorELNS0_4arch9wavefront6targetE0EEEvT1_,"axG",@progbits,_ZN7rocprim17ROCPRIM_400000_NS6detail17trampoline_kernelINS0_14default_configENS1_25transform_config_selectorImLb0EEEZNS1_14transform_implILb0ES3_S5_NS0_17constant_iteratorImlEEPlNS0_8identityImEEEE10hipError_tT2_T3_mT4_P12ihipStream_tbEUlT_E_NS1_11comp_targetILNS1_3genE0ELNS1_11target_archE4294967295ELNS1_3gpuE0ELNS1_3repE0EEENS1_30default_config_static_selectorELNS0_4arch9wavefront6targetE0EEEvT1_,comdat
.Lfunc_end48:
	.size	_ZN7rocprim17ROCPRIM_400000_NS6detail17trampoline_kernelINS0_14default_configENS1_25transform_config_selectorImLb0EEEZNS1_14transform_implILb0ES3_S5_NS0_17constant_iteratorImlEEPlNS0_8identityImEEEE10hipError_tT2_T3_mT4_P12ihipStream_tbEUlT_E_NS1_11comp_targetILNS1_3genE0ELNS1_11target_archE4294967295ELNS1_3gpuE0ELNS1_3repE0EEENS1_30default_config_static_selectorELNS0_4arch9wavefront6targetE0EEEvT1_, .Lfunc_end48-_ZN7rocprim17ROCPRIM_400000_NS6detail17trampoline_kernelINS0_14default_configENS1_25transform_config_selectorImLb0EEEZNS1_14transform_implILb0ES3_S5_NS0_17constant_iteratorImlEEPlNS0_8identityImEEEE10hipError_tT2_T3_mT4_P12ihipStream_tbEUlT_E_NS1_11comp_targetILNS1_3genE0ELNS1_11target_archE4294967295ELNS1_3gpuE0ELNS1_3repE0EEENS1_30default_config_static_selectorELNS0_4arch9wavefront6targetE0EEEvT1_
                                        ; -- End function
	.set _ZN7rocprim17ROCPRIM_400000_NS6detail17trampoline_kernelINS0_14default_configENS1_25transform_config_selectorImLb0EEEZNS1_14transform_implILb0ES3_S5_NS0_17constant_iteratorImlEEPlNS0_8identityImEEEE10hipError_tT2_T3_mT4_P12ihipStream_tbEUlT_E_NS1_11comp_targetILNS1_3genE0ELNS1_11target_archE4294967295ELNS1_3gpuE0ELNS1_3repE0EEENS1_30default_config_static_selectorELNS0_4arch9wavefront6targetE0EEEvT1_.num_vgpr, 4
	.set _ZN7rocprim17ROCPRIM_400000_NS6detail17trampoline_kernelINS0_14default_configENS1_25transform_config_selectorImLb0EEEZNS1_14transform_implILb0ES3_S5_NS0_17constant_iteratorImlEEPlNS0_8identityImEEEE10hipError_tT2_T3_mT4_P12ihipStream_tbEUlT_E_NS1_11comp_targetILNS1_3genE0ELNS1_11target_archE4294967295ELNS1_3gpuE0ELNS1_3repE0EEENS1_30default_config_static_selectorELNS0_4arch9wavefront6targetE0EEEvT1_.num_agpr, 0
	.set _ZN7rocprim17ROCPRIM_400000_NS6detail17trampoline_kernelINS0_14default_configENS1_25transform_config_selectorImLb0EEEZNS1_14transform_implILb0ES3_S5_NS0_17constant_iteratorImlEEPlNS0_8identityImEEEE10hipError_tT2_T3_mT4_P12ihipStream_tbEUlT_E_NS1_11comp_targetILNS1_3genE0ELNS1_11target_archE4294967295ELNS1_3gpuE0ELNS1_3repE0EEENS1_30default_config_static_selectorELNS0_4arch9wavefront6targetE0EEEvT1_.numbered_sgpr, 10
	.set _ZN7rocprim17ROCPRIM_400000_NS6detail17trampoline_kernelINS0_14default_configENS1_25transform_config_selectorImLb0EEEZNS1_14transform_implILb0ES3_S5_NS0_17constant_iteratorImlEEPlNS0_8identityImEEEE10hipError_tT2_T3_mT4_P12ihipStream_tbEUlT_E_NS1_11comp_targetILNS1_3genE0ELNS1_11target_archE4294967295ELNS1_3gpuE0ELNS1_3repE0EEENS1_30default_config_static_selectorELNS0_4arch9wavefront6targetE0EEEvT1_.num_named_barrier, 0
	.set _ZN7rocprim17ROCPRIM_400000_NS6detail17trampoline_kernelINS0_14default_configENS1_25transform_config_selectorImLb0EEEZNS1_14transform_implILb0ES3_S5_NS0_17constant_iteratorImlEEPlNS0_8identityImEEEE10hipError_tT2_T3_mT4_P12ihipStream_tbEUlT_E_NS1_11comp_targetILNS1_3genE0ELNS1_11target_archE4294967295ELNS1_3gpuE0ELNS1_3repE0EEENS1_30default_config_static_selectorELNS0_4arch9wavefront6targetE0EEEvT1_.private_seg_size, 0
	.set _ZN7rocprim17ROCPRIM_400000_NS6detail17trampoline_kernelINS0_14default_configENS1_25transform_config_selectorImLb0EEEZNS1_14transform_implILb0ES3_S5_NS0_17constant_iteratorImlEEPlNS0_8identityImEEEE10hipError_tT2_T3_mT4_P12ihipStream_tbEUlT_E_NS1_11comp_targetILNS1_3genE0ELNS1_11target_archE4294967295ELNS1_3gpuE0ELNS1_3repE0EEENS1_30default_config_static_selectorELNS0_4arch9wavefront6targetE0EEEvT1_.uses_vcc, 1
	.set _ZN7rocprim17ROCPRIM_400000_NS6detail17trampoline_kernelINS0_14default_configENS1_25transform_config_selectorImLb0EEEZNS1_14transform_implILb0ES3_S5_NS0_17constant_iteratorImlEEPlNS0_8identityImEEEE10hipError_tT2_T3_mT4_P12ihipStream_tbEUlT_E_NS1_11comp_targetILNS1_3genE0ELNS1_11target_archE4294967295ELNS1_3gpuE0ELNS1_3repE0EEENS1_30default_config_static_selectorELNS0_4arch9wavefront6targetE0EEEvT1_.uses_flat_scratch, 0
	.set _ZN7rocprim17ROCPRIM_400000_NS6detail17trampoline_kernelINS0_14default_configENS1_25transform_config_selectorImLb0EEEZNS1_14transform_implILb0ES3_S5_NS0_17constant_iteratorImlEEPlNS0_8identityImEEEE10hipError_tT2_T3_mT4_P12ihipStream_tbEUlT_E_NS1_11comp_targetILNS1_3genE0ELNS1_11target_archE4294967295ELNS1_3gpuE0ELNS1_3repE0EEENS1_30default_config_static_selectorELNS0_4arch9wavefront6targetE0EEEvT1_.has_dyn_sized_stack, 0
	.set _ZN7rocprim17ROCPRIM_400000_NS6detail17trampoline_kernelINS0_14default_configENS1_25transform_config_selectorImLb0EEEZNS1_14transform_implILb0ES3_S5_NS0_17constant_iteratorImlEEPlNS0_8identityImEEEE10hipError_tT2_T3_mT4_P12ihipStream_tbEUlT_E_NS1_11comp_targetILNS1_3genE0ELNS1_11target_archE4294967295ELNS1_3gpuE0ELNS1_3repE0EEENS1_30default_config_static_selectorELNS0_4arch9wavefront6targetE0EEEvT1_.has_recursion, 0
	.set _ZN7rocprim17ROCPRIM_400000_NS6detail17trampoline_kernelINS0_14default_configENS1_25transform_config_selectorImLb0EEEZNS1_14transform_implILb0ES3_S5_NS0_17constant_iteratorImlEEPlNS0_8identityImEEEE10hipError_tT2_T3_mT4_P12ihipStream_tbEUlT_E_NS1_11comp_targetILNS1_3genE0ELNS1_11target_archE4294967295ELNS1_3gpuE0ELNS1_3repE0EEENS1_30default_config_static_selectorELNS0_4arch9wavefront6targetE0EEEvT1_.has_indirect_call, 0
	.section	.AMDGPU.csdata,"",@progbits
; Kernel info:
; codeLenInByte = 180
; TotalNumSgprs: 12
; NumVgprs: 4
; ScratchSize: 0
; MemoryBound: 0
; FloatMode: 240
; IeeeMode: 1
; LDSByteSize: 0 bytes/workgroup (compile time only)
; SGPRBlocks: 0
; VGPRBlocks: 0
; NumSGPRsForWavesPerEU: 12
; NumVGPRsForWavesPerEU: 4
; NamedBarCnt: 0
; Occupancy: 16
; WaveLimiterHint : 0
; COMPUTE_PGM_RSRC2:SCRATCH_EN: 0
; COMPUTE_PGM_RSRC2:USER_SGPR: 2
; COMPUTE_PGM_RSRC2:TRAP_HANDLER: 0
; COMPUTE_PGM_RSRC2:TGID_X_EN: 1
; COMPUTE_PGM_RSRC2:TGID_Y_EN: 0
; COMPUTE_PGM_RSRC2:TGID_Z_EN: 0
; COMPUTE_PGM_RSRC2:TIDIG_COMP_CNT: 0
	.section	.text._ZN7rocprim17ROCPRIM_400000_NS6detail17trampoline_kernelINS0_14default_configENS1_25transform_config_selectorImLb0EEEZNS1_14transform_implILb0ES3_S5_NS0_17constant_iteratorImlEEPlNS0_8identityImEEEE10hipError_tT2_T3_mT4_P12ihipStream_tbEUlT_E_NS1_11comp_targetILNS1_3genE5ELNS1_11target_archE942ELNS1_3gpuE9ELNS1_3repE0EEENS1_30default_config_static_selectorELNS0_4arch9wavefront6targetE0EEEvT1_,"axG",@progbits,_ZN7rocprim17ROCPRIM_400000_NS6detail17trampoline_kernelINS0_14default_configENS1_25transform_config_selectorImLb0EEEZNS1_14transform_implILb0ES3_S5_NS0_17constant_iteratorImlEEPlNS0_8identityImEEEE10hipError_tT2_T3_mT4_P12ihipStream_tbEUlT_E_NS1_11comp_targetILNS1_3genE5ELNS1_11target_archE942ELNS1_3gpuE9ELNS1_3repE0EEENS1_30default_config_static_selectorELNS0_4arch9wavefront6targetE0EEEvT1_,comdat
	.protected	_ZN7rocprim17ROCPRIM_400000_NS6detail17trampoline_kernelINS0_14default_configENS1_25transform_config_selectorImLb0EEEZNS1_14transform_implILb0ES3_S5_NS0_17constant_iteratorImlEEPlNS0_8identityImEEEE10hipError_tT2_T3_mT4_P12ihipStream_tbEUlT_E_NS1_11comp_targetILNS1_3genE5ELNS1_11target_archE942ELNS1_3gpuE9ELNS1_3repE0EEENS1_30default_config_static_selectorELNS0_4arch9wavefront6targetE0EEEvT1_ ; -- Begin function _ZN7rocprim17ROCPRIM_400000_NS6detail17trampoline_kernelINS0_14default_configENS1_25transform_config_selectorImLb0EEEZNS1_14transform_implILb0ES3_S5_NS0_17constant_iteratorImlEEPlNS0_8identityImEEEE10hipError_tT2_T3_mT4_P12ihipStream_tbEUlT_E_NS1_11comp_targetILNS1_3genE5ELNS1_11target_archE942ELNS1_3gpuE9ELNS1_3repE0EEENS1_30default_config_static_selectorELNS0_4arch9wavefront6targetE0EEEvT1_
	.globl	_ZN7rocprim17ROCPRIM_400000_NS6detail17trampoline_kernelINS0_14default_configENS1_25transform_config_selectorImLb0EEEZNS1_14transform_implILb0ES3_S5_NS0_17constant_iteratorImlEEPlNS0_8identityImEEEE10hipError_tT2_T3_mT4_P12ihipStream_tbEUlT_E_NS1_11comp_targetILNS1_3genE5ELNS1_11target_archE942ELNS1_3gpuE9ELNS1_3repE0EEENS1_30default_config_static_selectorELNS0_4arch9wavefront6targetE0EEEvT1_
	.p2align	8
	.type	_ZN7rocprim17ROCPRIM_400000_NS6detail17trampoline_kernelINS0_14default_configENS1_25transform_config_selectorImLb0EEEZNS1_14transform_implILb0ES3_S5_NS0_17constant_iteratorImlEEPlNS0_8identityImEEEE10hipError_tT2_T3_mT4_P12ihipStream_tbEUlT_E_NS1_11comp_targetILNS1_3genE5ELNS1_11target_archE942ELNS1_3gpuE9ELNS1_3repE0EEENS1_30default_config_static_selectorELNS0_4arch9wavefront6targetE0EEEvT1_,@function
_ZN7rocprim17ROCPRIM_400000_NS6detail17trampoline_kernelINS0_14default_configENS1_25transform_config_selectorImLb0EEEZNS1_14transform_implILb0ES3_S5_NS0_17constant_iteratorImlEEPlNS0_8identityImEEEE10hipError_tT2_T3_mT4_P12ihipStream_tbEUlT_E_NS1_11comp_targetILNS1_3genE5ELNS1_11target_archE942ELNS1_3gpuE9ELNS1_3repE0EEENS1_30default_config_static_selectorELNS0_4arch9wavefront6targetE0EEEvT1_: ; @_ZN7rocprim17ROCPRIM_400000_NS6detail17trampoline_kernelINS0_14default_configENS1_25transform_config_selectorImLb0EEEZNS1_14transform_implILb0ES3_S5_NS0_17constant_iteratorImlEEPlNS0_8identityImEEEE10hipError_tT2_T3_mT4_P12ihipStream_tbEUlT_E_NS1_11comp_targetILNS1_3genE5ELNS1_11target_archE942ELNS1_3gpuE9ELNS1_3repE0EEENS1_30default_config_static_selectorELNS0_4arch9wavefront6targetE0EEEvT1_
; %bb.0:
	.section	.rodata,"a",@progbits
	.p2align	6, 0x0
	.amdhsa_kernel _ZN7rocprim17ROCPRIM_400000_NS6detail17trampoline_kernelINS0_14default_configENS1_25transform_config_selectorImLb0EEEZNS1_14transform_implILb0ES3_S5_NS0_17constant_iteratorImlEEPlNS0_8identityImEEEE10hipError_tT2_T3_mT4_P12ihipStream_tbEUlT_E_NS1_11comp_targetILNS1_3genE5ELNS1_11target_archE942ELNS1_3gpuE9ELNS1_3repE0EEENS1_30default_config_static_selectorELNS0_4arch9wavefront6targetE0EEEvT1_
		.amdhsa_group_segment_fixed_size 0
		.amdhsa_private_segment_fixed_size 0
		.amdhsa_kernarg_size 48
		.amdhsa_user_sgpr_count 2
		.amdhsa_user_sgpr_dispatch_ptr 0
		.amdhsa_user_sgpr_queue_ptr 0
		.amdhsa_user_sgpr_kernarg_segment_ptr 1
		.amdhsa_user_sgpr_dispatch_id 0
		.amdhsa_user_sgpr_kernarg_preload_length 0
		.amdhsa_user_sgpr_kernarg_preload_offset 0
		.amdhsa_user_sgpr_private_segment_size 0
		.amdhsa_wavefront_size32 1
		.amdhsa_uses_dynamic_stack 0
		.amdhsa_enable_private_segment 0
		.amdhsa_system_sgpr_workgroup_id_x 1
		.amdhsa_system_sgpr_workgroup_id_y 0
		.amdhsa_system_sgpr_workgroup_id_z 0
		.amdhsa_system_sgpr_workgroup_info 0
		.amdhsa_system_vgpr_workitem_id 0
		.amdhsa_next_free_vgpr 1
		.amdhsa_next_free_sgpr 1
		.amdhsa_named_barrier_count 0
		.amdhsa_reserve_vcc 0
		.amdhsa_float_round_mode_32 0
		.amdhsa_float_round_mode_16_64 0
		.amdhsa_float_denorm_mode_32 3
		.amdhsa_float_denorm_mode_16_64 3
		.amdhsa_fp16_overflow 0
		.amdhsa_memory_ordered 1
		.amdhsa_forward_progress 1
		.amdhsa_inst_pref_size 0
		.amdhsa_round_robin_scheduling 0
		.amdhsa_exception_fp_ieee_invalid_op 0
		.amdhsa_exception_fp_denorm_src 0
		.amdhsa_exception_fp_ieee_div_zero 0
		.amdhsa_exception_fp_ieee_overflow 0
		.amdhsa_exception_fp_ieee_underflow 0
		.amdhsa_exception_fp_ieee_inexact 0
		.amdhsa_exception_int_div_zero 0
	.end_amdhsa_kernel
	.section	.text._ZN7rocprim17ROCPRIM_400000_NS6detail17trampoline_kernelINS0_14default_configENS1_25transform_config_selectorImLb0EEEZNS1_14transform_implILb0ES3_S5_NS0_17constant_iteratorImlEEPlNS0_8identityImEEEE10hipError_tT2_T3_mT4_P12ihipStream_tbEUlT_E_NS1_11comp_targetILNS1_3genE5ELNS1_11target_archE942ELNS1_3gpuE9ELNS1_3repE0EEENS1_30default_config_static_selectorELNS0_4arch9wavefront6targetE0EEEvT1_,"axG",@progbits,_ZN7rocprim17ROCPRIM_400000_NS6detail17trampoline_kernelINS0_14default_configENS1_25transform_config_selectorImLb0EEEZNS1_14transform_implILb0ES3_S5_NS0_17constant_iteratorImlEEPlNS0_8identityImEEEE10hipError_tT2_T3_mT4_P12ihipStream_tbEUlT_E_NS1_11comp_targetILNS1_3genE5ELNS1_11target_archE942ELNS1_3gpuE9ELNS1_3repE0EEENS1_30default_config_static_selectorELNS0_4arch9wavefront6targetE0EEEvT1_,comdat
.Lfunc_end49:
	.size	_ZN7rocprim17ROCPRIM_400000_NS6detail17trampoline_kernelINS0_14default_configENS1_25transform_config_selectorImLb0EEEZNS1_14transform_implILb0ES3_S5_NS0_17constant_iteratorImlEEPlNS0_8identityImEEEE10hipError_tT2_T3_mT4_P12ihipStream_tbEUlT_E_NS1_11comp_targetILNS1_3genE5ELNS1_11target_archE942ELNS1_3gpuE9ELNS1_3repE0EEENS1_30default_config_static_selectorELNS0_4arch9wavefront6targetE0EEEvT1_, .Lfunc_end49-_ZN7rocprim17ROCPRIM_400000_NS6detail17trampoline_kernelINS0_14default_configENS1_25transform_config_selectorImLb0EEEZNS1_14transform_implILb0ES3_S5_NS0_17constant_iteratorImlEEPlNS0_8identityImEEEE10hipError_tT2_T3_mT4_P12ihipStream_tbEUlT_E_NS1_11comp_targetILNS1_3genE5ELNS1_11target_archE942ELNS1_3gpuE9ELNS1_3repE0EEENS1_30default_config_static_selectorELNS0_4arch9wavefront6targetE0EEEvT1_
                                        ; -- End function
	.set _ZN7rocprim17ROCPRIM_400000_NS6detail17trampoline_kernelINS0_14default_configENS1_25transform_config_selectorImLb0EEEZNS1_14transform_implILb0ES3_S5_NS0_17constant_iteratorImlEEPlNS0_8identityImEEEE10hipError_tT2_T3_mT4_P12ihipStream_tbEUlT_E_NS1_11comp_targetILNS1_3genE5ELNS1_11target_archE942ELNS1_3gpuE9ELNS1_3repE0EEENS1_30default_config_static_selectorELNS0_4arch9wavefront6targetE0EEEvT1_.num_vgpr, 0
	.set _ZN7rocprim17ROCPRIM_400000_NS6detail17trampoline_kernelINS0_14default_configENS1_25transform_config_selectorImLb0EEEZNS1_14transform_implILb0ES3_S5_NS0_17constant_iteratorImlEEPlNS0_8identityImEEEE10hipError_tT2_T3_mT4_P12ihipStream_tbEUlT_E_NS1_11comp_targetILNS1_3genE5ELNS1_11target_archE942ELNS1_3gpuE9ELNS1_3repE0EEENS1_30default_config_static_selectorELNS0_4arch9wavefront6targetE0EEEvT1_.num_agpr, 0
	.set _ZN7rocprim17ROCPRIM_400000_NS6detail17trampoline_kernelINS0_14default_configENS1_25transform_config_selectorImLb0EEEZNS1_14transform_implILb0ES3_S5_NS0_17constant_iteratorImlEEPlNS0_8identityImEEEE10hipError_tT2_T3_mT4_P12ihipStream_tbEUlT_E_NS1_11comp_targetILNS1_3genE5ELNS1_11target_archE942ELNS1_3gpuE9ELNS1_3repE0EEENS1_30default_config_static_selectorELNS0_4arch9wavefront6targetE0EEEvT1_.numbered_sgpr, 0
	.set _ZN7rocprim17ROCPRIM_400000_NS6detail17trampoline_kernelINS0_14default_configENS1_25transform_config_selectorImLb0EEEZNS1_14transform_implILb0ES3_S5_NS0_17constant_iteratorImlEEPlNS0_8identityImEEEE10hipError_tT2_T3_mT4_P12ihipStream_tbEUlT_E_NS1_11comp_targetILNS1_3genE5ELNS1_11target_archE942ELNS1_3gpuE9ELNS1_3repE0EEENS1_30default_config_static_selectorELNS0_4arch9wavefront6targetE0EEEvT1_.num_named_barrier, 0
	.set _ZN7rocprim17ROCPRIM_400000_NS6detail17trampoline_kernelINS0_14default_configENS1_25transform_config_selectorImLb0EEEZNS1_14transform_implILb0ES3_S5_NS0_17constant_iteratorImlEEPlNS0_8identityImEEEE10hipError_tT2_T3_mT4_P12ihipStream_tbEUlT_E_NS1_11comp_targetILNS1_3genE5ELNS1_11target_archE942ELNS1_3gpuE9ELNS1_3repE0EEENS1_30default_config_static_selectorELNS0_4arch9wavefront6targetE0EEEvT1_.private_seg_size, 0
	.set _ZN7rocprim17ROCPRIM_400000_NS6detail17trampoline_kernelINS0_14default_configENS1_25transform_config_selectorImLb0EEEZNS1_14transform_implILb0ES3_S5_NS0_17constant_iteratorImlEEPlNS0_8identityImEEEE10hipError_tT2_T3_mT4_P12ihipStream_tbEUlT_E_NS1_11comp_targetILNS1_3genE5ELNS1_11target_archE942ELNS1_3gpuE9ELNS1_3repE0EEENS1_30default_config_static_selectorELNS0_4arch9wavefront6targetE0EEEvT1_.uses_vcc, 0
	.set _ZN7rocprim17ROCPRIM_400000_NS6detail17trampoline_kernelINS0_14default_configENS1_25transform_config_selectorImLb0EEEZNS1_14transform_implILb0ES3_S5_NS0_17constant_iteratorImlEEPlNS0_8identityImEEEE10hipError_tT2_T3_mT4_P12ihipStream_tbEUlT_E_NS1_11comp_targetILNS1_3genE5ELNS1_11target_archE942ELNS1_3gpuE9ELNS1_3repE0EEENS1_30default_config_static_selectorELNS0_4arch9wavefront6targetE0EEEvT1_.uses_flat_scratch, 0
	.set _ZN7rocprim17ROCPRIM_400000_NS6detail17trampoline_kernelINS0_14default_configENS1_25transform_config_selectorImLb0EEEZNS1_14transform_implILb0ES3_S5_NS0_17constant_iteratorImlEEPlNS0_8identityImEEEE10hipError_tT2_T3_mT4_P12ihipStream_tbEUlT_E_NS1_11comp_targetILNS1_3genE5ELNS1_11target_archE942ELNS1_3gpuE9ELNS1_3repE0EEENS1_30default_config_static_selectorELNS0_4arch9wavefront6targetE0EEEvT1_.has_dyn_sized_stack, 0
	.set _ZN7rocprim17ROCPRIM_400000_NS6detail17trampoline_kernelINS0_14default_configENS1_25transform_config_selectorImLb0EEEZNS1_14transform_implILb0ES3_S5_NS0_17constant_iteratorImlEEPlNS0_8identityImEEEE10hipError_tT2_T3_mT4_P12ihipStream_tbEUlT_E_NS1_11comp_targetILNS1_3genE5ELNS1_11target_archE942ELNS1_3gpuE9ELNS1_3repE0EEENS1_30default_config_static_selectorELNS0_4arch9wavefront6targetE0EEEvT1_.has_recursion, 0
	.set _ZN7rocprim17ROCPRIM_400000_NS6detail17trampoline_kernelINS0_14default_configENS1_25transform_config_selectorImLb0EEEZNS1_14transform_implILb0ES3_S5_NS0_17constant_iteratorImlEEPlNS0_8identityImEEEE10hipError_tT2_T3_mT4_P12ihipStream_tbEUlT_E_NS1_11comp_targetILNS1_3genE5ELNS1_11target_archE942ELNS1_3gpuE9ELNS1_3repE0EEENS1_30default_config_static_selectorELNS0_4arch9wavefront6targetE0EEEvT1_.has_indirect_call, 0
	.section	.AMDGPU.csdata,"",@progbits
; Kernel info:
; codeLenInByte = 0
; TotalNumSgprs: 0
; NumVgprs: 0
; ScratchSize: 0
; MemoryBound: 0
; FloatMode: 240
; IeeeMode: 1
; LDSByteSize: 0 bytes/workgroup (compile time only)
; SGPRBlocks: 0
; VGPRBlocks: 0
; NumSGPRsForWavesPerEU: 1
; NumVGPRsForWavesPerEU: 1
; NamedBarCnt: 0
; Occupancy: 16
; WaveLimiterHint : 0
; COMPUTE_PGM_RSRC2:SCRATCH_EN: 0
; COMPUTE_PGM_RSRC2:USER_SGPR: 2
; COMPUTE_PGM_RSRC2:TRAP_HANDLER: 0
; COMPUTE_PGM_RSRC2:TGID_X_EN: 1
; COMPUTE_PGM_RSRC2:TGID_Y_EN: 0
; COMPUTE_PGM_RSRC2:TGID_Z_EN: 0
; COMPUTE_PGM_RSRC2:TIDIG_COMP_CNT: 0
	.section	.text._ZN7rocprim17ROCPRIM_400000_NS6detail17trampoline_kernelINS0_14default_configENS1_25transform_config_selectorImLb0EEEZNS1_14transform_implILb0ES3_S5_NS0_17constant_iteratorImlEEPlNS0_8identityImEEEE10hipError_tT2_T3_mT4_P12ihipStream_tbEUlT_E_NS1_11comp_targetILNS1_3genE4ELNS1_11target_archE910ELNS1_3gpuE8ELNS1_3repE0EEENS1_30default_config_static_selectorELNS0_4arch9wavefront6targetE0EEEvT1_,"axG",@progbits,_ZN7rocprim17ROCPRIM_400000_NS6detail17trampoline_kernelINS0_14default_configENS1_25transform_config_selectorImLb0EEEZNS1_14transform_implILb0ES3_S5_NS0_17constant_iteratorImlEEPlNS0_8identityImEEEE10hipError_tT2_T3_mT4_P12ihipStream_tbEUlT_E_NS1_11comp_targetILNS1_3genE4ELNS1_11target_archE910ELNS1_3gpuE8ELNS1_3repE0EEENS1_30default_config_static_selectorELNS0_4arch9wavefront6targetE0EEEvT1_,comdat
	.protected	_ZN7rocprim17ROCPRIM_400000_NS6detail17trampoline_kernelINS0_14default_configENS1_25transform_config_selectorImLb0EEEZNS1_14transform_implILb0ES3_S5_NS0_17constant_iteratorImlEEPlNS0_8identityImEEEE10hipError_tT2_T3_mT4_P12ihipStream_tbEUlT_E_NS1_11comp_targetILNS1_3genE4ELNS1_11target_archE910ELNS1_3gpuE8ELNS1_3repE0EEENS1_30default_config_static_selectorELNS0_4arch9wavefront6targetE0EEEvT1_ ; -- Begin function _ZN7rocprim17ROCPRIM_400000_NS6detail17trampoline_kernelINS0_14default_configENS1_25transform_config_selectorImLb0EEEZNS1_14transform_implILb0ES3_S5_NS0_17constant_iteratorImlEEPlNS0_8identityImEEEE10hipError_tT2_T3_mT4_P12ihipStream_tbEUlT_E_NS1_11comp_targetILNS1_3genE4ELNS1_11target_archE910ELNS1_3gpuE8ELNS1_3repE0EEENS1_30default_config_static_selectorELNS0_4arch9wavefront6targetE0EEEvT1_
	.globl	_ZN7rocprim17ROCPRIM_400000_NS6detail17trampoline_kernelINS0_14default_configENS1_25transform_config_selectorImLb0EEEZNS1_14transform_implILb0ES3_S5_NS0_17constant_iteratorImlEEPlNS0_8identityImEEEE10hipError_tT2_T3_mT4_P12ihipStream_tbEUlT_E_NS1_11comp_targetILNS1_3genE4ELNS1_11target_archE910ELNS1_3gpuE8ELNS1_3repE0EEENS1_30default_config_static_selectorELNS0_4arch9wavefront6targetE0EEEvT1_
	.p2align	8
	.type	_ZN7rocprim17ROCPRIM_400000_NS6detail17trampoline_kernelINS0_14default_configENS1_25transform_config_selectorImLb0EEEZNS1_14transform_implILb0ES3_S5_NS0_17constant_iteratorImlEEPlNS0_8identityImEEEE10hipError_tT2_T3_mT4_P12ihipStream_tbEUlT_E_NS1_11comp_targetILNS1_3genE4ELNS1_11target_archE910ELNS1_3gpuE8ELNS1_3repE0EEENS1_30default_config_static_selectorELNS0_4arch9wavefront6targetE0EEEvT1_,@function
_ZN7rocprim17ROCPRIM_400000_NS6detail17trampoline_kernelINS0_14default_configENS1_25transform_config_selectorImLb0EEEZNS1_14transform_implILb0ES3_S5_NS0_17constant_iteratorImlEEPlNS0_8identityImEEEE10hipError_tT2_T3_mT4_P12ihipStream_tbEUlT_E_NS1_11comp_targetILNS1_3genE4ELNS1_11target_archE910ELNS1_3gpuE8ELNS1_3repE0EEENS1_30default_config_static_selectorELNS0_4arch9wavefront6targetE0EEEvT1_: ; @_ZN7rocprim17ROCPRIM_400000_NS6detail17trampoline_kernelINS0_14default_configENS1_25transform_config_selectorImLb0EEEZNS1_14transform_implILb0ES3_S5_NS0_17constant_iteratorImlEEPlNS0_8identityImEEEE10hipError_tT2_T3_mT4_P12ihipStream_tbEUlT_E_NS1_11comp_targetILNS1_3genE4ELNS1_11target_archE910ELNS1_3gpuE8ELNS1_3repE0EEENS1_30default_config_static_selectorELNS0_4arch9wavefront6targetE0EEEvT1_
; %bb.0:
	.section	.rodata,"a",@progbits
	.p2align	6, 0x0
	.amdhsa_kernel _ZN7rocprim17ROCPRIM_400000_NS6detail17trampoline_kernelINS0_14default_configENS1_25transform_config_selectorImLb0EEEZNS1_14transform_implILb0ES3_S5_NS0_17constant_iteratorImlEEPlNS0_8identityImEEEE10hipError_tT2_T3_mT4_P12ihipStream_tbEUlT_E_NS1_11comp_targetILNS1_3genE4ELNS1_11target_archE910ELNS1_3gpuE8ELNS1_3repE0EEENS1_30default_config_static_selectorELNS0_4arch9wavefront6targetE0EEEvT1_
		.amdhsa_group_segment_fixed_size 0
		.amdhsa_private_segment_fixed_size 0
		.amdhsa_kernarg_size 48
		.amdhsa_user_sgpr_count 2
		.amdhsa_user_sgpr_dispatch_ptr 0
		.amdhsa_user_sgpr_queue_ptr 0
		.amdhsa_user_sgpr_kernarg_segment_ptr 1
		.amdhsa_user_sgpr_dispatch_id 0
		.amdhsa_user_sgpr_kernarg_preload_length 0
		.amdhsa_user_sgpr_kernarg_preload_offset 0
		.amdhsa_user_sgpr_private_segment_size 0
		.amdhsa_wavefront_size32 1
		.amdhsa_uses_dynamic_stack 0
		.amdhsa_enable_private_segment 0
		.amdhsa_system_sgpr_workgroup_id_x 1
		.amdhsa_system_sgpr_workgroup_id_y 0
		.amdhsa_system_sgpr_workgroup_id_z 0
		.amdhsa_system_sgpr_workgroup_info 0
		.amdhsa_system_vgpr_workitem_id 0
		.amdhsa_next_free_vgpr 1
		.amdhsa_next_free_sgpr 1
		.amdhsa_named_barrier_count 0
		.amdhsa_reserve_vcc 0
		.amdhsa_float_round_mode_32 0
		.amdhsa_float_round_mode_16_64 0
		.amdhsa_float_denorm_mode_32 3
		.amdhsa_float_denorm_mode_16_64 3
		.amdhsa_fp16_overflow 0
		.amdhsa_memory_ordered 1
		.amdhsa_forward_progress 1
		.amdhsa_inst_pref_size 0
		.amdhsa_round_robin_scheduling 0
		.amdhsa_exception_fp_ieee_invalid_op 0
		.amdhsa_exception_fp_denorm_src 0
		.amdhsa_exception_fp_ieee_div_zero 0
		.amdhsa_exception_fp_ieee_overflow 0
		.amdhsa_exception_fp_ieee_underflow 0
		.amdhsa_exception_fp_ieee_inexact 0
		.amdhsa_exception_int_div_zero 0
	.end_amdhsa_kernel
	.section	.text._ZN7rocprim17ROCPRIM_400000_NS6detail17trampoline_kernelINS0_14default_configENS1_25transform_config_selectorImLb0EEEZNS1_14transform_implILb0ES3_S5_NS0_17constant_iteratorImlEEPlNS0_8identityImEEEE10hipError_tT2_T3_mT4_P12ihipStream_tbEUlT_E_NS1_11comp_targetILNS1_3genE4ELNS1_11target_archE910ELNS1_3gpuE8ELNS1_3repE0EEENS1_30default_config_static_selectorELNS0_4arch9wavefront6targetE0EEEvT1_,"axG",@progbits,_ZN7rocprim17ROCPRIM_400000_NS6detail17trampoline_kernelINS0_14default_configENS1_25transform_config_selectorImLb0EEEZNS1_14transform_implILb0ES3_S5_NS0_17constant_iteratorImlEEPlNS0_8identityImEEEE10hipError_tT2_T3_mT4_P12ihipStream_tbEUlT_E_NS1_11comp_targetILNS1_3genE4ELNS1_11target_archE910ELNS1_3gpuE8ELNS1_3repE0EEENS1_30default_config_static_selectorELNS0_4arch9wavefront6targetE0EEEvT1_,comdat
.Lfunc_end50:
	.size	_ZN7rocprim17ROCPRIM_400000_NS6detail17trampoline_kernelINS0_14default_configENS1_25transform_config_selectorImLb0EEEZNS1_14transform_implILb0ES3_S5_NS0_17constant_iteratorImlEEPlNS0_8identityImEEEE10hipError_tT2_T3_mT4_P12ihipStream_tbEUlT_E_NS1_11comp_targetILNS1_3genE4ELNS1_11target_archE910ELNS1_3gpuE8ELNS1_3repE0EEENS1_30default_config_static_selectorELNS0_4arch9wavefront6targetE0EEEvT1_, .Lfunc_end50-_ZN7rocprim17ROCPRIM_400000_NS6detail17trampoline_kernelINS0_14default_configENS1_25transform_config_selectorImLb0EEEZNS1_14transform_implILb0ES3_S5_NS0_17constant_iteratorImlEEPlNS0_8identityImEEEE10hipError_tT2_T3_mT4_P12ihipStream_tbEUlT_E_NS1_11comp_targetILNS1_3genE4ELNS1_11target_archE910ELNS1_3gpuE8ELNS1_3repE0EEENS1_30default_config_static_selectorELNS0_4arch9wavefront6targetE0EEEvT1_
                                        ; -- End function
	.set _ZN7rocprim17ROCPRIM_400000_NS6detail17trampoline_kernelINS0_14default_configENS1_25transform_config_selectorImLb0EEEZNS1_14transform_implILb0ES3_S5_NS0_17constant_iteratorImlEEPlNS0_8identityImEEEE10hipError_tT2_T3_mT4_P12ihipStream_tbEUlT_E_NS1_11comp_targetILNS1_3genE4ELNS1_11target_archE910ELNS1_3gpuE8ELNS1_3repE0EEENS1_30default_config_static_selectorELNS0_4arch9wavefront6targetE0EEEvT1_.num_vgpr, 0
	.set _ZN7rocprim17ROCPRIM_400000_NS6detail17trampoline_kernelINS0_14default_configENS1_25transform_config_selectorImLb0EEEZNS1_14transform_implILb0ES3_S5_NS0_17constant_iteratorImlEEPlNS0_8identityImEEEE10hipError_tT2_T3_mT4_P12ihipStream_tbEUlT_E_NS1_11comp_targetILNS1_3genE4ELNS1_11target_archE910ELNS1_3gpuE8ELNS1_3repE0EEENS1_30default_config_static_selectorELNS0_4arch9wavefront6targetE0EEEvT1_.num_agpr, 0
	.set _ZN7rocprim17ROCPRIM_400000_NS6detail17trampoline_kernelINS0_14default_configENS1_25transform_config_selectorImLb0EEEZNS1_14transform_implILb0ES3_S5_NS0_17constant_iteratorImlEEPlNS0_8identityImEEEE10hipError_tT2_T3_mT4_P12ihipStream_tbEUlT_E_NS1_11comp_targetILNS1_3genE4ELNS1_11target_archE910ELNS1_3gpuE8ELNS1_3repE0EEENS1_30default_config_static_selectorELNS0_4arch9wavefront6targetE0EEEvT1_.numbered_sgpr, 0
	.set _ZN7rocprim17ROCPRIM_400000_NS6detail17trampoline_kernelINS0_14default_configENS1_25transform_config_selectorImLb0EEEZNS1_14transform_implILb0ES3_S5_NS0_17constant_iteratorImlEEPlNS0_8identityImEEEE10hipError_tT2_T3_mT4_P12ihipStream_tbEUlT_E_NS1_11comp_targetILNS1_3genE4ELNS1_11target_archE910ELNS1_3gpuE8ELNS1_3repE0EEENS1_30default_config_static_selectorELNS0_4arch9wavefront6targetE0EEEvT1_.num_named_barrier, 0
	.set _ZN7rocprim17ROCPRIM_400000_NS6detail17trampoline_kernelINS0_14default_configENS1_25transform_config_selectorImLb0EEEZNS1_14transform_implILb0ES3_S5_NS0_17constant_iteratorImlEEPlNS0_8identityImEEEE10hipError_tT2_T3_mT4_P12ihipStream_tbEUlT_E_NS1_11comp_targetILNS1_3genE4ELNS1_11target_archE910ELNS1_3gpuE8ELNS1_3repE0EEENS1_30default_config_static_selectorELNS0_4arch9wavefront6targetE0EEEvT1_.private_seg_size, 0
	.set _ZN7rocprim17ROCPRIM_400000_NS6detail17trampoline_kernelINS0_14default_configENS1_25transform_config_selectorImLb0EEEZNS1_14transform_implILb0ES3_S5_NS0_17constant_iteratorImlEEPlNS0_8identityImEEEE10hipError_tT2_T3_mT4_P12ihipStream_tbEUlT_E_NS1_11comp_targetILNS1_3genE4ELNS1_11target_archE910ELNS1_3gpuE8ELNS1_3repE0EEENS1_30default_config_static_selectorELNS0_4arch9wavefront6targetE0EEEvT1_.uses_vcc, 0
	.set _ZN7rocprim17ROCPRIM_400000_NS6detail17trampoline_kernelINS0_14default_configENS1_25transform_config_selectorImLb0EEEZNS1_14transform_implILb0ES3_S5_NS0_17constant_iteratorImlEEPlNS0_8identityImEEEE10hipError_tT2_T3_mT4_P12ihipStream_tbEUlT_E_NS1_11comp_targetILNS1_3genE4ELNS1_11target_archE910ELNS1_3gpuE8ELNS1_3repE0EEENS1_30default_config_static_selectorELNS0_4arch9wavefront6targetE0EEEvT1_.uses_flat_scratch, 0
	.set _ZN7rocprim17ROCPRIM_400000_NS6detail17trampoline_kernelINS0_14default_configENS1_25transform_config_selectorImLb0EEEZNS1_14transform_implILb0ES3_S5_NS0_17constant_iteratorImlEEPlNS0_8identityImEEEE10hipError_tT2_T3_mT4_P12ihipStream_tbEUlT_E_NS1_11comp_targetILNS1_3genE4ELNS1_11target_archE910ELNS1_3gpuE8ELNS1_3repE0EEENS1_30default_config_static_selectorELNS0_4arch9wavefront6targetE0EEEvT1_.has_dyn_sized_stack, 0
	.set _ZN7rocprim17ROCPRIM_400000_NS6detail17trampoline_kernelINS0_14default_configENS1_25transform_config_selectorImLb0EEEZNS1_14transform_implILb0ES3_S5_NS0_17constant_iteratorImlEEPlNS0_8identityImEEEE10hipError_tT2_T3_mT4_P12ihipStream_tbEUlT_E_NS1_11comp_targetILNS1_3genE4ELNS1_11target_archE910ELNS1_3gpuE8ELNS1_3repE0EEENS1_30default_config_static_selectorELNS0_4arch9wavefront6targetE0EEEvT1_.has_recursion, 0
	.set _ZN7rocprim17ROCPRIM_400000_NS6detail17trampoline_kernelINS0_14default_configENS1_25transform_config_selectorImLb0EEEZNS1_14transform_implILb0ES3_S5_NS0_17constant_iteratorImlEEPlNS0_8identityImEEEE10hipError_tT2_T3_mT4_P12ihipStream_tbEUlT_E_NS1_11comp_targetILNS1_3genE4ELNS1_11target_archE910ELNS1_3gpuE8ELNS1_3repE0EEENS1_30default_config_static_selectorELNS0_4arch9wavefront6targetE0EEEvT1_.has_indirect_call, 0
	.section	.AMDGPU.csdata,"",@progbits
; Kernel info:
; codeLenInByte = 0
; TotalNumSgprs: 0
; NumVgprs: 0
; ScratchSize: 0
; MemoryBound: 0
; FloatMode: 240
; IeeeMode: 1
; LDSByteSize: 0 bytes/workgroup (compile time only)
; SGPRBlocks: 0
; VGPRBlocks: 0
; NumSGPRsForWavesPerEU: 1
; NumVGPRsForWavesPerEU: 1
; NamedBarCnt: 0
; Occupancy: 16
; WaveLimiterHint : 0
; COMPUTE_PGM_RSRC2:SCRATCH_EN: 0
; COMPUTE_PGM_RSRC2:USER_SGPR: 2
; COMPUTE_PGM_RSRC2:TRAP_HANDLER: 0
; COMPUTE_PGM_RSRC2:TGID_X_EN: 1
; COMPUTE_PGM_RSRC2:TGID_Y_EN: 0
; COMPUTE_PGM_RSRC2:TGID_Z_EN: 0
; COMPUTE_PGM_RSRC2:TIDIG_COMP_CNT: 0
	.section	.text._ZN7rocprim17ROCPRIM_400000_NS6detail17trampoline_kernelINS0_14default_configENS1_25transform_config_selectorImLb0EEEZNS1_14transform_implILb0ES3_S5_NS0_17constant_iteratorImlEEPlNS0_8identityImEEEE10hipError_tT2_T3_mT4_P12ihipStream_tbEUlT_E_NS1_11comp_targetILNS1_3genE3ELNS1_11target_archE908ELNS1_3gpuE7ELNS1_3repE0EEENS1_30default_config_static_selectorELNS0_4arch9wavefront6targetE0EEEvT1_,"axG",@progbits,_ZN7rocprim17ROCPRIM_400000_NS6detail17trampoline_kernelINS0_14default_configENS1_25transform_config_selectorImLb0EEEZNS1_14transform_implILb0ES3_S5_NS0_17constant_iteratorImlEEPlNS0_8identityImEEEE10hipError_tT2_T3_mT4_P12ihipStream_tbEUlT_E_NS1_11comp_targetILNS1_3genE3ELNS1_11target_archE908ELNS1_3gpuE7ELNS1_3repE0EEENS1_30default_config_static_selectorELNS0_4arch9wavefront6targetE0EEEvT1_,comdat
	.protected	_ZN7rocprim17ROCPRIM_400000_NS6detail17trampoline_kernelINS0_14default_configENS1_25transform_config_selectorImLb0EEEZNS1_14transform_implILb0ES3_S5_NS0_17constant_iteratorImlEEPlNS0_8identityImEEEE10hipError_tT2_T3_mT4_P12ihipStream_tbEUlT_E_NS1_11comp_targetILNS1_3genE3ELNS1_11target_archE908ELNS1_3gpuE7ELNS1_3repE0EEENS1_30default_config_static_selectorELNS0_4arch9wavefront6targetE0EEEvT1_ ; -- Begin function _ZN7rocprim17ROCPRIM_400000_NS6detail17trampoline_kernelINS0_14default_configENS1_25transform_config_selectorImLb0EEEZNS1_14transform_implILb0ES3_S5_NS0_17constant_iteratorImlEEPlNS0_8identityImEEEE10hipError_tT2_T3_mT4_P12ihipStream_tbEUlT_E_NS1_11comp_targetILNS1_3genE3ELNS1_11target_archE908ELNS1_3gpuE7ELNS1_3repE0EEENS1_30default_config_static_selectorELNS0_4arch9wavefront6targetE0EEEvT1_
	.globl	_ZN7rocprim17ROCPRIM_400000_NS6detail17trampoline_kernelINS0_14default_configENS1_25transform_config_selectorImLb0EEEZNS1_14transform_implILb0ES3_S5_NS0_17constant_iteratorImlEEPlNS0_8identityImEEEE10hipError_tT2_T3_mT4_P12ihipStream_tbEUlT_E_NS1_11comp_targetILNS1_3genE3ELNS1_11target_archE908ELNS1_3gpuE7ELNS1_3repE0EEENS1_30default_config_static_selectorELNS0_4arch9wavefront6targetE0EEEvT1_
	.p2align	8
	.type	_ZN7rocprim17ROCPRIM_400000_NS6detail17trampoline_kernelINS0_14default_configENS1_25transform_config_selectorImLb0EEEZNS1_14transform_implILb0ES3_S5_NS0_17constant_iteratorImlEEPlNS0_8identityImEEEE10hipError_tT2_T3_mT4_P12ihipStream_tbEUlT_E_NS1_11comp_targetILNS1_3genE3ELNS1_11target_archE908ELNS1_3gpuE7ELNS1_3repE0EEENS1_30default_config_static_selectorELNS0_4arch9wavefront6targetE0EEEvT1_,@function
_ZN7rocprim17ROCPRIM_400000_NS6detail17trampoline_kernelINS0_14default_configENS1_25transform_config_selectorImLb0EEEZNS1_14transform_implILb0ES3_S5_NS0_17constant_iteratorImlEEPlNS0_8identityImEEEE10hipError_tT2_T3_mT4_P12ihipStream_tbEUlT_E_NS1_11comp_targetILNS1_3genE3ELNS1_11target_archE908ELNS1_3gpuE7ELNS1_3repE0EEENS1_30default_config_static_selectorELNS0_4arch9wavefront6targetE0EEEvT1_: ; @_ZN7rocprim17ROCPRIM_400000_NS6detail17trampoline_kernelINS0_14default_configENS1_25transform_config_selectorImLb0EEEZNS1_14transform_implILb0ES3_S5_NS0_17constant_iteratorImlEEPlNS0_8identityImEEEE10hipError_tT2_T3_mT4_P12ihipStream_tbEUlT_E_NS1_11comp_targetILNS1_3genE3ELNS1_11target_archE908ELNS1_3gpuE7ELNS1_3repE0EEENS1_30default_config_static_selectorELNS0_4arch9wavefront6targetE0EEEvT1_
; %bb.0:
	.section	.rodata,"a",@progbits
	.p2align	6, 0x0
	.amdhsa_kernel _ZN7rocprim17ROCPRIM_400000_NS6detail17trampoline_kernelINS0_14default_configENS1_25transform_config_selectorImLb0EEEZNS1_14transform_implILb0ES3_S5_NS0_17constant_iteratorImlEEPlNS0_8identityImEEEE10hipError_tT2_T3_mT4_P12ihipStream_tbEUlT_E_NS1_11comp_targetILNS1_3genE3ELNS1_11target_archE908ELNS1_3gpuE7ELNS1_3repE0EEENS1_30default_config_static_selectorELNS0_4arch9wavefront6targetE0EEEvT1_
		.amdhsa_group_segment_fixed_size 0
		.amdhsa_private_segment_fixed_size 0
		.amdhsa_kernarg_size 48
		.amdhsa_user_sgpr_count 2
		.amdhsa_user_sgpr_dispatch_ptr 0
		.amdhsa_user_sgpr_queue_ptr 0
		.amdhsa_user_sgpr_kernarg_segment_ptr 1
		.amdhsa_user_sgpr_dispatch_id 0
		.amdhsa_user_sgpr_kernarg_preload_length 0
		.amdhsa_user_sgpr_kernarg_preload_offset 0
		.amdhsa_user_sgpr_private_segment_size 0
		.amdhsa_wavefront_size32 1
		.amdhsa_uses_dynamic_stack 0
		.amdhsa_enable_private_segment 0
		.amdhsa_system_sgpr_workgroup_id_x 1
		.amdhsa_system_sgpr_workgroup_id_y 0
		.amdhsa_system_sgpr_workgroup_id_z 0
		.amdhsa_system_sgpr_workgroup_info 0
		.amdhsa_system_vgpr_workitem_id 0
		.amdhsa_next_free_vgpr 1
		.amdhsa_next_free_sgpr 1
		.amdhsa_named_barrier_count 0
		.amdhsa_reserve_vcc 0
		.amdhsa_float_round_mode_32 0
		.amdhsa_float_round_mode_16_64 0
		.amdhsa_float_denorm_mode_32 3
		.amdhsa_float_denorm_mode_16_64 3
		.amdhsa_fp16_overflow 0
		.amdhsa_memory_ordered 1
		.amdhsa_forward_progress 1
		.amdhsa_inst_pref_size 0
		.amdhsa_round_robin_scheduling 0
		.amdhsa_exception_fp_ieee_invalid_op 0
		.amdhsa_exception_fp_denorm_src 0
		.amdhsa_exception_fp_ieee_div_zero 0
		.amdhsa_exception_fp_ieee_overflow 0
		.amdhsa_exception_fp_ieee_underflow 0
		.amdhsa_exception_fp_ieee_inexact 0
		.amdhsa_exception_int_div_zero 0
	.end_amdhsa_kernel
	.section	.text._ZN7rocprim17ROCPRIM_400000_NS6detail17trampoline_kernelINS0_14default_configENS1_25transform_config_selectorImLb0EEEZNS1_14transform_implILb0ES3_S5_NS0_17constant_iteratorImlEEPlNS0_8identityImEEEE10hipError_tT2_T3_mT4_P12ihipStream_tbEUlT_E_NS1_11comp_targetILNS1_3genE3ELNS1_11target_archE908ELNS1_3gpuE7ELNS1_3repE0EEENS1_30default_config_static_selectorELNS0_4arch9wavefront6targetE0EEEvT1_,"axG",@progbits,_ZN7rocprim17ROCPRIM_400000_NS6detail17trampoline_kernelINS0_14default_configENS1_25transform_config_selectorImLb0EEEZNS1_14transform_implILb0ES3_S5_NS0_17constant_iteratorImlEEPlNS0_8identityImEEEE10hipError_tT2_T3_mT4_P12ihipStream_tbEUlT_E_NS1_11comp_targetILNS1_3genE3ELNS1_11target_archE908ELNS1_3gpuE7ELNS1_3repE0EEENS1_30default_config_static_selectorELNS0_4arch9wavefront6targetE0EEEvT1_,comdat
.Lfunc_end51:
	.size	_ZN7rocprim17ROCPRIM_400000_NS6detail17trampoline_kernelINS0_14default_configENS1_25transform_config_selectorImLb0EEEZNS1_14transform_implILb0ES3_S5_NS0_17constant_iteratorImlEEPlNS0_8identityImEEEE10hipError_tT2_T3_mT4_P12ihipStream_tbEUlT_E_NS1_11comp_targetILNS1_3genE3ELNS1_11target_archE908ELNS1_3gpuE7ELNS1_3repE0EEENS1_30default_config_static_selectorELNS0_4arch9wavefront6targetE0EEEvT1_, .Lfunc_end51-_ZN7rocprim17ROCPRIM_400000_NS6detail17trampoline_kernelINS0_14default_configENS1_25transform_config_selectorImLb0EEEZNS1_14transform_implILb0ES3_S5_NS0_17constant_iteratorImlEEPlNS0_8identityImEEEE10hipError_tT2_T3_mT4_P12ihipStream_tbEUlT_E_NS1_11comp_targetILNS1_3genE3ELNS1_11target_archE908ELNS1_3gpuE7ELNS1_3repE0EEENS1_30default_config_static_selectorELNS0_4arch9wavefront6targetE0EEEvT1_
                                        ; -- End function
	.set _ZN7rocprim17ROCPRIM_400000_NS6detail17trampoline_kernelINS0_14default_configENS1_25transform_config_selectorImLb0EEEZNS1_14transform_implILb0ES3_S5_NS0_17constant_iteratorImlEEPlNS0_8identityImEEEE10hipError_tT2_T3_mT4_P12ihipStream_tbEUlT_E_NS1_11comp_targetILNS1_3genE3ELNS1_11target_archE908ELNS1_3gpuE7ELNS1_3repE0EEENS1_30default_config_static_selectorELNS0_4arch9wavefront6targetE0EEEvT1_.num_vgpr, 0
	.set _ZN7rocprim17ROCPRIM_400000_NS6detail17trampoline_kernelINS0_14default_configENS1_25transform_config_selectorImLb0EEEZNS1_14transform_implILb0ES3_S5_NS0_17constant_iteratorImlEEPlNS0_8identityImEEEE10hipError_tT2_T3_mT4_P12ihipStream_tbEUlT_E_NS1_11comp_targetILNS1_3genE3ELNS1_11target_archE908ELNS1_3gpuE7ELNS1_3repE0EEENS1_30default_config_static_selectorELNS0_4arch9wavefront6targetE0EEEvT1_.num_agpr, 0
	.set _ZN7rocprim17ROCPRIM_400000_NS6detail17trampoline_kernelINS0_14default_configENS1_25transform_config_selectorImLb0EEEZNS1_14transform_implILb0ES3_S5_NS0_17constant_iteratorImlEEPlNS0_8identityImEEEE10hipError_tT2_T3_mT4_P12ihipStream_tbEUlT_E_NS1_11comp_targetILNS1_3genE3ELNS1_11target_archE908ELNS1_3gpuE7ELNS1_3repE0EEENS1_30default_config_static_selectorELNS0_4arch9wavefront6targetE0EEEvT1_.numbered_sgpr, 0
	.set _ZN7rocprim17ROCPRIM_400000_NS6detail17trampoline_kernelINS0_14default_configENS1_25transform_config_selectorImLb0EEEZNS1_14transform_implILb0ES3_S5_NS0_17constant_iteratorImlEEPlNS0_8identityImEEEE10hipError_tT2_T3_mT4_P12ihipStream_tbEUlT_E_NS1_11comp_targetILNS1_3genE3ELNS1_11target_archE908ELNS1_3gpuE7ELNS1_3repE0EEENS1_30default_config_static_selectorELNS0_4arch9wavefront6targetE0EEEvT1_.num_named_barrier, 0
	.set _ZN7rocprim17ROCPRIM_400000_NS6detail17trampoline_kernelINS0_14default_configENS1_25transform_config_selectorImLb0EEEZNS1_14transform_implILb0ES3_S5_NS0_17constant_iteratorImlEEPlNS0_8identityImEEEE10hipError_tT2_T3_mT4_P12ihipStream_tbEUlT_E_NS1_11comp_targetILNS1_3genE3ELNS1_11target_archE908ELNS1_3gpuE7ELNS1_3repE0EEENS1_30default_config_static_selectorELNS0_4arch9wavefront6targetE0EEEvT1_.private_seg_size, 0
	.set _ZN7rocprim17ROCPRIM_400000_NS6detail17trampoline_kernelINS0_14default_configENS1_25transform_config_selectorImLb0EEEZNS1_14transform_implILb0ES3_S5_NS0_17constant_iteratorImlEEPlNS0_8identityImEEEE10hipError_tT2_T3_mT4_P12ihipStream_tbEUlT_E_NS1_11comp_targetILNS1_3genE3ELNS1_11target_archE908ELNS1_3gpuE7ELNS1_3repE0EEENS1_30default_config_static_selectorELNS0_4arch9wavefront6targetE0EEEvT1_.uses_vcc, 0
	.set _ZN7rocprim17ROCPRIM_400000_NS6detail17trampoline_kernelINS0_14default_configENS1_25transform_config_selectorImLb0EEEZNS1_14transform_implILb0ES3_S5_NS0_17constant_iteratorImlEEPlNS0_8identityImEEEE10hipError_tT2_T3_mT4_P12ihipStream_tbEUlT_E_NS1_11comp_targetILNS1_3genE3ELNS1_11target_archE908ELNS1_3gpuE7ELNS1_3repE0EEENS1_30default_config_static_selectorELNS0_4arch9wavefront6targetE0EEEvT1_.uses_flat_scratch, 0
	.set _ZN7rocprim17ROCPRIM_400000_NS6detail17trampoline_kernelINS0_14default_configENS1_25transform_config_selectorImLb0EEEZNS1_14transform_implILb0ES3_S5_NS0_17constant_iteratorImlEEPlNS0_8identityImEEEE10hipError_tT2_T3_mT4_P12ihipStream_tbEUlT_E_NS1_11comp_targetILNS1_3genE3ELNS1_11target_archE908ELNS1_3gpuE7ELNS1_3repE0EEENS1_30default_config_static_selectorELNS0_4arch9wavefront6targetE0EEEvT1_.has_dyn_sized_stack, 0
	.set _ZN7rocprim17ROCPRIM_400000_NS6detail17trampoline_kernelINS0_14default_configENS1_25transform_config_selectorImLb0EEEZNS1_14transform_implILb0ES3_S5_NS0_17constant_iteratorImlEEPlNS0_8identityImEEEE10hipError_tT2_T3_mT4_P12ihipStream_tbEUlT_E_NS1_11comp_targetILNS1_3genE3ELNS1_11target_archE908ELNS1_3gpuE7ELNS1_3repE0EEENS1_30default_config_static_selectorELNS0_4arch9wavefront6targetE0EEEvT1_.has_recursion, 0
	.set _ZN7rocprim17ROCPRIM_400000_NS6detail17trampoline_kernelINS0_14default_configENS1_25transform_config_selectorImLb0EEEZNS1_14transform_implILb0ES3_S5_NS0_17constant_iteratorImlEEPlNS0_8identityImEEEE10hipError_tT2_T3_mT4_P12ihipStream_tbEUlT_E_NS1_11comp_targetILNS1_3genE3ELNS1_11target_archE908ELNS1_3gpuE7ELNS1_3repE0EEENS1_30default_config_static_selectorELNS0_4arch9wavefront6targetE0EEEvT1_.has_indirect_call, 0
	.section	.AMDGPU.csdata,"",@progbits
; Kernel info:
; codeLenInByte = 0
; TotalNumSgprs: 0
; NumVgprs: 0
; ScratchSize: 0
; MemoryBound: 0
; FloatMode: 240
; IeeeMode: 1
; LDSByteSize: 0 bytes/workgroup (compile time only)
; SGPRBlocks: 0
; VGPRBlocks: 0
; NumSGPRsForWavesPerEU: 1
; NumVGPRsForWavesPerEU: 1
; NamedBarCnt: 0
; Occupancy: 16
; WaveLimiterHint : 0
; COMPUTE_PGM_RSRC2:SCRATCH_EN: 0
; COMPUTE_PGM_RSRC2:USER_SGPR: 2
; COMPUTE_PGM_RSRC2:TRAP_HANDLER: 0
; COMPUTE_PGM_RSRC2:TGID_X_EN: 1
; COMPUTE_PGM_RSRC2:TGID_Y_EN: 0
; COMPUTE_PGM_RSRC2:TGID_Z_EN: 0
; COMPUTE_PGM_RSRC2:TIDIG_COMP_CNT: 0
	.section	.text._ZN7rocprim17ROCPRIM_400000_NS6detail17trampoline_kernelINS0_14default_configENS1_25transform_config_selectorImLb0EEEZNS1_14transform_implILb0ES3_S5_NS0_17constant_iteratorImlEEPlNS0_8identityImEEEE10hipError_tT2_T3_mT4_P12ihipStream_tbEUlT_E_NS1_11comp_targetILNS1_3genE2ELNS1_11target_archE906ELNS1_3gpuE6ELNS1_3repE0EEENS1_30default_config_static_selectorELNS0_4arch9wavefront6targetE0EEEvT1_,"axG",@progbits,_ZN7rocprim17ROCPRIM_400000_NS6detail17trampoline_kernelINS0_14default_configENS1_25transform_config_selectorImLb0EEEZNS1_14transform_implILb0ES3_S5_NS0_17constant_iteratorImlEEPlNS0_8identityImEEEE10hipError_tT2_T3_mT4_P12ihipStream_tbEUlT_E_NS1_11comp_targetILNS1_3genE2ELNS1_11target_archE906ELNS1_3gpuE6ELNS1_3repE0EEENS1_30default_config_static_selectorELNS0_4arch9wavefront6targetE0EEEvT1_,comdat
	.protected	_ZN7rocprim17ROCPRIM_400000_NS6detail17trampoline_kernelINS0_14default_configENS1_25transform_config_selectorImLb0EEEZNS1_14transform_implILb0ES3_S5_NS0_17constant_iteratorImlEEPlNS0_8identityImEEEE10hipError_tT2_T3_mT4_P12ihipStream_tbEUlT_E_NS1_11comp_targetILNS1_3genE2ELNS1_11target_archE906ELNS1_3gpuE6ELNS1_3repE0EEENS1_30default_config_static_selectorELNS0_4arch9wavefront6targetE0EEEvT1_ ; -- Begin function _ZN7rocprim17ROCPRIM_400000_NS6detail17trampoline_kernelINS0_14default_configENS1_25transform_config_selectorImLb0EEEZNS1_14transform_implILb0ES3_S5_NS0_17constant_iteratorImlEEPlNS0_8identityImEEEE10hipError_tT2_T3_mT4_P12ihipStream_tbEUlT_E_NS1_11comp_targetILNS1_3genE2ELNS1_11target_archE906ELNS1_3gpuE6ELNS1_3repE0EEENS1_30default_config_static_selectorELNS0_4arch9wavefront6targetE0EEEvT1_
	.globl	_ZN7rocprim17ROCPRIM_400000_NS6detail17trampoline_kernelINS0_14default_configENS1_25transform_config_selectorImLb0EEEZNS1_14transform_implILb0ES3_S5_NS0_17constant_iteratorImlEEPlNS0_8identityImEEEE10hipError_tT2_T3_mT4_P12ihipStream_tbEUlT_E_NS1_11comp_targetILNS1_3genE2ELNS1_11target_archE906ELNS1_3gpuE6ELNS1_3repE0EEENS1_30default_config_static_selectorELNS0_4arch9wavefront6targetE0EEEvT1_
	.p2align	8
	.type	_ZN7rocprim17ROCPRIM_400000_NS6detail17trampoline_kernelINS0_14default_configENS1_25transform_config_selectorImLb0EEEZNS1_14transform_implILb0ES3_S5_NS0_17constant_iteratorImlEEPlNS0_8identityImEEEE10hipError_tT2_T3_mT4_P12ihipStream_tbEUlT_E_NS1_11comp_targetILNS1_3genE2ELNS1_11target_archE906ELNS1_3gpuE6ELNS1_3repE0EEENS1_30default_config_static_selectorELNS0_4arch9wavefront6targetE0EEEvT1_,@function
_ZN7rocprim17ROCPRIM_400000_NS6detail17trampoline_kernelINS0_14default_configENS1_25transform_config_selectorImLb0EEEZNS1_14transform_implILb0ES3_S5_NS0_17constant_iteratorImlEEPlNS0_8identityImEEEE10hipError_tT2_T3_mT4_P12ihipStream_tbEUlT_E_NS1_11comp_targetILNS1_3genE2ELNS1_11target_archE906ELNS1_3gpuE6ELNS1_3repE0EEENS1_30default_config_static_selectorELNS0_4arch9wavefront6targetE0EEEvT1_: ; @_ZN7rocprim17ROCPRIM_400000_NS6detail17trampoline_kernelINS0_14default_configENS1_25transform_config_selectorImLb0EEEZNS1_14transform_implILb0ES3_S5_NS0_17constant_iteratorImlEEPlNS0_8identityImEEEE10hipError_tT2_T3_mT4_P12ihipStream_tbEUlT_E_NS1_11comp_targetILNS1_3genE2ELNS1_11target_archE906ELNS1_3gpuE6ELNS1_3repE0EEENS1_30default_config_static_selectorELNS0_4arch9wavefront6targetE0EEEvT1_
; %bb.0:
	.section	.rodata,"a",@progbits
	.p2align	6, 0x0
	.amdhsa_kernel _ZN7rocprim17ROCPRIM_400000_NS6detail17trampoline_kernelINS0_14default_configENS1_25transform_config_selectorImLb0EEEZNS1_14transform_implILb0ES3_S5_NS0_17constant_iteratorImlEEPlNS0_8identityImEEEE10hipError_tT2_T3_mT4_P12ihipStream_tbEUlT_E_NS1_11comp_targetILNS1_3genE2ELNS1_11target_archE906ELNS1_3gpuE6ELNS1_3repE0EEENS1_30default_config_static_selectorELNS0_4arch9wavefront6targetE0EEEvT1_
		.amdhsa_group_segment_fixed_size 0
		.amdhsa_private_segment_fixed_size 0
		.amdhsa_kernarg_size 48
		.amdhsa_user_sgpr_count 2
		.amdhsa_user_sgpr_dispatch_ptr 0
		.amdhsa_user_sgpr_queue_ptr 0
		.amdhsa_user_sgpr_kernarg_segment_ptr 1
		.amdhsa_user_sgpr_dispatch_id 0
		.amdhsa_user_sgpr_kernarg_preload_length 0
		.amdhsa_user_sgpr_kernarg_preload_offset 0
		.amdhsa_user_sgpr_private_segment_size 0
		.amdhsa_wavefront_size32 1
		.amdhsa_uses_dynamic_stack 0
		.amdhsa_enable_private_segment 0
		.amdhsa_system_sgpr_workgroup_id_x 1
		.amdhsa_system_sgpr_workgroup_id_y 0
		.amdhsa_system_sgpr_workgroup_id_z 0
		.amdhsa_system_sgpr_workgroup_info 0
		.amdhsa_system_vgpr_workitem_id 0
		.amdhsa_next_free_vgpr 1
		.amdhsa_next_free_sgpr 1
		.amdhsa_named_barrier_count 0
		.amdhsa_reserve_vcc 0
		.amdhsa_float_round_mode_32 0
		.amdhsa_float_round_mode_16_64 0
		.amdhsa_float_denorm_mode_32 3
		.amdhsa_float_denorm_mode_16_64 3
		.amdhsa_fp16_overflow 0
		.amdhsa_memory_ordered 1
		.amdhsa_forward_progress 1
		.amdhsa_inst_pref_size 0
		.amdhsa_round_robin_scheduling 0
		.amdhsa_exception_fp_ieee_invalid_op 0
		.amdhsa_exception_fp_denorm_src 0
		.amdhsa_exception_fp_ieee_div_zero 0
		.amdhsa_exception_fp_ieee_overflow 0
		.amdhsa_exception_fp_ieee_underflow 0
		.amdhsa_exception_fp_ieee_inexact 0
		.amdhsa_exception_int_div_zero 0
	.end_amdhsa_kernel
	.section	.text._ZN7rocprim17ROCPRIM_400000_NS6detail17trampoline_kernelINS0_14default_configENS1_25transform_config_selectorImLb0EEEZNS1_14transform_implILb0ES3_S5_NS0_17constant_iteratorImlEEPlNS0_8identityImEEEE10hipError_tT2_T3_mT4_P12ihipStream_tbEUlT_E_NS1_11comp_targetILNS1_3genE2ELNS1_11target_archE906ELNS1_3gpuE6ELNS1_3repE0EEENS1_30default_config_static_selectorELNS0_4arch9wavefront6targetE0EEEvT1_,"axG",@progbits,_ZN7rocprim17ROCPRIM_400000_NS6detail17trampoline_kernelINS0_14default_configENS1_25transform_config_selectorImLb0EEEZNS1_14transform_implILb0ES3_S5_NS0_17constant_iteratorImlEEPlNS0_8identityImEEEE10hipError_tT2_T3_mT4_P12ihipStream_tbEUlT_E_NS1_11comp_targetILNS1_3genE2ELNS1_11target_archE906ELNS1_3gpuE6ELNS1_3repE0EEENS1_30default_config_static_selectorELNS0_4arch9wavefront6targetE0EEEvT1_,comdat
.Lfunc_end52:
	.size	_ZN7rocprim17ROCPRIM_400000_NS6detail17trampoline_kernelINS0_14default_configENS1_25transform_config_selectorImLb0EEEZNS1_14transform_implILb0ES3_S5_NS0_17constant_iteratorImlEEPlNS0_8identityImEEEE10hipError_tT2_T3_mT4_P12ihipStream_tbEUlT_E_NS1_11comp_targetILNS1_3genE2ELNS1_11target_archE906ELNS1_3gpuE6ELNS1_3repE0EEENS1_30default_config_static_selectorELNS0_4arch9wavefront6targetE0EEEvT1_, .Lfunc_end52-_ZN7rocprim17ROCPRIM_400000_NS6detail17trampoline_kernelINS0_14default_configENS1_25transform_config_selectorImLb0EEEZNS1_14transform_implILb0ES3_S5_NS0_17constant_iteratorImlEEPlNS0_8identityImEEEE10hipError_tT2_T3_mT4_P12ihipStream_tbEUlT_E_NS1_11comp_targetILNS1_3genE2ELNS1_11target_archE906ELNS1_3gpuE6ELNS1_3repE0EEENS1_30default_config_static_selectorELNS0_4arch9wavefront6targetE0EEEvT1_
                                        ; -- End function
	.set _ZN7rocprim17ROCPRIM_400000_NS6detail17trampoline_kernelINS0_14default_configENS1_25transform_config_selectorImLb0EEEZNS1_14transform_implILb0ES3_S5_NS0_17constant_iteratorImlEEPlNS0_8identityImEEEE10hipError_tT2_T3_mT4_P12ihipStream_tbEUlT_E_NS1_11comp_targetILNS1_3genE2ELNS1_11target_archE906ELNS1_3gpuE6ELNS1_3repE0EEENS1_30default_config_static_selectorELNS0_4arch9wavefront6targetE0EEEvT1_.num_vgpr, 0
	.set _ZN7rocprim17ROCPRIM_400000_NS6detail17trampoline_kernelINS0_14default_configENS1_25transform_config_selectorImLb0EEEZNS1_14transform_implILb0ES3_S5_NS0_17constant_iteratorImlEEPlNS0_8identityImEEEE10hipError_tT2_T3_mT4_P12ihipStream_tbEUlT_E_NS1_11comp_targetILNS1_3genE2ELNS1_11target_archE906ELNS1_3gpuE6ELNS1_3repE0EEENS1_30default_config_static_selectorELNS0_4arch9wavefront6targetE0EEEvT1_.num_agpr, 0
	.set _ZN7rocprim17ROCPRIM_400000_NS6detail17trampoline_kernelINS0_14default_configENS1_25transform_config_selectorImLb0EEEZNS1_14transform_implILb0ES3_S5_NS0_17constant_iteratorImlEEPlNS0_8identityImEEEE10hipError_tT2_T3_mT4_P12ihipStream_tbEUlT_E_NS1_11comp_targetILNS1_3genE2ELNS1_11target_archE906ELNS1_3gpuE6ELNS1_3repE0EEENS1_30default_config_static_selectorELNS0_4arch9wavefront6targetE0EEEvT1_.numbered_sgpr, 0
	.set _ZN7rocprim17ROCPRIM_400000_NS6detail17trampoline_kernelINS0_14default_configENS1_25transform_config_selectorImLb0EEEZNS1_14transform_implILb0ES3_S5_NS0_17constant_iteratorImlEEPlNS0_8identityImEEEE10hipError_tT2_T3_mT4_P12ihipStream_tbEUlT_E_NS1_11comp_targetILNS1_3genE2ELNS1_11target_archE906ELNS1_3gpuE6ELNS1_3repE0EEENS1_30default_config_static_selectorELNS0_4arch9wavefront6targetE0EEEvT1_.num_named_barrier, 0
	.set _ZN7rocprim17ROCPRIM_400000_NS6detail17trampoline_kernelINS0_14default_configENS1_25transform_config_selectorImLb0EEEZNS1_14transform_implILb0ES3_S5_NS0_17constant_iteratorImlEEPlNS0_8identityImEEEE10hipError_tT2_T3_mT4_P12ihipStream_tbEUlT_E_NS1_11comp_targetILNS1_3genE2ELNS1_11target_archE906ELNS1_3gpuE6ELNS1_3repE0EEENS1_30default_config_static_selectorELNS0_4arch9wavefront6targetE0EEEvT1_.private_seg_size, 0
	.set _ZN7rocprim17ROCPRIM_400000_NS6detail17trampoline_kernelINS0_14default_configENS1_25transform_config_selectorImLb0EEEZNS1_14transform_implILb0ES3_S5_NS0_17constant_iteratorImlEEPlNS0_8identityImEEEE10hipError_tT2_T3_mT4_P12ihipStream_tbEUlT_E_NS1_11comp_targetILNS1_3genE2ELNS1_11target_archE906ELNS1_3gpuE6ELNS1_3repE0EEENS1_30default_config_static_selectorELNS0_4arch9wavefront6targetE0EEEvT1_.uses_vcc, 0
	.set _ZN7rocprim17ROCPRIM_400000_NS6detail17trampoline_kernelINS0_14default_configENS1_25transform_config_selectorImLb0EEEZNS1_14transform_implILb0ES3_S5_NS0_17constant_iteratorImlEEPlNS0_8identityImEEEE10hipError_tT2_T3_mT4_P12ihipStream_tbEUlT_E_NS1_11comp_targetILNS1_3genE2ELNS1_11target_archE906ELNS1_3gpuE6ELNS1_3repE0EEENS1_30default_config_static_selectorELNS0_4arch9wavefront6targetE0EEEvT1_.uses_flat_scratch, 0
	.set _ZN7rocprim17ROCPRIM_400000_NS6detail17trampoline_kernelINS0_14default_configENS1_25transform_config_selectorImLb0EEEZNS1_14transform_implILb0ES3_S5_NS0_17constant_iteratorImlEEPlNS0_8identityImEEEE10hipError_tT2_T3_mT4_P12ihipStream_tbEUlT_E_NS1_11comp_targetILNS1_3genE2ELNS1_11target_archE906ELNS1_3gpuE6ELNS1_3repE0EEENS1_30default_config_static_selectorELNS0_4arch9wavefront6targetE0EEEvT1_.has_dyn_sized_stack, 0
	.set _ZN7rocprim17ROCPRIM_400000_NS6detail17trampoline_kernelINS0_14default_configENS1_25transform_config_selectorImLb0EEEZNS1_14transform_implILb0ES3_S5_NS0_17constant_iteratorImlEEPlNS0_8identityImEEEE10hipError_tT2_T3_mT4_P12ihipStream_tbEUlT_E_NS1_11comp_targetILNS1_3genE2ELNS1_11target_archE906ELNS1_3gpuE6ELNS1_3repE0EEENS1_30default_config_static_selectorELNS0_4arch9wavefront6targetE0EEEvT1_.has_recursion, 0
	.set _ZN7rocprim17ROCPRIM_400000_NS6detail17trampoline_kernelINS0_14default_configENS1_25transform_config_selectorImLb0EEEZNS1_14transform_implILb0ES3_S5_NS0_17constant_iteratorImlEEPlNS0_8identityImEEEE10hipError_tT2_T3_mT4_P12ihipStream_tbEUlT_E_NS1_11comp_targetILNS1_3genE2ELNS1_11target_archE906ELNS1_3gpuE6ELNS1_3repE0EEENS1_30default_config_static_selectorELNS0_4arch9wavefront6targetE0EEEvT1_.has_indirect_call, 0
	.section	.AMDGPU.csdata,"",@progbits
; Kernel info:
; codeLenInByte = 0
; TotalNumSgprs: 0
; NumVgprs: 0
; ScratchSize: 0
; MemoryBound: 0
; FloatMode: 240
; IeeeMode: 1
; LDSByteSize: 0 bytes/workgroup (compile time only)
; SGPRBlocks: 0
; VGPRBlocks: 0
; NumSGPRsForWavesPerEU: 1
; NumVGPRsForWavesPerEU: 1
; NamedBarCnt: 0
; Occupancy: 16
; WaveLimiterHint : 0
; COMPUTE_PGM_RSRC2:SCRATCH_EN: 0
; COMPUTE_PGM_RSRC2:USER_SGPR: 2
; COMPUTE_PGM_RSRC2:TRAP_HANDLER: 0
; COMPUTE_PGM_RSRC2:TGID_X_EN: 1
; COMPUTE_PGM_RSRC2:TGID_Y_EN: 0
; COMPUTE_PGM_RSRC2:TGID_Z_EN: 0
; COMPUTE_PGM_RSRC2:TIDIG_COMP_CNT: 0
	.section	.text._ZN7rocprim17ROCPRIM_400000_NS6detail17trampoline_kernelINS0_14default_configENS1_25transform_config_selectorImLb0EEEZNS1_14transform_implILb0ES3_S5_NS0_17constant_iteratorImlEEPlNS0_8identityImEEEE10hipError_tT2_T3_mT4_P12ihipStream_tbEUlT_E_NS1_11comp_targetILNS1_3genE10ELNS1_11target_archE1201ELNS1_3gpuE5ELNS1_3repE0EEENS1_30default_config_static_selectorELNS0_4arch9wavefront6targetE0EEEvT1_,"axG",@progbits,_ZN7rocprim17ROCPRIM_400000_NS6detail17trampoline_kernelINS0_14default_configENS1_25transform_config_selectorImLb0EEEZNS1_14transform_implILb0ES3_S5_NS0_17constant_iteratorImlEEPlNS0_8identityImEEEE10hipError_tT2_T3_mT4_P12ihipStream_tbEUlT_E_NS1_11comp_targetILNS1_3genE10ELNS1_11target_archE1201ELNS1_3gpuE5ELNS1_3repE0EEENS1_30default_config_static_selectorELNS0_4arch9wavefront6targetE0EEEvT1_,comdat
	.protected	_ZN7rocprim17ROCPRIM_400000_NS6detail17trampoline_kernelINS0_14default_configENS1_25transform_config_selectorImLb0EEEZNS1_14transform_implILb0ES3_S5_NS0_17constant_iteratorImlEEPlNS0_8identityImEEEE10hipError_tT2_T3_mT4_P12ihipStream_tbEUlT_E_NS1_11comp_targetILNS1_3genE10ELNS1_11target_archE1201ELNS1_3gpuE5ELNS1_3repE0EEENS1_30default_config_static_selectorELNS0_4arch9wavefront6targetE0EEEvT1_ ; -- Begin function _ZN7rocprim17ROCPRIM_400000_NS6detail17trampoline_kernelINS0_14default_configENS1_25transform_config_selectorImLb0EEEZNS1_14transform_implILb0ES3_S5_NS0_17constant_iteratorImlEEPlNS0_8identityImEEEE10hipError_tT2_T3_mT4_P12ihipStream_tbEUlT_E_NS1_11comp_targetILNS1_3genE10ELNS1_11target_archE1201ELNS1_3gpuE5ELNS1_3repE0EEENS1_30default_config_static_selectorELNS0_4arch9wavefront6targetE0EEEvT1_
	.globl	_ZN7rocprim17ROCPRIM_400000_NS6detail17trampoline_kernelINS0_14default_configENS1_25transform_config_selectorImLb0EEEZNS1_14transform_implILb0ES3_S5_NS0_17constant_iteratorImlEEPlNS0_8identityImEEEE10hipError_tT2_T3_mT4_P12ihipStream_tbEUlT_E_NS1_11comp_targetILNS1_3genE10ELNS1_11target_archE1201ELNS1_3gpuE5ELNS1_3repE0EEENS1_30default_config_static_selectorELNS0_4arch9wavefront6targetE0EEEvT1_
	.p2align	8
	.type	_ZN7rocprim17ROCPRIM_400000_NS6detail17trampoline_kernelINS0_14default_configENS1_25transform_config_selectorImLb0EEEZNS1_14transform_implILb0ES3_S5_NS0_17constant_iteratorImlEEPlNS0_8identityImEEEE10hipError_tT2_T3_mT4_P12ihipStream_tbEUlT_E_NS1_11comp_targetILNS1_3genE10ELNS1_11target_archE1201ELNS1_3gpuE5ELNS1_3repE0EEENS1_30default_config_static_selectorELNS0_4arch9wavefront6targetE0EEEvT1_,@function
_ZN7rocprim17ROCPRIM_400000_NS6detail17trampoline_kernelINS0_14default_configENS1_25transform_config_selectorImLb0EEEZNS1_14transform_implILb0ES3_S5_NS0_17constant_iteratorImlEEPlNS0_8identityImEEEE10hipError_tT2_T3_mT4_P12ihipStream_tbEUlT_E_NS1_11comp_targetILNS1_3genE10ELNS1_11target_archE1201ELNS1_3gpuE5ELNS1_3repE0EEENS1_30default_config_static_selectorELNS0_4arch9wavefront6targetE0EEEvT1_: ; @_ZN7rocprim17ROCPRIM_400000_NS6detail17trampoline_kernelINS0_14default_configENS1_25transform_config_selectorImLb0EEEZNS1_14transform_implILb0ES3_S5_NS0_17constant_iteratorImlEEPlNS0_8identityImEEEE10hipError_tT2_T3_mT4_P12ihipStream_tbEUlT_E_NS1_11comp_targetILNS1_3genE10ELNS1_11target_archE1201ELNS1_3gpuE5ELNS1_3repE0EEENS1_30default_config_static_selectorELNS0_4arch9wavefront6targetE0EEEvT1_
; %bb.0:
	.section	.rodata,"a",@progbits
	.p2align	6, 0x0
	.amdhsa_kernel _ZN7rocprim17ROCPRIM_400000_NS6detail17trampoline_kernelINS0_14default_configENS1_25transform_config_selectorImLb0EEEZNS1_14transform_implILb0ES3_S5_NS0_17constant_iteratorImlEEPlNS0_8identityImEEEE10hipError_tT2_T3_mT4_P12ihipStream_tbEUlT_E_NS1_11comp_targetILNS1_3genE10ELNS1_11target_archE1201ELNS1_3gpuE5ELNS1_3repE0EEENS1_30default_config_static_selectorELNS0_4arch9wavefront6targetE0EEEvT1_
		.amdhsa_group_segment_fixed_size 0
		.amdhsa_private_segment_fixed_size 0
		.amdhsa_kernarg_size 48
		.amdhsa_user_sgpr_count 2
		.amdhsa_user_sgpr_dispatch_ptr 0
		.amdhsa_user_sgpr_queue_ptr 0
		.amdhsa_user_sgpr_kernarg_segment_ptr 1
		.amdhsa_user_sgpr_dispatch_id 0
		.amdhsa_user_sgpr_kernarg_preload_length 0
		.amdhsa_user_sgpr_kernarg_preload_offset 0
		.amdhsa_user_sgpr_private_segment_size 0
		.amdhsa_wavefront_size32 1
		.amdhsa_uses_dynamic_stack 0
		.amdhsa_enable_private_segment 0
		.amdhsa_system_sgpr_workgroup_id_x 1
		.amdhsa_system_sgpr_workgroup_id_y 0
		.amdhsa_system_sgpr_workgroup_id_z 0
		.amdhsa_system_sgpr_workgroup_info 0
		.amdhsa_system_vgpr_workitem_id 0
		.amdhsa_next_free_vgpr 1
		.amdhsa_next_free_sgpr 1
		.amdhsa_named_barrier_count 0
		.amdhsa_reserve_vcc 0
		.amdhsa_float_round_mode_32 0
		.amdhsa_float_round_mode_16_64 0
		.amdhsa_float_denorm_mode_32 3
		.amdhsa_float_denorm_mode_16_64 3
		.amdhsa_fp16_overflow 0
		.amdhsa_memory_ordered 1
		.amdhsa_forward_progress 1
		.amdhsa_inst_pref_size 0
		.amdhsa_round_robin_scheduling 0
		.amdhsa_exception_fp_ieee_invalid_op 0
		.amdhsa_exception_fp_denorm_src 0
		.amdhsa_exception_fp_ieee_div_zero 0
		.amdhsa_exception_fp_ieee_overflow 0
		.amdhsa_exception_fp_ieee_underflow 0
		.amdhsa_exception_fp_ieee_inexact 0
		.amdhsa_exception_int_div_zero 0
	.end_amdhsa_kernel
	.section	.text._ZN7rocprim17ROCPRIM_400000_NS6detail17trampoline_kernelINS0_14default_configENS1_25transform_config_selectorImLb0EEEZNS1_14transform_implILb0ES3_S5_NS0_17constant_iteratorImlEEPlNS0_8identityImEEEE10hipError_tT2_T3_mT4_P12ihipStream_tbEUlT_E_NS1_11comp_targetILNS1_3genE10ELNS1_11target_archE1201ELNS1_3gpuE5ELNS1_3repE0EEENS1_30default_config_static_selectorELNS0_4arch9wavefront6targetE0EEEvT1_,"axG",@progbits,_ZN7rocprim17ROCPRIM_400000_NS6detail17trampoline_kernelINS0_14default_configENS1_25transform_config_selectorImLb0EEEZNS1_14transform_implILb0ES3_S5_NS0_17constant_iteratorImlEEPlNS0_8identityImEEEE10hipError_tT2_T3_mT4_P12ihipStream_tbEUlT_E_NS1_11comp_targetILNS1_3genE10ELNS1_11target_archE1201ELNS1_3gpuE5ELNS1_3repE0EEENS1_30default_config_static_selectorELNS0_4arch9wavefront6targetE0EEEvT1_,comdat
.Lfunc_end53:
	.size	_ZN7rocprim17ROCPRIM_400000_NS6detail17trampoline_kernelINS0_14default_configENS1_25transform_config_selectorImLb0EEEZNS1_14transform_implILb0ES3_S5_NS0_17constant_iteratorImlEEPlNS0_8identityImEEEE10hipError_tT2_T3_mT4_P12ihipStream_tbEUlT_E_NS1_11comp_targetILNS1_3genE10ELNS1_11target_archE1201ELNS1_3gpuE5ELNS1_3repE0EEENS1_30default_config_static_selectorELNS0_4arch9wavefront6targetE0EEEvT1_, .Lfunc_end53-_ZN7rocprim17ROCPRIM_400000_NS6detail17trampoline_kernelINS0_14default_configENS1_25transform_config_selectorImLb0EEEZNS1_14transform_implILb0ES3_S5_NS0_17constant_iteratorImlEEPlNS0_8identityImEEEE10hipError_tT2_T3_mT4_P12ihipStream_tbEUlT_E_NS1_11comp_targetILNS1_3genE10ELNS1_11target_archE1201ELNS1_3gpuE5ELNS1_3repE0EEENS1_30default_config_static_selectorELNS0_4arch9wavefront6targetE0EEEvT1_
                                        ; -- End function
	.set _ZN7rocprim17ROCPRIM_400000_NS6detail17trampoline_kernelINS0_14default_configENS1_25transform_config_selectorImLb0EEEZNS1_14transform_implILb0ES3_S5_NS0_17constant_iteratorImlEEPlNS0_8identityImEEEE10hipError_tT2_T3_mT4_P12ihipStream_tbEUlT_E_NS1_11comp_targetILNS1_3genE10ELNS1_11target_archE1201ELNS1_3gpuE5ELNS1_3repE0EEENS1_30default_config_static_selectorELNS0_4arch9wavefront6targetE0EEEvT1_.num_vgpr, 0
	.set _ZN7rocprim17ROCPRIM_400000_NS6detail17trampoline_kernelINS0_14default_configENS1_25transform_config_selectorImLb0EEEZNS1_14transform_implILb0ES3_S5_NS0_17constant_iteratorImlEEPlNS0_8identityImEEEE10hipError_tT2_T3_mT4_P12ihipStream_tbEUlT_E_NS1_11comp_targetILNS1_3genE10ELNS1_11target_archE1201ELNS1_3gpuE5ELNS1_3repE0EEENS1_30default_config_static_selectorELNS0_4arch9wavefront6targetE0EEEvT1_.num_agpr, 0
	.set _ZN7rocprim17ROCPRIM_400000_NS6detail17trampoline_kernelINS0_14default_configENS1_25transform_config_selectorImLb0EEEZNS1_14transform_implILb0ES3_S5_NS0_17constant_iteratorImlEEPlNS0_8identityImEEEE10hipError_tT2_T3_mT4_P12ihipStream_tbEUlT_E_NS1_11comp_targetILNS1_3genE10ELNS1_11target_archE1201ELNS1_3gpuE5ELNS1_3repE0EEENS1_30default_config_static_selectorELNS0_4arch9wavefront6targetE0EEEvT1_.numbered_sgpr, 0
	.set _ZN7rocprim17ROCPRIM_400000_NS6detail17trampoline_kernelINS0_14default_configENS1_25transform_config_selectorImLb0EEEZNS1_14transform_implILb0ES3_S5_NS0_17constant_iteratorImlEEPlNS0_8identityImEEEE10hipError_tT2_T3_mT4_P12ihipStream_tbEUlT_E_NS1_11comp_targetILNS1_3genE10ELNS1_11target_archE1201ELNS1_3gpuE5ELNS1_3repE0EEENS1_30default_config_static_selectorELNS0_4arch9wavefront6targetE0EEEvT1_.num_named_barrier, 0
	.set _ZN7rocprim17ROCPRIM_400000_NS6detail17trampoline_kernelINS0_14default_configENS1_25transform_config_selectorImLb0EEEZNS1_14transform_implILb0ES3_S5_NS0_17constant_iteratorImlEEPlNS0_8identityImEEEE10hipError_tT2_T3_mT4_P12ihipStream_tbEUlT_E_NS1_11comp_targetILNS1_3genE10ELNS1_11target_archE1201ELNS1_3gpuE5ELNS1_3repE0EEENS1_30default_config_static_selectorELNS0_4arch9wavefront6targetE0EEEvT1_.private_seg_size, 0
	.set _ZN7rocprim17ROCPRIM_400000_NS6detail17trampoline_kernelINS0_14default_configENS1_25transform_config_selectorImLb0EEEZNS1_14transform_implILb0ES3_S5_NS0_17constant_iteratorImlEEPlNS0_8identityImEEEE10hipError_tT2_T3_mT4_P12ihipStream_tbEUlT_E_NS1_11comp_targetILNS1_3genE10ELNS1_11target_archE1201ELNS1_3gpuE5ELNS1_3repE0EEENS1_30default_config_static_selectorELNS0_4arch9wavefront6targetE0EEEvT1_.uses_vcc, 0
	.set _ZN7rocprim17ROCPRIM_400000_NS6detail17trampoline_kernelINS0_14default_configENS1_25transform_config_selectorImLb0EEEZNS1_14transform_implILb0ES3_S5_NS0_17constant_iteratorImlEEPlNS0_8identityImEEEE10hipError_tT2_T3_mT4_P12ihipStream_tbEUlT_E_NS1_11comp_targetILNS1_3genE10ELNS1_11target_archE1201ELNS1_3gpuE5ELNS1_3repE0EEENS1_30default_config_static_selectorELNS0_4arch9wavefront6targetE0EEEvT1_.uses_flat_scratch, 0
	.set _ZN7rocprim17ROCPRIM_400000_NS6detail17trampoline_kernelINS0_14default_configENS1_25transform_config_selectorImLb0EEEZNS1_14transform_implILb0ES3_S5_NS0_17constant_iteratorImlEEPlNS0_8identityImEEEE10hipError_tT2_T3_mT4_P12ihipStream_tbEUlT_E_NS1_11comp_targetILNS1_3genE10ELNS1_11target_archE1201ELNS1_3gpuE5ELNS1_3repE0EEENS1_30default_config_static_selectorELNS0_4arch9wavefront6targetE0EEEvT1_.has_dyn_sized_stack, 0
	.set _ZN7rocprim17ROCPRIM_400000_NS6detail17trampoline_kernelINS0_14default_configENS1_25transform_config_selectorImLb0EEEZNS1_14transform_implILb0ES3_S5_NS0_17constant_iteratorImlEEPlNS0_8identityImEEEE10hipError_tT2_T3_mT4_P12ihipStream_tbEUlT_E_NS1_11comp_targetILNS1_3genE10ELNS1_11target_archE1201ELNS1_3gpuE5ELNS1_3repE0EEENS1_30default_config_static_selectorELNS0_4arch9wavefront6targetE0EEEvT1_.has_recursion, 0
	.set _ZN7rocprim17ROCPRIM_400000_NS6detail17trampoline_kernelINS0_14default_configENS1_25transform_config_selectorImLb0EEEZNS1_14transform_implILb0ES3_S5_NS0_17constant_iteratorImlEEPlNS0_8identityImEEEE10hipError_tT2_T3_mT4_P12ihipStream_tbEUlT_E_NS1_11comp_targetILNS1_3genE10ELNS1_11target_archE1201ELNS1_3gpuE5ELNS1_3repE0EEENS1_30default_config_static_selectorELNS0_4arch9wavefront6targetE0EEEvT1_.has_indirect_call, 0
	.section	.AMDGPU.csdata,"",@progbits
; Kernel info:
; codeLenInByte = 0
; TotalNumSgprs: 0
; NumVgprs: 0
; ScratchSize: 0
; MemoryBound: 0
; FloatMode: 240
; IeeeMode: 1
; LDSByteSize: 0 bytes/workgroup (compile time only)
; SGPRBlocks: 0
; VGPRBlocks: 0
; NumSGPRsForWavesPerEU: 1
; NumVGPRsForWavesPerEU: 1
; NamedBarCnt: 0
; Occupancy: 16
; WaveLimiterHint : 0
; COMPUTE_PGM_RSRC2:SCRATCH_EN: 0
; COMPUTE_PGM_RSRC2:USER_SGPR: 2
; COMPUTE_PGM_RSRC2:TRAP_HANDLER: 0
; COMPUTE_PGM_RSRC2:TGID_X_EN: 1
; COMPUTE_PGM_RSRC2:TGID_Y_EN: 0
; COMPUTE_PGM_RSRC2:TGID_Z_EN: 0
; COMPUTE_PGM_RSRC2:TIDIG_COMP_CNT: 0
	.section	.text._ZN7rocprim17ROCPRIM_400000_NS6detail17trampoline_kernelINS0_14default_configENS1_25transform_config_selectorImLb0EEEZNS1_14transform_implILb0ES3_S5_NS0_17constant_iteratorImlEEPlNS0_8identityImEEEE10hipError_tT2_T3_mT4_P12ihipStream_tbEUlT_E_NS1_11comp_targetILNS1_3genE10ELNS1_11target_archE1200ELNS1_3gpuE4ELNS1_3repE0EEENS1_30default_config_static_selectorELNS0_4arch9wavefront6targetE0EEEvT1_,"axG",@progbits,_ZN7rocprim17ROCPRIM_400000_NS6detail17trampoline_kernelINS0_14default_configENS1_25transform_config_selectorImLb0EEEZNS1_14transform_implILb0ES3_S5_NS0_17constant_iteratorImlEEPlNS0_8identityImEEEE10hipError_tT2_T3_mT4_P12ihipStream_tbEUlT_E_NS1_11comp_targetILNS1_3genE10ELNS1_11target_archE1200ELNS1_3gpuE4ELNS1_3repE0EEENS1_30default_config_static_selectorELNS0_4arch9wavefront6targetE0EEEvT1_,comdat
	.protected	_ZN7rocprim17ROCPRIM_400000_NS6detail17trampoline_kernelINS0_14default_configENS1_25transform_config_selectorImLb0EEEZNS1_14transform_implILb0ES3_S5_NS0_17constant_iteratorImlEEPlNS0_8identityImEEEE10hipError_tT2_T3_mT4_P12ihipStream_tbEUlT_E_NS1_11comp_targetILNS1_3genE10ELNS1_11target_archE1200ELNS1_3gpuE4ELNS1_3repE0EEENS1_30default_config_static_selectorELNS0_4arch9wavefront6targetE0EEEvT1_ ; -- Begin function _ZN7rocprim17ROCPRIM_400000_NS6detail17trampoline_kernelINS0_14default_configENS1_25transform_config_selectorImLb0EEEZNS1_14transform_implILb0ES3_S5_NS0_17constant_iteratorImlEEPlNS0_8identityImEEEE10hipError_tT2_T3_mT4_P12ihipStream_tbEUlT_E_NS1_11comp_targetILNS1_3genE10ELNS1_11target_archE1200ELNS1_3gpuE4ELNS1_3repE0EEENS1_30default_config_static_selectorELNS0_4arch9wavefront6targetE0EEEvT1_
	.globl	_ZN7rocprim17ROCPRIM_400000_NS6detail17trampoline_kernelINS0_14default_configENS1_25transform_config_selectorImLb0EEEZNS1_14transform_implILb0ES3_S5_NS0_17constant_iteratorImlEEPlNS0_8identityImEEEE10hipError_tT2_T3_mT4_P12ihipStream_tbEUlT_E_NS1_11comp_targetILNS1_3genE10ELNS1_11target_archE1200ELNS1_3gpuE4ELNS1_3repE0EEENS1_30default_config_static_selectorELNS0_4arch9wavefront6targetE0EEEvT1_
	.p2align	8
	.type	_ZN7rocprim17ROCPRIM_400000_NS6detail17trampoline_kernelINS0_14default_configENS1_25transform_config_selectorImLb0EEEZNS1_14transform_implILb0ES3_S5_NS0_17constant_iteratorImlEEPlNS0_8identityImEEEE10hipError_tT2_T3_mT4_P12ihipStream_tbEUlT_E_NS1_11comp_targetILNS1_3genE10ELNS1_11target_archE1200ELNS1_3gpuE4ELNS1_3repE0EEENS1_30default_config_static_selectorELNS0_4arch9wavefront6targetE0EEEvT1_,@function
_ZN7rocprim17ROCPRIM_400000_NS6detail17trampoline_kernelINS0_14default_configENS1_25transform_config_selectorImLb0EEEZNS1_14transform_implILb0ES3_S5_NS0_17constant_iteratorImlEEPlNS0_8identityImEEEE10hipError_tT2_T3_mT4_P12ihipStream_tbEUlT_E_NS1_11comp_targetILNS1_3genE10ELNS1_11target_archE1200ELNS1_3gpuE4ELNS1_3repE0EEENS1_30default_config_static_selectorELNS0_4arch9wavefront6targetE0EEEvT1_: ; @_ZN7rocprim17ROCPRIM_400000_NS6detail17trampoline_kernelINS0_14default_configENS1_25transform_config_selectorImLb0EEEZNS1_14transform_implILb0ES3_S5_NS0_17constant_iteratorImlEEPlNS0_8identityImEEEE10hipError_tT2_T3_mT4_P12ihipStream_tbEUlT_E_NS1_11comp_targetILNS1_3genE10ELNS1_11target_archE1200ELNS1_3gpuE4ELNS1_3repE0EEENS1_30default_config_static_selectorELNS0_4arch9wavefront6targetE0EEEvT1_
; %bb.0:
	.section	.rodata,"a",@progbits
	.p2align	6, 0x0
	.amdhsa_kernel _ZN7rocprim17ROCPRIM_400000_NS6detail17trampoline_kernelINS0_14default_configENS1_25transform_config_selectorImLb0EEEZNS1_14transform_implILb0ES3_S5_NS0_17constant_iteratorImlEEPlNS0_8identityImEEEE10hipError_tT2_T3_mT4_P12ihipStream_tbEUlT_E_NS1_11comp_targetILNS1_3genE10ELNS1_11target_archE1200ELNS1_3gpuE4ELNS1_3repE0EEENS1_30default_config_static_selectorELNS0_4arch9wavefront6targetE0EEEvT1_
		.amdhsa_group_segment_fixed_size 0
		.amdhsa_private_segment_fixed_size 0
		.amdhsa_kernarg_size 48
		.amdhsa_user_sgpr_count 2
		.amdhsa_user_sgpr_dispatch_ptr 0
		.amdhsa_user_sgpr_queue_ptr 0
		.amdhsa_user_sgpr_kernarg_segment_ptr 1
		.amdhsa_user_sgpr_dispatch_id 0
		.amdhsa_user_sgpr_kernarg_preload_length 0
		.amdhsa_user_sgpr_kernarg_preload_offset 0
		.amdhsa_user_sgpr_private_segment_size 0
		.amdhsa_wavefront_size32 1
		.amdhsa_uses_dynamic_stack 0
		.amdhsa_enable_private_segment 0
		.amdhsa_system_sgpr_workgroup_id_x 1
		.amdhsa_system_sgpr_workgroup_id_y 0
		.amdhsa_system_sgpr_workgroup_id_z 0
		.amdhsa_system_sgpr_workgroup_info 0
		.amdhsa_system_vgpr_workitem_id 0
		.amdhsa_next_free_vgpr 1
		.amdhsa_next_free_sgpr 1
		.amdhsa_named_barrier_count 0
		.amdhsa_reserve_vcc 0
		.amdhsa_float_round_mode_32 0
		.amdhsa_float_round_mode_16_64 0
		.amdhsa_float_denorm_mode_32 3
		.amdhsa_float_denorm_mode_16_64 3
		.amdhsa_fp16_overflow 0
		.amdhsa_memory_ordered 1
		.amdhsa_forward_progress 1
		.amdhsa_inst_pref_size 0
		.amdhsa_round_robin_scheduling 0
		.amdhsa_exception_fp_ieee_invalid_op 0
		.amdhsa_exception_fp_denorm_src 0
		.amdhsa_exception_fp_ieee_div_zero 0
		.amdhsa_exception_fp_ieee_overflow 0
		.amdhsa_exception_fp_ieee_underflow 0
		.amdhsa_exception_fp_ieee_inexact 0
		.amdhsa_exception_int_div_zero 0
	.end_amdhsa_kernel
	.section	.text._ZN7rocprim17ROCPRIM_400000_NS6detail17trampoline_kernelINS0_14default_configENS1_25transform_config_selectorImLb0EEEZNS1_14transform_implILb0ES3_S5_NS0_17constant_iteratorImlEEPlNS0_8identityImEEEE10hipError_tT2_T3_mT4_P12ihipStream_tbEUlT_E_NS1_11comp_targetILNS1_3genE10ELNS1_11target_archE1200ELNS1_3gpuE4ELNS1_3repE0EEENS1_30default_config_static_selectorELNS0_4arch9wavefront6targetE0EEEvT1_,"axG",@progbits,_ZN7rocprim17ROCPRIM_400000_NS6detail17trampoline_kernelINS0_14default_configENS1_25transform_config_selectorImLb0EEEZNS1_14transform_implILb0ES3_S5_NS0_17constant_iteratorImlEEPlNS0_8identityImEEEE10hipError_tT2_T3_mT4_P12ihipStream_tbEUlT_E_NS1_11comp_targetILNS1_3genE10ELNS1_11target_archE1200ELNS1_3gpuE4ELNS1_3repE0EEENS1_30default_config_static_selectorELNS0_4arch9wavefront6targetE0EEEvT1_,comdat
.Lfunc_end54:
	.size	_ZN7rocprim17ROCPRIM_400000_NS6detail17trampoline_kernelINS0_14default_configENS1_25transform_config_selectorImLb0EEEZNS1_14transform_implILb0ES3_S5_NS0_17constant_iteratorImlEEPlNS0_8identityImEEEE10hipError_tT2_T3_mT4_P12ihipStream_tbEUlT_E_NS1_11comp_targetILNS1_3genE10ELNS1_11target_archE1200ELNS1_3gpuE4ELNS1_3repE0EEENS1_30default_config_static_selectorELNS0_4arch9wavefront6targetE0EEEvT1_, .Lfunc_end54-_ZN7rocprim17ROCPRIM_400000_NS6detail17trampoline_kernelINS0_14default_configENS1_25transform_config_selectorImLb0EEEZNS1_14transform_implILb0ES3_S5_NS0_17constant_iteratorImlEEPlNS0_8identityImEEEE10hipError_tT2_T3_mT4_P12ihipStream_tbEUlT_E_NS1_11comp_targetILNS1_3genE10ELNS1_11target_archE1200ELNS1_3gpuE4ELNS1_3repE0EEENS1_30default_config_static_selectorELNS0_4arch9wavefront6targetE0EEEvT1_
                                        ; -- End function
	.set _ZN7rocprim17ROCPRIM_400000_NS6detail17trampoline_kernelINS0_14default_configENS1_25transform_config_selectorImLb0EEEZNS1_14transform_implILb0ES3_S5_NS0_17constant_iteratorImlEEPlNS0_8identityImEEEE10hipError_tT2_T3_mT4_P12ihipStream_tbEUlT_E_NS1_11comp_targetILNS1_3genE10ELNS1_11target_archE1200ELNS1_3gpuE4ELNS1_3repE0EEENS1_30default_config_static_selectorELNS0_4arch9wavefront6targetE0EEEvT1_.num_vgpr, 0
	.set _ZN7rocprim17ROCPRIM_400000_NS6detail17trampoline_kernelINS0_14default_configENS1_25transform_config_selectorImLb0EEEZNS1_14transform_implILb0ES3_S5_NS0_17constant_iteratorImlEEPlNS0_8identityImEEEE10hipError_tT2_T3_mT4_P12ihipStream_tbEUlT_E_NS1_11comp_targetILNS1_3genE10ELNS1_11target_archE1200ELNS1_3gpuE4ELNS1_3repE0EEENS1_30default_config_static_selectorELNS0_4arch9wavefront6targetE0EEEvT1_.num_agpr, 0
	.set _ZN7rocprim17ROCPRIM_400000_NS6detail17trampoline_kernelINS0_14default_configENS1_25transform_config_selectorImLb0EEEZNS1_14transform_implILb0ES3_S5_NS0_17constant_iteratorImlEEPlNS0_8identityImEEEE10hipError_tT2_T3_mT4_P12ihipStream_tbEUlT_E_NS1_11comp_targetILNS1_3genE10ELNS1_11target_archE1200ELNS1_3gpuE4ELNS1_3repE0EEENS1_30default_config_static_selectorELNS0_4arch9wavefront6targetE0EEEvT1_.numbered_sgpr, 0
	.set _ZN7rocprim17ROCPRIM_400000_NS6detail17trampoline_kernelINS0_14default_configENS1_25transform_config_selectorImLb0EEEZNS1_14transform_implILb0ES3_S5_NS0_17constant_iteratorImlEEPlNS0_8identityImEEEE10hipError_tT2_T3_mT4_P12ihipStream_tbEUlT_E_NS1_11comp_targetILNS1_3genE10ELNS1_11target_archE1200ELNS1_3gpuE4ELNS1_3repE0EEENS1_30default_config_static_selectorELNS0_4arch9wavefront6targetE0EEEvT1_.num_named_barrier, 0
	.set _ZN7rocprim17ROCPRIM_400000_NS6detail17trampoline_kernelINS0_14default_configENS1_25transform_config_selectorImLb0EEEZNS1_14transform_implILb0ES3_S5_NS0_17constant_iteratorImlEEPlNS0_8identityImEEEE10hipError_tT2_T3_mT4_P12ihipStream_tbEUlT_E_NS1_11comp_targetILNS1_3genE10ELNS1_11target_archE1200ELNS1_3gpuE4ELNS1_3repE0EEENS1_30default_config_static_selectorELNS0_4arch9wavefront6targetE0EEEvT1_.private_seg_size, 0
	.set _ZN7rocprim17ROCPRIM_400000_NS6detail17trampoline_kernelINS0_14default_configENS1_25transform_config_selectorImLb0EEEZNS1_14transform_implILb0ES3_S5_NS0_17constant_iteratorImlEEPlNS0_8identityImEEEE10hipError_tT2_T3_mT4_P12ihipStream_tbEUlT_E_NS1_11comp_targetILNS1_3genE10ELNS1_11target_archE1200ELNS1_3gpuE4ELNS1_3repE0EEENS1_30default_config_static_selectorELNS0_4arch9wavefront6targetE0EEEvT1_.uses_vcc, 0
	.set _ZN7rocprim17ROCPRIM_400000_NS6detail17trampoline_kernelINS0_14default_configENS1_25transform_config_selectorImLb0EEEZNS1_14transform_implILb0ES3_S5_NS0_17constant_iteratorImlEEPlNS0_8identityImEEEE10hipError_tT2_T3_mT4_P12ihipStream_tbEUlT_E_NS1_11comp_targetILNS1_3genE10ELNS1_11target_archE1200ELNS1_3gpuE4ELNS1_3repE0EEENS1_30default_config_static_selectorELNS0_4arch9wavefront6targetE0EEEvT1_.uses_flat_scratch, 0
	.set _ZN7rocprim17ROCPRIM_400000_NS6detail17trampoline_kernelINS0_14default_configENS1_25transform_config_selectorImLb0EEEZNS1_14transform_implILb0ES3_S5_NS0_17constant_iteratorImlEEPlNS0_8identityImEEEE10hipError_tT2_T3_mT4_P12ihipStream_tbEUlT_E_NS1_11comp_targetILNS1_3genE10ELNS1_11target_archE1200ELNS1_3gpuE4ELNS1_3repE0EEENS1_30default_config_static_selectorELNS0_4arch9wavefront6targetE0EEEvT1_.has_dyn_sized_stack, 0
	.set _ZN7rocprim17ROCPRIM_400000_NS6detail17trampoline_kernelINS0_14default_configENS1_25transform_config_selectorImLb0EEEZNS1_14transform_implILb0ES3_S5_NS0_17constant_iteratorImlEEPlNS0_8identityImEEEE10hipError_tT2_T3_mT4_P12ihipStream_tbEUlT_E_NS1_11comp_targetILNS1_3genE10ELNS1_11target_archE1200ELNS1_3gpuE4ELNS1_3repE0EEENS1_30default_config_static_selectorELNS0_4arch9wavefront6targetE0EEEvT1_.has_recursion, 0
	.set _ZN7rocprim17ROCPRIM_400000_NS6detail17trampoline_kernelINS0_14default_configENS1_25transform_config_selectorImLb0EEEZNS1_14transform_implILb0ES3_S5_NS0_17constant_iteratorImlEEPlNS0_8identityImEEEE10hipError_tT2_T3_mT4_P12ihipStream_tbEUlT_E_NS1_11comp_targetILNS1_3genE10ELNS1_11target_archE1200ELNS1_3gpuE4ELNS1_3repE0EEENS1_30default_config_static_selectorELNS0_4arch9wavefront6targetE0EEEvT1_.has_indirect_call, 0
	.section	.AMDGPU.csdata,"",@progbits
; Kernel info:
; codeLenInByte = 0
; TotalNumSgprs: 0
; NumVgprs: 0
; ScratchSize: 0
; MemoryBound: 0
; FloatMode: 240
; IeeeMode: 1
; LDSByteSize: 0 bytes/workgroup (compile time only)
; SGPRBlocks: 0
; VGPRBlocks: 0
; NumSGPRsForWavesPerEU: 1
; NumVGPRsForWavesPerEU: 1
; NamedBarCnt: 0
; Occupancy: 16
; WaveLimiterHint : 0
; COMPUTE_PGM_RSRC2:SCRATCH_EN: 0
; COMPUTE_PGM_RSRC2:USER_SGPR: 2
; COMPUTE_PGM_RSRC2:TRAP_HANDLER: 0
; COMPUTE_PGM_RSRC2:TGID_X_EN: 1
; COMPUTE_PGM_RSRC2:TGID_Y_EN: 0
; COMPUTE_PGM_RSRC2:TGID_Z_EN: 0
; COMPUTE_PGM_RSRC2:TIDIG_COMP_CNT: 0
	.section	.text._ZN7rocprim17ROCPRIM_400000_NS6detail17trampoline_kernelINS0_14default_configENS1_25transform_config_selectorImLb0EEEZNS1_14transform_implILb0ES3_S5_NS0_17constant_iteratorImlEEPlNS0_8identityImEEEE10hipError_tT2_T3_mT4_P12ihipStream_tbEUlT_E_NS1_11comp_targetILNS1_3genE9ELNS1_11target_archE1100ELNS1_3gpuE3ELNS1_3repE0EEENS1_30default_config_static_selectorELNS0_4arch9wavefront6targetE0EEEvT1_,"axG",@progbits,_ZN7rocprim17ROCPRIM_400000_NS6detail17trampoline_kernelINS0_14default_configENS1_25transform_config_selectorImLb0EEEZNS1_14transform_implILb0ES3_S5_NS0_17constant_iteratorImlEEPlNS0_8identityImEEEE10hipError_tT2_T3_mT4_P12ihipStream_tbEUlT_E_NS1_11comp_targetILNS1_3genE9ELNS1_11target_archE1100ELNS1_3gpuE3ELNS1_3repE0EEENS1_30default_config_static_selectorELNS0_4arch9wavefront6targetE0EEEvT1_,comdat
	.protected	_ZN7rocprim17ROCPRIM_400000_NS6detail17trampoline_kernelINS0_14default_configENS1_25transform_config_selectorImLb0EEEZNS1_14transform_implILb0ES3_S5_NS0_17constant_iteratorImlEEPlNS0_8identityImEEEE10hipError_tT2_T3_mT4_P12ihipStream_tbEUlT_E_NS1_11comp_targetILNS1_3genE9ELNS1_11target_archE1100ELNS1_3gpuE3ELNS1_3repE0EEENS1_30default_config_static_selectorELNS0_4arch9wavefront6targetE0EEEvT1_ ; -- Begin function _ZN7rocprim17ROCPRIM_400000_NS6detail17trampoline_kernelINS0_14default_configENS1_25transform_config_selectorImLb0EEEZNS1_14transform_implILb0ES3_S5_NS0_17constant_iteratorImlEEPlNS0_8identityImEEEE10hipError_tT2_T3_mT4_P12ihipStream_tbEUlT_E_NS1_11comp_targetILNS1_3genE9ELNS1_11target_archE1100ELNS1_3gpuE3ELNS1_3repE0EEENS1_30default_config_static_selectorELNS0_4arch9wavefront6targetE0EEEvT1_
	.globl	_ZN7rocprim17ROCPRIM_400000_NS6detail17trampoline_kernelINS0_14default_configENS1_25transform_config_selectorImLb0EEEZNS1_14transform_implILb0ES3_S5_NS0_17constant_iteratorImlEEPlNS0_8identityImEEEE10hipError_tT2_T3_mT4_P12ihipStream_tbEUlT_E_NS1_11comp_targetILNS1_3genE9ELNS1_11target_archE1100ELNS1_3gpuE3ELNS1_3repE0EEENS1_30default_config_static_selectorELNS0_4arch9wavefront6targetE0EEEvT1_
	.p2align	8
	.type	_ZN7rocprim17ROCPRIM_400000_NS6detail17trampoline_kernelINS0_14default_configENS1_25transform_config_selectorImLb0EEEZNS1_14transform_implILb0ES3_S5_NS0_17constant_iteratorImlEEPlNS0_8identityImEEEE10hipError_tT2_T3_mT4_P12ihipStream_tbEUlT_E_NS1_11comp_targetILNS1_3genE9ELNS1_11target_archE1100ELNS1_3gpuE3ELNS1_3repE0EEENS1_30default_config_static_selectorELNS0_4arch9wavefront6targetE0EEEvT1_,@function
_ZN7rocprim17ROCPRIM_400000_NS6detail17trampoline_kernelINS0_14default_configENS1_25transform_config_selectorImLb0EEEZNS1_14transform_implILb0ES3_S5_NS0_17constant_iteratorImlEEPlNS0_8identityImEEEE10hipError_tT2_T3_mT4_P12ihipStream_tbEUlT_E_NS1_11comp_targetILNS1_3genE9ELNS1_11target_archE1100ELNS1_3gpuE3ELNS1_3repE0EEENS1_30default_config_static_selectorELNS0_4arch9wavefront6targetE0EEEvT1_: ; @_ZN7rocprim17ROCPRIM_400000_NS6detail17trampoline_kernelINS0_14default_configENS1_25transform_config_selectorImLb0EEEZNS1_14transform_implILb0ES3_S5_NS0_17constant_iteratorImlEEPlNS0_8identityImEEEE10hipError_tT2_T3_mT4_P12ihipStream_tbEUlT_E_NS1_11comp_targetILNS1_3genE9ELNS1_11target_archE1100ELNS1_3gpuE3ELNS1_3repE0EEENS1_30default_config_static_selectorELNS0_4arch9wavefront6targetE0EEEvT1_
; %bb.0:
	.section	.rodata,"a",@progbits
	.p2align	6, 0x0
	.amdhsa_kernel _ZN7rocprim17ROCPRIM_400000_NS6detail17trampoline_kernelINS0_14default_configENS1_25transform_config_selectorImLb0EEEZNS1_14transform_implILb0ES3_S5_NS0_17constant_iteratorImlEEPlNS0_8identityImEEEE10hipError_tT2_T3_mT4_P12ihipStream_tbEUlT_E_NS1_11comp_targetILNS1_3genE9ELNS1_11target_archE1100ELNS1_3gpuE3ELNS1_3repE0EEENS1_30default_config_static_selectorELNS0_4arch9wavefront6targetE0EEEvT1_
		.amdhsa_group_segment_fixed_size 0
		.amdhsa_private_segment_fixed_size 0
		.amdhsa_kernarg_size 48
		.amdhsa_user_sgpr_count 2
		.amdhsa_user_sgpr_dispatch_ptr 0
		.amdhsa_user_sgpr_queue_ptr 0
		.amdhsa_user_sgpr_kernarg_segment_ptr 1
		.amdhsa_user_sgpr_dispatch_id 0
		.amdhsa_user_sgpr_kernarg_preload_length 0
		.amdhsa_user_sgpr_kernarg_preload_offset 0
		.amdhsa_user_sgpr_private_segment_size 0
		.amdhsa_wavefront_size32 1
		.amdhsa_uses_dynamic_stack 0
		.amdhsa_enable_private_segment 0
		.amdhsa_system_sgpr_workgroup_id_x 1
		.amdhsa_system_sgpr_workgroup_id_y 0
		.amdhsa_system_sgpr_workgroup_id_z 0
		.amdhsa_system_sgpr_workgroup_info 0
		.amdhsa_system_vgpr_workitem_id 0
		.amdhsa_next_free_vgpr 1
		.amdhsa_next_free_sgpr 1
		.amdhsa_named_barrier_count 0
		.amdhsa_reserve_vcc 0
		.amdhsa_float_round_mode_32 0
		.amdhsa_float_round_mode_16_64 0
		.amdhsa_float_denorm_mode_32 3
		.amdhsa_float_denorm_mode_16_64 3
		.amdhsa_fp16_overflow 0
		.amdhsa_memory_ordered 1
		.amdhsa_forward_progress 1
		.amdhsa_inst_pref_size 0
		.amdhsa_round_robin_scheduling 0
		.amdhsa_exception_fp_ieee_invalid_op 0
		.amdhsa_exception_fp_denorm_src 0
		.amdhsa_exception_fp_ieee_div_zero 0
		.amdhsa_exception_fp_ieee_overflow 0
		.amdhsa_exception_fp_ieee_underflow 0
		.amdhsa_exception_fp_ieee_inexact 0
		.amdhsa_exception_int_div_zero 0
	.end_amdhsa_kernel
	.section	.text._ZN7rocprim17ROCPRIM_400000_NS6detail17trampoline_kernelINS0_14default_configENS1_25transform_config_selectorImLb0EEEZNS1_14transform_implILb0ES3_S5_NS0_17constant_iteratorImlEEPlNS0_8identityImEEEE10hipError_tT2_T3_mT4_P12ihipStream_tbEUlT_E_NS1_11comp_targetILNS1_3genE9ELNS1_11target_archE1100ELNS1_3gpuE3ELNS1_3repE0EEENS1_30default_config_static_selectorELNS0_4arch9wavefront6targetE0EEEvT1_,"axG",@progbits,_ZN7rocprim17ROCPRIM_400000_NS6detail17trampoline_kernelINS0_14default_configENS1_25transform_config_selectorImLb0EEEZNS1_14transform_implILb0ES3_S5_NS0_17constant_iteratorImlEEPlNS0_8identityImEEEE10hipError_tT2_T3_mT4_P12ihipStream_tbEUlT_E_NS1_11comp_targetILNS1_3genE9ELNS1_11target_archE1100ELNS1_3gpuE3ELNS1_3repE0EEENS1_30default_config_static_selectorELNS0_4arch9wavefront6targetE0EEEvT1_,comdat
.Lfunc_end55:
	.size	_ZN7rocprim17ROCPRIM_400000_NS6detail17trampoline_kernelINS0_14default_configENS1_25transform_config_selectorImLb0EEEZNS1_14transform_implILb0ES3_S5_NS0_17constant_iteratorImlEEPlNS0_8identityImEEEE10hipError_tT2_T3_mT4_P12ihipStream_tbEUlT_E_NS1_11comp_targetILNS1_3genE9ELNS1_11target_archE1100ELNS1_3gpuE3ELNS1_3repE0EEENS1_30default_config_static_selectorELNS0_4arch9wavefront6targetE0EEEvT1_, .Lfunc_end55-_ZN7rocprim17ROCPRIM_400000_NS6detail17trampoline_kernelINS0_14default_configENS1_25transform_config_selectorImLb0EEEZNS1_14transform_implILb0ES3_S5_NS0_17constant_iteratorImlEEPlNS0_8identityImEEEE10hipError_tT2_T3_mT4_P12ihipStream_tbEUlT_E_NS1_11comp_targetILNS1_3genE9ELNS1_11target_archE1100ELNS1_3gpuE3ELNS1_3repE0EEENS1_30default_config_static_selectorELNS0_4arch9wavefront6targetE0EEEvT1_
                                        ; -- End function
	.set _ZN7rocprim17ROCPRIM_400000_NS6detail17trampoline_kernelINS0_14default_configENS1_25transform_config_selectorImLb0EEEZNS1_14transform_implILb0ES3_S5_NS0_17constant_iteratorImlEEPlNS0_8identityImEEEE10hipError_tT2_T3_mT4_P12ihipStream_tbEUlT_E_NS1_11comp_targetILNS1_3genE9ELNS1_11target_archE1100ELNS1_3gpuE3ELNS1_3repE0EEENS1_30default_config_static_selectorELNS0_4arch9wavefront6targetE0EEEvT1_.num_vgpr, 0
	.set _ZN7rocprim17ROCPRIM_400000_NS6detail17trampoline_kernelINS0_14default_configENS1_25transform_config_selectorImLb0EEEZNS1_14transform_implILb0ES3_S5_NS0_17constant_iteratorImlEEPlNS0_8identityImEEEE10hipError_tT2_T3_mT4_P12ihipStream_tbEUlT_E_NS1_11comp_targetILNS1_3genE9ELNS1_11target_archE1100ELNS1_3gpuE3ELNS1_3repE0EEENS1_30default_config_static_selectorELNS0_4arch9wavefront6targetE0EEEvT1_.num_agpr, 0
	.set _ZN7rocprim17ROCPRIM_400000_NS6detail17trampoline_kernelINS0_14default_configENS1_25transform_config_selectorImLb0EEEZNS1_14transform_implILb0ES3_S5_NS0_17constant_iteratorImlEEPlNS0_8identityImEEEE10hipError_tT2_T3_mT4_P12ihipStream_tbEUlT_E_NS1_11comp_targetILNS1_3genE9ELNS1_11target_archE1100ELNS1_3gpuE3ELNS1_3repE0EEENS1_30default_config_static_selectorELNS0_4arch9wavefront6targetE0EEEvT1_.numbered_sgpr, 0
	.set _ZN7rocprim17ROCPRIM_400000_NS6detail17trampoline_kernelINS0_14default_configENS1_25transform_config_selectorImLb0EEEZNS1_14transform_implILb0ES3_S5_NS0_17constant_iteratorImlEEPlNS0_8identityImEEEE10hipError_tT2_T3_mT4_P12ihipStream_tbEUlT_E_NS1_11comp_targetILNS1_3genE9ELNS1_11target_archE1100ELNS1_3gpuE3ELNS1_3repE0EEENS1_30default_config_static_selectorELNS0_4arch9wavefront6targetE0EEEvT1_.num_named_barrier, 0
	.set _ZN7rocprim17ROCPRIM_400000_NS6detail17trampoline_kernelINS0_14default_configENS1_25transform_config_selectorImLb0EEEZNS1_14transform_implILb0ES3_S5_NS0_17constant_iteratorImlEEPlNS0_8identityImEEEE10hipError_tT2_T3_mT4_P12ihipStream_tbEUlT_E_NS1_11comp_targetILNS1_3genE9ELNS1_11target_archE1100ELNS1_3gpuE3ELNS1_3repE0EEENS1_30default_config_static_selectorELNS0_4arch9wavefront6targetE0EEEvT1_.private_seg_size, 0
	.set _ZN7rocprim17ROCPRIM_400000_NS6detail17trampoline_kernelINS0_14default_configENS1_25transform_config_selectorImLb0EEEZNS1_14transform_implILb0ES3_S5_NS0_17constant_iteratorImlEEPlNS0_8identityImEEEE10hipError_tT2_T3_mT4_P12ihipStream_tbEUlT_E_NS1_11comp_targetILNS1_3genE9ELNS1_11target_archE1100ELNS1_3gpuE3ELNS1_3repE0EEENS1_30default_config_static_selectorELNS0_4arch9wavefront6targetE0EEEvT1_.uses_vcc, 0
	.set _ZN7rocprim17ROCPRIM_400000_NS6detail17trampoline_kernelINS0_14default_configENS1_25transform_config_selectorImLb0EEEZNS1_14transform_implILb0ES3_S5_NS0_17constant_iteratorImlEEPlNS0_8identityImEEEE10hipError_tT2_T3_mT4_P12ihipStream_tbEUlT_E_NS1_11comp_targetILNS1_3genE9ELNS1_11target_archE1100ELNS1_3gpuE3ELNS1_3repE0EEENS1_30default_config_static_selectorELNS0_4arch9wavefront6targetE0EEEvT1_.uses_flat_scratch, 0
	.set _ZN7rocprim17ROCPRIM_400000_NS6detail17trampoline_kernelINS0_14default_configENS1_25transform_config_selectorImLb0EEEZNS1_14transform_implILb0ES3_S5_NS0_17constant_iteratorImlEEPlNS0_8identityImEEEE10hipError_tT2_T3_mT4_P12ihipStream_tbEUlT_E_NS1_11comp_targetILNS1_3genE9ELNS1_11target_archE1100ELNS1_3gpuE3ELNS1_3repE0EEENS1_30default_config_static_selectorELNS0_4arch9wavefront6targetE0EEEvT1_.has_dyn_sized_stack, 0
	.set _ZN7rocprim17ROCPRIM_400000_NS6detail17trampoline_kernelINS0_14default_configENS1_25transform_config_selectorImLb0EEEZNS1_14transform_implILb0ES3_S5_NS0_17constant_iteratorImlEEPlNS0_8identityImEEEE10hipError_tT2_T3_mT4_P12ihipStream_tbEUlT_E_NS1_11comp_targetILNS1_3genE9ELNS1_11target_archE1100ELNS1_3gpuE3ELNS1_3repE0EEENS1_30default_config_static_selectorELNS0_4arch9wavefront6targetE0EEEvT1_.has_recursion, 0
	.set _ZN7rocprim17ROCPRIM_400000_NS6detail17trampoline_kernelINS0_14default_configENS1_25transform_config_selectorImLb0EEEZNS1_14transform_implILb0ES3_S5_NS0_17constant_iteratorImlEEPlNS0_8identityImEEEE10hipError_tT2_T3_mT4_P12ihipStream_tbEUlT_E_NS1_11comp_targetILNS1_3genE9ELNS1_11target_archE1100ELNS1_3gpuE3ELNS1_3repE0EEENS1_30default_config_static_selectorELNS0_4arch9wavefront6targetE0EEEvT1_.has_indirect_call, 0
	.section	.AMDGPU.csdata,"",@progbits
; Kernel info:
; codeLenInByte = 0
; TotalNumSgprs: 0
; NumVgprs: 0
; ScratchSize: 0
; MemoryBound: 0
; FloatMode: 240
; IeeeMode: 1
; LDSByteSize: 0 bytes/workgroup (compile time only)
; SGPRBlocks: 0
; VGPRBlocks: 0
; NumSGPRsForWavesPerEU: 1
; NumVGPRsForWavesPerEU: 1
; NamedBarCnt: 0
; Occupancy: 16
; WaveLimiterHint : 0
; COMPUTE_PGM_RSRC2:SCRATCH_EN: 0
; COMPUTE_PGM_RSRC2:USER_SGPR: 2
; COMPUTE_PGM_RSRC2:TRAP_HANDLER: 0
; COMPUTE_PGM_RSRC2:TGID_X_EN: 1
; COMPUTE_PGM_RSRC2:TGID_Y_EN: 0
; COMPUTE_PGM_RSRC2:TGID_Z_EN: 0
; COMPUTE_PGM_RSRC2:TIDIG_COMP_CNT: 0
	.section	.text._ZN7rocprim17ROCPRIM_400000_NS6detail17trampoline_kernelINS0_14default_configENS1_25transform_config_selectorImLb0EEEZNS1_14transform_implILb0ES3_S5_NS0_17constant_iteratorImlEEPlNS0_8identityImEEEE10hipError_tT2_T3_mT4_P12ihipStream_tbEUlT_E_NS1_11comp_targetILNS1_3genE8ELNS1_11target_archE1030ELNS1_3gpuE2ELNS1_3repE0EEENS1_30default_config_static_selectorELNS0_4arch9wavefront6targetE0EEEvT1_,"axG",@progbits,_ZN7rocprim17ROCPRIM_400000_NS6detail17trampoline_kernelINS0_14default_configENS1_25transform_config_selectorImLb0EEEZNS1_14transform_implILb0ES3_S5_NS0_17constant_iteratorImlEEPlNS0_8identityImEEEE10hipError_tT2_T3_mT4_P12ihipStream_tbEUlT_E_NS1_11comp_targetILNS1_3genE8ELNS1_11target_archE1030ELNS1_3gpuE2ELNS1_3repE0EEENS1_30default_config_static_selectorELNS0_4arch9wavefront6targetE0EEEvT1_,comdat
	.protected	_ZN7rocprim17ROCPRIM_400000_NS6detail17trampoline_kernelINS0_14default_configENS1_25transform_config_selectorImLb0EEEZNS1_14transform_implILb0ES3_S5_NS0_17constant_iteratorImlEEPlNS0_8identityImEEEE10hipError_tT2_T3_mT4_P12ihipStream_tbEUlT_E_NS1_11comp_targetILNS1_3genE8ELNS1_11target_archE1030ELNS1_3gpuE2ELNS1_3repE0EEENS1_30default_config_static_selectorELNS0_4arch9wavefront6targetE0EEEvT1_ ; -- Begin function _ZN7rocprim17ROCPRIM_400000_NS6detail17trampoline_kernelINS0_14default_configENS1_25transform_config_selectorImLb0EEEZNS1_14transform_implILb0ES3_S5_NS0_17constant_iteratorImlEEPlNS0_8identityImEEEE10hipError_tT2_T3_mT4_P12ihipStream_tbEUlT_E_NS1_11comp_targetILNS1_3genE8ELNS1_11target_archE1030ELNS1_3gpuE2ELNS1_3repE0EEENS1_30default_config_static_selectorELNS0_4arch9wavefront6targetE0EEEvT1_
	.globl	_ZN7rocprim17ROCPRIM_400000_NS6detail17trampoline_kernelINS0_14default_configENS1_25transform_config_selectorImLb0EEEZNS1_14transform_implILb0ES3_S5_NS0_17constant_iteratorImlEEPlNS0_8identityImEEEE10hipError_tT2_T3_mT4_P12ihipStream_tbEUlT_E_NS1_11comp_targetILNS1_3genE8ELNS1_11target_archE1030ELNS1_3gpuE2ELNS1_3repE0EEENS1_30default_config_static_selectorELNS0_4arch9wavefront6targetE0EEEvT1_
	.p2align	8
	.type	_ZN7rocprim17ROCPRIM_400000_NS6detail17trampoline_kernelINS0_14default_configENS1_25transform_config_selectorImLb0EEEZNS1_14transform_implILb0ES3_S5_NS0_17constant_iteratorImlEEPlNS0_8identityImEEEE10hipError_tT2_T3_mT4_P12ihipStream_tbEUlT_E_NS1_11comp_targetILNS1_3genE8ELNS1_11target_archE1030ELNS1_3gpuE2ELNS1_3repE0EEENS1_30default_config_static_selectorELNS0_4arch9wavefront6targetE0EEEvT1_,@function
_ZN7rocprim17ROCPRIM_400000_NS6detail17trampoline_kernelINS0_14default_configENS1_25transform_config_selectorImLb0EEEZNS1_14transform_implILb0ES3_S5_NS0_17constant_iteratorImlEEPlNS0_8identityImEEEE10hipError_tT2_T3_mT4_P12ihipStream_tbEUlT_E_NS1_11comp_targetILNS1_3genE8ELNS1_11target_archE1030ELNS1_3gpuE2ELNS1_3repE0EEENS1_30default_config_static_selectorELNS0_4arch9wavefront6targetE0EEEvT1_: ; @_ZN7rocprim17ROCPRIM_400000_NS6detail17trampoline_kernelINS0_14default_configENS1_25transform_config_selectorImLb0EEEZNS1_14transform_implILb0ES3_S5_NS0_17constant_iteratorImlEEPlNS0_8identityImEEEE10hipError_tT2_T3_mT4_P12ihipStream_tbEUlT_E_NS1_11comp_targetILNS1_3genE8ELNS1_11target_archE1030ELNS1_3gpuE2ELNS1_3repE0EEENS1_30default_config_static_selectorELNS0_4arch9wavefront6targetE0EEEvT1_
; %bb.0:
	.section	.rodata,"a",@progbits
	.p2align	6, 0x0
	.amdhsa_kernel _ZN7rocprim17ROCPRIM_400000_NS6detail17trampoline_kernelINS0_14default_configENS1_25transform_config_selectorImLb0EEEZNS1_14transform_implILb0ES3_S5_NS0_17constant_iteratorImlEEPlNS0_8identityImEEEE10hipError_tT2_T3_mT4_P12ihipStream_tbEUlT_E_NS1_11comp_targetILNS1_3genE8ELNS1_11target_archE1030ELNS1_3gpuE2ELNS1_3repE0EEENS1_30default_config_static_selectorELNS0_4arch9wavefront6targetE0EEEvT1_
		.amdhsa_group_segment_fixed_size 0
		.amdhsa_private_segment_fixed_size 0
		.amdhsa_kernarg_size 48
		.amdhsa_user_sgpr_count 2
		.amdhsa_user_sgpr_dispatch_ptr 0
		.amdhsa_user_sgpr_queue_ptr 0
		.amdhsa_user_sgpr_kernarg_segment_ptr 1
		.amdhsa_user_sgpr_dispatch_id 0
		.amdhsa_user_sgpr_kernarg_preload_length 0
		.amdhsa_user_sgpr_kernarg_preload_offset 0
		.amdhsa_user_sgpr_private_segment_size 0
		.amdhsa_wavefront_size32 1
		.amdhsa_uses_dynamic_stack 0
		.amdhsa_enable_private_segment 0
		.amdhsa_system_sgpr_workgroup_id_x 1
		.amdhsa_system_sgpr_workgroup_id_y 0
		.amdhsa_system_sgpr_workgroup_id_z 0
		.amdhsa_system_sgpr_workgroup_info 0
		.amdhsa_system_vgpr_workitem_id 0
		.amdhsa_next_free_vgpr 1
		.amdhsa_next_free_sgpr 1
		.amdhsa_named_barrier_count 0
		.amdhsa_reserve_vcc 0
		.amdhsa_float_round_mode_32 0
		.amdhsa_float_round_mode_16_64 0
		.amdhsa_float_denorm_mode_32 3
		.amdhsa_float_denorm_mode_16_64 3
		.amdhsa_fp16_overflow 0
		.amdhsa_memory_ordered 1
		.amdhsa_forward_progress 1
		.amdhsa_inst_pref_size 0
		.amdhsa_round_robin_scheduling 0
		.amdhsa_exception_fp_ieee_invalid_op 0
		.amdhsa_exception_fp_denorm_src 0
		.amdhsa_exception_fp_ieee_div_zero 0
		.amdhsa_exception_fp_ieee_overflow 0
		.amdhsa_exception_fp_ieee_underflow 0
		.amdhsa_exception_fp_ieee_inexact 0
		.amdhsa_exception_int_div_zero 0
	.end_amdhsa_kernel
	.section	.text._ZN7rocprim17ROCPRIM_400000_NS6detail17trampoline_kernelINS0_14default_configENS1_25transform_config_selectorImLb0EEEZNS1_14transform_implILb0ES3_S5_NS0_17constant_iteratorImlEEPlNS0_8identityImEEEE10hipError_tT2_T3_mT4_P12ihipStream_tbEUlT_E_NS1_11comp_targetILNS1_3genE8ELNS1_11target_archE1030ELNS1_3gpuE2ELNS1_3repE0EEENS1_30default_config_static_selectorELNS0_4arch9wavefront6targetE0EEEvT1_,"axG",@progbits,_ZN7rocprim17ROCPRIM_400000_NS6detail17trampoline_kernelINS0_14default_configENS1_25transform_config_selectorImLb0EEEZNS1_14transform_implILb0ES3_S5_NS0_17constant_iteratorImlEEPlNS0_8identityImEEEE10hipError_tT2_T3_mT4_P12ihipStream_tbEUlT_E_NS1_11comp_targetILNS1_3genE8ELNS1_11target_archE1030ELNS1_3gpuE2ELNS1_3repE0EEENS1_30default_config_static_selectorELNS0_4arch9wavefront6targetE0EEEvT1_,comdat
.Lfunc_end56:
	.size	_ZN7rocprim17ROCPRIM_400000_NS6detail17trampoline_kernelINS0_14default_configENS1_25transform_config_selectorImLb0EEEZNS1_14transform_implILb0ES3_S5_NS0_17constant_iteratorImlEEPlNS0_8identityImEEEE10hipError_tT2_T3_mT4_P12ihipStream_tbEUlT_E_NS1_11comp_targetILNS1_3genE8ELNS1_11target_archE1030ELNS1_3gpuE2ELNS1_3repE0EEENS1_30default_config_static_selectorELNS0_4arch9wavefront6targetE0EEEvT1_, .Lfunc_end56-_ZN7rocprim17ROCPRIM_400000_NS6detail17trampoline_kernelINS0_14default_configENS1_25transform_config_selectorImLb0EEEZNS1_14transform_implILb0ES3_S5_NS0_17constant_iteratorImlEEPlNS0_8identityImEEEE10hipError_tT2_T3_mT4_P12ihipStream_tbEUlT_E_NS1_11comp_targetILNS1_3genE8ELNS1_11target_archE1030ELNS1_3gpuE2ELNS1_3repE0EEENS1_30default_config_static_selectorELNS0_4arch9wavefront6targetE0EEEvT1_
                                        ; -- End function
	.set _ZN7rocprim17ROCPRIM_400000_NS6detail17trampoline_kernelINS0_14default_configENS1_25transform_config_selectorImLb0EEEZNS1_14transform_implILb0ES3_S5_NS0_17constant_iteratorImlEEPlNS0_8identityImEEEE10hipError_tT2_T3_mT4_P12ihipStream_tbEUlT_E_NS1_11comp_targetILNS1_3genE8ELNS1_11target_archE1030ELNS1_3gpuE2ELNS1_3repE0EEENS1_30default_config_static_selectorELNS0_4arch9wavefront6targetE0EEEvT1_.num_vgpr, 0
	.set _ZN7rocprim17ROCPRIM_400000_NS6detail17trampoline_kernelINS0_14default_configENS1_25transform_config_selectorImLb0EEEZNS1_14transform_implILb0ES3_S5_NS0_17constant_iteratorImlEEPlNS0_8identityImEEEE10hipError_tT2_T3_mT4_P12ihipStream_tbEUlT_E_NS1_11comp_targetILNS1_3genE8ELNS1_11target_archE1030ELNS1_3gpuE2ELNS1_3repE0EEENS1_30default_config_static_selectorELNS0_4arch9wavefront6targetE0EEEvT1_.num_agpr, 0
	.set _ZN7rocprim17ROCPRIM_400000_NS6detail17trampoline_kernelINS0_14default_configENS1_25transform_config_selectorImLb0EEEZNS1_14transform_implILb0ES3_S5_NS0_17constant_iteratorImlEEPlNS0_8identityImEEEE10hipError_tT2_T3_mT4_P12ihipStream_tbEUlT_E_NS1_11comp_targetILNS1_3genE8ELNS1_11target_archE1030ELNS1_3gpuE2ELNS1_3repE0EEENS1_30default_config_static_selectorELNS0_4arch9wavefront6targetE0EEEvT1_.numbered_sgpr, 0
	.set _ZN7rocprim17ROCPRIM_400000_NS6detail17trampoline_kernelINS0_14default_configENS1_25transform_config_selectorImLb0EEEZNS1_14transform_implILb0ES3_S5_NS0_17constant_iteratorImlEEPlNS0_8identityImEEEE10hipError_tT2_T3_mT4_P12ihipStream_tbEUlT_E_NS1_11comp_targetILNS1_3genE8ELNS1_11target_archE1030ELNS1_3gpuE2ELNS1_3repE0EEENS1_30default_config_static_selectorELNS0_4arch9wavefront6targetE0EEEvT1_.num_named_barrier, 0
	.set _ZN7rocprim17ROCPRIM_400000_NS6detail17trampoline_kernelINS0_14default_configENS1_25transform_config_selectorImLb0EEEZNS1_14transform_implILb0ES3_S5_NS0_17constant_iteratorImlEEPlNS0_8identityImEEEE10hipError_tT2_T3_mT4_P12ihipStream_tbEUlT_E_NS1_11comp_targetILNS1_3genE8ELNS1_11target_archE1030ELNS1_3gpuE2ELNS1_3repE0EEENS1_30default_config_static_selectorELNS0_4arch9wavefront6targetE0EEEvT1_.private_seg_size, 0
	.set _ZN7rocprim17ROCPRIM_400000_NS6detail17trampoline_kernelINS0_14default_configENS1_25transform_config_selectorImLb0EEEZNS1_14transform_implILb0ES3_S5_NS0_17constant_iteratorImlEEPlNS0_8identityImEEEE10hipError_tT2_T3_mT4_P12ihipStream_tbEUlT_E_NS1_11comp_targetILNS1_3genE8ELNS1_11target_archE1030ELNS1_3gpuE2ELNS1_3repE0EEENS1_30default_config_static_selectorELNS0_4arch9wavefront6targetE0EEEvT1_.uses_vcc, 0
	.set _ZN7rocprim17ROCPRIM_400000_NS6detail17trampoline_kernelINS0_14default_configENS1_25transform_config_selectorImLb0EEEZNS1_14transform_implILb0ES3_S5_NS0_17constant_iteratorImlEEPlNS0_8identityImEEEE10hipError_tT2_T3_mT4_P12ihipStream_tbEUlT_E_NS1_11comp_targetILNS1_3genE8ELNS1_11target_archE1030ELNS1_3gpuE2ELNS1_3repE0EEENS1_30default_config_static_selectorELNS0_4arch9wavefront6targetE0EEEvT1_.uses_flat_scratch, 0
	.set _ZN7rocprim17ROCPRIM_400000_NS6detail17trampoline_kernelINS0_14default_configENS1_25transform_config_selectorImLb0EEEZNS1_14transform_implILb0ES3_S5_NS0_17constant_iteratorImlEEPlNS0_8identityImEEEE10hipError_tT2_T3_mT4_P12ihipStream_tbEUlT_E_NS1_11comp_targetILNS1_3genE8ELNS1_11target_archE1030ELNS1_3gpuE2ELNS1_3repE0EEENS1_30default_config_static_selectorELNS0_4arch9wavefront6targetE0EEEvT1_.has_dyn_sized_stack, 0
	.set _ZN7rocprim17ROCPRIM_400000_NS6detail17trampoline_kernelINS0_14default_configENS1_25transform_config_selectorImLb0EEEZNS1_14transform_implILb0ES3_S5_NS0_17constant_iteratorImlEEPlNS0_8identityImEEEE10hipError_tT2_T3_mT4_P12ihipStream_tbEUlT_E_NS1_11comp_targetILNS1_3genE8ELNS1_11target_archE1030ELNS1_3gpuE2ELNS1_3repE0EEENS1_30default_config_static_selectorELNS0_4arch9wavefront6targetE0EEEvT1_.has_recursion, 0
	.set _ZN7rocprim17ROCPRIM_400000_NS6detail17trampoline_kernelINS0_14default_configENS1_25transform_config_selectorImLb0EEEZNS1_14transform_implILb0ES3_S5_NS0_17constant_iteratorImlEEPlNS0_8identityImEEEE10hipError_tT2_T3_mT4_P12ihipStream_tbEUlT_E_NS1_11comp_targetILNS1_3genE8ELNS1_11target_archE1030ELNS1_3gpuE2ELNS1_3repE0EEENS1_30default_config_static_selectorELNS0_4arch9wavefront6targetE0EEEvT1_.has_indirect_call, 0
	.section	.AMDGPU.csdata,"",@progbits
; Kernel info:
; codeLenInByte = 0
; TotalNumSgprs: 0
; NumVgprs: 0
; ScratchSize: 0
; MemoryBound: 0
; FloatMode: 240
; IeeeMode: 1
; LDSByteSize: 0 bytes/workgroup (compile time only)
; SGPRBlocks: 0
; VGPRBlocks: 0
; NumSGPRsForWavesPerEU: 1
; NumVGPRsForWavesPerEU: 1
; NamedBarCnt: 0
; Occupancy: 16
; WaveLimiterHint : 0
; COMPUTE_PGM_RSRC2:SCRATCH_EN: 0
; COMPUTE_PGM_RSRC2:USER_SGPR: 2
; COMPUTE_PGM_RSRC2:TRAP_HANDLER: 0
; COMPUTE_PGM_RSRC2:TGID_X_EN: 1
; COMPUTE_PGM_RSRC2:TGID_Y_EN: 0
; COMPUTE_PGM_RSRC2:TGID_Z_EN: 0
; COMPUTE_PGM_RSRC2:TIDIG_COMP_CNT: 0
	.section	.text._ZN7rocprim17ROCPRIM_400000_NS6detail25reduce_by_key_init_kernelINS1_19lookback_scan_stateINS0_5tupleIJjjEEELb0ELb1EEEjNS1_16block_id_wrapperIjLb0EEEEEvT_jbjPmPT0_T1_,"axG",@progbits,_ZN7rocprim17ROCPRIM_400000_NS6detail25reduce_by_key_init_kernelINS1_19lookback_scan_stateINS0_5tupleIJjjEEELb0ELb1EEEjNS1_16block_id_wrapperIjLb0EEEEEvT_jbjPmPT0_T1_,comdat
	.protected	_ZN7rocprim17ROCPRIM_400000_NS6detail25reduce_by_key_init_kernelINS1_19lookback_scan_stateINS0_5tupleIJjjEEELb0ELb1EEEjNS1_16block_id_wrapperIjLb0EEEEEvT_jbjPmPT0_T1_ ; -- Begin function _ZN7rocprim17ROCPRIM_400000_NS6detail25reduce_by_key_init_kernelINS1_19lookback_scan_stateINS0_5tupleIJjjEEELb0ELb1EEEjNS1_16block_id_wrapperIjLb0EEEEEvT_jbjPmPT0_T1_
	.globl	_ZN7rocprim17ROCPRIM_400000_NS6detail25reduce_by_key_init_kernelINS1_19lookback_scan_stateINS0_5tupleIJjjEEELb0ELb1EEEjNS1_16block_id_wrapperIjLb0EEEEEvT_jbjPmPT0_T1_
	.p2align	8
	.type	_ZN7rocprim17ROCPRIM_400000_NS6detail25reduce_by_key_init_kernelINS1_19lookback_scan_stateINS0_5tupleIJjjEEELb0ELb1EEEjNS1_16block_id_wrapperIjLb0EEEEEvT_jbjPmPT0_T1_,@function
_ZN7rocprim17ROCPRIM_400000_NS6detail25reduce_by_key_init_kernelINS1_19lookback_scan_stateINS0_5tupleIJjjEEELb0ELb1EEEjNS1_16block_id_wrapperIjLb0EEEEEvT_jbjPmPT0_T1_: ; @_ZN7rocprim17ROCPRIM_400000_NS6detail25reduce_by_key_init_kernelINS1_19lookback_scan_stateINS0_5tupleIJjjEEELb0ELb1EEEjNS1_16block_id_wrapperIjLb0EEEEEvT_jbjPmPT0_T1_
; %bb.0:
	s_clause 0x3
	s_load_b96 s[8:10], s[0:1], 0x8
	s_load_b32 s11, s[0:1], 0x3c
	s_load_b64 s[2:3], s[0:1], 0x0
	s_load_b128 s[4:7], s[0:1], 0x18
	s_wait_xcnt 0x0
	s_bfe_u32 s0, ttmp6, 0x4000c
	s_and_b32 s1, ttmp6, 15
	s_add_co_i32 s0, s0, 1
	s_getreg_b32 s12, hwreg(HW_REG_IB_STS2, 6, 4)
	s_mul_i32 s0, ttmp9, s0
	s_delay_alu instid0(SALU_CYCLE_1)
	s_add_co_i32 s1, s1, s0
	s_wait_kmcnt 0x0
	s_and_b32 s9, s9, 1
	s_and_b32 s11, s11, 0xffff
	s_cmp_eq_u32 s12, 0
	s_cselect_b32 s0, ttmp9, s1
	s_cmp_eq_u32 s9, 0
	v_mad_u32 v8, s0, s11, v0
	s_mov_b32 s0, -1
	s_cbranch_scc1 .LBB57_7
; %bb.1:
	s_and_not1_b32 vcc_lo, exec_lo, s0
	s_cbranch_vccz .LBB57_14
.LBB57_2:
	s_mov_b32 s0, exec_lo
	s_delay_alu instid0(VALU_DEP_1)
	v_cmpx_gt_u32_e64 s8, v8
	s_cbranch_execz .LBB57_4
.LBB57_3:
	v_dual_mov_b32 v0, 0 :: v_dual_add_nc_u32 v4, 32, v8
	s_delay_alu instid0(VALU_DEP_1)
	v_dual_mov_b32 v1, v0 :: v_dual_mov_b32 v2, v0
	v_mov_b32_e32 v3, v0
	global_store_b128 v4, v[0:3], s[2:3] scale_offset
.LBB57_4:
	s_wait_xcnt 0x0
	s_or_b32 exec_lo, exec_lo, s0
	s_delay_alu instid0(SALU_CYCLE_1)
	s_mov_b32 s0, exec_lo
	v_cmpx_gt_u32_e32 32, v8
	s_cbranch_execz .LBB57_6
; %bb.5:
	v_mov_b32_e32 v0, 0
	s_delay_alu instid0(VALU_DEP_1)
	v_dual_mov_b32 v2, 0xff :: v_dual_mov_b32 v1, v0
	v_mov_b32_e32 v3, v0
	global_store_b128 v8, v[0:3], s[2:3] scale_offset
.LBB57_6:
	s_endpgm
.LBB57_7:
	s_cmp_lt_u32 s10, s8
	s_mov_b32 s9, exec_lo
	s_cselect_b32 s0, s10, 0
	s_delay_alu instid0(VALU_DEP_1) | instid1(SALU_CYCLE_1)
	v_cmpx_eq_u32_e64 s0, v8
	s_cbranch_execz .LBB57_13
; %bb.8:
	s_add_co_i32 s0, s10, 32
	s_mov_b32 s1, 0
	v_mov_b32_e32 v5, 0
	s_lshl_b64 s[10:11], s[0:1], 4
	s_mov_b32 s0, exec_lo
	s_add_nc_u64 s[10:11], s[2:3], s[10:11]
	s_delay_alu instid0(SALU_CYCLE_1) | instskip(SKIP_2) | instid1(VALU_DEP_1)
	v_mov_b64_e32 v[0:1], s[10:11]
	;;#ASMSTART
	global_load_b128 v[0:3], v[0:1] off scope:SCOPE_DEV	
s_wait_loadcnt 0x0
	;;#ASMEND
	v_and_b32_e32 v4, 0xff, v2
	v_cmpx_eq_u64_e32 0, v[4:5]
	s_cbranch_execz .LBB57_12
; %bb.9:
	v_mov_b64_e32 v[6:7], s[10:11]
.LBB57_10:                              ; =>This Inner Loop Header: Depth=1
	;;#ASMSTART
	global_load_b128 v[0:3], v[6:7] off scope:SCOPE_DEV	
s_wait_loadcnt 0x0
	;;#ASMEND
	v_and_b32_e32 v4, 0xff, v2
	s_delay_alu instid0(VALU_DEP_1) | instskip(SKIP_1) | instid1(SALU_CYCLE_1)
	v_cmp_ne_u64_e32 vcc_lo, 0, v[4:5]
	s_or_b32 s1, vcc_lo, s1
	s_and_not1_b32 exec_lo, exec_lo, s1
	s_cbranch_execnz .LBB57_10
; %bb.11:
	s_or_b32 exec_lo, exec_lo, s1
.LBB57_12:
	s_delay_alu instid0(SALU_CYCLE_1) | instskip(NEXT) | instid1(VALU_DEP_3)
	s_or_b32 exec_lo, exec_lo, s0
	v_dual_mov_b32 v3, 0 :: v_dual_mov_b32 v2, v0
	global_load_b64 v[4:5], v3, s[4:5]
	s_wait_loadcnt 0x0
	v_add_nc_u64_e32 v[4:5], v[4:5], v[2:3]
	s_clause 0x1
	global_store_b64 v3, v[4:5], s[4:5]
	global_store_b32 v3, v1, s[6:7]
.LBB57_13:
	s_wait_xcnt 0x0
	s_or_b32 exec_lo, exec_lo, s9
	s_cbranch_execnz .LBB57_2
.LBB57_14:
	s_delay_alu instid0(VALU_DEP_1) | instskip(SKIP_2) | instid1(SALU_CYCLE_1)
	v_cmp_eq_u32_e32 vcc_lo, 0, v8
	s_cmp_lg_u64 s[4:5], 0
	s_cselect_b32 s0, -1, 0
	s_and_b32 s1, s0, vcc_lo
	s_delay_alu instid0(SALU_CYCLE_1)
	s_and_saveexec_b32 s0, s1
	s_cbranch_execz .LBB57_16
; %bb.15:
	v_mov_b64_e32 v[0:1], 0
	v_mov_b32_e32 v2, 0
	global_store_b64 v2, v[0:1], s[4:5]
.LBB57_16:
	s_wait_xcnt 0x0
	s_or_b32 exec_lo, exec_lo, s0
	s_delay_alu instid0(SALU_CYCLE_1)
	s_mov_b32 s0, exec_lo
	v_cmpx_gt_u32_e64 s8, v8
	s_cbranch_execnz .LBB57_3
	s_branch .LBB57_4
	.section	.rodata,"a",@progbits
	.p2align	6, 0x0
	.amdhsa_kernel _ZN7rocprim17ROCPRIM_400000_NS6detail25reduce_by_key_init_kernelINS1_19lookback_scan_stateINS0_5tupleIJjjEEELb0ELb1EEEjNS1_16block_id_wrapperIjLb0EEEEEvT_jbjPmPT0_T1_
		.amdhsa_group_segment_fixed_size 0
		.amdhsa_private_segment_fixed_size 0
		.amdhsa_kernarg_size 304
		.amdhsa_user_sgpr_count 2
		.amdhsa_user_sgpr_dispatch_ptr 0
		.amdhsa_user_sgpr_queue_ptr 0
		.amdhsa_user_sgpr_kernarg_segment_ptr 1
		.amdhsa_user_sgpr_dispatch_id 0
		.amdhsa_user_sgpr_kernarg_preload_length 0
		.amdhsa_user_sgpr_kernarg_preload_offset 0
		.amdhsa_user_sgpr_private_segment_size 0
		.amdhsa_wavefront_size32 1
		.amdhsa_uses_dynamic_stack 0
		.amdhsa_enable_private_segment 0
		.amdhsa_system_sgpr_workgroup_id_x 1
		.amdhsa_system_sgpr_workgroup_id_y 0
		.amdhsa_system_sgpr_workgroup_id_z 0
		.amdhsa_system_sgpr_workgroup_info 0
		.amdhsa_system_vgpr_workitem_id 0
		.amdhsa_next_free_vgpr 9
		.amdhsa_next_free_sgpr 13
		.amdhsa_named_barrier_count 0
		.amdhsa_reserve_vcc 1
		.amdhsa_float_round_mode_32 0
		.amdhsa_float_round_mode_16_64 0
		.amdhsa_float_denorm_mode_32 3
		.amdhsa_float_denorm_mode_16_64 3
		.amdhsa_fp16_overflow 0
		.amdhsa_memory_ordered 1
		.amdhsa_forward_progress 1
		.amdhsa_inst_pref_size 5
		.amdhsa_round_robin_scheduling 0
		.amdhsa_exception_fp_ieee_invalid_op 0
		.amdhsa_exception_fp_denorm_src 0
		.amdhsa_exception_fp_ieee_div_zero 0
		.amdhsa_exception_fp_ieee_overflow 0
		.amdhsa_exception_fp_ieee_underflow 0
		.amdhsa_exception_fp_ieee_inexact 0
		.amdhsa_exception_int_div_zero 0
	.end_amdhsa_kernel
	.section	.text._ZN7rocprim17ROCPRIM_400000_NS6detail25reduce_by_key_init_kernelINS1_19lookback_scan_stateINS0_5tupleIJjjEEELb0ELb1EEEjNS1_16block_id_wrapperIjLb0EEEEEvT_jbjPmPT0_T1_,"axG",@progbits,_ZN7rocprim17ROCPRIM_400000_NS6detail25reduce_by_key_init_kernelINS1_19lookback_scan_stateINS0_5tupleIJjjEEELb0ELb1EEEjNS1_16block_id_wrapperIjLb0EEEEEvT_jbjPmPT0_T1_,comdat
.Lfunc_end57:
	.size	_ZN7rocprim17ROCPRIM_400000_NS6detail25reduce_by_key_init_kernelINS1_19lookback_scan_stateINS0_5tupleIJjjEEELb0ELb1EEEjNS1_16block_id_wrapperIjLb0EEEEEvT_jbjPmPT0_T1_, .Lfunc_end57-_ZN7rocprim17ROCPRIM_400000_NS6detail25reduce_by_key_init_kernelINS1_19lookback_scan_stateINS0_5tupleIJjjEEELb0ELb1EEEjNS1_16block_id_wrapperIjLb0EEEEEvT_jbjPmPT0_T1_
                                        ; -- End function
	.set _ZN7rocprim17ROCPRIM_400000_NS6detail25reduce_by_key_init_kernelINS1_19lookback_scan_stateINS0_5tupleIJjjEEELb0ELb1EEEjNS1_16block_id_wrapperIjLb0EEEEEvT_jbjPmPT0_T1_.num_vgpr, 9
	.set _ZN7rocprim17ROCPRIM_400000_NS6detail25reduce_by_key_init_kernelINS1_19lookback_scan_stateINS0_5tupleIJjjEEELb0ELb1EEEjNS1_16block_id_wrapperIjLb0EEEEEvT_jbjPmPT0_T1_.num_agpr, 0
	.set _ZN7rocprim17ROCPRIM_400000_NS6detail25reduce_by_key_init_kernelINS1_19lookback_scan_stateINS0_5tupleIJjjEEELb0ELb1EEEjNS1_16block_id_wrapperIjLb0EEEEEvT_jbjPmPT0_T1_.numbered_sgpr, 13
	.set _ZN7rocprim17ROCPRIM_400000_NS6detail25reduce_by_key_init_kernelINS1_19lookback_scan_stateINS0_5tupleIJjjEEELb0ELb1EEEjNS1_16block_id_wrapperIjLb0EEEEEvT_jbjPmPT0_T1_.num_named_barrier, 0
	.set _ZN7rocprim17ROCPRIM_400000_NS6detail25reduce_by_key_init_kernelINS1_19lookback_scan_stateINS0_5tupleIJjjEEELb0ELb1EEEjNS1_16block_id_wrapperIjLb0EEEEEvT_jbjPmPT0_T1_.private_seg_size, 0
	.set _ZN7rocprim17ROCPRIM_400000_NS6detail25reduce_by_key_init_kernelINS1_19lookback_scan_stateINS0_5tupleIJjjEEELb0ELb1EEEjNS1_16block_id_wrapperIjLb0EEEEEvT_jbjPmPT0_T1_.uses_vcc, 1
	.set _ZN7rocprim17ROCPRIM_400000_NS6detail25reduce_by_key_init_kernelINS1_19lookback_scan_stateINS0_5tupleIJjjEEELb0ELb1EEEjNS1_16block_id_wrapperIjLb0EEEEEvT_jbjPmPT0_T1_.uses_flat_scratch, 0
	.set _ZN7rocprim17ROCPRIM_400000_NS6detail25reduce_by_key_init_kernelINS1_19lookback_scan_stateINS0_5tupleIJjjEEELb0ELb1EEEjNS1_16block_id_wrapperIjLb0EEEEEvT_jbjPmPT0_T1_.has_dyn_sized_stack, 0
	.set _ZN7rocprim17ROCPRIM_400000_NS6detail25reduce_by_key_init_kernelINS1_19lookback_scan_stateINS0_5tupleIJjjEEELb0ELb1EEEjNS1_16block_id_wrapperIjLb0EEEEEvT_jbjPmPT0_T1_.has_recursion, 0
	.set _ZN7rocprim17ROCPRIM_400000_NS6detail25reduce_by_key_init_kernelINS1_19lookback_scan_stateINS0_5tupleIJjjEEELb0ELb1EEEjNS1_16block_id_wrapperIjLb0EEEEEvT_jbjPmPT0_T1_.has_indirect_call, 0
	.section	.AMDGPU.csdata,"",@progbits
; Kernel info:
; codeLenInByte = 520
; TotalNumSgprs: 15
; NumVgprs: 9
; ScratchSize: 0
; MemoryBound: 0
; FloatMode: 240
; IeeeMode: 1
; LDSByteSize: 0 bytes/workgroup (compile time only)
; SGPRBlocks: 0
; VGPRBlocks: 0
; NumSGPRsForWavesPerEU: 15
; NumVGPRsForWavesPerEU: 9
; NamedBarCnt: 0
; Occupancy: 16
; WaveLimiterHint : 0
; COMPUTE_PGM_RSRC2:SCRATCH_EN: 0
; COMPUTE_PGM_RSRC2:USER_SGPR: 2
; COMPUTE_PGM_RSRC2:TRAP_HANDLER: 0
; COMPUTE_PGM_RSRC2:TGID_X_EN: 1
; COMPUTE_PGM_RSRC2:TGID_Y_EN: 0
; COMPUTE_PGM_RSRC2:TGID_Z_EN: 0
; COMPUTE_PGM_RSRC2:TIDIG_COMP_CNT: 0
	.section	.text._ZN7rocprim17ROCPRIM_400000_NS6detail17trampoline_kernelINS0_14default_configENS1_33run_length_encode_config_selectorIbjNS0_4plusIjEEEEZZNS1_33reduce_by_key_impl_wrapped_configILNS1_25lookback_scan_determinismE0ES3_S7_N6hipcub16HIPCUB_304000_NS22TransformInputIteratorIbN2at6native8internal12_GLOBAL__N_110LoadBoolOpEPKhlEENS0_17constant_iteratorIjlEEPbPlSO_S6_NS0_8equal_toIbEEEE10hipError_tPvRmT2_T3_mT4_T5_T6_T7_T8_P12ihipStream_tbENKUlT_T0_E_clISt17integral_constantIbLb0EES18_EEDaS13_S14_EUlS13_E_NS1_11comp_targetILNS1_3genE0ELNS1_11target_archE4294967295ELNS1_3gpuE0ELNS1_3repE0EEENS1_30default_config_static_selectorELNS0_4arch9wavefront6targetE0EEEvT1_,"axG",@progbits,_ZN7rocprim17ROCPRIM_400000_NS6detail17trampoline_kernelINS0_14default_configENS1_33run_length_encode_config_selectorIbjNS0_4plusIjEEEEZZNS1_33reduce_by_key_impl_wrapped_configILNS1_25lookback_scan_determinismE0ES3_S7_N6hipcub16HIPCUB_304000_NS22TransformInputIteratorIbN2at6native8internal12_GLOBAL__N_110LoadBoolOpEPKhlEENS0_17constant_iteratorIjlEEPbPlSO_S6_NS0_8equal_toIbEEEE10hipError_tPvRmT2_T3_mT4_T5_T6_T7_T8_P12ihipStream_tbENKUlT_T0_E_clISt17integral_constantIbLb0EES18_EEDaS13_S14_EUlS13_E_NS1_11comp_targetILNS1_3genE0ELNS1_11target_archE4294967295ELNS1_3gpuE0ELNS1_3repE0EEENS1_30default_config_static_selectorELNS0_4arch9wavefront6targetE0EEEvT1_,comdat
	.globl	_ZN7rocprim17ROCPRIM_400000_NS6detail17trampoline_kernelINS0_14default_configENS1_33run_length_encode_config_selectorIbjNS0_4plusIjEEEEZZNS1_33reduce_by_key_impl_wrapped_configILNS1_25lookback_scan_determinismE0ES3_S7_N6hipcub16HIPCUB_304000_NS22TransformInputIteratorIbN2at6native8internal12_GLOBAL__N_110LoadBoolOpEPKhlEENS0_17constant_iteratorIjlEEPbPlSO_S6_NS0_8equal_toIbEEEE10hipError_tPvRmT2_T3_mT4_T5_T6_T7_T8_P12ihipStream_tbENKUlT_T0_E_clISt17integral_constantIbLb0EES18_EEDaS13_S14_EUlS13_E_NS1_11comp_targetILNS1_3genE0ELNS1_11target_archE4294967295ELNS1_3gpuE0ELNS1_3repE0EEENS1_30default_config_static_selectorELNS0_4arch9wavefront6targetE0EEEvT1_ ; -- Begin function _ZN7rocprim17ROCPRIM_400000_NS6detail17trampoline_kernelINS0_14default_configENS1_33run_length_encode_config_selectorIbjNS0_4plusIjEEEEZZNS1_33reduce_by_key_impl_wrapped_configILNS1_25lookback_scan_determinismE0ES3_S7_N6hipcub16HIPCUB_304000_NS22TransformInputIteratorIbN2at6native8internal12_GLOBAL__N_110LoadBoolOpEPKhlEENS0_17constant_iteratorIjlEEPbPlSO_S6_NS0_8equal_toIbEEEE10hipError_tPvRmT2_T3_mT4_T5_T6_T7_T8_P12ihipStream_tbENKUlT_T0_E_clISt17integral_constantIbLb0EES18_EEDaS13_S14_EUlS13_E_NS1_11comp_targetILNS1_3genE0ELNS1_11target_archE4294967295ELNS1_3gpuE0ELNS1_3repE0EEENS1_30default_config_static_selectorELNS0_4arch9wavefront6targetE0EEEvT1_
	.p2align	8
	.type	_ZN7rocprim17ROCPRIM_400000_NS6detail17trampoline_kernelINS0_14default_configENS1_33run_length_encode_config_selectorIbjNS0_4plusIjEEEEZZNS1_33reduce_by_key_impl_wrapped_configILNS1_25lookback_scan_determinismE0ES3_S7_N6hipcub16HIPCUB_304000_NS22TransformInputIteratorIbN2at6native8internal12_GLOBAL__N_110LoadBoolOpEPKhlEENS0_17constant_iteratorIjlEEPbPlSO_S6_NS0_8equal_toIbEEEE10hipError_tPvRmT2_T3_mT4_T5_T6_T7_T8_P12ihipStream_tbENKUlT_T0_E_clISt17integral_constantIbLb0EES18_EEDaS13_S14_EUlS13_E_NS1_11comp_targetILNS1_3genE0ELNS1_11target_archE4294967295ELNS1_3gpuE0ELNS1_3repE0EEENS1_30default_config_static_selectorELNS0_4arch9wavefront6targetE0EEEvT1_,@function
_ZN7rocprim17ROCPRIM_400000_NS6detail17trampoline_kernelINS0_14default_configENS1_33run_length_encode_config_selectorIbjNS0_4plusIjEEEEZZNS1_33reduce_by_key_impl_wrapped_configILNS1_25lookback_scan_determinismE0ES3_S7_N6hipcub16HIPCUB_304000_NS22TransformInputIteratorIbN2at6native8internal12_GLOBAL__N_110LoadBoolOpEPKhlEENS0_17constant_iteratorIjlEEPbPlSO_S6_NS0_8equal_toIbEEEE10hipError_tPvRmT2_T3_mT4_T5_T6_T7_T8_P12ihipStream_tbENKUlT_T0_E_clISt17integral_constantIbLb0EES18_EEDaS13_S14_EUlS13_E_NS1_11comp_targetILNS1_3genE0ELNS1_11target_archE4294967295ELNS1_3gpuE0ELNS1_3repE0EEENS1_30default_config_static_selectorELNS0_4arch9wavefront6targetE0EEEvT1_: ; @_ZN7rocprim17ROCPRIM_400000_NS6detail17trampoline_kernelINS0_14default_configENS1_33run_length_encode_config_selectorIbjNS0_4plusIjEEEEZZNS1_33reduce_by_key_impl_wrapped_configILNS1_25lookback_scan_determinismE0ES3_S7_N6hipcub16HIPCUB_304000_NS22TransformInputIteratorIbN2at6native8internal12_GLOBAL__N_110LoadBoolOpEPKhlEENS0_17constant_iteratorIjlEEPbPlSO_S6_NS0_8equal_toIbEEEE10hipError_tPvRmT2_T3_mT4_T5_T6_T7_T8_P12ihipStream_tbENKUlT_T0_E_clISt17integral_constantIbLb0EES18_EEDaS13_S14_EUlS13_E_NS1_11comp_targetILNS1_3genE0ELNS1_11target_archE4294967295ELNS1_3gpuE0ELNS1_3repE0EEENS1_30default_config_static_selectorELNS0_4arch9wavefront6targetE0EEEvT1_
; %bb.0:
	s_clause 0x3
	s_load_b256 s[16:23], s[0:1], 0x48
	s_load_b64 s[8:9], s[0:1], 0x0
	s_load_b96 s[4:6], s[0:1], 0x10
	s_load_b128 s[24:27], s[0:1], 0x68
	s_bfe_u32 s7, ttmp6, 0x4000c
	s_and_b32 s2, ttmp6, 15
	s_add_co_i32 s7, s7, 1
	s_getreg_b32 s10, hwreg(HW_REG_IB_STS2, 6, 4)
	s_mul_i32 s7, ttmp9, s7
	s_mov_b32 s3, 0
	s_add_co_i32 s2, s2, s7
	s_cmp_eq_u32 s10, 0
	s_mov_b32 s29, s3
	s_cselect_b32 s28, ttmp9, s2
	v_mad_u32_u24 v2, v0, 13, v0
	s_mul_i32 s2, s28, 0xe00
	s_wait_kmcnt 0x0
	s_mul_u64 s[10:11], s[20:21], s[18:19]
	s_add_nc_u64 s[12:13], s[22:23], -1
	s_add_nc_u64 s[22:23], s[10:11], s[28:29]
	s_add_nc_u64 s[4:5], s[8:9], s[4:5]
	s_cmp_eq_u64 s[22:23], s[12:13]
	s_add_nc_u64 s[20:21], s[4:5], s[2:3]
	s_cselect_b32 s15, -1, 0
	s_cmp_lg_u64 s[22:23], s[12:13]
	s_mul_i32 s29, s12, 0xfffff200
	s_cselect_b32 s2, -1, 0
	s_and_b32 vcc_lo, exec_lo, s15
	s_cbranch_vccnz .LBB58_2
; %bb.1:
	s_clause 0xd
	global_load_u8 v1, v0, s[20:21]
	global_load_u8 v3, v0, s[20:21] offset:256
	global_load_u8 v4, v0, s[20:21] offset:512
	;; [unrolled: 1-line block ×13, first 2 shown]
	s_mov_b32 s4, 0
	s_mov_b32 s3, -1
	s_wait_loadcnt 0xd
	v_cmp_ne_u16_e32 vcc_lo, 0, v1
	v_cndmask_b32_e64 v1, 0, 1, vcc_lo
	s_wait_loadcnt 0xc
	v_cmp_ne_u16_e32 vcc_lo, 0, v3
	v_cndmask_b32_e64 v3, 0, 1, vcc_lo
	;; [unrolled: 3-line block ×14, first 2 shown]
	ds_store_b8 v0, v1
	ds_store_b8 v0, v3 offset:256
	ds_store_b8 v0, v4 offset:512
	;; [unrolled: 1-line block ×13, first 2 shown]
	s_wait_dscnt 0x0
	s_barrier_signal -1
	s_barrier_wait -1
	ds_load_u16 v1, v2
	ds_load_b96 v[10:12], v2 offset:2
	s_wait_dscnt 0x1
	v_lshrrev_b16 v13, 8, v1
	s_branch .LBB58_3
.LBB58_2:
	s_mov_b32 s4, -1
                                        ; implicit-def: $vgpr10
                                        ; implicit-def: $vgpr1
                                        ; implicit-def: $vgpr13
.LBB58_3:
	v_dual_mov_b32 v50, s6 :: v_dual_mov_b32 v51, s6
	v_dual_mov_b32 v52, s6 :: v_dual_mov_b32 v54, s6
	;; [unrolled: 1-line block ×6, first 2 shown]
	v_mov_b32_e32 v53, s6
	s_and_not1_b32 vcc_lo, exec_lo, s4
	s_add_co_i32 s29, s29, s24
                                        ; implicit-def: $vgpr76
	s_cbranch_vccnz .LBB58_33
; %bb.4:
	s_mov_b32 s3, exec_lo
                                        ; implicit-def: $vgpr1
	v_cmpx_gt_u32_e64 s29, v0
	s_cbranch_execz .LBB58_6
; %bb.5:
	global_load_u8 v1, v0, s[20:21]
	s_wait_loadcnt 0x0
	v_cmp_ne_u16_e32 vcc_lo, 0, v1
	v_cndmask_b32_e64 v1, 0, 1, vcc_lo
.LBB58_6:
	s_or_b32 exec_lo, exec_lo, s3
	v_or_b32_e32 v3, 0x100, v0
	s_delay_alu instid0(VALU_DEP_1)
	v_cmp_gt_u32_e32 vcc_lo, s29, v3
                                        ; implicit-def: $vgpr3
	s_and_saveexec_b32 s3, vcc_lo
	s_cbranch_execz .LBB58_8
; %bb.7:
	global_load_u8 v3, v0, s[20:21] offset:256
	s_wait_loadcnt 0x0
	v_cmp_ne_u16_e32 vcc_lo, 0, v3
	v_cndmask_b32_e64 v3, 0, 1, vcc_lo
.LBB58_8:
	s_or_b32 exec_lo, exec_lo, s3
	v_or_b32_e32 v4, 0x200, v0
	s_delay_alu instid0(VALU_DEP_1)
	v_cmp_gt_u32_e32 vcc_lo, s29, v4
                                        ; implicit-def: $vgpr4
	s_and_saveexec_b32 s3, vcc_lo
	s_cbranch_execz .LBB58_10
; %bb.9:
	global_load_u8 v4, v0, s[20:21] offset:512
	s_wait_loadcnt 0x0
	v_cmp_ne_u16_e32 vcc_lo, 0, v4
	v_cndmask_b32_e64 v4, 0, 1, vcc_lo
.LBB58_10:
	s_or_b32 exec_lo, exec_lo, s3
	v_or_b32_e32 v5, 0x300, v0
	s_delay_alu instid0(VALU_DEP_1)
	v_cmp_gt_u32_e32 vcc_lo, s29, v5
                                        ; implicit-def: $vgpr5
	s_and_saveexec_b32 s3, vcc_lo
	s_cbranch_execz .LBB58_12
; %bb.11:
	global_load_u8 v5, v0, s[20:21] offset:768
	s_wait_loadcnt 0x0
	v_cmp_ne_u16_e32 vcc_lo, 0, v5
	v_cndmask_b32_e64 v5, 0, 1, vcc_lo
.LBB58_12:
	s_or_b32 exec_lo, exec_lo, s3
	v_or_b32_e32 v6, 0x400, v0
	s_delay_alu instid0(VALU_DEP_1)
	v_cmp_gt_u32_e32 vcc_lo, s29, v6
                                        ; implicit-def: $vgpr6
	s_and_saveexec_b32 s3, vcc_lo
	s_cbranch_execz .LBB58_14
; %bb.13:
	global_load_u8 v6, v0, s[20:21] offset:1024
	s_wait_loadcnt 0x0
	v_cmp_ne_u16_e32 vcc_lo, 0, v6
	v_cndmask_b32_e64 v6, 0, 1, vcc_lo
.LBB58_14:
	s_or_b32 exec_lo, exec_lo, s3
	v_or_b32_e32 v7, 0x500, v0
	s_delay_alu instid0(VALU_DEP_1)
	v_cmp_gt_u32_e32 vcc_lo, s29, v7
                                        ; implicit-def: $vgpr7
	s_and_saveexec_b32 s3, vcc_lo
	s_cbranch_execz .LBB58_16
; %bb.15:
	global_load_u8 v7, v0, s[20:21] offset:1280
	s_wait_loadcnt 0x0
	v_cmp_ne_u16_e32 vcc_lo, 0, v7
	v_cndmask_b32_e64 v7, 0, 1, vcc_lo
.LBB58_16:
	s_or_b32 exec_lo, exec_lo, s3
	v_or_b32_e32 v8, 0x600, v0
	s_delay_alu instid0(VALU_DEP_1)
	v_cmp_gt_u32_e32 vcc_lo, s29, v8
                                        ; implicit-def: $vgpr8
	s_and_saveexec_b32 s3, vcc_lo
	s_cbranch_execz .LBB58_18
; %bb.17:
	global_load_u8 v8, v0, s[20:21] offset:1536
	s_wait_loadcnt 0x0
	v_cmp_ne_u16_e32 vcc_lo, 0, v8
	v_cndmask_b32_e64 v8, 0, 1, vcc_lo
.LBB58_18:
	s_or_b32 exec_lo, exec_lo, s3
	v_or_b32_e32 v9, 0x700, v0
	s_delay_alu instid0(VALU_DEP_1)
	v_cmp_gt_u32_e32 vcc_lo, s29, v9
                                        ; implicit-def: $vgpr9
	s_and_saveexec_b32 s3, vcc_lo
	s_cbranch_execz .LBB58_20
; %bb.19:
	global_load_u8 v9, v0, s[20:21] offset:1792
	s_wait_loadcnt 0x0
	v_cmp_ne_u16_e32 vcc_lo, 0, v9
	v_cndmask_b32_e64 v9, 0, 1, vcc_lo
.LBB58_20:
	s_or_b32 exec_lo, exec_lo, s3
	s_wait_dscnt 0x0
	v_or_b32_e32 v10, 0x800, v0
	s_delay_alu instid0(VALU_DEP_1)
	v_cmp_gt_u32_e32 vcc_lo, s29, v10
                                        ; implicit-def: $vgpr10
	s_and_saveexec_b32 s3, vcc_lo
	s_cbranch_execz .LBB58_22
; %bb.21:
	global_load_u8 v10, v0, s[20:21] offset:2048
	s_wait_loadcnt 0x0
	v_cmp_ne_u16_e32 vcc_lo, 0, v10
	v_cndmask_b32_e64 v10, 0, 1, vcc_lo
.LBB58_22:
	s_or_b32 exec_lo, exec_lo, s3
	v_or_b32_e32 v11, 0x900, v0
	s_delay_alu instid0(VALU_DEP_1)
	v_cmp_gt_u32_e32 vcc_lo, s29, v11
                                        ; implicit-def: $vgpr11
	s_and_saveexec_b32 s3, vcc_lo
	s_cbranch_execz .LBB58_24
; %bb.23:
	global_load_u8 v11, v0, s[20:21] offset:2304
	s_wait_loadcnt 0x0
	v_cmp_ne_u16_e32 vcc_lo, 0, v11
	v_cndmask_b32_e64 v11, 0, 1, vcc_lo
.LBB58_24:
	s_or_b32 exec_lo, exec_lo, s3
	v_or_b32_e32 v12, 0xa00, v0
	s_delay_alu instid0(VALU_DEP_1)
	v_cmp_gt_u32_e32 vcc_lo, s29, v12
                                        ; implicit-def: $vgpr12
	s_and_saveexec_b32 s3, vcc_lo
	s_cbranch_execz .LBB58_26
; %bb.25:
	global_load_u8 v12, v0, s[20:21] offset:2560
	s_wait_loadcnt 0x0
	v_cmp_ne_u16_e32 vcc_lo, 0, v12
	v_cndmask_b32_e64 v12, 0, 1, vcc_lo
.LBB58_26:
	s_or_b32 exec_lo, exec_lo, s3
	v_or_b32_e32 v13, 0xb00, v0
	s_delay_alu instid0(VALU_DEP_1)
	v_cmp_gt_u32_e32 vcc_lo, s29, v13
                                        ; implicit-def: $vgpr13
	s_and_saveexec_b32 s3, vcc_lo
	s_cbranch_execz .LBB58_28
; %bb.27:
	global_load_u8 v13, v0, s[20:21] offset:2816
	s_wait_loadcnt 0x0
	v_cmp_ne_u16_e32 vcc_lo, 0, v13
	v_cndmask_b32_e64 v13, 0, 1, vcc_lo
.LBB58_28:
	s_or_b32 exec_lo, exec_lo, s3
	v_or_b32_e32 v14, 0xc00, v0
	s_delay_alu instid0(VALU_DEP_1)
	v_cmp_gt_u32_e32 vcc_lo, s29, v14
                                        ; implicit-def: $vgpr14
	s_and_saveexec_b32 s3, vcc_lo
	s_cbranch_execz .LBB58_30
; %bb.29:
	global_load_u8 v14, v0, s[20:21] offset:3072
	s_wait_loadcnt 0x0
	v_cmp_ne_u16_e32 vcc_lo, 0, v14
	v_cndmask_b32_e64 v14, 0, 1, vcc_lo
.LBB58_30:
	s_or_b32 exec_lo, exec_lo, s3
	v_or_b32_e32 v15, 0xd00, v0
	s_delay_alu instid0(VALU_DEP_1)
	v_cmp_gt_u32_e32 vcc_lo, s29, v15
                                        ; implicit-def: $vgpr15
	s_and_saveexec_b32 s3, vcc_lo
	s_cbranch_execz .LBB58_32
; %bb.31:
	global_load_u8 v15, v0, s[20:21] offset:3328
	s_wait_loadcnt 0x0
	v_cmp_ne_u16_e32 vcc_lo, 0, v15
	v_cndmask_b32_e64 v15, 0, 1, vcc_lo
.LBB58_32:
	s_or_b32 exec_lo, exec_lo, s3
	ds_store_b8 v0, v1
	ds_store_b8 v0, v3 offset:256
	ds_store_b8 v0, v4 offset:512
	;; [unrolled: 1-line block ×13, first 2 shown]
	v_mul_u32_u24_e32 v3, 14, v0
	s_wait_dscnt 0x0
	s_barrier_signal -1
	s_barrier_wait -1
	ds_load_u16 v1, v2
	ds_load_b96 v[10:12], v2 offset:2
	v_dual_mov_b32 v76, 0 :: v_dual_bitop2_b32 v2, 1, v3 bitop3:0x54
	v_cmp_gt_u32_e32 vcc_lo, s29, v3
	v_mad_u32_u24 v3, v0, 14, 2
	v_mad_u32_u24 v4, v0, 14, 4
	v_cndmask_b32_e64 v53, 0, s6, vcc_lo
	v_cmp_gt_u32_e32 vcc_lo, s29, v2
	v_mad_u32_u24 v2, v0, 14, 3
	v_cndmask_b32_e64 v55, 0, s6, vcc_lo
	v_cmp_gt_u32_e32 vcc_lo, s29, v3
	v_mad_u32_u24 v3, v0, 14, 5
	s_wait_dscnt 0x1
	v_lshrrev_b16 v13, 8, v1
	v_cndmask_b32_e64 v72, 0, s6, vcc_lo
	v_cmp_gt_u32_e32 vcc_lo, s29, v2
	v_mad_u32_u24 v2, v0, 14, 6
	v_cndmask_b32_e64 v74, 0, s6, vcc_lo
	v_cmp_gt_u32_e32 vcc_lo, s29, v4
	v_mad_u32_u24 v4, v0, 14, 8
	;; [unrolled: 3-line block ×8, first 2 shown]
	v_cndmask_b32_e64 v52, 0, s6, vcc_lo
	v_cmp_gt_u32_e32 vcc_lo, s29, v2
	s_delay_alu instid0(VALU_DEP_3)
	v_cmp_gt_u32_e64 s3, s29, v3
	v_cndmask_b32_e64 v51, 0, s6, vcc_lo
	v_cmp_gt_u32_e32 vcc_lo, s29, v4
	v_cndmask_b32_e64 v50, 0, s6, vcc_lo
.LBB58_33:
	s_delay_alu instid0(VALU_DEP_4)
	s_and_saveexec_b32 s4, s3
; %bb.34:
	v_mov_b32_e32 v76, s6
; %bb.35:
	s_or_b32 exec_lo, exec_lo, s4
	s_load_b64 s[30:31], s[0:1], 0x78
	s_cmp_eq_u64 s[22:23], 0
	s_wait_dscnt 0x0
	s_cselect_b32 s33, -1, 0
	s_cmp_lg_u64 s[22:23], 0
	s_barrier_signal -1
	s_cselect_b32 s36, -1, 0
	s_and_b32 vcc_lo, exec_lo, s2
	s_barrier_wait -1
	s_cbranch_vccz .LBB58_40
; %bb.36:
	s_and_b32 vcc_lo, exec_lo, s36
	s_cbranch_vccz .LBB58_41
; %bb.37:
	s_add_nc_u64 s[2:3], s[20:21], -1
	v_dual_lshrrev_b32 v2, 16, v12 :: v_dual_lshrrev_b32 v3, 16, v11
	s_load_u8 s5, s[2:3], 0x0
	v_dual_lshrrev_b32 v6, 8, v12 :: v_dual_lshrrev_b32 v8, 24, v11
	v_dual_lshrrev_b32 v4, 16, v10 :: v_dual_lshrrev_b32 v5, 24, v12
	;; [unrolled: 1-line block ×3, first 2 shown]
	v_and_b32_e32 v2, 0xff, v2
	s_delay_alu instid0(VALU_DEP_4)
	v_and_b32_e32 v6, 0xff, v6
	v_and_b32_e32 v7, 0xff, v12
	;; [unrolled: 1-line block ×4, first 2 shown]
	s_wait_xcnt 0x0
	v_cmp_ne_u16_e64 s2, v2, v5
	v_cmp_ne_u16_e64 s3, v6, v2
	v_lshrrev_b32_e32 v2, 8, v10
	v_and_b32_e32 v14, 0xff, v11
	ds_store_b8 v0, v5
	v_cmp_ne_u16_e64 s4, v7, v6
	v_cmp_ne_u16_e64 s6, v9, v3
	v_and_b32_e32 v5, 0xff, v10
	s_wait_kmcnt 0x0
	s_cmp_lg_u32 s5, 0
	v_cmp_ne_u16_e64 s5, v3, v8
	v_and_b32_e32 v3, 0xff, v4
	v_and_b32_e32 v4, 0xff, v2
	;; [unrolled: 1-line block ×4, first 2 shown]
	s_cselect_b32 s14, -1, 0
	v_cmp_ne_u16_e64 s7, v14, v9
	v_cmp_ne_u16_e64 s8, v15, v14
	;; [unrolled: 1-line block ×7, first 2 shown]
	v_cndmask_b32_e64 v3, 0, 1, s14
	s_mov_b32 s37, 0
	s_mov_b32 s34, exec_lo
	v_cmp_ne_u16_e32 vcc_lo, v8, v7
	s_wait_dscnt 0x0
	s_barrier_signal -1
	s_barrier_wait -1
	v_cmpx_ne_u32_e32 0, v0
; %bb.38:
	v_add_nc_u32_e32 v3, -1, v0
	ds_load_u8 v3, v3
; %bb.39:
	s_or_b32 exec_lo, exec_lo, s34
	s_wait_dscnt 0x0
	v_and_b32_e32 v3, 0xff, v3
	v_cndmask_b32_e64 v61, 0, 1, s2
	v_cndmask_b32_e64 v59, 0, 1, s3
	;; [unrolled: 1-line block ×3, first 2 shown]
	v_cndmask_b32_e64 v21, 0, 1, vcc_lo
	v_cndmask_b32_e64 v57, 0, 1, s5
	v_cndmask_b32_e64 v58, 0, 1, s6
	v_cndmask_b32_e64 v60, 0, 1, s7
	v_cndmask_b32_e64 v62, 0, 1, s8
	v_cndmask_b32_e64 v64, 0, 1, s13
	v_cndmask_b32_e64 v63, 0, 1, s9
	v_cndmask_b32_e64 v65, 0, 1, s10
	v_cndmask_b32_e64 v66, 0, 1, s11
	v_cndmask_b32_e64 v67, 0, 1, s12
	v_cmp_ne_u16_e64 s35, v3, v2
	s_mov_b32 s34, -1
	s_and_b32 vcc_lo, exec_lo, s37
	s_cbranch_vccnz .LBB58_42
	s_branch .LBB58_45
.LBB58_40:
	s_mov_b32 s34, 0
                                        ; implicit-def: $sgpr35
                                        ; implicit-def: $vgpr61
                                        ; implicit-def: $vgpr59
                                        ; implicit-def: $vgpr56
                                        ; implicit-def: $vgpr21
                                        ; implicit-def: $vgpr57
                                        ; implicit-def: $vgpr58
                                        ; implicit-def: $vgpr60
                                        ; implicit-def: $vgpr62
                                        ; implicit-def: $vgpr64
                                        ; implicit-def: $vgpr63
                                        ; implicit-def: $vgpr65
                                        ; implicit-def: $vgpr66
                                        ; implicit-def: $vgpr67
	s_cbranch_execnz .LBB58_46
	s_branch .LBB58_54
.LBB58_41:
	s_mov_b32 s34, 0
                                        ; implicit-def: $sgpr35
                                        ; implicit-def: $vgpr61
                                        ; implicit-def: $vgpr59
                                        ; implicit-def: $vgpr56
                                        ; implicit-def: $vgpr21
                                        ; implicit-def: $vgpr57
                                        ; implicit-def: $vgpr58
                                        ; implicit-def: $vgpr60
                                        ; implicit-def: $vgpr62
                                        ; implicit-def: $vgpr64
                                        ; implicit-def: $vgpr63
                                        ; implicit-def: $vgpr65
                                        ; implicit-def: $vgpr66
                                        ; implicit-def: $vgpr67
	s_cbranch_execz .LBB58_45
.LBB58_42:
	v_dual_lshrrev_b32 v2, 16, v12 :: v_dual_lshrrev_b32 v3, 16, v11
	v_dual_lshrrev_b32 v4, 8, v12 :: v_dual_lshrrev_b32 v5, 16, v10
	;; [unrolled: 1-line block ×3, first 2 shown]
	s_delay_alu instid0(VALU_DEP_3) | instskip(SKIP_1) | instid1(VALU_DEP_4)
	v_and_b32_e32 v2, 0xff, v2
	v_and_b32_e32 v7, 0xff, v12
	;; [unrolled: 1-line block ×3, first 2 shown]
	ds_store_b8 v0, v6
	v_cmp_ne_u32_e64 s14, 0, v0
	v_cmp_ne_u16_e32 vcc_lo, v2, v6
	v_lshrrev_b32_e32 v6, 8, v11
	v_cmp_ne_u16_e64 s2, v4, v2
	v_cmp_ne_u16_e64 s3, v7, v4
	v_and_b32_e32 v2, 0xff, v3
	v_cmp_ne_u16_e64 s4, v8, v7
	v_and_b32_e32 v4, 0xff, v11
	v_lshrrev_b32_e32 v7, 8, v10
	v_and_b32_e32 v3, 0xff, v6
	v_lshrrev_b32_e32 v6, 24, v10
	v_cmp_ne_u16_e64 s5, v2, v8
	s_wait_dscnt 0x0
	s_barrier_signal -1
	v_cmp_ne_u16_e64 s6, v3, v2
	v_cmp_ne_u16_e64 s7, v4, v3
	;; [unrolled: 1-line block ×3, first 2 shown]
	v_and_b32_e32 v3, 0xff, v5
	v_and_b32_e32 v4, 0xff, v7
	;; [unrolled: 1-line block ×5, first 2 shown]
	v_cmp_ne_u16_e64 s9, v3, v6
	v_cmp_ne_u16_e64 s10, v4, v3
	v_cmp_ne_u16_e64 s11, v5, v4
	v_cmp_ne_u16_e64 s12, v7, v5
	v_cmp_ne_u16_e64 s13, v2, v7
	s_barrier_wait -1
                                        ; implicit-def: $sgpr35
	s_and_saveexec_b32 s37, s14
	s_delay_alu instid0(SALU_CYCLE_1)
	s_xor_b32 s14, exec_lo, s37
	s_cbranch_execz .LBB58_44
; %bb.43:
	v_add_nc_u32_e32 v3, -1, v0
	s_or_b32 s34, s34, exec_lo
	ds_load_u8 v3, v3
	s_wait_dscnt 0x0
	v_cmp_ne_u16_e64 s35, v3, v2
.LBB58_44:
	s_or_b32 exec_lo, exec_lo, s14
	v_cndmask_b32_e64 v61, 0, 1, vcc_lo
	v_cndmask_b32_e64 v59, 0, 1, s2
	v_cndmask_b32_e64 v56, 0, 1, s3
	;; [unrolled: 1-line block ×12, first 2 shown]
.LBB58_45:
	s_branch .LBB58_54
.LBB58_46:
	s_mov_b64 s[2:3], 0xfffffffffffff200
	v_dual_lshrrev_b32 v39, 16, v12 :: v_dual_lshrrev_b32 v37, 16, v11
	s_mul_u64 s[4:5], s[22:23], s[2:3]
	v_lshrrev_b32_e32 v35, 16, v10
	v_mul_u32_u24_e32 v2, 14, v0
	v_mad_u32_u24 v4, v0, 14, 13
	v_mad_u32_u24 v30, v0, 14, 12
	v_mad_u32_u24 v28, v0, 14, 11
	v_and_b32_e32 v38, 0xff, v12
	v_mad_u32_u24 v26, v0, 14, 10
	v_mad_u32_u24 v24, v0, 14, 9
	v_mad_u32_u24 v22, v0, 14, 8
	v_mad_u32_u24 v20, v0, 14, 7
	v_and_b32_e32 v36, 0xff, v11
	v_mad_u32_u24 v18, v0, 14, 6
	;; [unrolled: 5-line block ×3, first 2 shown]
	v_and_b32_e32 v34, 0xff, v13
	v_and_b32_e32 v32, 0xff, v1
	v_cmp_ne_u32_e64 s2, 0, v0
	s_and_b32 vcc_lo, exec_lo, s36
	s_add_nc_u64 s[12:13], s[4:5], s[24:25]
	s_cbranch_vccz .LBB58_50
; %bb.47:
	s_add_nc_u64 s[4:5], s[20:21], -1
	v_dual_lshrrev_b32 v3, 24, v12 :: v_dual_mov_b32 v5, 0
	s_load_u8 s9, s[4:5], 0x0
	v_dual_lshrrev_b32 v9, 8, v12 :: v_dual_lshrrev_b32 v15, 24, v11
	v_and_b32_e32 v7, 0xff, v39
	s_delay_alu instid0(VALU_DEP_3) | instskip(NEXT) | instid1(VALU_DEP_3)
	v_dual_mov_b32 v31, v5 :: v_dual_mov_b32 v29, v5
	v_and_b32_e32 v9, 0xff, v9
	v_cmp_gt_u64_e32 vcc_lo, s[12:13], v[4:5]
	ds_store_b8 v0, v3
	v_cmp_ne_u16_e64 s3, v7, v3
	v_dual_mov_b32 v27, v5 :: v_dual_lshrrev_b32 v3, 8, v11
	v_dual_mov_b32 v25, v5 :: v_dual_mov_b32 v23, v5
	s_wait_xcnt 0x0
	v_cmp_gt_u64_e64 s4, s[12:13], v[30:31]
	v_cmp_ne_u16_e64 s5, v9, v7
	v_cmp_gt_u64_e64 s6, s[12:13], v[28:29]
	v_and_b32_e32 v7, 0xff, v37
	v_cmp_ne_u16_e64 s7, v38, v9
	v_and_b32_e32 v3, 0xff, v3
	s_wait_kmcnt 0x0
	s_cmp_lg_u32 s9, 0
	v_dual_mov_b32 v21, v5 :: v_dual_mov_b32 v19, v5
	s_cselect_b32 s38, -1, 0
	s_and_b32 s20, vcc_lo, s3
	v_cmp_gt_u64_e32 vcc_lo, s[12:13], v[24:25]
	v_cmp_ne_u16_e64 s3, v7, v15
	s_and_b32 s21, s4, s5
	s_and_b32 s22, s6, s7
	v_cmp_ne_u16_e64 s5, v3, v7
	v_cmp_ne_u16_e64 s7, v36, v3
	v_dual_lshrrev_b32 v3, 24, v10 :: v_dual_mov_b32 v17, v5
	s_and_b32 s25, vcc_lo, s3
	v_cmp_gt_u64_e32 vcc_lo, s[12:13], v[18:19]
	v_cmp_ne_u16_e64 s9, v15, v38
	s_delay_alu instid0(VALU_DEP_3)
	v_cmp_ne_u16_e64 s3, v3, v36
	v_and_b32_e32 v19, 0xff, v35
	v_dual_mov_b32 v15, v5 :: v_dual_lshrrev_b32 v7, 8, v10
	v_cmp_gt_u64_e64 s8, s[12:13], v[26:27]
	v_cmp_gt_u64_e64 s4, s[12:13], v[22:23]
	;; [unrolled: 1-line block ×3, first 2 shown]
	s_and_b32 s35, vcc_lo, s3
	v_cmp_ne_u16_e64 s3, v19, v3
	v_and_b32_e32 v3, 0xff, v7
	v_dual_mov_b32 v9, v5 :: v_dual_mov_b32 v7, v5
	v_dual_mov_b32 v41, v5 :: v_dual_bitop2_b32 v40, 1, v2 bitop3:0x54
	s_and_b32 s23, s8, s9
	s_and_b32 s34, s4, s5
	;; [unrolled: 1-line block ×3, first 2 shown]
	v_cmp_gt_u64_e32 vcc_lo, s[12:13], v[16:17]
	v_cmp_gt_u64_e64 s4, s[12:13], v[14:15]
	v_cmp_gt_u64_e64 s6, s[12:13], v[8:9]
	;; [unrolled: 1-line block ×4, first 2 shown]
	v_cmp_ne_u16_e64 s5, v3, v19
	v_cmp_ne_u16_e64 s7, v33, v3
	;; [unrolled: 1-line block ×4, first 2 shown]
	v_cndmask_b32_e64 v7, 0, 1, s38
	s_mov_b32 s14, 0
	s_and_b32 s37, vcc_lo, s3
	s_and_b32 s36, s4, s5
	s_and_b32 s3, s6, s7
	;; [unrolled: 1-line block ×4, first 2 shown]
	s_wait_dscnt 0x0
	s_barrier_signal -1
	s_barrier_wait -1
	s_and_saveexec_b32 s6, s2
; %bb.48:
	v_add_nc_u32_e32 v3, -1, v0
	ds_load_u8 v7, v3
; %bb.49:
	s_or_b32 exec_lo, exec_lo, s6
	v_mov_b32_e32 v3, v5
	s_wait_dscnt 0x0
	v_and_b32_e32 v5, 0xff, v7
	v_cndmask_b32_e64 v61, 0, 1, s20
	v_cndmask_b32_e64 v59, 0, 1, s21
	;; [unrolled: 1-line block ×3, first 2 shown]
	v_cmp_gt_u64_e32 vcc_lo, s[12:13], v[2:3]
	v_cmp_ne_u16_e64 s2, v5, v32
	v_cndmask_b32_e64 v21, 0, 1, s23
	v_cndmask_b32_e64 v57, 0, 1, s25
	;; [unrolled: 1-line block ×10, first 2 shown]
	s_and_b32 s35, vcc_lo, s2
	s_mov_b32 s34, -1
	s_and_b32 vcc_lo, exec_lo, s14
	s_cbranch_vccnz .LBB58_51
	s_branch .LBB58_54
.LBB58_50:
                                        ; implicit-def: $sgpr35
                                        ; implicit-def: $vgpr61
                                        ; implicit-def: $vgpr59
                                        ; implicit-def: $vgpr56
                                        ; implicit-def: $vgpr21
                                        ; implicit-def: $vgpr57
                                        ; implicit-def: $vgpr58
                                        ; implicit-def: $vgpr60
                                        ; implicit-def: $vgpr62
                                        ; implicit-def: $vgpr64
                                        ; implicit-def: $vgpr63
                                        ; implicit-def: $vgpr65
                                        ; implicit-def: $vgpr66
                                        ; implicit-def: $vgpr67
	s_cbranch_execz .LBB58_54
.LBB58_51:
	v_dual_lshrrev_b32 v3, 24, v12 :: v_dual_mov_b32 v5, 0
	v_and_b32_e32 v7, 0xff, v39
	v_lshrrev_b32_e32 v9, 8, v12
	v_cmp_ne_u16_e64 s9, v34, v33
	ds_store_b8 v0, v3
	v_cmp_gt_u64_e32 vcc_lo, s[12:13], v[4:5]
	v_dual_mov_b32 v29, v5 :: v_dual_mov_b32 v27, v5
	v_mov_b32_e32 v31, v5
	v_cmp_ne_u16_e64 s2, v7, v3
	v_and_b32_e32 v3, 0xff, v9
	v_lshrrev_b32_e32 v4, 24, v11
	v_cmp_gt_u64_e64 s7, s[12:13], v[26:27]
	v_dual_mov_b32 v25, v5 :: v_dual_mov_b32 v23, v5
	s_delay_alu instid0(VALU_DEP_4)
	v_cmp_ne_u16_e64 s5, v3, v7
	v_cmp_ne_u16_e64 s6, v38, v3
	s_and_b32 s11, vcc_lo, s2
	v_lshrrev_b32_e32 v3, 8, v11
	v_cmp_ne_u16_e32 vcc_lo, v4, v38
	v_and_b32_e32 v7, 0xff, v37
	v_cmp_gt_u64_e64 s4, s[12:13], v[28:29]
	v_dual_mov_b32 v21, v5 :: v_dual_mov_b32 v19, v5
	s_and_b32 s21, s7, vcc_lo
	v_cmp_gt_u64_e32 vcc_lo, s[12:13], v[24:25]
	v_cmp_ne_u16_e64 s2, v7, v4
	v_and_b32_e32 v3, 0xff, v3
	v_dual_mov_b32 v17, v5 :: v_dual_lshrrev_b32 v4, 24, v10
	v_cmp_gt_u64_e64 s3, s[12:13], v[30:31]
	s_and_b32 s20, s4, s6
	s_and_b32 s22, vcc_lo, s2
	v_cmp_gt_u64_e32 vcc_lo, s[12:13], v[18:19]
	v_cmp_ne_u16_e64 s4, v3, v7
	v_cmp_ne_u16_e64 s6, v36, v3
	;; [unrolled: 1-line block ×3, first 2 shown]
	v_and_b32_e32 v3, 0xff, v35
	v_dual_lshrrev_b32 v7, 8, v10 :: v_dual_mov_b32 v15, v5
	s_and_b32 s14, s3, s5
	v_cmp_gt_u64_e64 s3, s[12:13], v[22:23]
	v_cmp_gt_u64_e64 s5, s[12:13], v[20:21]
	s_and_b32 s25, vcc_lo, s2
	v_cmp_gt_u64_e32 vcc_lo, s[12:13], v[16:17]
	v_cmp_ne_u16_e64 s2, v3, v4
	v_and_b32_e32 v16, 0xff, v7
	v_dual_mov_b32 v9, v5 :: v_dual_mov_b32 v7, v5
	v_or_b32_e32 v4, 1, v2
	s_and_b32 s23, s3, s4
	s_and_b32 s24, s5, s6
	v_cmp_gt_u64_e64 s3, s[12:13], v[14:15]
	v_cmp_gt_u64_e64 s5, s[12:13], v[8:9]
	;; [unrolled: 1-line block ×4, first 2 shown]
	v_cmp_ne_u16_e64 s4, v16, v3
	v_cmp_ne_u16_e64 s6, v33, v16
	;; [unrolled: 1-line block ×3, first 2 shown]
	s_and_b32 s36, vcc_lo, s2
	s_wait_dscnt 0x0
	s_and_b32 s3, s3, s4
	s_and_b32 s4, s5, s6
	;; [unrolled: 1-line block ×4, first 2 shown]
	s_mov_b32 s7, exec_lo
	s_barrier_signal -1
	s_barrier_wait -1
                                        ; implicit-def: $sgpr35
	v_cmpx_ne_u32_e32 0, v0
	s_cbranch_execz .LBB58_53
; %bb.52:
	v_add_nc_u32_e32 v3, -1, v0
	s_or_b32 s34, s34, exec_lo
	ds_load_u8 v4, v3
	v_mov_b32_e32 v3, v5
	s_delay_alu instid0(VALU_DEP_1) | instskip(SKIP_2) | instid1(VALU_DEP_1)
	v_cmp_gt_u64_e32 vcc_lo, s[12:13], v[2:3]
	s_wait_dscnt 0x0
	v_and_b32_e32 v4, 0xff, v4
	v_cmp_ne_u16_e64 s2, v4, v32
	s_and_b32 s35, vcc_lo, s2
.LBB58_53:
	s_or_b32 exec_lo, exec_lo, s7
	v_cndmask_b32_e64 v61, 0, 1, s11
	v_cndmask_b32_e64 v59, 0, 1, s14
	;; [unrolled: 1-line block ×13, first 2 shown]
.LBB58_54:
	v_mov_b32_e32 v68, 1
	s_and_saveexec_b32 s2, s34
; %bb.55:
	v_cndmask_b32_e64 v68, 0, 1, s35
; %bb.56:
	s_or_b32 exec_lo, exec_lo, s2
	s_clause 0x1
	s_load_b128 s[20:23], s[0:1], 0x28
	s_load_b64 s[24:25], s[0:1], 0x38
	v_add_nc_u32_e32 v2, v67, v68
	v_cmp_eq_u32_e64 s11, 0, v67
	v_cmp_eq_u32_e64 s10, 0, v66
	;; [unrolled: 1-line block ×4, first 2 shown]
	v_add3_u32 v80, v2, v66, v65
	v_cmp_eq_u32_e64 s7, 0, v64
	v_cmp_eq_u32_e64 s6, 0, v62
	;; [unrolled: 1-line block ×6, first 2 shown]
	s_wait_xcnt 0x0
	v_cmp_eq_u32_e64 s1, 0, v56
	v_cmp_eq_u32_e64 s0, 0, v59
	v_mbcnt_lo_u32_b32 v77, -1, 0
	v_dual_lshrrev_b32 v78, 5, v0 :: v_dual_bitop2_b32 v79, 31, v0 bitop3:0x54
	s_cmp_eq_u64 s[18:19], 0
	v_cmp_eq_u32_e32 vcc_lo, 0, v61
	s_cselect_b32 s18, -1, 0
	s_cmp_lg_u32 s28, 0
	s_cbranch_scc0 .LBB58_77
; %bb.57:
	v_add3_u32 v3, v80, v63, v64
	v_cndmask_b32_e64 v2, 0, v53, s11
	v_and_b32_e32 v5, 15, v77
	s_delay_alu instid0(VALU_DEP_3) | instskip(NEXT) | instid1(VALU_DEP_3)
	v_add3_u32 v3, v3, v62, v60
	v_add_nc_u32_e32 v2, v2, v55
	s_delay_alu instid0(VALU_DEP_2) | instskip(NEXT) | instid1(VALU_DEP_1)
	v_add3_u32 v3, v3, v58, v57
	v_add3_u32 v3, v3, v21, v56
	s_delay_alu instid0(VALU_DEP_1) | instskip(NEXT) | instid1(VALU_DEP_4)
	v_add3_u32 v3, v3, v59, v61
	v_cndmask_b32_e64 v2, 0, v2, s10
	s_delay_alu instid0(VALU_DEP_2) | instskip(NEXT) | instid1(VALU_DEP_2)
	v_mov_b32_dpp v6, v3 row_shr:1 row_mask:0xf bank_mask:0xf
	v_add_nc_u32_e32 v2, v2, v72
	s_delay_alu instid0(VALU_DEP_1) | instskip(NEXT) | instid1(VALU_DEP_1)
	v_cndmask_b32_e64 v2, 0, v2, s9
	v_add_nc_u32_e32 v2, v2, v74
	s_delay_alu instid0(VALU_DEP_1) | instskip(NEXT) | instid1(VALU_DEP_1)
	v_cndmask_b32_e64 v2, 0, v2, s8
	;; [unrolled: 3-line block ×10, first 2 shown]
	v_add_nc_u32_e32 v2, v2, v50
	s_delay_alu instid0(VALU_DEP_1) | instskip(SKIP_1) | instid1(VALU_DEP_2)
	v_cndmask_b32_e32 v2, 0, v2, vcc_lo
	v_cmp_eq_u32_e32 vcc_lo, 0, v3
	v_add_nc_u32_e32 v2, v2, v76
	s_delay_alu instid0(VALU_DEP_1) | instskip(NEXT) | instid1(VALU_DEP_1)
	v_mov_b32_dpp v4, v2 row_shr:1 row_mask:0xf bank_mask:0xf
	v_cndmask_b32_e32 v4, 0, v4, vcc_lo
	v_cmp_eq_u32_e32 vcc_lo, 0, v5
	v_cndmask_b32_e64 v6, v6, 0, vcc_lo
	s_delay_alu instid0(VALU_DEP_3) | instskip(SKIP_1) | instid1(VALU_DEP_2)
	v_cndmask_b32_e64 v4, v4, 0, vcc_lo
	v_cmp_lt_u32_e32 vcc_lo, 1, v5
	v_dual_add_nc_u32 v3, v6, v3 :: v_dual_add_nc_u32 v2, v4, v2
	s_delay_alu instid0(VALU_DEP_1) | instskip(SKIP_1) | instid1(VALU_DEP_3)
	v_mov_b32_dpp v4, v3 row_shr:2 row_mask:0xf bank_mask:0xf
	v_cmp_eq_u32_e64 s12, 0, v3
	v_mov_b32_dpp v6, v2 row_shr:2 row_mask:0xf bank_mask:0xf
	s_delay_alu instid0(VALU_DEP_3) | instskip(SKIP_1) | instid1(VALU_DEP_2)
	v_cndmask_b32_e32 v4, 0, v4, vcc_lo
	s_and_b32 vcc_lo, vcc_lo, s12
	v_cndmask_b32_e32 v6, 0, v6, vcc_lo
	v_cmp_lt_u32_e32 vcc_lo, 3, v5
	s_delay_alu instid0(VALU_DEP_2) | instskip(NEXT) | instid1(VALU_DEP_1)
	v_dual_add_nc_u32 v3, v3, v4 :: v_dual_add_nc_u32 v2, v6, v2
	v_mov_b32_dpp v4, v3 row_shr:4 row_mask:0xf bank_mask:0xf
	v_cmp_eq_u32_e64 s12, 0, v3
	s_delay_alu instid0(VALU_DEP_3) | instskip(NEXT) | instid1(VALU_DEP_3)
	v_mov_b32_dpp v6, v2 row_shr:4 row_mask:0xf bank_mask:0xf
	v_cndmask_b32_e32 v4, 0, v4, vcc_lo
	s_and_b32 vcc_lo, vcc_lo, s12
	s_delay_alu instid0(VALU_DEP_2) | instskip(SKIP_1) | instid1(VALU_DEP_2)
	v_cndmask_b32_e32 v6, 0, v6, vcc_lo
	v_cmp_lt_u32_e32 vcc_lo, 7, v5
	v_dual_add_nc_u32 v3, v4, v3 :: v_dual_add_nc_u32 v2, v2, v6
	v_bfe_i32 v6, v77, 4, 1
	s_delay_alu instid0(VALU_DEP_2) | instskip(SKIP_1) | instid1(VALU_DEP_4)
	v_mov_b32_dpp v4, v3 row_shr:8 row_mask:0xf bank_mask:0xf
	v_cmp_eq_u32_e64 s12, 0, v3
	v_mov_b32_dpp v5, v2 row_shr:8 row_mask:0xf bank_mask:0xf
	s_delay_alu instid0(VALU_DEP_3) | instskip(SKIP_2) | instid1(VALU_DEP_2)
	v_cndmask_b32_e32 v4, 0, v4, vcc_lo
	s_and_b32 vcc_lo, vcc_lo, s12
	s_mov_b32 s12, exec_lo
	v_cndmask_b32_e32 v5, 0, v5, vcc_lo
	s_delay_alu instid0(VALU_DEP_1)
	v_dual_add_nc_u32 v5, v5, v2 :: v_dual_add_nc_u32 v2, v4, v3
	ds_swizzle_b32 v3, v5 offset:swizzle(BROADCAST,32,15)
	ds_swizzle_b32 v4, v2 offset:swizzle(BROADCAST,32,15)
	v_cmp_eq_u32_e32 vcc_lo, 0, v2
	s_wait_dscnt 0x0
	v_dual_cndmask_b32 v3, 0, v3, vcc_lo :: v_dual_bitop2_b32 v4, v6, v4 bitop3:0x40
	s_delay_alu instid0(VALU_DEP_1) | instskip(NEXT) | instid1(VALU_DEP_1)
	v_dual_add_nc_u32 v2, v4, v2 :: v_dual_bitop2_b32 v3, v6, v3 bitop3:0x40
	v_dual_lshlrev_b32 v4, 3, v78 :: v_dual_add_nc_u32 v3, v3, v5
	v_cmpx_eq_u32_e64 v0, v79
; %bb.58:
	ds_store_b64 v4, v[2:3] offset:528
; %bb.59:
	s_or_b32 exec_lo, exec_lo, s12
	s_delay_alu instid0(SALU_CYCLE_1)
	s_mov_b32 s13, exec_lo
	s_wait_dscnt 0x0
	s_barrier_signal -1
	s_barrier_wait -1
	v_cmpx_gt_u32_e32 8, v0
	s_cbranch_execz .LBB58_61
; %bb.60:
	v_dual_lshlrev_b32 v5, 3, v0 :: v_dual_bitop2_b32 v9, 7, v77 bitop3:0x40
	ds_load_b64 v[6:7], v5 offset:528
	s_wait_dscnt 0x0
	v_mov_b32_dpp v8, v7 row_shr:1 row_mask:0xf bank_mask:0xf
	v_cmp_eq_u32_e32 vcc_lo, 0, v6
	v_mov_b32_dpp v14, v6 row_shr:1 row_mask:0xf bank_mask:0xf
	s_delay_alu instid0(VALU_DEP_3) | instskip(SKIP_1) | instid1(VALU_DEP_3)
	v_cndmask_b32_e32 v8, 0, v8, vcc_lo
	v_cmp_eq_u32_e32 vcc_lo, 0, v9
	v_cndmask_b32_e64 v14, v14, 0, vcc_lo
	s_delay_alu instid0(VALU_DEP_1) | instskip(NEXT) | instid1(VALU_DEP_4)
	v_add_nc_u32_e32 v6, v14, v6
	v_cndmask_b32_e64 v8, v8, 0, vcc_lo
	v_cmp_lt_u32_e32 vcc_lo, 1, v9
	s_delay_alu instid0(VALU_DEP_3) | instskip(NEXT) | instid1(VALU_DEP_3)
	v_cmp_eq_u32_e64 s12, 0, v6
	v_add_nc_u32_e32 v7, v8, v7
	v_mov_b32_dpp v8, v6 row_shr:2 row_mask:0xf bank_mask:0xf
	s_delay_alu instid0(VALU_DEP_1) | instskip(NEXT) | instid1(VALU_DEP_3)
	v_cndmask_b32_e32 v8, 0, v8, vcc_lo
	v_mov_b32_dpp v14, v7 row_shr:2 row_mask:0xf bank_mask:0xf
	s_and_b32 vcc_lo, vcc_lo, s12
	s_delay_alu instid0(VALU_DEP_2) | instskip(NEXT) | instid1(VALU_DEP_1)
	v_add_nc_u32_e32 v6, v8, v6
	v_mov_b32_dpp v8, v6 row_shr:4 row_mask:0xf bank_mask:0xf
	s_delay_alu instid0(VALU_DEP_3) | instskip(SKIP_1) | instid1(VALU_DEP_2)
	v_cndmask_b32_e32 v14, 0, v14, vcc_lo
	v_cmp_lt_u32_e32 vcc_lo, 3, v9
	v_dual_cndmask_b32 v8, 0, v8 :: v_dual_add_nc_u32 v7, v14, v7
	v_cmp_eq_u32_e64 s12, 0, v6
	s_delay_alu instid0(VALU_DEP_2) | instskip(NEXT) | instid1(VALU_DEP_3)
	v_add_nc_u32_e32 v6, v8, v6
	v_mov_b32_dpp v9, v7 row_shr:4 row_mask:0xf bank_mask:0xf
	s_and_b32 vcc_lo, vcc_lo, s12
	s_delay_alu instid0(VALU_DEP_1) | instskip(NEXT) | instid1(VALU_DEP_1)
	v_cndmask_b32_e32 v9, 0, v9, vcc_lo
	v_add_nc_u32_e32 v7, v9, v7
	ds_store_b64 v5, v[6:7] offset:528
.LBB58_61:
	s_or_b32 exec_lo, exec_lo, s13
	v_dual_mov_b32 v14, 0 :: v_dual_mov_b32 v15, 0
	s_mov_b32 s13, exec_lo
	v_cmp_gt_u32_e32 vcc_lo, 32, v0
	s_wait_dscnt 0x0
	s_barrier_signal -1
	s_barrier_wait -1
	v_cmpx_lt_u32_e32 31, v0
	s_cbranch_execz .LBB58_63
; %bb.62:
	ds_load_b64 v[14:15], v4 offset:520
	v_cmp_eq_u32_e64 s12, 0, v2
	s_wait_dscnt 0x0
	s_delay_alu instid0(VALU_DEP_1) | instskip(NEXT) | instid1(VALU_DEP_1)
	v_dual_cndmask_b32 v4, 0, v15, s12 :: v_dual_add_nc_u32 v2, v14, v2
	v_add_nc_u32_e32 v3, v4, v3
.LBB58_63:
	s_or_b32 exec_lo, exec_lo, s13
	v_sub_co_u32 v4, s12, v77, 1
	s_delay_alu instid0(VALU_DEP_1) | instskip(NEXT) | instid1(VALU_DEP_1)
	v_cmp_gt_i32_e64 s13, 0, v4
	v_cndmask_b32_e64 v4, v4, v77, s13
	s_delay_alu instid0(VALU_DEP_1)
	v_lshlrev_b32_e32 v4, 2, v4
	ds_bpermute_b32 v20, v4, v2
	ds_bpermute_b32 v22, v4, v3
	s_and_saveexec_b32 s19, vcc_lo
	s_cbranch_execz .LBB58_82
; %bb.64:
	v_mov_b32_e32 v5, 0
	ds_load_b64 v[2:3], v5 offset:584
	s_and_saveexec_b32 s13, s12
	s_cbranch_execz .LBB58_66
; %bb.65:
	s_add_co_i32 s34, s28, 32
	s_mov_b32 s35, 0
	v_mov_b32_e32 v4, 1
	s_lshl_b64 s[34:35], s[34:35], 4
	s_delay_alu instid0(SALU_CYCLE_1) | instskip(NEXT) | instid1(SALU_CYCLE_1)
	s_add_nc_u64 s[34:35], s[16:17], s[34:35]
	v_mov_b64_e32 v[6:7], s[34:35]
	s_wait_dscnt 0x0
	;;#ASMSTART
	global_store_b128 v[6:7], v[2:5] off scope:SCOPE_DEV	
s_wait_storecnt 0x0
	;;#ASMEND
.LBB58_66:
	s_or_b32 exec_lo, exec_lo, s13
	v_xad_u32 v16, v77, -1, s28
	s_mov_b32 s14, 0
	s_mov_b32 s13, exec_lo
	s_delay_alu instid0(VALU_DEP_1) | instskip(NEXT) | instid1(VALU_DEP_1)
	v_add_nc_u32_e32 v4, 32, v16
	v_lshl_add_u64 v[4:5], v[4:5], 4, s[16:17]
	;;#ASMSTART
	global_load_b128 v[6:9], v[4:5] off scope:SCOPE_DEV	
s_wait_loadcnt 0x0
	;;#ASMEND
	v_and_b32_e32 v9, 0xff, v8
	s_delay_alu instid0(VALU_DEP_1)
	v_cmpx_eq_u16_e32 0, v9
	s_cbranch_execz .LBB58_69
.LBB58_67:                              ; =>This Inner Loop Header: Depth=1
	;;#ASMSTART
	global_load_b128 v[6:9], v[4:5] off scope:SCOPE_DEV	
s_wait_loadcnt 0x0
	;;#ASMEND
	v_and_b32_e32 v9, 0xff, v8
	s_delay_alu instid0(VALU_DEP_1) | instskip(SKIP_1) | instid1(SALU_CYCLE_1)
	v_cmp_ne_u16_e32 vcc_lo, 0, v9
	s_or_b32 s14, vcc_lo, s14
	s_and_not1_b32 exec_lo, exec_lo, s14
	s_cbranch_execnz .LBB58_67
; %bb.68:
	s_or_b32 exec_lo, exec_lo, s14
.LBB58_69:
	s_delay_alu instid0(SALU_CYCLE_1)
	s_or_b32 exec_lo, exec_lo, s13
	v_cmp_ne_u32_e32 vcc_lo, 31, v77
	v_lshlrev_b32_e64 v24, v77, -1
	v_cmp_gt_u32_e64 s14, 30, v77
	v_lshl_or_b32 v31, v77, 2, 64
	v_add_nc_u32_e32 v26, 2, v77
	v_add_co_ci_u32_e64 v4, null, 0, v77, vcc_lo
	s_delay_alu instid0(VALU_DEP_4) | instskip(SKIP_1) | instid1(VALU_DEP_3)
	v_cndmask_b32_e64 v17, 0, 2, s14
	v_dual_add_nc_u32 v28, 4, v77 :: v_dual_add_nc_u32 v30, 8, v77
	v_lshlrev_b32_e32 v23, 2, v4
	v_and_b32_e32 v4, 0xff, v8
	s_delay_alu instid0(VALU_DEP_4)
	v_add_lshl_u32 v25, v17, v77, 2
	v_add_nc_u32_e32 v32, 16, v77
	ds_bpermute_b32 v5, v23, v6
	v_cmp_eq_u16_e32 vcc_lo, 2, v4
	v_and_or_b32 v9, vcc_lo, v24, 0x80000000
	v_cmp_eq_u32_e32 vcc_lo, 0, v6
	s_delay_alu instid0(VALU_DEP_2) | instskip(NEXT) | instid1(VALU_DEP_1)
	v_ctz_i32_b32_e32 v9, v9
	v_cmp_lt_u32_e64 s13, v77, v9
	s_wait_dscnt 0x0
	s_delay_alu instid0(VALU_DEP_1) | instskip(SKIP_4) | instid1(VALU_DEP_1)
	v_cndmask_b32_e64 v5, 0, v5, s13
	ds_bpermute_b32 v4, v23, v7
	s_and_b32 vcc_lo, s13, vcc_lo
	s_wait_dscnt 0x0
	v_dual_cndmask_b32 v4, 0, v4 :: v_dual_add_nc_u32 v5, v5, v6
	v_cmp_eq_u32_e32 vcc_lo, 0, v5
	s_delay_alu instid0(VALU_DEP_2)
	v_add_nc_u32_e32 v4, v4, v7
	ds_bpermute_b32 v7, v25, v4
	s_wait_dscnt 0x0
	v_cndmask_b32_e32 v6, 0, v7, vcc_lo
	ds_bpermute_b32 v7, v25, v5
	v_cmp_gt_u32_e32 vcc_lo, 28, v77
	v_cndmask_b32_e64 v17, 0, 4, vcc_lo
	v_cmp_gt_u32_e32 vcc_lo, v26, v9
	s_delay_alu instid0(VALU_DEP_2) | instskip(SKIP_2) | instid1(VALU_DEP_1)
	v_add_lshl_u32 v27, v17, v77, 2
	s_wait_dscnt 0x0
	v_cndmask_b32_e64 v7, v7, 0, vcc_lo
	v_add_nc_u32_e32 v5, v5, v7
	v_cndmask_b32_e64 v6, v6, 0, vcc_lo
	ds_bpermute_b32 v7, v27, v5
	v_add_nc_u32_e32 v4, v6, v4
	v_cmp_eq_u32_e32 vcc_lo, 0, v5
	ds_bpermute_b32 v6, v27, v4
	s_wait_dscnt 0x0
	v_cndmask_b32_e32 v6, 0, v6, vcc_lo
	v_cmp_gt_u32_e32 vcc_lo, 24, v77
	v_cndmask_b32_e64 v17, 0, 8, vcc_lo
	v_cmp_gt_u32_e32 vcc_lo, v28, v9
	s_delay_alu instid0(VALU_DEP_2) | instskip(SKIP_1) | instid1(VALU_DEP_1)
	v_add_lshl_u32 v29, v17, v77, 2
	v_cndmask_b32_e64 v7, v7, 0, vcc_lo
	v_dual_mov_b32 v17, 0 :: v_dual_add_nc_u32 v5, v5, v7
	v_cndmask_b32_e64 v6, v6, 0, vcc_lo
	ds_bpermute_b32 v7, v29, v5
	v_add_nc_u32_e32 v4, v4, v6
	v_cmp_eq_u32_e32 vcc_lo, 0, v5
	ds_bpermute_b32 v6, v29, v4
	s_wait_dscnt 0x0
	v_cndmask_b32_e32 v6, 0, v6, vcc_lo
	v_cmp_gt_u32_e32 vcc_lo, v30, v9
	s_delay_alu instid0(VALU_DEP_2) | instskip(NEXT) | instid1(VALU_DEP_1)
	v_cndmask_b32_e64 v6, v6, 0, vcc_lo
	v_add_nc_u32_e32 v4, v4, v6
	v_cndmask_b32_e64 v6, v7, 0, vcc_lo
	s_delay_alu instid0(VALU_DEP_1)
	v_add_nc_u32_e32 v5, v5, v6
	ds_bpermute_b32 v7, v31, v4
	ds_bpermute_b32 v6, v31, v5
	v_cmp_eq_u32_e32 vcc_lo, 0, v5
	s_wait_dscnt 0x1
	v_cndmask_b32_e32 v7, 0, v7, vcc_lo
	v_cmp_gt_u32_e32 vcc_lo, v32, v9
	s_wait_dscnt 0x0
	v_cndmask_b32_e64 v6, v6, 0, vcc_lo
	s_delay_alu instid0(VALU_DEP_1) | instskip(SKIP_1) | instid1(VALU_DEP_1)
	v_add_nc_u32_e32 v6, v6, v5
	v_cndmask_b32_e64 v7, v7, 0, vcc_lo
	v_add_nc_u32_e32 v7, v7, v4
	s_branch .LBB58_73
.LBB58_70:                              ;   in Loop: Header=BB58_73 Depth=1
	s_or_b32 exec_lo, exec_lo, s14
.LBB58_71:                              ;   in Loop: Header=BB58_73 Depth=1
	s_delay_alu instid0(SALU_CYCLE_1)
	s_or_b32 exec_lo, exec_lo, s13
	v_and_b32_e32 v9, 0xff, v8
	ds_bpermute_b32 v18, v23, v6
	v_subrev_nc_u32_e32 v16, 32, v16
	v_cmp_eq_u16_e32 vcc_lo, 2, v9
	ds_bpermute_b32 v9, v23, v7
	v_and_or_b32 v19, vcc_lo, v24, 0x80000000
	v_cmp_eq_u32_e32 vcc_lo, 0, v6
	s_delay_alu instid0(VALU_DEP_2) | instskip(NEXT) | instid1(VALU_DEP_1)
	v_ctz_i32_b32_e32 v19, v19
	v_cmp_lt_u32_e64 s13, v77, v19
	s_and_b32 vcc_lo, s13, vcc_lo
	s_wait_dscnt 0x0
	v_dual_cndmask_b32 v18, 0, v18, s13 :: v_dual_cndmask_b32 v9, 0, v9, vcc_lo
	s_mov_b32 s13, 0
	s_delay_alu instid0(VALU_DEP_1)
	v_dual_add_nc_u32 v6, v18, v6 :: v_dual_add_nc_u32 v7, v9, v7
	ds_bpermute_b32 v18, v25, v6
	ds_bpermute_b32 v9, v25, v7
	v_cmp_eq_u32_e32 vcc_lo, 0, v6
	s_wait_dscnt 0x0
	v_cndmask_b32_e32 v9, 0, v9, vcc_lo
	v_cmp_gt_u32_e32 vcc_lo, v26, v19
	v_cndmask_b32_e64 v18, v18, 0, vcc_lo
	s_delay_alu instid0(VALU_DEP_1) | instskip(NEXT) | instid1(VALU_DEP_4)
	v_add_nc_u32_e32 v6, v6, v18
	v_cndmask_b32_e64 v9, v9, 0, vcc_lo
	s_delay_alu instid0(VALU_DEP_2) | instskip(NEXT) | instid1(VALU_DEP_2)
	v_cmp_eq_u32_e32 vcc_lo, 0, v6
	v_add_nc_u32_e32 v7, v9, v7
	ds_bpermute_b32 v18, v27, v6
	ds_bpermute_b32 v9, v27, v7
	s_wait_dscnt 0x0
	v_cndmask_b32_e32 v9, 0, v9, vcc_lo
	v_cmp_gt_u32_e32 vcc_lo, v28, v19
	s_delay_alu instid0(VALU_DEP_2) | instskip(SKIP_1) | instid1(VALU_DEP_1)
	v_cndmask_b32_e64 v9, v9, 0, vcc_lo
	v_cndmask_b32_e64 v18, v18, 0, vcc_lo
	v_dual_add_nc_u32 v7, v7, v9 :: v_dual_add_nc_u32 v6, v6, v18
	ds_bpermute_b32 v9, v29, v7
	ds_bpermute_b32 v18, v29, v6
	v_cmp_eq_u32_e32 vcc_lo, 0, v6
	s_wait_dscnt 0x1
	v_cndmask_b32_e32 v9, 0, v9, vcc_lo
	v_cmp_gt_u32_e32 vcc_lo, v30, v19
	s_wait_dscnt 0x0
	v_cndmask_b32_e64 v18, v18, 0, vcc_lo
	s_delay_alu instid0(VALU_DEP_1) | instskip(SKIP_1) | instid1(VALU_DEP_2)
	v_add_nc_u32_e32 v6, v6, v18
	v_cndmask_b32_e64 v9, v9, 0, vcc_lo
	v_cmp_eq_u32_e32 vcc_lo, 0, v6
	s_delay_alu instid0(VALU_DEP_2)
	v_add_nc_u32_e32 v7, v7, v9
	ds_bpermute_b32 v18, v31, v6
	ds_bpermute_b32 v9, v31, v7
	s_wait_dscnt 0x0
	v_cndmask_b32_e32 v9, 0, v9, vcc_lo
	v_cmp_gt_u32_e32 vcc_lo, v32, v19
	s_delay_alu instid0(VALU_DEP_2) | instskip(NEXT) | instid1(VALU_DEP_1)
	v_cndmask_b32_e64 v9, v9, 0, vcc_lo
	v_add_nc_u32_e32 v7, v9, v7
	v_cndmask_b32_e64 v9, v18, 0, vcc_lo
	v_cmp_eq_u32_e32 vcc_lo, 0, v4
	s_delay_alu instid0(VALU_DEP_2) | instskip(NEXT) | instid1(VALU_DEP_4)
	v_add3_u32 v6, v6, v4, v9
	v_cndmask_b32_e32 v7, 0, v7, vcc_lo
	s_delay_alu instid0(VALU_DEP_1)
	v_add_nc_u32_e32 v7, v7, v5
.LBB58_72:                              ;   in Loop: Header=BB58_73 Depth=1
	s_and_b32 vcc_lo, exec_lo, s13
	s_cbranch_vccnz .LBB58_78
.LBB58_73:                              ; =>This Loop Header: Depth=1
                                        ;     Child Loop BB58_76 Depth 2
	v_and_b32_e32 v4, 0xff, v8
	s_delay_alu instid0(VALU_DEP_2) | instskip(SKIP_1) | instid1(VALU_DEP_2)
	v_mov_b32_e32 v5, v7
	s_mov_b32 s13, -1
                                        ; implicit-def: $vgpr7
                                        ; implicit-def: $vgpr8
	v_cmp_ne_u16_e32 vcc_lo, 2, v4
	v_mov_b32_e32 v4, v6
                                        ; implicit-def: $vgpr6
	s_cmp_lg_u32 vcc_lo, exec_lo
	s_cbranch_scc1 .LBB58_72
; %bb.74:                               ;   in Loop: Header=BB58_73 Depth=1
	v_lshl_add_u64 v[18:19], v[16:17], 4, s[16:17]
	;;#ASMSTART
	global_load_b128 v[6:9], v[18:19] off scope:SCOPE_DEV	
s_wait_loadcnt 0x0
	;;#ASMEND
	v_and_b32_e32 v9, 0xff, v8
	s_mov_b32 s13, exec_lo
	s_delay_alu instid0(VALU_DEP_1)
	v_cmpx_eq_u16_e32 0, v9
	s_cbranch_execz .LBB58_71
; %bb.75:                               ;   in Loop: Header=BB58_73 Depth=1
	s_mov_b32 s14, 0
.LBB58_76:                              ;   Parent Loop BB58_73 Depth=1
                                        ; =>  This Inner Loop Header: Depth=2
	;;#ASMSTART
	global_load_b128 v[6:9], v[18:19] off scope:SCOPE_DEV	
s_wait_loadcnt 0x0
	;;#ASMEND
	v_and_b32_e32 v9, 0xff, v8
	s_delay_alu instid0(VALU_DEP_1) | instskip(SKIP_1) | instid1(SALU_CYCLE_1)
	v_cmp_ne_u16_e32 vcc_lo, 0, v9
	s_or_b32 s14, vcc_lo, s14
	s_and_not1_b32 exec_lo, exec_lo, s14
	s_cbranch_execnz .LBB58_76
	s_branch .LBB58_70
.LBB58_77:
                                        ; implicit-def: $vgpr16
                                        ; implicit-def: $vgpr20
                                        ; implicit-def: $vgpr22_vgpr23
                                        ; implicit-def: $vgpr28_vgpr29
                                        ; implicit-def: $vgpr36_vgpr37
                                        ; implicit-def: $vgpr30_vgpr31
                                        ; implicit-def: $vgpr44_vgpr45
                                        ; implicit-def: $vgpr48_vgpr49
                                        ; implicit-def: $vgpr46_vgpr47
                                        ; implicit-def: $vgpr42_vgpr43
                                        ; implicit-def: $vgpr38_vgpr39
                                        ; implicit-def: $vgpr32_vgpr33
                                        ; implicit-def: $vgpr34_vgpr35
                                        ; implicit-def: $vgpr40_vgpr41
                                        ; implicit-def: $vgpr24_vgpr25
                                        ; implicit-def: $vgpr26_vgpr27
	s_cbranch_execnz .LBB58_83
	s_branch .LBB58_94
.LBB58_78:
	s_and_saveexec_b32 s13, s12
	s_cbranch_execz .LBB58_80
; %bb.79:
	v_cmp_eq_u32_e32 vcc_lo, 0, v2
	s_mov_b32 s35, 0
	s_add_co_i32 s34, s28, 32
	v_mov_b32_e32 v9, 0
	s_lshl_b64 s[34:35], s[34:35], 4
	v_dual_cndmask_b32 v7, 0, v5 :: v_dual_add_nc_u32 v6, v4, v2
	s_add_nc_u64 s[34:35], s[16:17], s[34:35]
	v_mov_b32_e32 v8, 2
	v_mov_b64_e32 v[16:17], s[34:35]
	s_delay_alu instid0(VALU_DEP_3)
	v_add_nc_u32_e32 v7, v7, v3
	;;#ASMSTART
	global_store_b128 v[16:17], v[6:9] off scope:SCOPE_DEV	
s_wait_storecnt 0x0
	;;#ASMEND
	ds_store_b128 v9, v[2:5] offset:512
.LBB58_80:
	s_or_b32 exec_lo, exec_lo, s13
	v_cmp_eq_u32_e32 vcc_lo, 0, v0
	s_and_b32 exec_lo, exec_lo, vcc_lo
; %bb.81:
	v_mov_b32_e32 v2, 0
	ds_store_b64 v2, v[4:5] offset:584
.LBB58_82:
	s_or_b32 exec_lo, exec_lo, s19
	s_wait_dscnt 0x1
	v_dual_mov_b32 v4, 0 :: v_dual_cndmask_b32 v5, v20, v14, s12
	s_wait_dscnt 0x0
	s_barrier_signal -1
	s_barrier_wait -1
	ds_load_b64 v[2:3], v4 offset:584
	v_cmp_eq_u32_e32 vcc_lo, 0, v5
	v_cndmask_b32_e64 v6, v22, v15, s12
	v_cmp_eq_u32_e64 s12, 0, v68
	s_wait_dscnt 0x0
	s_barrier_signal -1
	s_barrier_wait -1
	ds_load_b128 v[16:19], v4 offset:512
	v_cndmask_b32_e32 v7, 0, v3, vcc_lo
	v_cmp_eq_u32_e32 vcc_lo, 0, v0
	s_delay_alu instid0(VALU_DEP_2) | instskip(SKIP_1) | instid1(VALU_DEP_2)
	v_add_nc_u32_e32 v6, v7, v6
	v_cndmask_b32_e64 v5, v5, 0, vcc_lo
	v_cndmask_b32_e32 v45, v6, v3, vcc_lo
	s_wait_dscnt 0x0
	v_cmp_eq_u32_e32 vcc_lo, 0, v16
	s_delay_alu instid0(VALU_DEP_3) | instskip(NEXT) | instid1(VALU_DEP_1)
	v_add_nc_u32_e32 v44, v2, v5
	v_dual_cndmask_b32 v3, 0, v45, s12 :: v_dual_add_nc_u32 v48, v44, v68
	s_delay_alu instid0(VALU_DEP_1) | instskip(NEXT) | instid1(VALU_DEP_1)
	v_dual_add_nc_u32 v49, v3, v53 :: v_dual_add_nc_u32 v46, v48, v67
	v_cndmask_b32_e64 v3, 0, v49, s11
	s_delay_alu instid0(VALU_DEP_1) | instskip(NEXT) | instid1(VALU_DEP_1)
	v_add_nc_u32_e32 v47, v3, v55
	v_cndmask_b32_e64 v3, 0, v47, s10
	s_delay_alu instid0(VALU_DEP_1) | instskip(NEXT) | instid1(VALU_DEP_1)
	v_add_nc_u32_e32 v43, v3, v72
	v_cndmask_b32_e64 v3, 0, v43, s9
	s_delay_alu instid0(VALU_DEP_1) | instskip(NEXT) | instid1(VALU_DEP_1)
	v_add_nc_u32_e32 v39, v3, v74
	v_cndmask_b32_e64 v3, 0, v39, s8
	s_delay_alu instid0(VALU_DEP_1) | instskip(NEXT) | instid1(VALU_DEP_1)
	v_add_nc_u32_e32 v33, v3, v70
	v_cndmask_b32_e64 v3, 0, v33, s7
	s_delay_alu instid0(VALU_DEP_1) | instskip(SKIP_1) | instid1(VALU_DEP_1)
	v_add_nc_u32_e32 v35, v3, v71
	v_cndmask_b32_e32 v3, 0, v19, vcc_lo
	v_dual_cndmask_b32 v2, 0, v35, s6 :: v_dual_add_nc_u32 v20, v3, v17
	s_delay_alu instid0(VALU_DEP_1) | instskip(NEXT) | instid1(VALU_DEP_1)
	v_add_nc_u32_e32 v41, v2, v75
	v_cndmask_b32_e64 v2, 0, v41, s5
	s_delay_alu instid0(VALU_DEP_1) | instskip(NEXT) | instid1(VALU_DEP_1)
	v_add_nc_u32_e32 v25, v2, v73
	v_dual_add_nc_u32 v42, v46, v66 :: v_dual_cndmask_b32 v2, 0, v25, s4
	s_delay_alu instid0(VALU_DEP_1) | instskip(NEXT) | instid1(VALU_DEP_1)
	v_add_nc_u32_e32 v38, v42, v65
	v_add_nc_u32_e32 v32, v38, v63
	s_delay_alu instid0(VALU_DEP_1) | instskip(NEXT) | instid1(VALU_DEP_1)
	v_dual_add_nc_u32 v27, v2, v69 :: v_dual_add_nc_u32 v34, v32, v64
	v_dual_cndmask_b32 v2, 0, v27, s3 :: v_dual_add_nc_u32 v40, v34, v62
	s_delay_alu instid0(VALU_DEP_1) | instskip(NEXT) | instid1(VALU_DEP_1)
	v_dual_add_nc_u32 v31, v2, v54 :: v_dual_add_nc_u32 v24, v40, v60
	v_dual_cndmask_b32 v2, 0, v31, s2 :: v_dual_add_nc_u32 v26, v24, v58
	s_delay_alu instid0(VALU_DEP_1) | instskip(NEXT) | instid1(VALU_DEP_2)
	v_add_nc_u32_e32 v37, v2, v52
	v_add_nc_u32_e32 v30, v26, v57
	s_delay_alu instid0(VALU_DEP_2) | instskip(NEXT) | instid1(VALU_DEP_2)
	v_cndmask_b32_e64 v2, 0, v37, s1
	v_add_nc_u32_e32 v36, v30, v21
	s_delay_alu instid0(VALU_DEP_1) | instskip(NEXT) | instid1(VALU_DEP_1)
	v_dual_add_nc_u32 v29, v2, v51 :: v_dual_add_nc_u32 v28, v36, v56
	v_cndmask_b32_e64 v2, 0, v29, s0
	s_delay_alu instid0(VALU_DEP_1)
	v_dual_add_nc_u32 v22, v28, v59 :: v_dual_add_nc_u32 v23, v2, v50
	s_branch .LBB58_94
.LBB58_83:
	s_wait_kmcnt 0x0
	s_cmp_eq_u64 s[30:31], 0
	v_mov_b32_e32 v6, v53
	s_cselect_b32 s0, -1, 0
	s_delay_alu instid0(SALU_CYCLE_1) | instskip(NEXT) | instid1(SALU_CYCLE_1)
	s_or_b32 s0, s18, s0
	s_and_b32 vcc_lo, exec_lo, s0
	s_cbranch_vccnz .LBB58_85
; %bb.84:
	v_mov_b32_e32 v2, 0
	global_load_b32 v6, v2, s[30:31]
.LBB58_85:
	v_add3_u32 v3, v80, v63, v64
	v_cmp_eq_u32_e64 s5, 0, v67
	v_cmp_eq_u32_e64 s6, 0, v66
	;; [unrolled: 1-line block ×4, first 2 shown]
	v_add3_u32 v3, v3, v62, v60
	s_wait_xcnt 0x0
	v_cndmask_b32_e64 v2, 0, v53, s5
	v_cmp_eq_u32_e64 s10, 0, v64
	v_cmp_eq_u32_e64 s9, 0, v62
	;; [unrolled: 1-line block ×3, first 2 shown]
	v_add3_u32 v3, v3, v58, v57
	v_dual_add_nc_u32 v2, v2, v55 :: v_dual_bitop2_b32 v5, 15, v77 bitop3:0x40
	v_cmp_eq_u32_e64 s3, 0, v58
	v_cmp_eq_u32_e64 s2, 0, v57
	s_delay_alu instid0(VALU_DEP_4)
	v_add3_u32 v3, v3, v21, v56
	v_cmp_eq_u32_e64 s1, 0, v21
	v_cmp_eq_u32_e32 vcc_lo, 0, v56
	v_cmp_eq_u32_e64 s0, 0, v59
	v_cmp_eq_u32_e64 s11, 0, v61
	v_add3_u32 v3, v3, v59, v61
	v_cndmask_b32_e64 v2, 0, v2, s6
	s_delay_alu instid0(VALU_DEP_2) | instskip(NEXT) | instid1(VALU_DEP_2)
	v_mov_b32_dpp v7, v3 row_shr:1 row_mask:0xf bank_mask:0xf
	v_add_nc_u32_e32 v2, v2, v72
	s_delay_alu instid0(VALU_DEP_1) | instskip(NEXT) | instid1(VALU_DEP_1)
	v_cndmask_b32_e64 v2, 0, v2, s7
	v_add_nc_u32_e32 v2, v2, v74
	s_delay_alu instid0(VALU_DEP_1) | instskip(NEXT) | instid1(VALU_DEP_1)
	v_cndmask_b32_e64 v2, 0, v2, s8
	;; [unrolled: 3-line block ×8, first 2 shown]
	v_add_nc_u32_e32 v2, v2, v52
	s_delay_alu instid0(VALU_DEP_1) | instskip(NEXT) | instid1(VALU_DEP_1)
	v_cndmask_b32_e32 v2, 0, v2, vcc_lo
	v_add_nc_u32_e32 v2, v2, v51
	s_delay_alu instid0(VALU_DEP_1) | instskip(NEXT) | instid1(VALU_DEP_1)
	v_cndmask_b32_e64 v2, 0, v2, s0
	v_add_nc_u32_e32 v2, v2, v50
	s_delay_alu instid0(VALU_DEP_1) | instskip(SKIP_1) | instid1(VALU_DEP_2)
	v_cndmask_b32_e64 v2, 0, v2, s11
	v_cmp_eq_u32_e64 s11, 0, v3
	v_add_nc_u32_e32 v2, v2, v76
	s_delay_alu instid0(VALU_DEP_1) | instskip(NEXT) | instid1(VALU_DEP_1)
	v_mov_b32_dpp v4, v2 row_shr:1 row_mask:0xf bank_mask:0xf
	v_cndmask_b32_e64 v4, 0, v4, s11
	v_cmp_eq_u32_e64 s11, 0, v5
	s_delay_alu instid0(VALU_DEP_1) | instskip(NEXT) | instid1(VALU_DEP_3)
	v_cndmask_b32_e64 v7, v7, 0, s11
	v_cndmask_b32_e64 v4, v4, 0, s11
	v_cmp_lt_u32_e64 s11, 1, v5
	s_delay_alu instid0(VALU_DEP_2) | instskip(NEXT) | instid1(VALU_DEP_1)
	v_dual_add_nc_u32 v3, v7, v3 :: v_dual_add_nc_u32 v2, v4, v2
	v_mov_b32_dpp v4, v3 row_shr:2 row_mask:0xf bank_mask:0xf
	v_cmp_eq_u32_e64 s12, 0, v3
	s_delay_alu instid0(VALU_DEP_3) | instskip(NEXT) | instid1(VALU_DEP_3)
	v_mov_b32_dpp v7, v2 row_shr:2 row_mask:0xf bank_mask:0xf
	v_cndmask_b32_e64 v4, 0, v4, s11
	s_and_b32 s11, s11, s12
	s_delay_alu instid0(VALU_DEP_2) | instid1(SALU_CYCLE_1)
	v_cndmask_b32_e64 v7, 0, v7, s11
	v_cmp_lt_u32_e64 s11, 3, v5
	s_delay_alu instid0(VALU_DEP_3) | instskip(NEXT) | instid1(VALU_DEP_3)
	v_add_nc_u32_e32 v3, v3, v4
	v_add_nc_u32_e32 v2, v7, v2
	s_delay_alu instid0(VALU_DEP_2) | instskip(SKIP_1) | instid1(VALU_DEP_3)
	v_mov_b32_dpp v4, v3 row_shr:4 row_mask:0xf bank_mask:0xf
	v_cmp_eq_u32_e64 s12, 0, v3
	v_mov_b32_dpp v7, v2 row_shr:4 row_mask:0xf bank_mask:0xf
	s_delay_alu instid0(VALU_DEP_3)
	v_cndmask_b32_e64 v4, 0, v4, s11
	s_and_b32 s11, s11, s12
	s_delay_alu instid0(VALU_DEP_2) | instid1(SALU_CYCLE_1)
	v_cndmask_b32_e64 v7, 0, v7, s11
	v_cmp_lt_u32_e64 s11, 7, v5
	s_delay_alu instid0(VALU_DEP_3) | instskip(NEXT) | instid1(VALU_DEP_3)
	v_add_nc_u32_e32 v3, v4, v3
	v_add_nc_u32_e32 v2, v2, v7
	v_bfe_i32 v7, v77, 4, 1
	s_delay_alu instid0(VALU_DEP_3) | instskip(SKIP_1) | instid1(VALU_DEP_4)
	v_mov_b32_dpp v4, v3 row_shr:8 row_mask:0xf bank_mask:0xf
	v_cmp_eq_u32_e64 s12, 0, v3
	v_mov_b32_dpp v5, v2 row_shr:8 row_mask:0xf bank_mask:0xf
	s_delay_alu instid0(VALU_DEP_3) | instskip(SKIP_2) | instid1(VALU_DEP_2)
	v_cndmask_b32_e64 v4, 0, v4, s11
	s_and_b32 s11, s11, s12
	s_mov_b32 s12, exec_lo
	v_cndmask_b32_e64 v5, 0, v5, s11
	s_delay_alu instid0(VALU_DEP_1) | instskip(SKIP_4) | instid1(VALU_DEP_1)
	v_dual_add_nc_u32 v5, v5, v2 :: v_dual_add_nc_u32 v2, v4, v3
	ds_swizzle_b32 v3, v5 offset:swizzle(BROADCAST,32,15)
	ds_swizzle_b32 v4, v2 offset:swizzle(BROADCAST,32,15)
	v_cmp_eq_u32_e64 s11, 0, v2
	s_wait_dscnt 0x0
	v_dual_cndmask_b32 v3, 0, v3, s11 :: v_dual_bitop2_b32 v4, v7, v4 bitop3:0x40
	s_delay_alu instid0(VALU_DEP_1) | instskip(NEXT) | instid1(VALU_DEP_1)
	v_dual_add_nc_u32 v2, v4, v2 :: v_dual_bitop2_b32 v3, v7, v3 bitop3:0x40
	v_dual_add_nc_u32 v3, v3, v5 :: v_dual_lshlrev_b32 v5, 3, v78
	v_cmpx_eq_u32_e64 v0, v79
; %bb.86:
	ds_store_b64 v5, v[2:3] offset:528
; %bb.87:
	s_or_b32 exec_lo, exec_lo, s12
	s_delay_alu instid0(SALU_CYCLE_1)
	s_mov_b32 s13, exec_lo
	s_wait_loadcnt_dscnt 0x0
	s_barrier_signal -1
	s_barrier_wait -1
	v_cmpx_gt_u32_e32 8, v0
	s_cbranch_execz .LBB58_89
; %bb.88:
	v_dual_lshlrev_b32 v4, 3, v0 :: v_dual_bitop2_b32 v14, 7, v77 bitop3:0x40
	ds_load_b64 v[8:9], v4 offset:528
	s_wait_dscnt 0x0
	v_mov_b32_dpp v7, v9 row_shr:1 row_mask:0xf bank_mask:0xf
	v_cmp_eq_u32_e64 s11, 0, v8
	v_mov_b32_dpp v15, v8 row_shr:1 row_mask:0xf bank_mask:0xf
	s_delay_alu instid0(VALU_DEP_2) | instskip(SKIP_1) | instid1(VALU_DEP_1)
	v_cndmask_b32_e64 v7, 0, v7, s11
	v_cmp_eq_u32_e64 s11, 0, v14
	v_cndmask_b32_e64 v15, v15, 0, s11
	s_delay_alu instid0(VALU_DEP_1) | instskip(NEXT) | instid1(VALU_DEP_4)
	v_add_nc_u32_e32 v8, v15, v8
	v_cndmask_b32_e64 v7, v7, 0, s11
	v_cmp_lt_u32_e64 s11, 1, v14
	s_delay_alu instid0(VALU_DEP_3) | instskip(NEXT) | instid1(VALU_DEP_3)
	v_cmp_eq_u32_e64 s12, 0, v8
	v_add_nc_u32_e32 v7, v7, v9
	v_mov_b32_dpp v9, v8 row_shr:2 row_mask:0xf bank_mask:0xf
	s_delay_alu instid0(VALU_DEP_1) | instskip(NEXT) | instid1(VALU_DEP_3)
	v_cndmask_b32_e64 v9, 0, v9, s11
	v_mov_b32_dpp v15, v7 row_shr:2 row_mask:0xf bank_mask:0xf
	s_and_b32 s11, s11, s12
	s_delay_alu instid0(VALU_DEP_1) | instid1(SALU_CYCLE_1)
	v_dual_add_nc_u32 v8, v9, v8 :: v_dual_cndmask_b32 v15, 0, v15, s11
	v_cmp_lt_u32_e64 s11, 3, v14
	s_delay_alu instid0(VALU_DEP_2) | instskip(NEXT) | instid1(VALU_DEP_3)
	v_mov_b32_dpp v9, v8 row_shr:4 row_mask:0xf bank_mask:0xf
	v_add_nc_u32_e32 v7, v15, v7
	v_cmp_eq_u32_e64 s12, 0, v8
	s_delay_alu instid0(VALU_DEP_3) | instskip(NEXT) | instid1(VALU_DEP_3)
	v_cndmask_b32_e64 v9, 0, v9, s11
	v_mov_b32_dpp v14, v7 row_shr:4 row_mask:0xf bank_mask:0xf
	s_and_b32 s11, s11, s12
	s_delay_alu instid0(VALU_DEP_1) | instid1(SALU_CYCLE_1)
	v_dual_add_nc_u32 v8, v9, v8 :: v_dual_cndmask_b32 v14, 0, v14, s11
	s_delay_alu instid0(VALU_DEP_1)
	v_add_nc_u32_e32 v9, v14, v7
	ds_store_b64 v4, v[8:9] offset:528
.LBB58_89:
	s_or_b32 exec_lo, exec_lo, s13
	v_dual_mov_b32 v7, 0 :: v_dual_mov_b32 v4, 0
	v_mov_b32_e32 v8, v6
	s_mov_b32 s12, exec_lo
	s_wait_dscnt 0x0
	s_barrier_signal -1
	s_barrier_wait -1
	v_cmpx_lt_u32_e32 31, v0
	s_cbranch_execz .LBB58_91
; %bb.90:
	ds_load_b64 v[4:5], v5 offset:520
	s_wait_dscnt 0x0
	v_cmp_eq_u32_e64 s11, 0, v4
	s_delay_alu instid0(VALU_DEP_1) | instskip(NEXT) | instid1(VALU_DEP_1)
	v_cndmask_b32_e64 v8, 0, v6, s11
	v_add_nc_u32_e32 v8, v8, v5
.LBB58_91:
	s_or_b32 exec_lo, exec_lo, s12
	v_sub_co_u32 v5, s11, v77, 1
	ds_load_b64 v[16:17], v7 offset:584
	v_cmp_gt_i32_e64 s12, 0, v5
	s_delay_alu instid0(VALU_DEP_1) | instskip(SKIP_1) | instid1(VALU_DEP_1)
	v_cndmask_b32_e64 v5, v5, v77, s12
	v_cmp_eq_u32_e64 s12, 0, v2
	v_dual_cndmask_b32 v9, 0, v8, s12 :: v_dual_add_nc_u32 v2, v4, v2
	s_delay_alu instid0(VALU_DEP_3)
	v_lshlrev_b32_e32 v5, 2, v5
	v_cmp_eq_u32_e64 s12, 0, v68
	ds_bpermute_b32 v2, v5, v2
	s_wait_dscnt 0x0
	v_dual_add_nc_u32 v3, v9, v3 :: v_dual_cndmask_b32 v2, v2, v4, s11
	ds_bpermute_b32 v3, v5, v3
	s_wait_dscnt 0x0
	v_cndmask_b32_e64 v3, v3, v8, s11
	v_cmp_eq_u32_e64 s11, 0, v0
	s_delay_alu instid0(VALU_DEP_1) | instskip(SKIP_1) | instid1(VALU_DEP_1)
	v_cndmask_b32_e64 v45, v3, v6, s11
	v_cndmask_b32_e64 v44, v2, 0, s11
	v_dual_cndmask_b32 v3, 0, v45, s12 :: v_dual_add_nc_u32 v48, v44, v68
	s_delay_alu instid0(VALU_DEP_1) | instskip(NEXT) | instid1(VALU_DEP_1)
	v_dual_add_nc_u32 v49, v3, v53 :: v_dual_add_nc_u32 v46, v48, v67
	v_dual_cndmask_b32 v3, 0, v49, s5 :: v_dual_add_nc_u32 v42, v46, v66
	s_delay_alu instid0(VALU_DEP_1) | instskip(NEXT) | instid1(VALU_DEP_1)
	v_dual_add_nc_u32 v47, v3, v55 :: v_dual_add_nc_u32 v38, v42, v65
	v_cndmask_b32_e64 v3, 0, v47, s6
	s_delay_alu instid0(VALU_DEP_1) | instskip(NEXT) | instid1(VALU_DEP_1)
	v_dual_add_nc_u32 v32, v38, v63 :: v_dual_add_nc_u32 v43, v3, v72
	v_dual_add_nc_u32 v34, v32, v64 :: v_dual_cndmask_b32 v3, 0, v43, s7
	s_delay_alu instid0(VALU_DEP_1) | instskip(NEXT) | instid1(VALU_DEP_1)
	v_add_nc_u32_e32 v40, v34, v62
	v_dual_add_nc_u32 v39, v3, v74 :: v_dual_add_nc_u32 v24, v40, v60
	s_delay_alu instid0(VALU_DEP_1) | instskip(NEXT) | instid1(VALU_DEP_1)
	v_dual_cndmask_b32 v3, 0, v39, s8 :: v_dual_add_nc_u32 v26, v24, v58
	v_dual_add_nc_u32 v33, v3, v70 :: v_dual_add_nc_u32 v30, v26, v57
	s_delay_alu instid0(VALU_DEP_1) | instskip(NEXT) | instid1(VALU_DEP_1)
	v_cndmask_b32_e64 v3, 0, v33, s10
	v_dual_add_nc_u32 v36, v30, v21 :: v_dual_add_nc_u32 v35, v3, v71
	s_delay_alu instid0(VALU_DEP_1) | instskip(NEXT) | instid1(VALU_DEP_1)
	v_dual_add_nc_u32 v28, v36, v56 :: v_dual_cndmask_b32 v2, 0, v35, s9
	v_add_nc_u32_e32 v22, v28, v59
	s_delay_alu instid0(VALU_DEP_2) | instskip(NEXT) | instid1(VALU_DEP_1)
	v_add_nc_u32_e32 v41, v2, v75
	v_cndmask_b32_e64 v2, 0, v41, s4
	s_delay_alu instid0(VALU_DEP_1) | instskip(NEXT) | instid1(VALU_DEP_1)
	v_add_nc_u32_e32 v25, v2, v73
	v_cndmask_b32_e64 v2, 0, v25, s3
	s_delay_alu instid0(VALU_DEP_1) | instskip(NEXT) | instid1(VALU_DEP_1)
	;; [unrolled: 3-line block ×4, first 2 shown]
	v_add_nc_u32_e32 v37, v2, v52
	v_cndmask_b32_e32 v2, 0, v37, vcc_lo
	v_cmp_eq_u32_e32 vcc_lo, 0, v16
	s_delay_alu instid0(VALU_DEP_2) | instskip(NEXT) | instid1(VALU_DEP_1)
	v_dual_cndmask_b32 v3, 0, v6, vcc_lo :: v_dual_add_nc_u32 v29, v2, v51
	v_add_nc_u32_e32 v20, v3, v17
	s_delay_alu instid0(VALU_DEP_2) | instskip(NEXT) | instid1(VALU_DEP_1)
	v_cndmask_b32_e64 v2, 0, v29, s0
	v_add_nc_u32_e32 v23, v2, v50
	s_and_saveexec_b32 s0, s11
	s_cbranch_execz .LBB58_93
; %bb.92:
	s_add_nc_u64 s[2:3], s[16:17], 0x200
	v_dual_mov_b32 v18, 2 :: v_dual_mov_b32 v19, 0
	v_mov_b32_e32 v17, v20
	v_mov_b64_e32 v[2:3], s[2:3]
	;;#ASMSTART
	global_store_b128 v[2:3], v[16:19] off scope:SCOPE_DEV	
s_wait_storecnt 0x0
	;;#ASMEND
.LBB58_93:
	s_or_b32 exec_lo, exec_lo, s0
	v_mov_b32_e32 v18, 0
.LBB58_94:
	s_cmp_eq_u64 s[26:27], 0
	v_mov_b64_e32 v[50:51], 0
	s_cselect_b32 s0, -1, 0
	s_delay_alu instid0(SALU_CYCLE_1)
	s_or_b32 s0, s18, s0
	s_barrier_signal -1
	s_and_b32 vcc_lo, exec_lo, s0
	s_barrier_wait -1
	s_cbranch_vccnz .LBB58_96
; %bb.95:
	v_mov_b32_e32 v2, 0
	global_load_b64 v[50:51], v2, s[26:27]
.LBB58_96:
	v_cmp_eq_u32_e32 vcc_lo, 0, v68
	v_cmp_ne_u32_e64 s13, 0, v68
	v_cmp_ne_u32_e64 s12, 0, v67
	;; [unrolled: 1-line block ×4, first 2 shown]
	s_wait_xcnt 0x0
	v_cndmask_b32_e64 v2, 1, 2, vcc_lo
	v_cmp_eq_u32_e32 vcc_lo, 0, v67
	v_cmp_ne_u32_e64 s9, 0, v63
	v_cmp_ne_u32_e64 s8, 0, v64
	;; [unrolled: 1-line block ×4, first 2 shown]
	v_cndmask_b32_e64 v3, 1, 2, vcc_lo
	v_cmp_eq_u32_e32 vcc_lo, 0, v66
	v_cmp_ne_u32_e64 s5, 0, v58
	v_cmp_ne_u32_e64 s4, 0, v57
	s_delay_alu instid0(VALU_DEP_4)
	v_dual_mov_b32 v19, 0 :: v_dual_bitop2_b32 v2, v3, v2 bitop3:0x40
	v_cndmask_b32_e64 v3, 1, 2, vcc_lo
	v_cmp_eq_u32_e32 vcc_lo, 0, v65
	v_cmp_ne_u32_e64 s3, 0, v21
	v_cmp_ne_u32_e64 s2, 0, v56
	v_cmp_ne_u32_e64 s1, 0, v59
	v_cmp_ne_u32_e64 s0, 0, v61
	v_cndmask_b32_e64 v4, 1, 2, vcc_lo
	v_cmp_eq_u32_e32 vcc_lo, 0, v63
	s_mov_b32 s16, -1
	s_delay_alu instid0(VALU_DEP_2) | instskip(SKIP_4) | instid1(VALU_DEP_2)
	v_bitop3_b16 v2, v2, v4, v3 bitop3:0x80
	v_cndmask_b32_e64 v5, 1, 2, vcc_lo
	v_cmp_eq_u32_e32 vcc_lo, 0, v64
	v_cndmask_b32_e64 v6, 1, 2, vcc_lo
	v_cmp_eq_u32_e32 vcc_lo, 0, v62
	v_bitop3_b16 v4, v2, v6, v5 bitop3:0x80
	v_cndmask_b32_e64 v5, 1, 2, vcc_lo
	v_cmp_eq_u32_e32 vcc_lo, 0, v60
	s_wait_loadcnt 0x0
	s_wait_kmcnt 0x0
	v_add_nc_u64_e32 v[2:3], s[20:21], v[50:51]
	v_cndmask_b32_e64 v6, 1, 2, vcc_lo
	v_cmp_eq_u32_e32 vcc_lo, 0, v58
	s_delay_alu instid0(VALU_DEP_3) | instskip(NEXT) | instid1(VALU_DEP_3)
	v_add_nc_u64_e32 v[52:53], v[2:3], v[18:19]
	v_bitop3_b16 v4, v4, v6, v5 bitop3:0x80
	v_cndmask_b32_e64 v5, 1, 2, vcc_lo
	v_cmp_eq_u32_e32 vcc_lo, 0, v57
	v_cndmask_b32_e64 v6, 1, 2, vcc_lo
	v_cmp_eq_u32_e32 vcc_lo, 0, v21
	s_delay_alu instid0(VALU_DEP_2) | instskip(SKIP_4) | instid1(VALU_DEP_2)
	v_bitop3_b16 v2, v4, v6, v5 bitop3:0x80
	v_cndmask_b32_e64 v3, 1, 2, vcc_lo
	v_cmp_eq_u32_e32 vcc_lo, 0, v56
	v_cndmask_b32_e64 v4, 1, 2, vcc_lo
	v_cmp_eq_u32_e32 vcc_lo, 0, v59
	v_bitop3_b16 v2, v2, v4, v3 bitop3:0x80
	v_cndmask_b32_e64 v3, 1, 2, vcc_lo
	v_cmp_eq_u32_e32 vcc_lo, 0, v61
	v_cndmask_b32_e64 v4, 1, 2, vcc_lo
	v_cmp_gt_u32_e32 vcc_lo, 0x100, v16
	s_delay_alu instid0(VALU_DEP_2) | instskip(NEXT) | instid1(VALU_DEP_1)
	v_bitop3_b16 v2, v2, v4, v3 bitop3:0x80
	v_cmp_gt_i16_e64 s14, 2, v2
	s_cbranch_vccz .LBB58_103
; %bb.97:
	s_and_saveexec_b32 s16, s14
	s_cbranch_execz .LBB58_102
; %bb.98:
	s_mov_b32 s17, 0
	s_mov_b32 s14, exec_lo
	v_cmpx_ne_u16_e32 1, v2
	s_xor_b32 s14, exec_lo, s14
	s_cbranch_execnz .LBB58_145
; %bb.99:
	s_and_not1_saveexec_b32 s14, s14
	s_cbranch_execnz .LBB58_160
.LBB58_100:
	s_or_b32 exec_lo, exec_lo, s14
	s_delay_alu instid0(SALU_CYCLE_1)
	s_and_b32 exec_lo, exec_lo, s17
	s_cbranch_execz .LBB58_102
.LBB58_101:
	v_dual_sub_nc_u32 v3, v22, v18 :: v_dual_lshrrev_b32 v4, 24, v12
	v_readfirstlane_b32 s18, v52
	v_readfirstlane_b32 s19, v53
	global_store_b8 v3, v4, s[18:19]
.LBB58_102:
	s_wait_xcnt 0x0
	s_or_b32 exec_lo, exec_lo, s16
	s_mov_b32 s16, 0
.LBB58_103:
	s_delay_alu instid0(SALU_CYCLE_1)
	s_and_b32 vcc_lo, exec_lo, s16
	s_cbranch_vccz .LBB58_124
; %bb.104:
	s_mov_b32 s14, exec_lo
	v_cmpx_gt_i16_e32 2, v2
	s_cbranch_execz .LBB58_109
; %bb.105:
	s_mov_b32 s17, 0
	s_mov_b32 s16, exec_lo
	v_cmpx_ne_u16_e32 1, v2
	s_xor_b32 s16, exec_lo, s16
	s_cbranch_execnz .LBB58_161
; %bb.106:
	s_and_not1_saveexec_b32 s0, s16
	s_cbranch_execnz .LBB58_176
.LBB58_107:
	s_or_b32 exec_lo, exec_lo, s0
	s_delay_alu instid0(SALU_CYCLE_1)
	s_and_b32 exec_lo, exec_lo, s17
.LBB58_108:
	v_dual_sub_nc_u32 v1, v22, v18 :: v_dual_lshrrev_b32 v2, 24, v12
	ds_store_b8 v1, v2
.LBB58_109:
	s_or_b32 exec_lo, exec_lo, s14
	s_delay_alu instid0(SALU_CYCLE_1)
	s_mov_b32 s0, exec_lo
	s_wait_storecnt_dscnt 0x0
	s_barrier_signal -1
	s_barrier_wait -1
	v_cmpx_lt_u32_e64 v0, v16
	s_cbranch_execz .LBB58_123
; %bb.110:
	v_xad_u32 v2, v0, -1, v16
	v_mov_b32_e32 v1, v0
	s_mov_b32 s4, -1
	s_mov_b32 s2, exec_lo
	s_delay_alu instid0(VALU_DEP_2)
	v_cmp_gt_u32_e64 s1, 0x1f00, v2
	v_cmpx_lt_u32_e32 0x1eff, v2
	s_cbranch_execz .LBB58_120
; %bb.111:
	v_sub_nc_u32_e32 v1, v0, v16
	s_delay_alu instid0(VALU_DEP_1) | instskip(NEXT) | instid1(VALU_DEP_1)
	v_or_b32_e32 v1, 0xff, v1
	v_cmp_ge_u32_e32 vcc_lo, v1, v0
	v_mov_b32_e32 v1, v0
	s_and_saveexec_b32 s3, vcc_lo
	s_cbranch_execz .LBB58_119
; %bb.112:
	v_or_b32_e32 v7, 0x700, v0
	v_or_b32_e32 v6, 0x600, v0
	v_dual_mov_b32 v54, 0 :: v_dual_lshrrev_b32 v17, 8, v2
	v_or_b32_e32 v5, 0x500, v0
	v_or_b32_e32 v4, 0x400, v0
	;; [unrolled: 1-line block ×5, first 2 shown]
	v_mov_b64_e32 v[14:15], v[6:7]
	v_mov_b64_e32 v[12:13], v[4:5]
	v_add_nc_u32_e32 v69, -7, v17
	v_mov_b64_e32 v[10:11], v[2:3]
	v_mov_b64_e32 v[8:9], v[0:1]
	s_mov_b32 s4, exec_lo
	s_delay_alu instid0(VALU_DEP_3)
	v_cmpx_lt_u32_e32 7, v69
	s_cbranch_execz .LBB58_116
; %bb.113:
	v_dual_mov_b32 v55, 0 :: v_dual_lshrrev_b32 v8, 3, v69
	s_mov_b32 s5, 0
	s_mov_b32 s6, 0
	s_delay_alu instid0(VALU_DEP_1) | instskip(NEXT) | instid1(VALU_DEP_1)
	v_dual_mov_b32 v70, v0 :: v_dual_add_nc_u32 v8, 1, v8
	v_and_b32_e32 v71, 0x3ffffffe, v8
	v_mov_b64_e32 v[14:15], v[6:7]
	v_mov_b64_e32 v[12:13], v[4:5]
	;; [unrolled: 1-line block ×4, first 2 shown]
.LBB58_114:                             ; =>This Inner Loop Header: Depth=1
	s_delay_alu instid0(VALU_DEP_1)
	v_dual_mov_b32 v54, v8 :: v_dual_mov_b32 v79, v55
	v_add_nc_u32_e32 v71, -2, v71
	s_add_co_i32 s6, s6, 16
	s_delay_alu instid0(VALU_DEP_3) | instid1(SALU_CYCLE_1)
	v_dual_mov_b32 v1, s6 :: v_dual_add_nc_u32 v78, 0x800, v9
	s_delay_alu instid0(VALU_DEP_3)
	v_add_nc_u64_e32 v[80:81], v[52:53], v[54:55]
	v_dual_mov_b32 v54, v9 :: v_dual_add_nc_u32 v9, 0x1000, v9
	ds_load_u8 v88, v70
	ds_load_u8 v89, v70 offset:256
	ds_load_u8 v90, v70 offset:512
	;; [unrolled: 1-line block ×7, first 2 shown]
	v_dual_mov_b32 v5, v55 :: v_dual_add_nc_u32 v74, 0x800, v11
	v_add_nc_u64_e32 v[82:83], v[52:53], v[54:55]
	v_mov_b32_e32 v54, v10
	ds_load_u8 v96, v70 offset:2048
	ds_load_u8 v97, v70 offset:2304
	;; [unrolled: 1-line block ×8, first 2 shown]
	v_dual_mov_b32 v77, v55 :: v_dual_add_nc_u32 v2, 0x800, v15
	s_wait_dscnt 0xf
	global_store_b8 v[80:81], v88, off
	s_wait_dscnt 0xe
	global_store_b8 v[82:83], v89, off
	v_add_nc_u64_e32 v[84:85], v[52:53], v[54:55]
	v_dual_mov_b32 v54, v11 :: v_dual_add_nc_u32 v11, 0x1000, v11
	v_dual_mov_b32 v3, v55 :: v_dual_add_nc_u32 v76, 0x800, v10
	v_dual_mov_b32 v75, v55 :: v_dual_add_nc_u32 v4, 0x800, v14
	s_delay_alu instid0(VALU_DEP_3)
	v_add_nc_u64_e32 v[86:87], v[52:53], v[54:55]
	v_mov_b32_e32 v54, v12
	s_wait_dscnt 0xd
	global_store_b8 v[84:85], v90, off
	v_dual_mov_b32 v73, v55 :: v_dual_add_nc_u32 v6, 0x800, v13
	v_dual_mov_b32 v7, v55 :: v_dual_add_nc_u32 v72, 0x800, v12
	s_wait_xcnt 0x2
	v_add_nc_u64_e32 v[80:81], v[52:53], v[54:55]
	v_mov_b32_e32 v54, v13
	s_wait_dscnt 0xc
	global_store_b8 v[86:87], v91, off
	v_cmp_eq_u32_e32 vcc_lo, 0, v71
	v_add_nc_u32_e32 v70, 0x1000, v70
	v_add_nc_u64_e32 v[78:79], v[52:53], v[78:79]
	s_wait_xcnt 0x2
	v_add_nc_u64_e32 v[82:83], v[52:53], v[54:55]
	v_mov_b32_e32 v54, v14
	s_wait_dscnt 0xb
	global_store_b8 v[80:81], v92, off
	v_add_nc_u32_e32 v10, 0x1000, v10
	v_add_nc_u32_e32 v12, 0x1000, v12
	;; [unrolled: 1-line block ×3, first 2 shown]
	s_wait_xcnt 0x0
	v_add_nc_u64_e32 v[80:81], v[52:53], v[54:55]
	v_mov_b32_e32 v54, v15
	s_wait_dscnt 0xa
	global_store_b8 v[82:83], v93, off
	v_add_nc_u32_e32 v14, 0x1000, v14
	v_add_nc_u32_e32 v15, 0x1000, v15
	v_add_nc_u64_e32 v[76:77], v[52:53], v[76:77]
	s_wait_xcnt 0x0
	v_add_nc_u64_e32 v[82:83], v[52:53], v[54:55]
	v_add_nc_u32_e32 v54, 0x800, v8
	s_wait_dscnt 0x9
	global_store_b8 v[80:81], v94, off
	v_add_nc_u32_e32 v8, 0x1000, v8
	v_add_nc_u64_e32 v[74:75], v[52:53], v[74:75]
	v_add_nc_u64_e32 v[72:73], v[52:53], v[72:73]
	s_wait_xcnt 0x0
	v_add_nc_u64_e32 v[80:81], v[52:53], v[54:55]
	s_or_b32 s5, vcc_lo, s5
	v_add_nc_u64_e32 v[6:7], v[52:53], v[6:7]
	v_add_nc_u64_e32 v[4:5], v[52:53], v[4:5]
	v_add_nc_u64_e32 v[2:3], v[52:53], v[2:3]
	s_wait_dscnt 0x8
	global_store_b8 v[82:83], v95, off
	s_wait_dscnt 0x7
	global_store_b8 v[80:81], v96, off
	;; [unrolled: 2-line block ×9, first 2 shown]
	s_wait_xcnt 0x0
	s_and_not1_b32 exec_lo, exec_lo, s5
	s_cbranch_execnz .LBB58_114
; %bb.115:
	s_or_b32 exec_lo, exec_lo, s5
	v_lshlrev_b32_e32 v54, 8, v1
.LBB58_116:
	s_or_b32 exec_lo, exec_lo, s4
	v_and_b32_e32 v1, 8, v69
	s_mov_b32 s4, exec_lo
	s_delay_alu instid0(VALU_DEP_1)
	v_cmpx_eq_u32_e32 0, v1
	s_cbranch_execz .LBB58_118
; %bb.117:
	v_dual_mov_b32 v3, 0 :: v_dual_mov_b32 v2, v8
	v_or_b32_e32 v1, v0, v54
	ds_load_u8 v69, v1
	ds_load_u8 v72, v1 offset:256
	ds_load_u8 v73, v1 offset:512
	;; [unrolled: 1-line block ×7, first 2 shown]
	v_add_nc_u64_e32 v[4:5], v[52:53], v[2:3]
	v_mov_b32_e32 v2, v9
	s_delay_alu instid0(VALU_DEP_1) | instskip(SKIP_1) | instid1(VALU_DEP_1)
	v_add_nc_u64_e32 v[6:7], v[52:53], v[2:3]
	v_mov_b32_e32 v2, v10
	v_add_nc_u64_e32 v[8:9], v[52:53], v[2:3]
	v_mov_b32_e32 v2, v11
	s_delay_alu instid0(VALU_DEP_1) | instskip(SKIP_1) | instid1(VALU_DEP_1)
	v_add_nc_u64_e32 v[10:11], v[52:53], v[2:3]
	v_mov_b32_e32 v2, v12
	;; [unrolled: 5-line block ×3, first 2 shown]
	v_add_nc_u64_e32 v[70:71], v[52:53], v[2:3]
	v_mov_b32_e32 v2, v15
	s_delay_alu instid0(VALU_DEP_1)
	v_add_nc_u64_e32 v[2:3], v[52:53], v[2:3]
	s_wait_dscnt 0x7
	global_store_b8 v[4:5], v69, off
	s_wait_dscnt 0x6
	global_store_b8 v[6:7], v72, off
	;; [unrolled: 2-line block ×8, first 2 shown]
.LBB58_118:
	s_wait_xcnt 0x0
	s_or_b32 exec_lo, exec_lo, s4
	v_add_nc_u32_e32 v1, 1, v17
	s_delay_alu instid0(VALU_DEP_1) | instskip(NEXT) | instid1(VALU_DEP_1)
	v_and_b32_e32 v2, 0x1fffff8, v1
	v_cmp_ne_u32_e32 vcc_lo, v1, v2
	v_lshl_or_b32 v1, v2, 8, v0
	s_or_not1_b32 s4, vcc_lo, exec_lo
.LBB58_119:
	s_or_b32 exec_lo, exec_lo, s3
	s_delay_alu instid0(SALU_CYCLE_1) | instskip(SKIP_1) | instid1(SALU_CYCLE_1)
	s_and_not1_b32 s1, s1, exec_lo
	s_and_b32 s3, s4, exec_lo
	s_or_b32 s1, s1, s3
.LBB58_120:
	s_or_b32 exec_lo, exec_lo, s2
	s_delay_alu instid0(SALU_CYCLE_1)
	s_and_b32 exec_lo, exec_lo, s1
	s_cbranch_execz .LBB58_123
; %bb.121:
	s_mov_b32 s1, 0
.LBB58_122:                             ; =>This Inner Loop Header: Depth=1
	ds_load_u8 v2, v1
	v_readfirstlane_b32 s2, v52
	v_readfirstlane_b32 s3, v53
	s_wait_dscnt 0x0
	global_store_b8 v1, v2, s[2:3]
	s_wait_xcnt 0x0
	v_add_nc_u32_e32 v1, 0x100, v1
	s_delay_alu instid0(VALU_DEP_1) | instskip(SKIP_1) | instid1(SALU_CYCLE_1)
	v_cmp_ge_u32_e32 vcc_lo, v1, v16
	s_or_b32 s1, vcc_lo, s1
	s_and_not1_b32 exec_lo, exec_lo, s1
	s_cbranch_execnz .LBB58_122
.LBB58_123:
	s_or_b32 exec_lo, exec_lo, s0
.LBB58_124:
	s_cmp_lg_u32 s29, 0xe00
	v_cmp_eq_u32_e32 vcc_lo, 0, v0
	s_cselect_b32 s0, -1, 0
	s_lshr_b32 s1, s29, 1
	s_and_b32 s0, s15, s0
	v_cndmask_b32_e64 v6, 0, 1, s33
	v_mad_i32_i24 v3, v0, -14, s29
	v_cndmask_b32_e64 v2, 0, 1, s0
	s_mul_hi_u32 s0, s1, 0x92492493
	s_and_b32 s1, vcc_lo, s33
	s_lshr_b32 s0, s0, 2
	v_cndmask_b32_e64 v4, v68, 0, s1
	v_cmp_eq_u32_e32 vcc_lo, s0, v0
	v_cmp_ne_u32_e64 s0, 0, v3
	v_sub_nc_u32_e32 v1, v16, v6
	s_mov_b32 s16, -1
	s_wait_storecnt 0x0
	s_and_b32 vcc_lo, s15, vcc_lo
	s_barrier_signal -1
	v_dual_add_nc_u32 v1, v1, v2 :: v_dual_cndmask_b32 v2, 1, v4, s0
	v_cmp_ne_u32_e64 s0, 1, v3
	s_barrier_wait -1
	s_delay_alu instid0(VALU_DEP_1) | instskip(SKIP_1) | instid1(VALU_DEP_2)
	v_dual_cndmask_b32 v54, v4, v2, vcc_lo :: v_dual_cndmask_b32 v5, 1, v67, s0
	v_cmp_ne_u32_e64 s0, 2, v3
	v_cmp_ne_u32_e64 s13, 0, v54
	s_delay_alu instid0(VALU_DEP_2) | instskip(SKIP_1) | instid1(VALU_DEP_1)
	v_cndmask_b32_e64 v7, 1, v66, s0
	v_cmp_ne_u32_e64 s0, 3, v3
	v_cndmask_b32_e64 v8, 1, v65, s0
	v_cmp_ne_u32_e64 s0, 4, v3
	s_delay_alu instid0(VALU_DEP_4) | instskip(SKIP_1) | instid1(VALU_DEP_3)
	v_dual_cndmask_b32 v55, v67, v5, vcc_lo :: v_dual_cndmask_b32 v7, v66, v7, vcc_lo
	v_lshlrev_b64_e32 v[4:5], 3, v[18:19]
	v_cndmask_b32_e64 v9, 1, v63, s0
	v_cmp_ne_u32_e64 s0, 5, v3
	s_delay_alu instid0(VALU_DEP_4) | instskip(SKIP_1) | instid1(VALU_DEP_3)
	v_cmp_ne_u32_e64 s11, 0, v7
	v_cmp_ne_u32_e64 s12, 0, v55
	v_cndmask_b32_e64 v10, 1, v64, s0
	v_cmp_ne_u32_e64 s0, 6, v3
	v_dual_cndmask_b32 v8, v65, v8 :: v_dual_cndmask_b32 v9, v63, v9
	s_delay_alu instid0(VALU_DEP_3) | instskip(NEXT) | instid1(VALU_DEP_3)
	v_cndmask_b32_e32 v10, v64, v10, vcc_lo
	v_cndmask_b32_e64 v11, 1, v62, s0
	v_cmp_ne_u32_e64 s0, 7, v3
	s_delay_alu instid0(VALU_DEP_4) | instskip(SKIP_2) | instid1(VALU_DEP_4)
	v_cmp_ne_u32_e64 s10, 0, v8
	v_cmp_ne_u32_e64 s9, 0, v9
	;; [unrolled: 1-line block ×3, first 2 shown]
	v_cndmask_b32_e64 v12, 1, v60, s0
	v_cmp_ne_u32_e64 s0, 8, v3
	s_delay_alu instid0(VALU_DEP_1) | instskip(SKIP_1) | instid1(VALU_DEP_2)
	v_dual_cndmask_b32 v11, v62, v11, vcc_lo :: v_dual_cndmask_b32 v13, 1, v58, s0
	v_cmp_ne_u32_e64 s0, 9, v3
	v_cmp_ne_u32_e64 s7, 0, v11
	s_delay_alu instid0(VALU_DEP_2) | instskip(SKIP_2) | instid1(VALU_DEP_2)
	v_cndmask_b32_e64 v14, 1, v57, s0
	v_cmp_ne_u32_e64 s0, 10, v3
	v_dual_cndmask_b32 v12, v60, v12 :: v_dual_cndmask_b32 v13, v58, v13
	v_dual_cndmask_b32 v14, v57, v14, vcc_lo :: v_dual_cndmask_b32 v15, 1, v21, s0
	v_cmp_ne_u32_e64 s0, 13, v3
	s_delay_alu instid0(VALU_DEP_3) | instskip(NEXT) | instid1(VALU_DEP_4)
	v_cmp_ne_u32_e64 s6, 0, v12
	v_cmp_ne_u32_e64 s5, 0, v13
	s_delay_alu instid0(VALU_DEP_4) | instskip(NEXT) | instid1(VALU_DEP_4)
	v_cmp_ne_u32_e64 s4, 0, v14
	v_cndmask_b32_e64 v17, 1, v61, s0
	v_cmp_ne_u32_e64 s0, 12, v3
	s_delay_alu instid0(VALU_DEP_1) | instskip(SKIP_2) | instid1(VALU_DEP_3)
	v_cndmask_b32_e64 v52, 1, v59, s0
	v_cmp_ne_u32_e64 s0, 11, v3
	v_lshlrev_b64_e32 v[2:3], 3, v[50:51]
	v_dual_cndmask_b32 v15, v21, v15 :: v_dual_cndmask_b32 v52, v59, v52
	s_delay_alu instid0(VALU_DEP_3) | instskip(SKIP_1) | instid1(VALU_DEP_4)
	v_dual_cndmask_b32 v53, 1, v56, s0 :: v_dual_cndmask_b32 v17, v61, v17, vcc_lo
	v_cmp_eq_u32_e64 s0, 0, v54
	v_add_nc_u64_e32 v[2:3], s[22:23], v[2:3]
	s_delay_alu instid0(VALU_DEP_4) | instskip(NEXT) | instid1(VALU_DEP_4)
	v_cmp_ne_u32_e64 s3, 0, v15
	v_cndmask_b32_e32 v53, v56, v53, vcc_lo
	v_cmp_eq_u32_e32 vcc_lo, 0, v13
	v_cndmask_b32_e64 v59, 1, 2, s0
	v_cmp_eq_u32_e64 s0, 0, v55
	v_cmp_ne_u32_e64 s1, 0, v52
	v_add_nc_u64_e32 v[2:3], v[2:3], v[4:5]
	v_dual_mov_b32 v5, 0 :: v_dual_lshlrev_b32 v4, 3, v6
	s_delay_alu instid0(VALU_DEP_4)
	v_cndmask_b32_e64 v61, 1, 2, s0
	v_cmp_eq_u32_e64 s0, 0, v7
	v_add_nc_u32_e32 v6, v18, v6
	v_cmp_ne_u32_e64 s2, 0, v53
	v_add_nc_u64_e32 v[4:5], v[2:3], v[4:5]
	v_and_b32_e32 v59, v61, v59
	v_cndmask_b32_e64 v61, 1, 2, s0
	v_cmp_eq_u32_e64 s0, 0, v8
	s_delay_alu instid0(VALU_DEP_4) | instskip(NEXT) | instid1(VALU_DEP_2)
	v_add_nc_u64_e32 v[4:5], -8, v[4:5]
	v_cndmask_b32_e64 v64, 1, 2, s0
	v_cmp_eq_u32_e64 s0, 0, v9
	s_delay_alu instid0(VALU_DEP_2) | instskip(NEXT) | instid1(VALU_DEP_2)
	v_bitop3_b16 v59, v59, v64, v61 bitop3:0x80
	v_cndmask_b32_e64 v61, 1, 2, s0
	v_cmp_eq_u32_e64 s0, 0, v10
	s_delay_alu instid0(VALU_DEP_1) | instskip(SKIP_1) | instid1(VALU_DEP_2)
	v_cndmask_b32_e64 v63, 1, 2, s0
	v_cmp_eq_u32_e64 s0, 0, v11
	v_bitop3_b16 v56, v59, v63, v61 bitop3:0x80
	s_delay_alu instid0(VALU_DEP_2) | instskip(SKIP_1) | instid1(VALU_DEP_1)
	v_cndmask_b32_e64 v59, 1, 2, s0
	v_cmp_eq_u32_e64 s0, 0, v12
	v_cndmask_b32_e64 v60, 1, 2, s0
	v_cmp_ne_u32_e64 s0, 0, v17
	s_delay_alu instid0(VALU_DEP_2) | instskip(SKIP_4) | instid1(VALU_DEP_2)
	v_bitop3_b16 v21, v56, v60, v59 bitop3:0x80
	v_cndmask_b32_e64 v56, 1, 2, vcc_lo
	v_cmp_eq_u32_e32 vcc_lo, 0, v14
	v_cndmask_b32_e64 v57, 1, 2, vcc_lo
	v_cmp_eq_u32_e32 vcc_lo, 0, v15
	v_bitop3_b16 v7, v21, v57, v56 bitop3:0x80
	v_cndmask_b32_e64 v21, 1, 2, vcc_lo
	v_cmp_eq_u32_e32 vcc_lo, 0, v53
	v_cndmask_b32_e64 v54, 1, 2, vcc_lo
	v_cmp_eq_u32_e32 vcc_lo, 0, v52
	s_delay_alu instid0(VALU_DEP_2) | instskip(SKIP_4) | instid1(VALU_DEP_2)
	v_bitop3_b16 v7, v7, v54, v21 bitop3:0x80
	v_cndmask_b32_e64 v8, 1, 2, vcc_lo
	v_cmp_eq_u32_e32 vcc_lo, 0, v17
	v_cndmask_b32_e64 v9, 1, 2, vcc_lo
	v_cmp_gt_u32_e32 vcc_lo, 0x100, v1
	v_bitop3_b16 v7, v7, v9, v8 bitop3:0x80
	s_delay_alu instid0(VALU_DEP_1)
	v_cmp_gt_i16_e64 s14, 2, v7
	s_cbranch_vccnz .LBB58_128
; %bb.125:
	s_and_b32 vcc_lo, exec_lo, s16
	s_cbranch_vccnz .LBB58_134
.LBB58_126:
	v_cmp_eq_u32_e32 vcc_lo, 0xff, v0
	s_and_b32 s0, vcc_lo, s15
	s_delay_alu instid0(SALU_CYCLE_1)
	s_and_saveexec_b32 s1, s0
	s_cbranch_execnz .LBB58_143
.LBB58_127:
	s_sendmsg sendmsg(MSG_DEALLOC_VGPRS)
	s_endpgm
.LBB58_128:
	s_and_saveexec_b32 s16, s14
	s_cbranch_execz .LBB58_133
; %bb.129:
	s_mov_b32 s17, 0
	s_mov_b32 s14, exec_lo
	v_cmpx_ne_u16_e32 1, v7
	s_xor_b32 s14, exec_lo, s14
	s_cbranch_execnz .LBB58_177
; %bb.130:
	s_and_not1_saveexec_b32 s14, s14
	s_cbranch_execnz .LBB58_192
.LBB58_131:
	s_or_b32 exec_lo, exec_lo, s14
	s_delay_alu instid0(SALU_CYCLE_1)
	s_and_b32 exec_lo, exec_lo, s17
	s_cbranch_execz .LBB58_133
.LBB58_132:
	v_dual_mov_b32 v9, 0 :: v_dual_mov_b32 v8, v23
	v_sub_nc_u32_e32 v10, v22, v6
	v_readfirstlane_b32 s18, v4
	v_readfirstlane_b32 s19, v5
	global_store_b64 v10, v[8:9], s[18:19] scale_offset
.LBB58_133:
	s_wait_xcnt 0x0
	s_or_b32 exec_lo, exec_lo, s16
	s_branch .LBB58_126
.LBB58_134:
	s_mov_b32 s14, exec_lo
	v_cmpx_gt_i16_e32 2, v7
	s_cbranch_execz .LBB58_139
; %bb.135:
	s_mov_b32 s17, 0
	s_mov_b32 s16, exec_lo
	v_cmpx_ne_u16_e32 1, v7
	s_xor_b32 s16, exec_lo, s16
	s_cbranch_execnz .LBB58_193
; %bb.136:
	s_and_not1_saveexec_b32 s0, s16
	s_cbranch_execnz .LBB58_208
.LBB58_137:
	s_or_b32 exec_lo, exec_lo, s0
	s_delay_alu instid0(SALU_CYCLE_1)
	s_and_b32 exec_lo, exec_lo, s17
.LBB58_138:
	v_sub_nc_u32_e32 v6, v22, v6
	s_delay_alu instid0(VALU_DEP_1)
	v_lshlrev_b32_e32 v6, 2, v6
	ds_store_b32 v6, v23
.LBB58_139:
	s_or_b32 exec_lo, exec_lo, s14
	s_delay_alu instid0(SALU_CYCLE_1)
	s_mov_b32 s0, exec_lo
	s_wait_storecnt_dscnt 0x0
	s_barrier_signal -1
	s_barrier_wait -1
	v_cmpx_lt_u32_e64 v0, v1
	s_cbranch_execz .LBB58_142
; %bb.140:
	v_dual_mov_b32 v7, 0 :: v_dual_lshlrev_b32 v8, 2, v0
	v_mov_b32_e32 v9, v0
	s_mov_b32 s1, 0
.LBB58_141:                             ; =>This Inner Loop Header: Depth=1
	ds_load_b32 v6, v8
	v_readfirstlane_b32 s2, v4
	v_readfirstlane_b32 s3, v5
	v_add_nc_u32_e32 v8, 0x400, v8
	s_wait_dscnt 0x0
	global_store_b64 v9, v[6:7], s[2:3] scale_offset
	s_wait_xcnt 0x0
	v_add_nc_u32_e32 v9, 0x100, v9
	s_delay_alu instid0(VALU_DEP_1) | instskip(SKIP_1) | instid1(SALU_CYCLE_1)
	v_cmp_ge_u32_e32 vcc_lo, v9, v1
	s_or_b32 s1, vcc_lo, s1
	s_and_not1_b32 exec_lo, exec_lo, s1
	s_cbranch_execnz .LBB58_141
.LBB58_142:
	s_or_b32 exec_lo, exec_lo, s0
	v_cmp_eq_u32_e32 vcc_lo, 0xff, v0
	s_and_b32 s0, vcc_lo, s15
	s_delay_alu instid0(SALU_CYCLE_1)
	s_and_saveexec_b32 s1, s0
	s_cbranch_execz .LBB58_127
.LBB58_143:
	v_mov_b32_e32 v17, 0
	s_cmp_lg_u32 s29, 0xe00
	s_delay_alu instid0(VALU_DEP_1) | instskip(NEXT) | instid1(VALU_DEP_1)
	v_add_nc_u64_e32 v[0:1], v[16:17], v[18:19]
	v_add_nc_u64_e32 v[0:1], v[0:1], v[50:51]
	global_store_b64 v17, v[0:1], s[24:25]
	s_cbranch_scc1 .LBB58_127
; %bb.144:
	s_wait_xcnt 0x0
	v_lshlrev_b64_e32 v[0:1], 3, v[16:17]
	v_mov_b32_e32 v21, v17
	s_delay_alu instid0(VALU_DEP_2)
	v_add_nc_u64_e32 v[0:1], v[2:3], v[0:1]
	global_store_b64 v[0:1], v[20:21], off offset:-8
	s_sendmsg sendmsg(MSG_DEALLOC_VGPRS)
	s_endpgm
.LBB58_145:
	s_and_saveexec_b32 s17, s13
	s_cbranch_execnz .LBB58_209
; %bb.146:
	s_or_b32 exec_lo, exec_lo, s17
	s_and_saveexec_b32 s17, s12
	s_cbranch_execnz .LBB58_210
.LBB58_147:
	s_or_b32 exec_lo, exec_lo, s17
	s_and_saveexec_b32 s17, s11
	s_cbranch_execnz .LBB58_211
.LBB58_148:
	s_or_b32 exec_lo, exec_lo, s17
	s_and_saveexec_b32 s17, s10
	s_cbranch_execnz .LBB58_212
.LBB58_149:
	s_or_b32 exec_lo, exec_lo, s17
	s_and_saveexec_b32 s17, s9
	s_cbranch_execnz .LBB58_213
.LBB58_150:
	s_or_b32 exec_lo, exec_lo, s17
	s_and_saveexec_b32 s17, s8
	s_cbranch_execnz .LBB58_214
.LBB58_151:
	s_or_b32 exec_lo, exec_lo, s17
	s_and_saveexec_b32 s17, s7
	s_cbranch_execnz .LBB58_215
.LBB58_152:
	s_or_b32 exec_lo, exec_lo, s17
	s_and_saveexec_b32 s17, s6
	s_cbranch_execnz .LBB58_216
.LBB58_153:
	s_or_b32 exec_lo, exec_lo, s17
	s_and_saveexec_b32 s17, s5
	s_cbranch_execnz .LBB58_217
.LBB58_154:
	s_or_b32 exec_lo, exec_lo, s17
	s_and_saveexec_b32 s17, s4
	s_cbranch_execnz .LBB58_218
.LBB58_155:
	s_or_b32 exec_lo, exec_lo, s17
	s_and_saveexec_b32 s17, s3
	s_cbranch_execnz .LBB58_219
.LBB58_156:
	s_or_b32 exec_lo, exec_lo, s17
	s_and_saveexec_b32 s17, s2
	s_cbranch_execnz .LBB58_220
.LBB58_157:
	s_or_b32 exec_lo, exec_lo, s17
	s_and_saveexec_b32 s17, s1
	s_cbranch_execz .LBB58_159
.LBB58_158:
	v_sub_nc_u32_e32 v3, v28, v18
	v_readfirstlane_b32 s18, v52
	v_readfirstlane_b32 s19, v53
	global_store_d16_hi_b8 v3, v12, s[18:19]
.LBB58_159:
	s_wait_xcnt 0x0
	s_or_b32 exec_lo, exec_lo, s17
	s_delay_alu instid0(SALU_CYCLE_1)
	s_and_b32 s17, s0, exec_lo
	s_and_not1_saveexec_b32 s14, s14
	s_cbranch_execz .LBB58_100
.LBB58_160:
	v_dual_sub_nc_u32 v3, v44, v18 :: v_dual_sub_nc_u32 v5, v46, v18
	v_readfirstlane_b32 s18, v52
	v_readfirstlane_b32 s19, v53
	v_sub_nc_u32_e32 v4, v48, v18
	s_clause 0x2
	global_store_b8 v3, v1, s[18:19]
	global_store_b8 v4, v13, s[18:19]
	;; [unrolled: 1-line block ×3, first 2 shown]
	s_wait_xcnt 0x2
	v_sub_nc_u32_e32 v3, v42, v18
	s_wait_xcnt 0x1
	v_dual_lshrrev_b32 v4, 8, v10 :: v_dual_lshrrev_b32 v7, 24, v10
	s_wait_xcnt 0x0
	v_dual_sub_nc_u32 v5, v38, v18 :: v_dual_sub_nc_u32 v6, v32, v18
	v_dual_sub_nc_u32 v8, v34, v18 :: v_dual_sub_nc_u32 v9, v40, v18
	v_lshrrev_b32_e32 v14, 8, v11
	s_clause 0x4
	global_store_b8 v3, v4, s[18:19]
	global_store_d16_hi_b8 v5, v10, s[18:19]
	global_store_b8 v6, v7, s[18:19]
	global_store_b8 v8, v11, s[18:19]
	;; [unrolled: 1-line block ×3, first 2 shown]
	s_wait_xcnt 0x4
	v_dual_sub_nc_u32 v3, v24, v18 :: v_dual_sub_nc_u32 v4, v26, v18
	s_wait_xcnt 0x1
	v_dual_lshrrev_b32 v5, 24, v11 :: v_dual_lshrrev_b32 v8, 8, v12
	v_dual_sub_nc_u32 v6, v30, v18 :: v_dual_sub_nc_u32 v7, v36, v18
	global_store_d16_hi_b8 v3, v11, s[18:19]
	s_wait_xcnt 0x0
	v_sub_nc_u32_e32 v3, v28, v18
	s_or_b32 s17, s17, exec_lo
	s_clause 0x3
	global_store_b8 v4, v5, s[18:19]
	global_store_b8 v6, v12, s[18:19]
	;; [unrolled: 1-line block ×3, first 2 shown]
	global_store_d16_hi_b8 v3, v12, s[18:19]
	s_wait_xcnt 0x0
	s_or_b32 exec_lo, exec_lo, s14
	s_delay_alu instid0(SALU_CYCLE_1)
	s_and_b32 exec_lo, exec_lo, s17
	s_cbranch_execnz .LBB58_101
	s_branch .LBB58_102
.LBB58_161:
	s_and_saveexec_b32 s17, s13
	s_cbranch_execnz .LBB58_221
; %bb.162:
	s_or_b32 exec_lo, exec_lo, s17
	s_and_saveexec_b32 s13, s12
	s_cbranch_execnz .LBB58_222
.LBB58_163:
	s_or_b32 exec_lo, exec_lo, s13
	s_and_saveexec_b32 s12, s11
	s_cbranch_execnz .LBB58_223
.LBB58_164:
	s_or_b32 exec_lo, exec_lo, s12
	s_and_saveexec_b32 s11, s10
	s_cbranch_execnz .LBB58_224
.LBB58_165:
	s_or_b32 exec_lo, exec_lo, s11
	s_and_saveexec_b32 s10, s9
	s_cbranch_execnz .LBB58_225
.LBB58_166:
	s_or_b32 exec_lo, exec_lo, s10
	s_and_saveexec_b32 s9, s8
	s_cbranch_execnz .LBB58_226
.LBB58_167:
	s_or_b32 exec_lo, exec_lo, s9
	s_and_saveexec_b32 s8, s7
	s_cbranch_execnz .LBB58_227
.LBB58_168:
	s_or_b32 exec_lo, exec_lo, s8
	s_and_saveexec_b32 s7, s6
	s_cbranch_execnz .LBB58_228
.LBB58_169:
	s_or_b32 exec_lo, exec_lo, s7
	s_and_saveexec_b32 s6, s5
	s_cbranch_execnz .LBB58_229
.LBB58_170:
	s_or_b32 exec_lo, exec_lo, s6
	s_and_saveexec_b32 s5, s4
	s_cbranch_execnz .LBB58_230
.LBB58_171:
	s_or_b32 exec_lo, exec_lo, s5
	s_and_saveexec_b32 s4, s3
	s_cbranch_execnz .LBB58_231
.LBB58_172:
	s_or_b32 exec_lo, exec_lo, s4
	s_and_saveexec_b32 s3, s2
	s_cbranch_execnz .LBB58_232
.LBB58_173:
	s_or_b32 exec_lo, exec_lo, s3
	s_and_saveexec_b32 s2, s1
.LBB58_174:
	v_sub_nc_u32_e32 v1, v28, v18
	ds_store_b8_d16_hi v1, v12
.LBB58_175:
	s_or_b32 exec_lo, exec_lo, s2
	s_delay_alu instid0(SALU_CYCLE_1)
	s_and_b32 s17, s0, exec_lo
                                        ; implicit-def: $vgpr1
                                        ; implicit-def: $vgpr13
	s_and_not1_saveexec_b32 s0, s16
	s_cbranch_execz .LBB58_107
.LBB58_176:
	v_dual_sub_nc_u32 v2, v44, v18 :: v_dual_sub_nc_u32 v4, v46, v18
	v_dual_sub_nc_u32 v3, v48, v18 :: v_dual_sub_nc_u32 v6, v34, v18
	v_sub_nc_u32_e32 v7, v40, v18
	ds_store_b8 v2, v1
	ds_store_b8 v3, v13
	;; [unrolled: 1-line block ×3, first 2 shown]
	v_sub_nc_u32_e32 v1, v42, v18
	v_dual_lshrrev_b32 v2, 8, v10 :: v_dual_lshrrev_b32 v5, 24, v10
	v_dual_sub_nc_u32 v3, v38, v18 :: v_dual_sub_nc_u32 v4, v32, v18
	v_lshrrev_b32_e32 v8, 8, v11
	ds_store_b8 v1, v2
	ds_store_b8_d16_hi v3, v10
	ds_store_b8 v4, v5
	ds_store_b8 v6, v11
	;; [unrolled: 1-line block ×3, first 2 shown]
	v_dual_sub_nc_u32 v1, v24, v18 :: v_dual_sub_nc_u32 v2, v26, v18
	v_dual_lshrrev_b32 v3, 24, v11 :: v_dual_lshrrev_b32 v6, 8, v12
	v_dual_sub_nc_u32 v4, v30, v18 :: v_dual_sub_nc_u32 v5, v36, v18
	ds_store_b8_d16_hi v1, v11
	v_sub_nc_u32_e32 v1, v28, v18
	s_or_b32 s17, s17, exec_lo
	ds_store_b8 v2, v3
	ds_store_b8 v4, v12
	;; [unrolled: 1-line block ×3, first 2 shown]
	ds_store_b8_d16_hi v1, v12
	s_or_b32 exec_lo, exec_lo, s0
	s_delay_alu instid0(SALU_CYCLE_1)
	s_and_b32 exec_lo, exec_lo, s17
	s_cbranch_execnz .LBB58_108
	s_branch .LBB58_109
.LBB58_177:
	s_and_saveexec_b32 s17, s13
	s_cbranch_execnz .LBB58_233
; %bb.178:
	s_or_b32 exec_lo, exec_lo, s17
	s_and_saveexec_b32 s17, s12
	s_cbranch_execnz .LBB58_234
.LBB58_179:
	s_or_b32 exec_lo, exec_lo, s17
	s_and_saveexec_b32 s17, s11
	s_cbranch_execnz .LBB58_235
.LBB58_180:
	s_or_b32 exec_lo, exec_lo, s17
	s_and_saveexec_b32 s17, s10
	s_cbranch_execnz .LBB58_236
.LBB58_181:
	s_or_b32 exec_lo, exec_lo, s17
	s_and_saveexec_b32 s17, s9
	s_cbranch_execnz .LBB58_237
.LBB58_182:
	s_or_b32 exec_lo, exec_lo, s17
	s_and_saveexec_b32 s17, s8
	s_cbranch_execnz .LBB58_238
.LBB58_183:
	s_or_b32 exec_lo, exec_lo, s17
	s_and_saveexec_b32 s17, s7
	s_cbranch_execnz .LBB58_239
.LBB58_184:
	s_or_b32 exec_lo, exec_lo, s17
	s_and_saveexec_b32 s17, s6
	s_cbranch_execnz .LBB58_240
.LBB58_185:
	s_or_b32 exec_lo, exec_lo, s17
	s_and_saveexec_b32 s17, s5
	s_cbranch_execnz .LBB58_241
.LBB58_186:
	s_or_b32 exec_lo, exec_lo, s17
	s_and_saveexec_b32 s17, s4
	s_cbranch_execnz .LBB58_242
.LBB58_187:
	s_or_b32 exec_lo, exec_lo, s17
	s_and_saveexec_b32 s17, s3
	s_cbranch_execnz .LBB58_243
.LBB58_188:
	s_or_b32 exec_lo, exec_lo, s17
	s_and_saveexec_b32 s17, s2
	s_cbranch_execnz .LBB58_244
.LBB58_189:
	s_or_b32 exec_lo, exec_lo, s17
	s_and_saveexec_b32 s17, s1
	s_cbranch_execz .LBB58_191
.LBB58_190:
	v_dual_mov_b32 v9, 0 :: v_dual_sub_nc_u32 v10, v28, v6
	v_mov_b32_e32 v8, v29
	v_readfirstlane_b32 s18, v4
	v_readfirstlane_b32 s19, v5
	global_store_b64 v10, v[8:9], s[18:19] scale_offset
.LBB58_191:
	s_wait_xcnt 0x0
	s_or_b32 exec_lo, exec_lo, s17
	s_delay_alu instid0(SALU_CYCLE_1)
	s_and_b32 s17, s0, exec_lo
	s_and_not1_saveexec_b32 s14, s14
	s_cbranch_execz .LBB58_131
.LBB58_192:
	v_dual_mov_b32 v9, 0 :: v_dual_mov_b32 v8, v45
	v_sub_nc_u32_e32 v10, v44, v6
	v_readfirstlane_b32 s18, v4
	v_readfirstlane_b32 s19, v5
	v_sub_nc_u32_e32 v11, v46, v6
	s_or_b32 s17, s17, exec_lo
	global_store_b64 v10, v[8:9], s[18:19] scale_offset
	s_wait_xcnt 0x0
	v_dual_sub_nc_u32 v10, v48, v6 :: v_dual_mov_b32 v8, v49
	global_store_b64 v10, v[8:9], s[18:19] scale_offset
	s_wait_xcnt 0x0
	v_dual_mov_b32 v8, v47 :: v_dual_sub_nc_u32 v10, v42, v6
	global_store_b64 v11, v[8:9], s[18:19] scale_offset
	s_wait_xcnt 0x0
	v_dual_mov_b32 v8, v43 :: v_dual_sub_nc_u32 v11, v38, v6
	;; [unrolled: 3-line block ×9, first 2 shown]
	global_store_b64 v11, v[8:9], s[18:19] scale_offset
	s_wait_xcnt 0x0
	v_mov_b32_e32 v8, v37
	global_store_b64 v10, v[8:9], s[18:19] scale_offset
	s_wait_xcnt 0x0
	v_dual_mov_b32 v8, v29 :: v_dual_sub_nc_u32 v10, v28, v6
	global_store_b64 v10, v[8:9], s[18:19] scale_offset
	s_wait_xcnt 0x0
	s_or_b32 exec_lo, exec_lo, s14
	s_delay_alu instid0(SALU_CYCLE_1)
	s_and_b32 exec_lo, exec_lo, s17
	s_cbranch_execnz .LBB58_132
	s_branch .LBB58_133
.LBB58_193:
	s_and_saveexec_b32 s17, s13
	s_cbranch_execnz .LBB58_245
; %bb.194:
	s_or_b32 exec_lo, exec_lo, s17
	s_and_saveexec_b32 s13, s12
	s_cbranch_execnz .LBB58_246
.LBB58_195:
	s_or_b32 exec_lo, exec_lo, s13
	s_and_saveexec_b32 s12, s11
	s_cbranch_execnz .LBB58_247
.LBB58_196:
	s_or_b32 exec_lo, exec_lo, s12
	s_and_saveexec_b32 s11, s10
	s_cbranch_execnz .LBB58_248
.LBB58_197:
	s_or_b32 exec_lo, exec_lo, s11
	s_and_saveexec_b32 s10, s9
	s_cbranch_execnz .LBB58_249
.LBB58_198:
	s_or_b32 exec_lo, exec_lo, s10
	s_and_saveexec_b32 s9, s8
	s_cbranch_execnz .LBB58_250
.LBB58_199:
	s_or_b32 exec_lo, exec_lo, s9
	s_and_saveexec_b32 s8, s7
	s_cbranch_execnz .LBB58_251
.LBB58_200:
	s_or_b32 exec_lo, exec_lo, s8
	s_and_saveexec_b32 s7, s6
	s_cbranch_execnz .LBB58_252
.LBB58_201:
	s_or_b32 exec_lo, exec_lo, s7
	s_and_saveexec_b32 s6, s5
	s_cbranch_execnz .LBB58_253
.LBB58_202:
	s_or_b32 exec_lo, exec_lo, s6
	s_and_saveexec_b32 s5, s4
	s_cbranch_execnz .LBB58_254
.LBB58_203:
	s_or_b32 exec_lo, exec_lo, s5
	s_and_saveexec_b32 s4, s3
	s_cbranch_execnz .LBB58_255
.LBB58_204:
	s_or_b32 exec_lo, exec_lo, s4
	s_and_saveexec_b32 s3, s2
	s_cbranch_execnz .LBB58_256
.LBB58_205:
	s_or_b32 exec_lo, exec_lo, s3
	s_and_saveexec_b32 s2, s1
.LBB58_206:
	v_sub_nc_u32_e32 v7, v28, v6
	s_delay_alu instid0(VALU_DEP_1)
	v_lshlrev_b32_e32 v7, 2, v7
	ds_store_b32 v7, v29
.LBB58_207:
	s_or_b32 exec_lo, exec_lo, s2
	s_delay_alu instid0(SALU_CYCLE_1)
	s_and_b32 s17, s0, exec_lo
                                        ; implicit-def: $vgpr28_vgpr29
                                        ; implicit-def: $vgpr36_vgpr37
                                        ; implicit-def: $vgpr30_vgpr31
                                        ; implicit-def: $vgpr44_vgpr45
                                        ; implicit-def: $vgpr48_vgpr49
                                        ; implicit-def: $vgpr46_vgpr47
                                        ; implicit-def: $vgpr42_vgpr43
                                        ; implicit-def: $vgpr38_vgpr39
                                        ; implicit-def: $vgpr32_vgpr33
                                        ; implicit-def: $vgpr34_vgpr35
                                        ; implicit-def: $vgpr40_vgpr41
                                        ; implicit-def: $vgpr24_vgpr25
                                        ; implicit-def: $vgpr26_vgpr27
	s_and_not1_saveexec_b32 s0, s16
	s_cbranch_execz .LBB58_137
.LBB58_208:
	v_dual_sub_nc_u32 v7, v44, v6 :: v_dual_sub_nc_u32 v9, v46, v6
	v_dual_sub_nc_u32 v8, v48, v6 :: v_dual_sub_nc_u32 v10, v42, v6
	s_delay_alu instid0(VALU_DEP_2) | instskip(NEXT) | instid1(VALU_DEP_2)
	v_dual_sub_nc_u32 v11, v38, v6 :: v_dual_lshlrev_b32 v7, 2, v7
	v_dual_lshlrev_b32 v9, 2, v9 :: v_dual_lshlrev_b32 v8, 2, v8
	s_or_b32 s17, s17, exec_lo
	ds_store_b32 v7, v45
	ds_store_b32 v8, v49
	;; [unrolled: 1-line block ×3, first 2 shown]
	v_sub_nc_u32_e32 v7, v32, v6
	v_lshlrev_b32_e32 v9, 2, v10
	v_dual_sub_nc_u32 v10, v40, v6 :: v_dual_sub_nc_u32 v8, v34, v6
	v_lshlrev_b32_e32 v11, 2, v11
	s_delay_alu instid0(VALU_DEP_4)
	v_lshlrev_b32_e32 v7, 2, v7
	ds_store_b32 v9, v43
	v_dual_lshlrev_b32 v9, 2, v10 :: v_dual_lshlrev_b32 v8, 2, v8
	ds_store_b32 v11, v39
	ds_store_b32 v7, v33
	;; [unrolled: 1-line block ×3, first 2 shown]
	v_dual_sub_nc_u32 v7, v24, v6 :: v_dual_sub_nc_u32 v8, v26, v6
	ds_store_b32 v9, v41
	v_dual_sub_nc_u32 v9, v30, v6 :: v_dual_sub_nc_u32 v10, v36, v6
	v_dual_lshlrev_b32 v7, 2, v7 :: v_dual_sub_nc_u32 v11, v28, v6
	s_delay_alu instid0(VALU_DEP_2) | instskip(NEXT) | instid1(VALU_DEP_3)
	v_dual_lshlrev_b32 v8, 2, v8 :: v_dual_lshlrev_b32 v9, 2, v9
	v_lshlrev_b32_e32 v10, 2, v10
	ds_store_b32 v7, v25
	v_lshlrev_b32_e32 v7, 2, v11
	ds_store_b32 v8, v27
	ds_store_b32 v9, v31
	;; [unrolled: 1-line block ×4, first 2 shown]
	s_or_b32 exec_lo, exec_lo, s0
	s_delay_alu instid0(SALU_CYCLE_1)
	s_and_b32 exec_lo, exec_lo, s17
	s_cbranch_execnz .LBB58_138
	s_branch .LBB58_139
.LBB58_209:
	v_sub_nc_u32_e32 v3, v44, v18
	v_readfirstlane_b32 s18, v52
	v_readfirstlane_b32 s19, v53
	global_store_b8 v3, v1, s[18:19]
	s_wait_xcnt 0x0
	s_or_b32 exec_lo, exec_lo, s17
	s_and_saveexec_b32 s17, s12
	s_cbranch_execz .LBB58_147
.LBB58_210:
	v_sub_nc_u32_e32 v3, v48, v18
	v_readfirstlane_b32 s18, v52
	v_readfirstlane_b32 s19, v53
	global_store_b8 v3, v13, s[18:19]
	s_wait_xcnt 0x0
	s_or_b32 exec_lo, exec_lo, s17
	s_and_saveexec_b32 s17, s11
	s_cbranch_execz .LBB58_148
.LBB58_211:
	v_sub_nc_u32_e32 v3, v46, v18
	v_readfirstlane_b32 s18, v52
	v_readfirstlane_b32 s19, v53
	global_store_b8 v3, v10, s[18:19]
	s_wait_xcnt 0x0
	s_or_b32 exec_lo, exec_lo, s17
	s_and_saveexec_b32 s17, s10
	s_cbranch_execz .LBB58_149
.LBB58_212:
	v_sub_nc_u32_e32 v3, v42, v18
	v_lshrrev_b32_e32 v4, 8, v10
	v_readfirstlane_b32 s18, v52
	v_readfirstlane_b32 s19, v53
	global_store_b8 v3, v4, s[18:19]
	s_wait_xcnt 0x0
	s_or_b32 exec_lo, exec_lo, s17
	s_and_saveexec_b32 s17, s9
	s_cbranch_execz .LBB58_150
.LBB58_213:
	v_sub_nc_u32_e32 v3, v38, v18
	v_readfirstlane_b32 s18, v52
	v_readfirstlane_b32 s19, v53
	global_store_d16_hi_b8 v3, v10, s[18:19]
	s_wait_xcnt 0x0
	s_or_b32 exec_lo, exec_lo, s17
	s_and_saveexec_b32 s17, s8
	s_cbranch_execz .LBB58_151
.LBB58_214:
	v_sub_nc_u32_e32 v3, v32, v18
	v_lshrrev_b32_e32 v4, 24, v10
	v_readfirstlane_b32 s18, v52
	v_readfirstlane_b32 s19, v53
	global_store_b8 v3, v4, s[18:19]
	s_wait_xcnt 0x0
	s_or_b32 exec_lo, exec_lo, s17
	s_and_saveexec_b32 s17, s7
	s_cbranch_execz .LBB58_152
.LBB58_215:
	v_sub_nc_u32_e32 v3, v34, v18
	v_readfirstlane_b32 s18, v52
	v_readfirstlane_b32 s19, v53
	global_store_b8 v3, v11, s[18:19]
	s_wait_xcnt 0x0
	s_or_b32 exec_lo, exec_lo, s17
	s_and_saveexec_b32 s17, s6
	s_cbranch_execz .LBB58_153
.LBB58_216:
	v_dual_sub_nc_u32 v3, v40, v18 :: v_dual_lshrrev_b32 v4, 8, v11
	v_readfirstlane_b32 s18, v52
	v_readfirstlane_b32 s19, v53
	global_store_b8 v3, v4, s[18:19]
	s_wait_xcnt 0x0
	s_or_b32 exec_lo, exec_lo, s17
	s_and_saveexec_b32 s17, s5
	s_cbranch_execz .LBB58_154
.LBB58_217:
	v_sub_nc_u32_e32 v3, v24, v18
	v_readfirstlane_b32 s18, v52
	v_readfirstlane_b32 s19, v53
	global_store_d16_hi_b8 v3, v11, s[18:19]
	s_wait_xcnt 0x0
	s_or_b32 exec_lo, exec_lo, s17
	s_and_saveexec_b32 s17, s4
	s_cbranch_execz .LBB58_155
.LBB58_218:
	v_dual_sub_nc_u32 v3, v26, v18 :: v_dual_lshrrev_b32 v4, 24, v11
	v_readfirstlane_b32 s18, v52
	v_readfirstlane_b32 s19, v53
	global_store_b8 v3, v4, s[18:19]
	s_wait_xcnt 0x0
	s_or_b32 exec_lo, exec_lo, s17
	s_and_saveexec_b32 s17, s3
	s_cbranch_execz .LBB58_156
.LBB58_219:
	v_sub_nc_u32_e32 v3, v30, v18
	v_readfirstlane_b32 s18, v52
	v_readfirstlane_b32 s19, v53
	global_store_b8 v3, v12, s[18:19]
	s_wait_xcnt 0x0
	s_or_b32 exec_lo, exec_lo, s17
	s_and_saveexec_b32 s17, s2
	s_cbranch_execz .LBB58_157
.LBB58_220:
	v_dual_sub_nc_u32 v3, v36, v18 :: v_dual_lshrrev_b32 v4, 8, v12
	v_readfirstlane_b32 s18, v52
	v_readfirstlane_b32 s19, v53
	global_store_b8 v3, v4, s[18:19]
	s_wait_xcnt 0x0
	s_or_b32 exec_lo, exec_lo, s17
	s_and_saveexec_b32 s17, s1
	s_cbranch_execnz .LBB58_158
	s_branch .LBB58_159
.LBB58_221:
	v_sub_nc_u32_e32 v2, v44, v18
	ds_store_b8 v2, v1
	s_or_b32 exec_lo, exec_lo, s17
	s_and_saveexec_b32 s13, s12
	s_cbranch_execz .LBB58_163
.LBB58_222:
	v_sub_nc_u32_e32 v1, v48, v18
	ds_store_b8 v1, v13
	s_or_b32 exec_lo, exec_lo, s13
	s_and_saveexec_b32 s12, s11
	s_cbranch_execz .LBB58_164
.LBB58_223:
	v_sub_nc_u32_e32 v1, v46, v18
	ds_store_b8 v1, v10
	s_or_b32 exec_lo, exec_lo, s12
	s_and_saveexec_b32 s11, s10
	s_cbranch_execz .LBB58_165
.LBB58_224:
	v_sub_nc_u32_e32 v1, v42, v18
	v_lshrrev_b32_e32 v2, 8, v10
	ds_store_b8 v1, v2
	s_or_b32 exec_lo, exec_lo, s11
	s_and_saveexec_b32 s10, s9
	s_cbranch_execz .LBB58_166
.LBB58_225:
	v_sub_nc_u32_e32 v1, v38, v18
	ds_store_b8_d16_hi v1, v10
	s_or_b32 exec_lo, exec_lo, s10
	s_and_saveexec_b32 s9, s8
	s_cbranch_execz .LBB58_167
.LBB58_226:
	v_sub_nc_u32_e32 v1, v32, v18
	v_lshrrev_b32_e32 v2, 24, v10
	ds_store_b8 v1, v2
	s_or_b32 exec_lo, exec_lo, s9
	s_and_saveexec_b32 s8, s7
	s_cbranch_execz .LBB58_168
.LBB58_227:
	v_sub_nc_u32_e32 v1, v34, v18
	ds_store_b8 v1, v11
	s_or_b32 exec_lo, exec_lo, s8
	s_and_saveexec_b32 s7, s6
	s_cbranch_execz .LBB58_169
.LBB58_228:
	v_dual_sub_nc_u32 v1, v40, v18 :: v_dual_lshrrev_b32 v2, 8, v11
	ds_store_b8 v1, v2
	s_or_b32 exec_lo, exec_lo, s7
	s_and_saveexec_b32 s6, s5
	s_cbranch_execz .LBB58_170
.LBB58_229:
	v_sub_nc_u32_e32 v1, v24, v18
	ds_store_b8_d16_hi v1, v11
	s_or_b32 exec_lo, exec_lo, s6
	s_and_saveexec_b32 s5, s4
	s_cbranch_execz .LBB58_171
.LBB58_230:
	v_dual_sub_nc_u32 v1, v26, v18 :: v_dual_lshrrev_b32 v2, 24, v11
	ds_store_b8 v1, v2
	s_or_b32 exec_lo, exec_lo, s5
	s_and_saveexec_b32 s4, s3
	s_cbranch_execz .LBB58_172
.LBB58_231:
	v_sub_nc_u32_e32 v1, v30, v18
	ds_store_b8 v1, v12
	s_or_b32 exec_lo, exec_lo, s4
	s_and_saveexec_b32 s3, s2
	s_cbranch_execz .LBB58_173
.LBB58_232:
	v_dual_sub_nc_u32 v1, v36, v18 :: v_dual_lshrrev_b32 v2, 8, v12
	ds_store_b8 v1, v2
	s_or_b32 exec_lo, exec_lo, s3
	s_and_saveexec_b32 s2, s1
	s_cbranch_execnz .LBB58_174
	s_branch .LBB58_175
.LBB58_233:
	v_dual_mov_b32 v9, 0 :: v_dual_sub_nc_u32 v10, v44, v6
	v_mov_b32_e32 v8, v45
	v_readfirstlane_b32 s18, v4
	v_readfirstlane_b32 s19, v5
	global_store_b64 v10, v[8:9], s[18:19] scale_offset
	s_wait_xcnt 0x0
	s_or_b32 exec_lo, exec_lo, s17
	s_and_saveexec_b32 s17, s12
	s_cbranch_execz .LBB58_179
.LBB58_234:
	v_dual_mov_b32 v9, 0 :: v_dual_sub_nc_u32 v10, v48, v6
	v_mov_b32_e32 v8, v49
	v_readfirstlane_b32 s18, v4
	v_readfirstlane_b32 s19, v5
	global_store_b64 v10, v[8:9], s[18:19] scale_offset
	s_wait_xcnt 0x0
	s_or_b32 exec_lo, exec_lo, s17
	s_and_saveexec_b32 s17, s11
	s_cbranch_execz .LBB58_180
.LBB58_235:
	v_dual_mov_b32 v9, 0 :: v_dual_sub_nc_u32 v10, v46, v6
	v_mov_b32_e32 v8, v47
	v_readfirstlane_b32 s18, v4
	v_readfirstlane_b32 s19, v5
	global_store_b64 v10, v[8:9], s[18:19] scale_offset
	s_wait_xcnt 0x0
	s_or_b32 exec_lo, exec_lo, s17
	s_and_saveexec_b32 s17, s10
	s_cbranch_execz .LBB58_181
.LBB58_236:
	v_dual_mov_b32 v9, 0 :: v_dual_sub_nc_u32 v10, v42, v6
	v_mov_b32_e32 v8, v43
	v_readfirstlane_b32 s18, v4
	v_readfirstlane_b32 s19, v5
	global_store_b64 v10, v[8:9], s[18:19] scale_offset
	s_wait_xcnt 0x0
	s_or_b32 exec_lo, exec_lo, s17
	s_and_saveexec_b32 s17, s9
	s_cbranch_execz .LBB58_182
.LBB58_237:
	v_dual_mov_b32 v9, 0 :: v_dual_sub_nc_u32 v10, v38, v6
	v_mov_b32_e32 v8, v39
	v_readfirstlane_b32 s18, v4
	v_readfirstlane_b32 s19, v5
	global_store_b64 v10, v[8:9], s[18:19] scale_offset
	s_wait_xcnt 0x0
	s_or_b32 exec_lo, exec_lo, s17
	s_and_saveexec_b32 s17, s8
	s_cbranch_execz .LBB58_183
.LBB58_238:
	v_dual_mov_b32 v9, 0 :: v_dual_sub_nc_u32 v10, v32, v6
	v_mov_b32_e32 v8, v33
	v_readfirstlane_b32 s18, v4
	v_readfirstlane_b32 s19, v5
	global_store_b64 v10, v[8:9], s[18:19] scale_offset
	s_wait_xcnt 0x0
	s_or_b32 exec_lo, exec_lo, s17
	s_and_saveexec_b32 s17, s7
	s_cbranch_execz .LBB58_184
.LBB58_239:
	v_dual_mov_b32 v9, 0 :: v_dual_sub_nc_u32 v10, v34, v6
	v_mov_b32_e32 v8, v35
	v_readfirstlane_b32 s18, v4
	v_readfirstlane_b32 s19, v5
	global_store_b64 v10, v[8:9], s[18:19] scale_offset
	s_wait_xcnt 0x0
	s_or_b32 exec_lo, exec_lo, s17
	s_and_saveexec_b32 s17, s6
	s_cbranch_execz .LBB58_185
.LBB58_240:
	v_dual_mov_b32 v9, 0 :: v_dual_sub_nc_u32 v10, v40, v6
	v_mov_b32_e32 v8, v41
	v_readfirstlane_b32 s18, v4
	v_readfirstlane_b32 s19, v5
	global_store_b64 v10, v[8:9], s[18:19] scale_offset
	s_wait_xcnt 0x0
	s_or_b32 exec_lo, exec_lo, s17
	s_and_saveexec_b32 s17, s5
	s_cbranch_execz .LBB58_186
.LBB58_241:
	v_dual_mov_b32 v9, 0 :: v_dual_sub_nc_u32 v10, v24, v6
	v_mov_b32_e32 v8, v25
	v_readfirstlane_b32 s18, v4
	v_readfirstlane_b32 s19, v5
	global_store_b64 v10, v[8:9], s[18:19] scale_offset
	s_wait_xcnt 0x0
	s_or_b32 exec_lo, exec_lo, s17
	s_and_saveexec_b32 s17, s4
	s_cbranch_execz .LBB58_187
.LBB58_242:
	v_dual_mov_b32 v9, 0 :: v_dual_sub_nc_u32 v10, v26, v6
	v_mov_b32_e32 v8, v27
	v_readfirstlane_b32 s18, v4
	v_readfirstlane_b32 s19, v5
	global_store_b64 v10, v[8:9], s[18:19] scale_offset
	s_wait_xcnt 0x0
	s_or_b32 exec_lo, exec_lo, s17
	s_and_saveexec_b32 s17, s3
	s_cbranch_execz .LBB58_188
.LBB58_243:
	v_dual_mov_b32 v9, 0 :: v_dual_sub_nc_u32 v10, v30, v6
	v_mov_b32_e32 v8, v31
	v_readfirstlane_b32 s18, v4
	v_readfirstlane_b32 s19, v5
	global_store_b64 v10, v[8:9], s[18:19] scale_offset
	s_wait_xcnt 0x0
	s_or_b32 exec_lo, exec_lo, s17
	s_and_saveexec_b32 s17, s2
	s_cbranch_execz .LBB58_189
.LBB58_244:
	v_dual_mov_b32 v9, 0 :: v_dual_sub_nc_u32 v10, v36, v6
	v_mov_b32_e32 v8, v37
	v_readfirstlane_b32 s18, v4
	v_readfirstlane_b32 s19, v5
	global_store_b64 v10, v[8:9], s[18:19] scale_offset
	s_wait_xcnt 0x0
	s_or_b32 exec_lo, exec_lo, s17
	s_and_saveexec_b32 s17, s1
	s_cbranch_execnz .LBB58_190
	s_branch .LBB58_191
.LBB58_245:
	v_sub_nc_u32_e32 v7, v44, v6
	s_delay_alu instid0(VALU_DEP_1)
	v_lshlrev_b32_e32 v7, 2, v7
	ds_store_b32 v7, v45
	s_or_b32 exec_lo, exec_lo, s17
	s_and_saveexec_b32 s13, s12
	s_cbranch_execz .LBB58_195
.LBB58_246:
	v_sub_nc_u32_e32 v7, v48, v6
	s_delay_alu instid0(VALU_DEP_1)
	v_lshlrev_b32_e32 v7, 2, v7
	ds_store_b32 v7, v49
	s_or_b32 exec_lo, exec_lo, s13
	s_and_saveexec_b32 s12, s11
	s_cbranch_execz .LBB58_196
.LBB58_247:
	v_sub_nc_u32_e32 v7, v46, v6
	s_delay_alu instid0(VALU_DEP_1)
	v_lshlrev_b32_e32 v7, 2, v7
	ds_store_b32 v7, v47
	s_or_b32 exec_lo, exec_lo, s12
	s_and_saveexec_b32 s11, s10
	s_cbranch_execz .LBB58_197
.LBB58_248:
	v_sub_nc_u32_e32 v7, v42, v6
	s_delay_alu instid0(VALU_DEP_1)
	v_lshlrev_b32_e32 v7, 2, v7
	ds_store_b32 v7, v43
	s_or_b32 exec_lo, exec_lo, s11
	s_and_saveexec_b32 s10, s9
	s_cbranch_execz .LBB58_198
.LBB58_249:
	v_sub_nc_u32_e32 v7, v38, v6
	s_delay_alu instid0(VALU_DEP_1)
	v_lshlrev_b32_e32 v7, 2, v7
	ds_store_b32 v7, v39
	s_or_b32 exec_lo, exec_lo, s10
	s_and_saveexec_b32 s9, s8
	s_cbranch_execz .LBB58_199
.LBB58_250:
	v_sub_nc_u32_e32 v7, v32, v6
	s_delay_alu instid0(VALU_DEP_1)
	v_lshlrev_b32_e32 v7, 2, v7
	ds_store_b32 v7, v33
	s_or_b32 exec_lo, exec_lo, s9
	s_and_saveexec_b32 s8, s7
	s_cbranch_execz .LBB58_200
.LBB58_251:
	v_sub_nc_u32_e32 v7, v34, v6
	s_delay_alu instid0(VALU_DEP_1)
	v_lshlrev_b32_e32 v7, 2, v7
	ds_store_b32 v7, v35
	s_or_b32 exec_lo, exec_lo, s8
	s_and_saveexec_b32 s7, s6
	s_cbranch_execz .LBB58_201
.LBB58_252:
	v_sub_nc_u32_e32 v7, v40, v6
	s_delay_alu instid0(VALU_DEP_1)
	v_lshlrev_b32_e32 v7, 2, v7
	ds_store_b32 v7, v41
	s_or_b32 exec_lo, exec_lo, s7
	s_and_saveexec_b32 s6, s5
	s_cbranch_execz .LBB58_202
.LBB58_253:
	v_sub_nc_u32_e32 v7, v24, v6
	s_delay_alu instid0(VALU_DEP_1)
	v_lshlrev_b32_e32 v7, 2, v7
	ds_store_b32 v7, v25
	s_or_b32 exec_lo, exec_lo, s6
	s_and_saveexec_b32 s5, s4
	s_cbranch_execz .LBB58_203
.LBB58_254:
	v_sub_nc_u32_e32 v7, v26, v6
	s_delay_alu instid0(VALU_DEP_1)
	v_lshlrev_b32_e32 v7, 2, v7
	ds_store_b32 v7, v27
	s_or_b32 exec_lo, exec_lo, s5
	s_and_saveexec_b32 s4, s3
	s_cbranch_execz .LBB58_204
.LBB58_255:
	v_sub_nc_u32_e32 v7, v30, v6
	s_delay_alu instid0(VALU_DEP_1)
	v_lshlrev_b32_e32 v7, 2, v7
	ds_store_b32 v7, v31
	s_or_b32 exec_lo, exec_lo, s4
	s_and_saveexec_b32 s3, s2
	s_cbranch_execz .LBB58_205
.LBB58_256:
	v_sub_nc_u32_e32 v7, v36, v6
	s_delay_alu instid0(VALU_DEP_1)
	v_lshlrev_b32_e32 v7, 2, v7
	ds_store_b32 v7, v37
	s_or_b32 exec_lo, exec_lo, s3
	s_and_saveexec_b32 s2, s1
	s_cbranch_execnz .LBB58_206
	s_branch .LBB58_207
	.section	.rodata,"a",@progbits
	.p2align	6, 0x0
	.amdhsa_kernel _ZN7rocprim17ROCPRIM_400000_NS6detail17trampoline_kernelINS0_14default_configENS1_33run_length_encode_config_selectorIbjNS0_4plusIjEEEEZZNS1_33reduce_by_key_impl_wrapped_configILNS1_25lookback_scan_determinismE0ES3_S7_N6hipcub16HIPCUB_304000_NS22TransformInputIteratorIbN2at6native8internal12_GLOBAL__N_110LoadBoolOpEPKhlEENS0_17constant_iteratorIjlEEPbPlSO_S6_NS0_8equal_toIbEEEE10hipError_tPvRmT2_T3_mT4_T5_T6_T7_T8_P12ihipStream_tbENKUlT_T0_E_clISt17integral_constantIbLb0EES18_EEDaS13_S14_EUlS13_E_NS1_11comp_targetILNS1_3genE0ELNS1_11target_archE4294967295ELNS1_3gpuE0ELNS1_3repE0EEENS1_30default_config_static_selectorELNS0_4arch9wavefront6targetE0EEEvT1_
		.amdhsa_group_segment_fixed_size 14336
		.amdhsa_private_segment_fixed_size 0
		.amdhsa_kernarg_size 136
		.amdhsa_user_sgpr_count 2
		.amdhsa_user_sgpr_dispatch_ptr 0
		.amdhsa_user_sgpr_queue_ptr 0
		.amdhsa_user_sgpr_kernarg_segment_ptr 1
		.amdhsa_user_sgpr_dispatch_id 0
		.amdhsa_user_sgpr_kernarg_preload_length 0
		.amdhsa_user_sgpr_kernarg_preload_offset 0
		.amdhsa_user_sgpr_private_segment_size 0
		.amdhsa_wavefront_size32 1
		.amdhsa_uses_dynamic_stack 0
		.amdhsa_enable_private_segment 0
		.amdhsa_system_sgpr_workgroup_id_x 1
		.amdhsa_system_sgpr_workgroup_id_y 0
		.amdhsa_system_sgpr_workgroup_id_z 0
		.amdhsa_system_sgpr_workgroup_info 0
		.amdhsa_system_vgpr_workitem_id 0
		.amdhsa_next_free_vgpr 104
		.amdhsa_next_free_sgpr 39
		.amdhsa_named_barrier_count 0
		.amdhsa_reserve_vcc 1
		.amdhsa_float_round_mode_32 0
		.amdhsa_float_round_mode_16_64 0
		.amdhsa_float_denorm_mode_32 3
		.amdhsa_float_denorm_mode_16_64 3
		.amdhsa_fp16_overflow 0
		.amdhsa_memory_ordered 1
		.amdhsa_forward_progress 1
		.amdhsa_inst_pref_size 126
		.amdhsa_round_robin_scheduling 0
		.amdhsa_exception_fp_ieee_invalid_op 0
		.amdhsa_exception_fp_denorm_src 0
		.amdhsa_exception_fp_ieee_div_zero 0
		.amdhsa_exception_fp_ieee_overflow 0
		.amdhsa_exception_fp_ieee_underflow 0
		.amdhsa_exception_fp_ieee_inexact 0
		.amdhsa_exception_int_div_zero 0
	.end_amdhsa_kernel
	.section	.text._ZN7rocprim17ROCPRIM_400000_NS6detail17trampoline_kernelINS0_14default_configENS1_33run_length_encode_config_selectorIbjNS0_4plusIjEEEEZZNS1_33reduce_by_key_impl_wrapped_configILNS1_25lookback_scan_determinismE0ES3_S7_N6hipcub16HIPCUB_304000_NS22TransformInputIteratorIbN2at6native8internal12_GLOBAL__N_110LoadBoolOpEPKhlEENS0_17constant_iteratorIjlEEPbPlSO_S6_NS0_8equal_toIbEEEE10hipError_tPvRmT2_T3_mT4_T5_T6_T7_T8_P12ihipStream_tbENKUlT_T0_E_clISt17integral_constantIbLb0EES18_EEDaS13_S14_EUlS13_E_NS1_11comp_targetILNS1_3genE0ELNS1_11target_archE4294967295ELNS1_3gpuE0ELNS1_3repE0EEENS1_30default_config_static_selectorELNS0_4arch9wavefront6targetE0EEEvT1_,"axG",@progbits,_ZN7rocprim17ROCPRIM_400000_NS6detail17trampoline_kernelINS0_14default_configENS1_33run_length_encode_config_selectorIbjNS0_4plusIjEEEEZZNS1_33reduce_by_key_impl_wrapped_configILNS1_25lookback_scan_determinismE0ES3_S7_N6hipcub16HIPCUB_304000_NS22TransformInputIteratorIbN2at6native8internal12_GLOBAL__N_110LoadBoolOpEPKhlEENS0_17constant_iteratorIjlEEPbPlSO_S6_NS0_8equal_toIbEEEE10hipError_tPvRmT2_T3_mT4_T5_T6_T7_T8_P12ihipStream_tbENKUlT_T0_E_clISt17integral_constantIbLb0EES18_EEDaS13_S14_EUlS13_E_NS1_11comp_targetILNS1_3genE0ELNS1_11target_archE4294967295ELNS1_3gpuE0ELNS1_3repE0EEENS1_30default_config_static_selectorELNS0_4arch9wavefront6targetE0EEEvT1_,comdat
.Lfunc_end58:
	.size	_ZN7rocprim17ROCPRIM_400000_NS6detail17trampoline_kernelINS0_14default_configENS1_33run_length_encode_config_selectorIbjNS0_4plusIjEEEEZZNS1_33reduce_by_key_impl_wrapped_configILNS1_25lookback_scan_determinismE0ES3_S7_N6hipcub16HIPCUB_304000_NS22TransformInputIteratorIbN2at6native8internal12_GLOBAL__N_110LoadBoolOpEPKhlEENS0_17constant_iteratorIjlEEPbPlSO_S6_NS0_8equal_toIbEEEE10hipError_tPvRmT2_T3_mT4_T5_T6_T7_T8_P12ihipStream_tbENKUlT_T0_E_clISt17integral_constantIbLb0EES18_EEDaS13_S14_EUlS13_E_NS1_11comp_targetILNS1_3genE0ELNS1_11target_archE4294967295ELNS1_3gpuE0ELNS1_3repE0EEENS1_30default_config_static_selectorELNS0_4arch9wavefront6targetE0EEEvT1_, .Lfunc_end58-_ZN7rocprim17ROCPRIM_400000_NS6detail17trampoline_kernelINS0_14default_configENS1_33run_length_encode_config_selectorIbjNS0_4plusIjEEEEZZNS1_33reduce_by_key_impl_wrapped_configILNS1_25lookback_scan_determinismE0ES3_S7_N6hipcub16HIPCUB_304000_NS22TransformInputIteratorIbN2at6native8internal12_GLOBAL__N_110LoadBoolOpEPKhlEENS0_17constant_iteratorIjlEEPbPlSO_S6_NS0_8equal_toIbEEEE10hipError_tPvRmT2_T3_mT4_T5_T6_T7_T8_P12ihipStream_tbENKUlT_T0_E_clISt17integral_constantIbLb0EES18_EEDaS13_S14_EUlS13_E_NS1_11comp_targetILNS1_3genE0ELNS1_11target_archE4294967295ELNS1_3gpuE0ELNS1_3repE0EEENS1_30default_config_static_selectorELNS0_4arch9wavefront6targetE0EEEvT1_
                                        ; -- End function
	.set _ZN7rocprim17ROCPRIM_400000_NS6detail17trampoline_kernelINS0_14default_configENS1_33run_length_encode_config_selectorIbjNS0_4plusIjEEEEZZNS1_33reduce_by_key_impl_wrapped_configILNS1_25lookback_scan_determinismE0ES3_S7_N6hipcub16HIPCUB_304000_NS22TransformInputIteratorIbN2at6native8internal12_GLOBAL__N_110LoadBoolOpEPKhlEENS0_17constant_iteratorIjlEEPbPlSO_S6_NS0_8equal_toIbEEEE10hipError_tPvRmT2_T3_mT4_T5_T6_T7_T8_P12ihipStream_tbENKUlT_T0_E_clISt17integral_constantIbLb0EES18_EEDaS13_S14_EUlS13_E_NS1_11comp_targetILNS1_3genE0ELNS1_11target_archE4294967295ELNS1_3gpuE0ELNS1_3repE0EEENS1_30default_config_static_selectorELNS0_4arch9wavefront6targetE0EEEvT1_.num_vgpr, 104
	.set _ZN7rocprim17ROCPRIM_400000_NS6detail17trampoline_kernelINS0_14default_configENS1_33run_length_encode_config_selectorIbjNS0_4plusIjEEEEZZNS1_33reduce_by_key_impl_wrapped_configILNS1_25lookback_scan_determinismE0ES3_S7_N6hipcub16HIPCUB_304000_NS22TransformInputIteratorIbN2at6native8internal12_GLOBAL__N_110LoadBoolOpEPKhlEENS0_17constant_iteratorIjlEEPbPlSO_S6_NS0_8equal_toIbEEEE10hipError_tPvRmT2_T3_mT4_T5_T6_T7_T8_P12ihipStream_tbENKUlT_T0_E_clISt17integral_constantIbLb0EES18_EEDaS13_S14_EUlS13_E_NS1_11comp_targetILNS1_3genE0ELNS1_11target_archE4294967295ELNS1_3gpuE0ELNS1_3repE0EEENS1_30default_config_static_selectorELNS0_4arch9wavefront6targetE0EEEvT1_.num_agpr, 0
	.set _ZN7rocprim17ROCPRIM_400000_NS6detail17trampoline_kernelINS0_14default_configENS1_33run_length_encode_config_selectorIbjNS0_4plusIjEEEEZZNS1_33reduce_by_key_impl_wrapped_configILNS1_25lookback_scan_determinismE0ES3_S7_N6hipcub16HIPCUB_304000_NS22TransformInputIteratorIbN2at6native8internal12_GLOBAL__N_110LoadBoolOpEPKhlEENS0_17constant_iteratorIjlEEPbPlSO_S6_NS0_8equal_toIbEEEE10hipError_tPvRmT2_T3_mT4_T5_T6_T7_T8_P12ihipStream_tbENKUlT_T0_E_clISt17integral_constantIbLb0EES18_EEDaS13_S14_EUlS13_E_NS1_11comp_targetILNS1_3genE0ELNS1_11target_archE4294967295ELNS1_3gpuE0ELNS1_3repE0EEENS1_30default_config_static_selectorELNS0_4arch9wavefront6targetE0EEEvT1_.numbered_sgpr, 39
	.set _ZN7rocprim17ROCPRIM_400000_NS6detail17trampoline_kernelINS0_14default_configENS1_33run_length_encode_config_selectorIbjNS0_4plusIjEEEEZZNS1_33reduce_by_key_impl_wrapped_configILNS1_25lookback_scan_determinismE0ES3_S7_N6hipcub16HIPCUB_304000_NS22TransformInputIteratorIbN2at6native8internal12_GLOBAL__N_110LoadBoolOpEPKhlEENS0_17constant_iteratorIjlEEPbPlSO_S6_NS0_8equal_toIbEEEE10hipError_tPvRmT2_T3_mT4_T5_T6_T7_T8_P12ihipStream_tbENKUlT_T0_E_clISt17integral_constantIbLb0EES18_EEDaS13_S14_EUlS13_E_NS1_11comp_targetILNS1_3genE0ELNS1_11target_archE4294967295ELNS1_3gpuE0ELNS1_3repE0EEENS1_30default_config_static_selectorELNS0_4arch9wavefront6targetE0EEEvT1_.num_named_barrier, 0
	.set _ZN7rocprim17ROCPRIM_400000_NS6detail17trampoline_kernelINS0_14default_configENS1_33run_length_encode_config_selectorIbjNS0_4plusIjEEEEZZNS1_33reduce_by_key_impl_wrapped_configILNS1_25lookback_scan_determinismE0ES3_S7_N6hipcub16HIPCUB_304000_NS22TransformInputIteratorIbN2at6native8internal12_GLOBAL__N_110LoadBoolOpEPKhlEENS0_17constant_iteratorIjlEEPbPlSO_S6_NS0_8equal_toIbEEEE10hipError_tPvRmT2_T3_mT4_T5_T6_T7_T8_P12ihipStream_tbENKUlT_T0_E_clISt17integral_constantIbLb0EES18_EEDaS13_S14_EUlS13_E_NS1_11comp_targetILNS1_3genE0ELNS1_11target_archE4294967295ELNS1_3gpuE0ELNS1_3repE0EEENS1_30default_config_static_selectorELNS0_4arch9wavefront6targetE0EEEvT1_.private_seg_size, 0
	.set _ZN7rocprim17ROCPRIM_400000_NS6detail17trampoline_kernelINS0_14default_configENS1_33run_length_encode_config_selectorIbjNS0_4plusIjEEEEZZNS1_33reduce_by_key_impl_wrapped_configILNS1_25lookback_scan_determinismE0ES3_S7_N6hipcub16HIPCUB_304000_NS22TransformInputIteratorIbN2at6native8internal12_GLOBAL__N_110LoadBoolOpEPKhlEENS0_17constant_iteratorIjlEEPbPlSO_S6_NS0_8equal_toIbEEEE10hipError_tPvRmT2_T3_mT4_T5_T6_T7_T8_P12ihipStream_tbENKUlT_T0_E_clISt17integral_constantIbLb0EES18_EEDaS13_S14_EUlS13_E_NS1_11comp_targetILNS1_3genE0ELNS1_11target_archE4294967295ELNS1_3gpuE0ELNS1_3repE0EEENS1_30default_config_static_selectorELNS0_4arch9wavefront6targetE0EEEvT1_.uses_vcc, 1
	.set _ZN7rocprim17ROCPRIM_400000_NS6detail17trampoline_kernelINS0_14default_configENS1_33run_length_encode_config_selectorIbjNS0_4plusIjEEEEZZNS1_33reduce_by_key_impl_wrapped_configILNS1_25lookback_scan_determinismE0ES3_S7_N6hipcub16HIPCUB_304000_NS22TransformInputIteratorIbN2at6native8internal12_GLOBAL__N_110LoadBoolOpEPKhlEENS0_17constant_iteratorIjlEEPbPlSO_S6_NS0_8equal_toIbEEEE10hipError_tPvRmT2_T3_mT4_T5_T6_T7_T8_P12ihipStream_tbENKUlT_T0_E_clISt17integral_constantIbLb0EES18_EEDaS13_S14_EUlS13_E_NS1_11comp_targetILNS1_3genE0ELNS1_11target_archE4294967295ELNS1_3gpuE0ELNS1_3repE0EEENS1_30default_config_static_selectorELNS0_4arch9wavefront6targetE0EEEvT1_.uses_flat_scratch, 0
	.set _ZN7rocprim17ROCPRIM_400000_NS6detail17trampoline_kernelINS0_14default_configENS1_33run_length_encode_config_selectorIbjNS0_4plusIjEEEEZZNS1_33reduce_by_key_impl_wrapped_configILNS1_25lookback_scan_determinismE0ES3_S7_N6hipcub16HIPCUB_304000_NS22TransformInputIteratorIbN2at6native8internal12_GLOBAL__N_110LoadBoolOpEPKhlEENS0_17constant_iteratorIjlEEPbPlSO_S6_NS0_8equal_toIbEEEE10hipError_tPvRmT2_T3_mT4_T5_T6_T7_T8_P12ihipStream_tbENKUlT_T0_E_clISt17integral_constantIbLb0EES18_EEDaS13_S14_EUlS13_E_NS1_11comp_targetILNS1_3genE0ELNS1_11target_archE4294967295ELNS1_3gpuE0ELNS1_3repE0EEENS1_30default_config_static_selectorELNS0_4arch9wavefront6targetE0EEEvT1_.has_dyn_sized_stack, 0
	.set _ZN7rocprim17ROCPRIM_400000_NS6detail17trampoline_kernelINS0_14default_configENS1_33run_length_encode_config_selectorIbjNS0_4plusIjEEEEZZNS1_33reduce_by_key_impl_wrapped_configILNS1_25lookback_scan_determinismE0ES3_S7_N6hipcub16HIPCUB_304000_NS22TransformInputIteratorIbN2at6native8internal12_GLOBAL__N_110LoadBoolOpEPKhlEENS0_17constant_iteratorIjlEEPbPlSO_S6_NS0_8equal_toIbEEEE10hipError_tPvRmT2_T3_mT4_T5_T6_T7_T8_P12ihipStream_tbENKUlT_T0_E_clISt17integral_constantIbLb0EES18_EEDaS13_S14_EUlS13_E_NS1_11comp_targetILNS1_3genE0ELNS1_11target_archE4294967295ELNS1_3gpuE0ELNS1_3repE0EEENS1_30default_config_static_selectorELNS0_4arch9wavefront6targetE0EEEvT1_.has_recursion, 0
	.set _ZN7rocprim17ROCPRIM_400000_NS6detail17trampoline_kernelINS0_14default_configENS1_33run_length_encode_config_selectorIbjNS0_4plusIjEEEEZZNS1_33reduce_by_key_impl_wrapped_configILNS1_25lookback_scan_determinismE0ES3_S7_N6hipcub16HIPCUB_304000_NS22TransformInputIteratorIbN2at6native8internal12_GLOBAL__N_110LoadBoolOpEPKhlEENS0_17constant_iteratorIjlEEPbPlSO_S6_NS0_8equal_toIbEEEE10hipError_tPvRmT2_T3_mT4_T5_T6_T7_T8_P12ihipStream_tbENKUlT_T0_E_clISt17integral_constantIbLb0EES18_EEDaS13_S14_EUlS13_E_NS1_11comp_targetILNS1_3genE0ELNS1_11target_archE4294967295ELNS1_3gpuE0ELNS1_3repE0EEENS1_30default_config_static_selectorELNS0_4arch9wavefront6targetE0EEEvT1_.has_indirect_call, 0
	.section	.AMDGPU.csdata,"",@progbits
; Kernel info:
; codeLenInByte = 16124
; TotalNumSgprs: 41
; NumVgprs: 104
; ScratchSize: 0
; MemoryBound: 0
; FloatMode: 240
; IeeeMode: 1
; LDSByteSize: 14336 bytes/workgroup (compile time only)
; SGPRBlocks: 0
; VGPRBlocks: 6
; NumSGPRsForWavesPerEU: 41
; NumVGPRsForWavesPerEU: 104
; NamedBarCnt: 0
; Occupancy: 9
; WaveLimiterHint : 1
; COMPUTE_PGM_RSRC2:SCRATCH_EN: 0
; COMPUTE_PGM_RSRC2:USER_SGPR: 2
; COMPUTE_PGM_RSRC2:TRAP_HANDLER: 0
; COMPUTE_PGM_RSRC2:TGID_X_EN: 1
; COMPUTE_PGM_RSRC2:TGID_Y_EN: 0
; COMPUTE_PGM_RSRC2:TGID_Z_EN: 0
; COMPUTE_PGM_RSRC2:TIDIG_COMP_CNT: 0
	.section	.text._ZN7rocprim17ROCPRIM_400000_NS6detail17trampoline_kernelINS0_14default_configENS1_33run_length_encode_config_selectorIbjNS0_4plusIjEEEEZZNS1_33reduce_by_key_impl_wrapped_configILNS1_25lookback_scan_determinismE0ES3_S7_N6hipcub16HIPCUB_304000_NS22TransformInputIteratorIbN2at6native8internal12_GLOBAL__N_110LoadBoolOpEPKhlEENS0_17constant_iteratorIjlEEPbPlSO_S6_NS0_8equal_toIbEEEE10hipError_tPvRmT2_T3_mT4_T5_T6_T7_T8_P12ihipStream_tbENKUlT_T0_E_clISt17integral_constantIbLb0EES18_EEDaS13_S14_EUlS13_E_NS1_11comp_targetILNS1_3genE5ELNS1_11target_archE942ELNS1_3gpuE9ELNS1_3repE0EEENS1_30default_config_static_selectorELNS0_4arch9wavefront6targetE0EEEvT1_,"axG",@progbits,_ZN7rocprim17ROCPRIM_400000_NS6detail17trampoline_kernelINS0_14default_configENS1_33run_length_encode_config_selectorIbjNS0_4plusIjEEEEZZNS1_33reduce_by_key_impl_wrapped_configILNS1_25lookback_scan_determinismE0ES3_S7_N6hipcub16HIPCUB_304000_NS22TransformInputIteratorIbN2at6native8internal12_GLOBAL__N_110LoadBoolOpEPKhlEENS0_17constant_iteratorIjlEEPbPlSO_S6_NS0_8equal_toIbEEEE10hipError_tPvRmT2_T3_mT4_T5_T6_T7_T8_P12ihipStream_tbENKUlT_T0_E_clISt17integral_constantIbLb0EES18_EEDaS13_S14_EUlS13_E_NS1_11comp_targetILNS1_3genE5ELNS1_11target_archE942ELNS1_3gpuE9ELNS1_3repE0EEENS1_30default_config_static_selectorELNS0_4arch9wavefront6targetE0EEEvT1_,comdat
	.globl	_ZN7rocprim17ROCPRIM_400000_NS6detail17trampoline_kernelINS0_14default_configENS1_33run_length_encode_config_selectorIbjNS0_4plusIjEEEEZZNS1_33reduce_by_key_impl_wrapped_configILNS1_25lookback_scan_determinismE0ES3_S7_N6hipcub16HIPCUB_304000_NS22TransformInputIteratorIbN2at6native8internal12_GLOBAL__N_110LoadBoolOpEPKhlEENS0_17constant_iteratorIjlEEPbPlSO_S6_NS0_8equal_toIbEEEE10hipError_tPvRmT2_T3_mT4_T5_T6_T7_T8_P12ihipStream_tbENKUlT_T0_E_clISt17integral_constantIbLb0EES18_EEDaS13_S14_EUlS13_E_NS1_11comp_targetILNS1_3genE5ELNS1_11target_archE942ELNS1_3gpuE9ELNS1_3repE0EEENS1_30default_config_static_selectorELNS0_4arch9wavefront6targetE0EEEvT1_ ; -- Begin function _ZN7rocprim17ROCPRIM_400000_NS6detail17trampoline_kernelINS0_14default_configENS1_33run_length_encode_config_selectorIbjNS0_4plusIjEEEEZZNS1_33reduce_by_key_impl_wrapped_configILNS1_25lookback_scan_determinismE0ES3_S7_N6hipcub16HIPCUB_304000_NS22TransformInputIteratorIbN2at6native8internal12_GLOBAL__N_110LoadBoolOpEPKhlEENS0_17constant_iteratorIjlEEPbPlSO_S6_NS0_8equal_toIbEEEE10hipError_tPvRmT2_T3_mT4_T5_T6_T7_T8_P12ihipStream_tbENKUlT_T0_E_clISt17integral_constantIbLb0EES18_EEDaS13_S14_EUlS13_E_NS1_11comp_targetILNS1_3genE5ELNS1_11target_archE942ELNS1_3gpuE9ELNS1_3repE0EEENS1_30default_config_static_selectorELNS0_4arch9wavefront6targetE0EEEvT1_
	.p2align	8
	.type	_ZN7rocprim17ROCPRIM_400000_NS6detail17trampoline_kernelINS0_14default_configENS1_33run_length_encode_config_selectorIbjNS0_4plusIjEEEEZZNS1_33reduce_by_key_impl_wrapped_configILNS1_25lookback_scan_determinismE0ES3_S7_N6hipcub16HIPCUB_304000_NS22TransformInputIteratorIbN2at6native8internal12_GLOBAL__N_110LoadBoolOpEPKhlEENS0_17constant_iteratorIjlEEPbPlSO_S6_NS0_8equal_toIbEEEE10hipError_tPvRmT2_T3_mT4_T5_T6_T7_T8_P12ihipStream_tbENKUlT_T0_E_clISt17integral_constantIbLb0EES18_EEDaS13_S14_EUlS13_E_NS1_11comp_targetILNS1_3genE5ELNS1_11target_archE942ELNS1_3gpuE9ELNS1_3repE0EEENS1_30default_config_static_selectorELNS0_4arch9wavefront6targetE0EEEvT1_,@function
_ZN7rocprim17ROCPRIM_400000_NS6detail17trampoline_kernelINS0_14default_configENS1_33run_length_encode_config_selectorIbjNS0_4plusIjEEEEZZNS1_33reduce_by_key_impl_wrapped_configILNS1_25lookback_scan_determinismE0ES3_S7_N6hipcub16HIPCUB_304000_NS22TransformInputIteratorIbN2at6native8internal12_GLOBAL__N_110LoadBoolOpEPKhlEENS0_17constant_iteratorIjlEEPbPlSO_S6_NS0_8equal_toIbEEEE10hipError_tPvRmT2_T3_mT4_T5_T6_T7_T8_P12ihipStream_tbENKUlT_T0_E_clISt17integral_constantIbLb0EES18_EEDaS13_S14_EUlS13_E_NS1_11comp_targetILNS1_3genE5ELNS1_11target_archE942ELNS1_3gpuE9ELNS1_3repE0EEENS1_30default_config_static_selectorELNS0_4arch9wavefront6targetE0EEEvT1_: ; @_ZN7rocprim17ROCPRIM_400000_NS6detail17trampoline_kernelINS0_14default_configENS1_33run_length_encode_config_selectorIbjNS0_4plusIjEEEEZZNS1_33reduce_by_key_impl_wrapped_configILNS1_25lookback_scan_determinismE0ES3_S7_N6hipcub16HIPCUB_304000_NS22TransformInputIteratorIbN2at6native8internal12_GLOBAL__N_110LoadBoolOpEPKhlEENS0_17constant_iteratorIjlEEPbPlSO_S6_NS0_8equal_toIbEEEE10hipError_tPvRmT2_T3_mT4_T5_T6_T7_T8_P12ihipStream_tbENKUlT_T0_E_clISt17integral_constantIbLb0EES18_EEDaS13_S14_EUlS13_E_NS1_11comp_targetILNS1_3genE5ELNS1_11target_archE942ELNS1_3gpuE9ELNS1_3repE0EEENS1_30default_config_static_selectorELNS0_4arch9wavefront6targetE0EEEvT1_
; %bb.0:
	.section	.rodata,"a",@progbits
	.p2align	6, 0x0
	.amdhsa_kernel _ZN7rocprim17ROCPRIM_400000_NS6detail17trampoline_kernelINS0_14default_configENS1_33run_length_encode_config_selectorIbjNS0_4plusIjEEEEZZNS1_33reduce_by_key_impl_wrapped_configILNS1_25lookback_scan_determinismE0ES3_S7_N6hipcub16HIPCUB_304000_NS22TransformInputIteratorIbN2at6native8internal12_GLOBAL__N_110LoadBoolOpEPKhlEENS0_17constant_iteratorIjlEEPbPlSO_S6_NS0_8equal_toIbEEEE10hipError_tPvRmT2_T3_mT4_T5_T6_T7_T8_P12ihipStream_tbENKUlT_T0_E_clISt17integral_constantIbLb0EES18_EEDaS13_S14_EUlS13_E_NS1_11comp_targetILNS1_3genE5ELNS1_11target_archE942ELNS1_3gpuE9ELNS1_3repE0EEENS1_30default_config_static_selectorELNS0_4arch9wavefront6targetE0EEEvT1_
		.amdhsa_group_segment_fixed_size 0
		.amdhsa_private_segment_fixed_size 0
		.amdhsa_kernarg_size 136
		.amdhsa_user_sgpr_count 2
		.amdhsa_user_sgpr_dispatch_ptr 0
		.amdhsa_user_sgpr_queue_ptr 0
		.amdhsa_user_sgpr_kernarg_segment_ptr 1
		.amdhsa_user_sgpr_dispatch_id 0
		.amdhsa_user_sgpr_kernarg_preload_length 0
		.amdhsa_user_sgpr_kernarg_preload_offset 0
		.amdhsa_user_sgpr_private_segment_size 0
		.amdhsa_wavefront_size32 1
		.amdhsa_uses_dynamic_stack 0
		.amdhsa_enable_private_segment 0
		.amdhsa_system_sgpr_workgroup_id_x 1
		.amdhsa_system_sgpr_workgroup_id_y 0
		.amdhsa_system_sgpr_workgroup_id_z 0
		.amdhsa_system_sgpr_workgroup_info 0
		.amdhsa_system_vgpr_workitem_id 0
		.amdhsa_next_free_vgpr 1
		.amdhsa_next_free_sgpr 1
		.amdhsa_named_barrier_count 0
		.amdhsa_reserve_vcc 0
		.amdhsa_float_round_mode_32 0
		.amdhsa_float_round_mode_16_64 0
		.amdhsa_float_denorm_mode_32 3
		.amdhsa_float_denorm_mode_16_64 3
		.amdhsa_fp16_overflow 0
		.amdhsa_memory_ordered 1
		.amdhsa_forward_progress 1
		.amdhsa_inst_pref_size 0
		.amdhsa_round_robin_scheduling 0
		.amdhsa_exception_fp_ieee_invalid_op 0
		.amdhsa_exception_fp_denorm_src 0
		.amdhsa_exception_fp_ieee_div_zero 0
		.amdhsa_exception_fp_ieee_overflow 0
		.amdhsa_exception_fp_ieee_underflow 0
		.amdhsa_exception_fp_ieee_inexact 0
		.amdhsa_exception_int_div_zero 0
	.end_amdhsa_kernel
	.section	.text._ZN7rocprim17ROCPRIM_400000_NS6detail17trampoline_kernelINS0_14default_configENS1_33run_length_encode_config_selectorIbjNS0_4plusIjEEEEZZNS1_33reduce_by_key_impl_wrapped_configILNS1_25lookback_scan_determinismE0ES3_S7_N6hipcub16HIPCUB_304000_NS22TransformInputIteratorIbN2at6native8internal12_GLOBAL__N_110LoadBoolOpEPKhlEENS0_17constant_iteratorIjlEEPbPlSO_S6_NS0_8equal_toIbEEEE10hipError_tPvRmT2_T3_mT4_T5_T6_T7_T8_P12ihipStream_tbENKUlT_T0_E_clISt17integral_constantIbLb0EES18_EEDaS13_S14_EUlS13_E_NS1_11comp_targetILNS1_3genE5ELNS1_11target_archE942ELNS1_3gpuE9ELNS1_3repE0EEENS1_30default_config_static_selectorELNS0_4arch9wavefront6targetE0EEEvT1_,"axG",@progbits,_ZN7rocprim17ROCPRIM_400000_NS6detail17trampoline_kernelINS0_14default_configENS1_33run_length_encode_config_selectorIbjNS0_4plusIjEEEEZZNS1_33reduce_by_key_impl_wrapped_configILNS1_25lookback_scan_determinismE0ES3_S7_N6hipcub16HIPCUB_304000_NS22TransformInputIteratorIbN2at6native8internal12_GLOBAL__N_110LoadBoolOpEPKhlEENS0_17constant_iteratorIjlEEPbPlSO_S6_NS0_8equal_toIbEEEE10hipError_tPvRmT2_T3_mT4_T5_T6_T7_T8_P12ihipStream_tbENKUlT_T0_E_clISt17integral_constantIbLb0EES18_EEDaS13_S14_EUlS13_E_NS1_11comp_targetILNS1_3genE5ELNS1_11target_archE942ELNS1_3gpuE9ELNS1_3repE0EEENS1_30default_config_static_selectorELNS0_4arch9wavefront6targetE0EEEvT1_,comdat
.Lfunc_end59:
	.size	_ZN7rocprim17ROCPRIM_400000_NS6detail17trampoline_kernelINS0_14default_configENS1_33run_length_encode_config_selectorIbjNS0_4plusIjEEEEZZNS1_33reduce_by_key_impl_wrapped_configILNS1_25lookback_scan_determinismE0ES3_S7_N6hipcub16HIPCUB_304000_NS22TransformInputIteratorIbN2at6native8internal12_GLOBAL__N_110LoadBoolOpEPKhlEENS0_17constant_iteratorIjlEEPbPlSO_S6_NS0_8equal_toIbEEEE10hipError_tPvRmT2_T3_mT4_T5_T6_T7_T8_P12ihipStream_tbENKUlT_T0_E_clISt17integral_constantIbLb0EES18_EEDaS13_S14_EUlS13_E_NS1_11comp_targetILNS1_3genE5ELNS1_11target_archE942ELNS1_3gpuE9ELNS1_3repE0EEENS1_30default_config_static_selectorELNS0_4arch9wavefront6targetE0EEEvT1_, .Lfunc_end59-_ZN7rocprim17ROCPRIM_400000_NS6detail17trampoline_kernelINS0_14default_configENS1_33run_length_encode_config_selectorIbjNS0_4plusIjEEEEZZNS1_33reduce_by_key_impl_wrapped_configILNS1_25lookback_scan_determinismE0ES3_S7_N6hipcub16HIPCUB_304000_NS22TransformInputIteratorIbN2at6native8internal12_GLOBAL__N_110LoadBoolOpEPKhlEENS0_17constant_iteratorIjlEEPbPlSO_S6_NS0_8equal_toIbEEEE10hipError_tPvRmT2_T3_mT4_T5_T6_T7_T8_P12ihipStream_tbENKUlT_T0_E_clISt17integral_constantIbLb0EES18_EEDaS13_S14_EUlS13_E_NS1_11comp_targetILNS1_3genE5ELNS1_11target_archE942ELNS1_3gpuE9ELNS1_3repE0EEENS1_30default_config_static_selectorELNS0_4arch9wavefront6targetE0EEEvT1_
                                        ; -- End function
	.set _ZN7rocprim17ROCPRIM_400000_NS6detail17trampoline_kernelINS0_14default_configENS1_33run_length_encode_config_selectorIbjNS0_4plusIjEEEEZZNS1_33reduce_by_key_impl_wrapped_configILNS1_25lookback_scan_determinismE0ES3_S7_N6hipcub16HIPCUB_304000_NS22TransformInputIteratorIbN2at6native8internal12_GLOBAL__N_110LoadBoolOpEPKhlEENS0_17constant_iteratorIjlEEPbPlSO_S6_NS0_8equal_toIbEEEE10hipError_tPvRmT2_T3_mT4_T5_T6_T7_T8_P12ihipStream_tbENKUlT_T0_E_clISt17integral_constantIbLb0EES18_EEDaS13_S14_EUlS13_E_NS1_11comp_targetILNS1_3genE5ELNS1_11target_archE942ELNS1_3gpuE9ELNS1_3repE0EEENS1_30default_config_static_selectorELNS0_4arch9wavefront6targetE0EEEvT1_.num_vgpr, 0
	.set _ZN7rocprim17ROCPRIM_400000_NS6detail17trampoline_kernelINS0_14default_configENS1_33run_length_encode_config_selectorIbjNS0_4plusIjEEEEZZNS1_33reduce_by_key_impl_wrapped_configILNS1_25lookback_scan_determinismE0ES3_S7_N6hipcub16HIPCUB_304000_NS22TransformInputIteratorIbN2at6native8internal12_GLOBAL__N_110LoadBoolOpEPKhlEENS0_17constant_iteratorIjlEEPbPlSO_S6_NS0_8equal_toIbEEEE10hipError_tPvRmT2_T3_mT4_T5_T6_T7_T8_P12ihipStream_tbENKUlT_T0_E_clISt17integral_constantIbLb0EES18_EEDaS13_S14_EUlS13_E_NS1_11comp_targetILNS1_3genE5ELNS1_11target_archE942ELNS1_3gpuE9ELNS1_3repE0EEENS1_30default_config_static_selectorELNS0_4arch9wavefront6targetE0EEEvT1_.num_agpr, 0
	.set _ZN7rocprim17ROCPRIM_400000_NS6detail17trampoline_kernelINS0_14default_configENS1_33run_length_encode_config_selectorIbjNS0_4plusIjEEEEZZNS1_33reduce_by_key_impl_wrapped_configILNS1_25lookback_scan_determinismE0ES3_S7_N6hipcub16HIPCUB_304000_NS22TransformInputIteratorIbN2at6native8internal12_GLOBAL__N_110LoadBoolOpEPKhlEENS0_17constant_iteratorIjlEEPbPlSO_S6_NS0_8equal_toIbEEEE10hipError_tPvRmT2_T3_mT4_T5_T6_T7_T8_P12ihipStream_tbENKUlT_T0_E_clISt17integral_constantIbLb0EES18_EEDaS13_S14_EUlS13_E_NS1_11comp_targetILNS1_3genE5ELNS1_11target_archE942ELNS1_3gpuE9ELNS1_3repE0EEENS1_30default_config_static_selectorELNS0_4arch9wavefront6targetE0EEEvT1_.numbered_sgpr, 0
	.set _ZN7rocprim17ROCPRIM_400000_NS6detail17trampoline_kernelINS0_14default_configENS1_33run_length_encode_config_selectorIbjNS0_4plusIjEEEEZZNS1_33reduce_by_key_impl_wrapped_configILNS1_25lookback_scan_determinismE0ES3_S7_N6hipcub16HIPCUB_304000_NS22TransformInputIteratorIbN2at6native8internal12_GLOBAL__N_110LoadBoolOpEPKhlEENS0_17constant_iteratorIjlEEPbPlSO_S6_NS0_8equal_toIbEEEE10hipError_tPvRmT2_T3_mT4_T5_T6_T7_T8_P12ihipStream_tbENKUlT_T0_E_clISt17integral_constantIbLb0EES18_EEDaS13_S14_EUlS13_E_NS1_11comp_targetILNS1_3genE5ELNS1_11target_archE942ELNS1_3gpuE9ELNS1_3repE0EEENS1_30default_config_static_selectorELNS0_4arch9wavefront6targetE0EEEvT1_.num_named_barrier, 0
	.set _ZN7rocprim17ROCPRIM_400000_NS6detail17trampoline_kernelINS0_14default_configENS1_33run_length_encode_config_selectorIbjNS0_4plusIjEEEEZZNS1_33reduce_by_key_impl_wrapped_configILNS1_25lookback_scan_determinismE0ES3_S7_N6hipcub16HIPCUB_304000_NS22TransformInputIteratorIbN2at6native8internal12_GLOBAL__N_110LoadBoolOpEPKhlEENS0_17constant_iteratorIjlEEPbPlSO_S6_NS0_8equal_toIbEEEE10hipError_tPvRmT2_T3_mT4_T5_T6_T7_T8_P12ihipStream_tbENKUlT_T0_E_clISt17integral_constantIbLb0EES18_EEDaS13_S14_EUlS13_E_NS1_11comp_targetILNS1_3genE5ELNS1_11target_archE942ELNS1_3gpuE9ELNS1_3repE0EEENS1_30default_config_static_selectorELNS0_4arch9wavefront6targetE0EEEvT1_.private_seg_size, 0
	.set _ZN7rocprim17ROCPRIM_400000_NS6detail17trampoline_kernelINS0_14default_configENS1_33run_length_encode_config_selectorIbjNS0_4plusIjEEEEZZNS1_33reduce_by_key_impl_wrapped_configILNS1_25lookback_scan_determinismE0ES3_S7_N6hipcub16HIPCUB_304000_NS22TransformInputIteratorIbN2at6native8internal12_GLOBAL__N_110LoadBoolOpEPKhlEENS0_17constant_iteratorIjlEEPbPlSO_S6_NS0_8equal_toIbEEEE10hipError_tPvRmT2_T3_mT4_T5_T6_T7_T8_P12ihipStream_tbENKUlT_T0_E_clISt17integral_constantIbLb0EES18_EEDaS13_S14_EUlS13_E_NS1_11comp_targetILNS1_3genE5ELNS1_11target_archE942ELNS1_3gpuE9ELNS1_3repE0EEENS1_30default_config_static_selectorELNS0_4arch9wavefront6targetE0EEEvT1_.uses_vcc, 0
	.set _ZN7rocprim17ROCPRIM_400000_NS6detail17trampoline_kernelINS0_14default_configENS1_33run_length_encode_config_selectorIbjNS0_4plusIjEEEEZZNS1_33reduce_by_key_impl_wrapped_configILNS1_25lookback_scan_determinismE0ES3_S7_N6hipcub16HIPCUB_304000_NS22TransformInputIteratorIbN2at6native8internal12_GLOBAL__N_110LoadBoolOpEPKhlEENS0_17constant_iteratorIjlEEPbPlSO_S6_NS0_8equal_toIbEEEE10hipError_tPvRmT2_T3_mT4_T5_T6_T7_T8_P12ihipStream_tbENKUlT_T0_E_clISt17integral_constantIbLb0EES18_EEDaS13_S14_EUlS13_E_NS1_11comp_targetILNS1_3genE5ELNS1_11target_archE942ELNS1_3gpuE9ELNS1_3repE0EEENS1_30default_config_static_selectorELNS0_4arch9wavefront6targetE0EEEvT1_.uses_flat_scratch, 0
	.set _ZN7rocprim17ROCPRIM_400000_NS6detail17trampoline_kernelINS0_14default_configENS1_33run_length_encode_config_selectorIbjNS0_4plusIjEEEEZZNS1_33reduce_by_key_impl_wrapped_configILNS1_25lookback_scan_determinismE0ES3_S7_N6hipcub16HIPCUB_304000_NS22TransformInputIteratorIbN2at6native8internal12_GLOBAL__N_110LoadBoolOpEPKhlEENS0_17constant_iteratorIjlEEPbPlSO_S6_NS0_8equal_toIbEEEE10hipError_tPvRmT2_T3_mT4_T5_T6_T7_T8_P12ihipStream_tbENKUlT_T0_E_clISt17integral_constantIbLb0EES18_EEDaS13_S14_EUlS13_E_NS1_11comp_targetILNS1_3genE5ELNS1_11target_archE942ELNS1_3gpuE9ELNS1_3repE0EEENS1_30default_config_static_selectorELNS0_4arch9wavefront6targetE0EEEvT1_.has_dyn_sized_stack, 0
	.set _ZN7rocprim17ROCPRIM_400000_NS6detail17trampoline_kernelINS0_14default_configENS1_33run_length_encode_config_selectorIbjNS0_4plusIjEEEEZZNS1_33reduce_by_key_impl_wrapped_configILNS1_25lookback_scan_determinismE0ES3_S7_N6hipcub16HIPCUB_304000_NS22TransformInputIteratorIbN2at6native8internal12_GLOBAL__N_110LoadBoolOpEPKhlEENS0_17constant_iteratorIjlEEPbPlSO_S6_NS0_8equal_toIbEEEE10hipError_tPvRmT2_T3_mT4_T5_T6_T7_T8_P12ihipStream_tbENKUlT_T0_E_clISt17integral_constantIbLb0EES18_EEDaS13_S14_EUlS13_E_NS1_11comp_targetILNS1_3genE5ELNS1_11target_archE942ELNS1_3gpuE9ELNS1_3repE0EEENS1_30default_config_static_selectorELNS0_4arch9wavefront6targetE0EEEvT1_.has_recursion, 0
	.set _ZN7rocprim17ROCPRIM_400000_NS6detail17trampoline_kernelINS0_14default_configENS1_33run_length_encode_config_selectorIbjNS0_4plusIjEEEEZZNS1_33reduce_by_key_impl_wrapped_configILNS1_25lookback_scan_determinismE0ES3_S7_N6hipcub16HIPCUB_304000_NS22TransformInputIteratorIbN2at6native8internal12_GLOBAL__N_110LoadBoolOpEPKhlEENS0_17constant_iteratorIjlEEPbPlSO_S6_NS0_8equal_toIbEEEE10hipError_tPvRmT2_T3_mT4_T5_T6_T7_T8_P12ihipStream_tbENKUlT_T0_E_clISt17integral_constantIbLb0EES18_EEDaS13_S14_EUlS13_E_NS1_11comp_targetILNS1_3genE5ELNS1_11target_archE942ELNS1_3gpuE9ELNS1_3repE0EEENS1_30default_config_static_selectorELNS0_4arch9wavefront6targetE0EEEvT1_.has_indirect_call, 0
	.section	.AMDGPU.csdata,"",@progbits
; Kernel info:
; codeLenInByte = 0
; TotalNumSgprs: 0
; NumVgprs: 0
; ScratchSize: 0
; MemoryBound: 0
; FloatMode: 240
; IeeeMode: 1
; LDSByteSize: 0 bytes/workgroup (compile time only)
; SGPRBlocks: 0
; VGPRBlocks: 0
; NumSGPRsForWavesPerEU: 1
; NumVGPRsForWavesPerEU: 1
; NamedBarCnt: 0
; Occupancy: 16
; WaveLimiterHint : 0
; COMPUTE_PGM_RSRC2:SCRATCH_EN: 0
; COMPUTE_PGM_RSRC2:USER_SGPR: 2
; COMPUTE_PGM_RSRC2:TRAP_HANDLER: 0
; COMPUTE_PGM_RSRC2:TGID_X_EN: 1
; COMPUTE_PGM_RSRC2:TGID_Y_EN: 0
; COMPUTE_PGM_RSRC2:TGID_Z_EN: 0
; COMPUTE_PGM_RSRC2:TIDIG_COMP_CNT: 0
	.section	.text._ZN7rocprim17ROCPRIM_400000_NS6detail17trampoline_kernelINS0_14default_configENS1_33run_length_encode_config_selectorIbjNS0_4plusIjEEEEZZNS1_33reduce_by_key_impl_wrapped_configILNS1_25lookback_scan_determinismE0ES3_S7_N6hipcub16HIPCUB_304000_NS22TransformInputIteratorIbN2at6native8internal12_GLOBAL__N_110LoadBoolOpEPKhlEENS0_17constant_iteratorIjlEEPbPlSO_S6_NS0_8equal_toIbEEEE10hipError_tPvRmT2_T3_mT4_T5_T6_T7_T8_P12ihipStream_tbENKUlT_T0_E_clISt17integral_constantIbLb0EES18_EEDaS13_S14_EUlS13_E_NS1_11comp_targetILNS1_3genE4ELNS1_11target_archE910ELNS1_3gpuE8ELNS1_3repE0EEENS1_30default_config_static_selectorELNS0_4arch9wavefront6targetE0EEEvT1_,"axG",@progbits,_ZN7rocprim17ROCPRIM_400000_NS6detail17trampoline_kernelINS0_14default_configENS1_33run_length_encode_config_selectorIbjNS0_4plusIjEEEEZZNS1_33reduce_by_key_impl_wrapped_configILNS1_25lookback_scan_determinismE0ES3_S7_N6hipcub16HIPCUB_304000_NS22TransformInputIteratorIbN2at6native8internal12_GLOBAL__N_110LoadBoolOpEPKhlEENS0_17constant_iteratorIjlEEPbPlSO_S6_NS0_8equal_toIbEEEE10hipError_tPvRmT2_T3_mT4_T5_T6_T7_T8_P12ihipStream_tbENKUlT_T0_E_clISt17integral_constantIbLb0EES18_EEDaS13_S14_EUlS13_E_NS1_11comp_targetILNS1_3genE4ELNS1_11target_archE910ELNS1_3gpuE8ELNS1_3repE0EEENS1_30default_config_static_selectorELNS0_4arch9wavefront6targetE0EEEvT1_,comdat
	.globl	_ZN7rocprim17ROCPRIM_400000_NS6detail17trampoline_kernelINS0_14default_configENS1_33run_length_encode_config_selectorIbjNS0_4plusIjEEEEZZNS1_33reduce_by_key_impl_wrapped_configILNS1_25lookback_scan_determinismE0ES3_S7_N6hipcub16HIPCUB_304000_NS22TransformInputIteratorIbN2at6native8internal12_GLOBAL__N_110LoadBoolOpEPKhlEENS0_17constant_iteratorIjlEEPbPlSO_S6_NS0_8equal_toIbEEEE10hipError_tPvRmT2_T3_mT4_T5_T6_T7_T8_P12ihipStream_tbENKUlT_T0_E_clISt17integral_constantIbLb0EES18_EEDaS13_S14_EUlS13_E_NS1_11comp_targetILNS1_3genE4ELNS1_11target_archE910ELNS1_3gpuE8ELNS1_3repE0EEENS1_30default_config_static_selectorELNS0_4arch9wavefront6targetE0EEEvT1_ ; -- Begin function _ZN7rocprim17ROCPRIM_400000_NS6detail17trampoline_kernelINS0_14default_configENS1_33run_length_encode_config_selectorIbjNS0_4plusIjEEEEZZNS1_33reduce_by_key_impl_wrapped_configILNS1_25lookback_scan_determinismE0ES3_S7_N6hipcub16HIPCUB_304000_NS22TransformInputIteratorIbN2at6native8internal12_GLOBAL__N_110LoadBoolOpEPKhlEENS0_17constant_iteratorIjlEEPbPlSO_S6_NS0_8equal_toIbEEEE10hipError_tPvRmT2_T3_mT4_T5_T6_T7_T8_P12ihipStream_tbENKUlT_T0_E_clISt17integral_constantIbLb0EES18_EEDaS13_S14_EUlS13_E_NS1_11comp_targetILNS1_3genE4ELNS1_11target_archE910ELNS1_3gpuE8ELNS1_3repE0EEENS1_30default_config_static_selectorELNS0_4arch9wavefront6targetE0EEEvT1_
	.p2align	8
	.type	_ZN7rocprim17ROCPRIM_400000_NS6detail17trampoline_kernelINS0_14default_configENS1_33run_length_encode_config_selectorIbjNS0_4plusIjEEEEZZNS1_33reduce_by_key_impl_wrapped_configILNS1_25lookback_scan_determinismE0ES3_S7_N6hipcub16HIPCUB_304000_NS22TransformInputIteratorIbN2at6native8internal12_GLOBAL__N_110LoadBoolOpEPKhlEENS0_17constant_iteratorIjlEEPbPlSO_S6_NS0_8equal_toIbEEEE10hipError_tPvRmT2_T3_mT4_T5_T6_T7_T8_P12ihipStream_tbENKUlT_T0_E_clISt17integral_constantIbLb0EES18_EEDaS13_S14_EUlS13_E_NS1_11comp_targetILNS1_3genE4ELNS1_11target_archE910ELNS1_3gpuE8ELNS1_3repE0EEENS1_30default_config_static_selectorELNS0_4arch9wavefront6targetE0EEEvT1_,@function
_ZN7rocprim17ROCPRIM_400000_NS6detail17trampoline_kernelINS0_14default_configENS1_33run_length_encode_config_selectorIbjNS0_4plusIjEEEEZZNS1_33reduce_by_key_impl_wrapped_configILNS1_25lookback_scan_determinismE0ES3_S7_N6hipcub16HIPCUB_304000_NS22TransformInputIteratorIbN2at6native8internal12_GLOBAL__N_110LoadBoolOpEPKhlEENS0_17constant_iteratorIjlEEPbPlSO_S6_NS0_8equal_toIbEEEE10hipError_tPvRmT2_T3_mT4_T5_T6_T7_T8_P12ihipStream_tbENKUlT_T0_E_clISt17integral_constantIbLb0EES18_EEDaS13_S14_EUlS13_E_NS1_11comp_targetILNS1_3genE4ELNS1_11target_archE910ELNS1_3gpuE8ELNS1_3repE0EEENS1_30default_config_static_selectorELNS0_4arch9wavefront6targetE0EEEvT1_: ; @_ZN7rocprim17ROCPRIM_400000_NS6detail17trampoline_kernelINS0_14default_configENS1_33run_length_encode_config_selectorIbjNS0_4plusIjEEEEZZNS1_33reduce_by_key_impl_wrapped_configILNS1_25lookback_scan_determinismE0ES3_S7_N6hipcub16HIPCUB_304000_NS22TransformInputIteratorIbN2at6native8internal12_GLOBAL__N_110LoadBoolOpEPKhlEENS0_17constant_iteratorIjlEEPbPlSO_S6_NS0_8equal_toIbEEEE10hipError_tPvRmT2_T3_mT4_T5_T6_T7_T8_P12ihipStream_tbENKUlT_T0_E_clISt17integral_constantIbLb0EES18_EEDaS13_S14_EUlS13_E_NS1_11comp_targetILNS1_3genE4ELNS1_11target_archE910ELNS1_3gpuE8ELNS1_3repE0EEENS1_30default_config_static_selectorELNS0_4arch9wavefront6targetE0EEEvT1_
; %bb.0:
	.section	.rodata,"a",@progbits
	.p2align	6, 0x0
	.amdhsa_kernel _ZN7rocprim17ROCPRIM_400000_NS6detail17trampoline_kernelINS0_14default_configENS1_33run_length_encode_config_selectorIbjNS0_4plusIjEEEEZZNS1_33reduce_by_key_impl_wrapped_configILNS1_25lookback_scan_determinismE0ES3_S7_N6hipcub16HIPCUB_304000_NS22TransformInputIteratorIbN2at6native8internal12_GLOBAL__N_110LoadBoolOpEPKhlEENS0_17constant_iteratorIjlEEPbPlSO_S6_NS0_8equal_toIbEEEE10hipError_tPvRmT2_T3_mT4_T5_T6_T7_T8_P12ihipStream_tbENKUlT_T0_E_clISt17integral_constantIbLb0EES18_EEDaS13_S14_EUlS13_E_NS1_11comp_targetILNS1_3genE4ELNS1_11target_archE910ELNS1_3gpuE8ELNS1_3repE0EEENS1_30default_config_static_selectorELNS0_4arch9wavefront6targetE0EEEvT1_
		.amdhsa_group_segment_fixed_size 0
		.amdhsa_private_segment_fixed_size 0
		.amdhsa_kernarg_size 136
		.amdhsa_user_sgpr_count 2
		.amdhsa_user_sgpr_dispatch_ptr 0
		.amdhsa_user_sgpr_queue_ptr 0
		.amdhsa_user_sgpr_kernarg_segment_ptr 1
		.amdhsa_user_sgpr_dispatch_id 0
		.amdhsa_user_sgpr_kernarg_preload_length 0
		.amdhsa_user_sgpr_kernarg_preload_offset 0
		.amdhsa_user_sgpr_private_segment_size 0
		.amdhsa_wavefront_size32 1
		.amdhsa_uses_dynamic_stack 0
		.amdhsa_enable_private_segment 0
		.amdhsa_system_sgpr_workgroup_id_x 1
		.amdhsa_system_sgpr_workgroup_id_y 0
		.amdhsa_system_sgpr_workgroup_id_z 0
		.amdhsa_system_sgpr_workgroup_info 0
		.amdhsa_system_vgpr_workitem_id 0
		.amdhsa_next_free_vgpr 1
		.amdhsa_next_free_sgpr 1
		.amdhsa_named_barrier_count 0
		.amdhsa_reserve_vcc 0
		.amdhsa_float_round_mode_32 0
		.amdhsa_float_round_mode_16_64 0
		.amdhsa_float_denorm_mode_32 3
		.amdhsa_float_denorm_mode_16_64 3
		.amdhsa_fp16_overflow 0
		.amdhsa_memory_ordered 1
		.amdhsa_forward_progress 1
		.amdhsa_inst_pref_size 0
		.amdhsa_round_robin_scheduling 0
		.amdhsa_exception_fp_ieee_invalid_op 0
		.amdhsa_exception_fp_denorm_src 0
		.amdhsa_exception_fp_ieee_div_zero 0
		.amdhsa_exception_fp_ieee_overflow 0
		.amdhsa_exception_fp_ieee_underflow 0
		.amdhsa_exception_fp_ieee_inexact 0
		.amdhsa_exception_int_div_zero 0
	.end_amdhsa_kernel
	.section	.text._ZN7rocprim17ROCPRIM_400000_NS6detail17trampoline_kernelINS0_14default_configENS1_33run_length_encode_config_selectorIbjNS0_4plusIjEEEEZZNS1_33reduce_by_key_impl_wrapped_configILNS1_25lookback_scan_determinismE0ES3_S7_N6hipcub16HIPCUB_304000_NS22TransformInputIteratorIbN2at6native8internal12_GLOBAL__N_110LoadBoolOpEPKhlEENS0_17constant_iteratorIjlEEPbPlSO_S6_NS0_8equal_toIbEEEE10hipError_tPvRmT2_T3_mT4_T5_T6_T7_T8_P12ihipStream_tbENKUlT_T0_E_clISt17integral_constantIbLb0EES18_EEDaS13_S14_EUlS13_E_NS1_11comp_targetILNS1_3genE4ELNS1_11target_archE910ELNS1_3gpuE8ELNS1_3repE0EEENS1_30default_config_static_selectorELNS0_4arch9wavefront6targetE0EEEvT1_,"axG",@progbits,_ZN7rocprim17ROCPRIM_400000_NS6detail17trampoline_kernelINS0_14default_configENS1_33run_length_encode_config_selectorIbjNS0_4plusIjEEEEZZNS1_33reduce_by_key_impl_wrapped_configILNS1_25lookback_scan_determinismE0ES3_S7_N6hipcub16HIPCUB_304000_NS22TransformInputIteratorIbN2at6native8internal12_GLOBAL__N_110LoadBoolOpEPKhlEENS0_17constant_iteratorIjlEEPbPlSO_S6_NS0_8equal_toIbEEEE10hipError_tPvRmT2_T3_mT4_T5_T6_T7_T8_P12ihipStream_tbENKUlT_T0_E_clISt17integral_constantIbLb0EES18_EEDaS13_S14_EUlS13_E_NS1_11comp_targetILNS1_3genE4ELNS1_11target_archE910ELNS1_3gpuE8ELNS1_3repE0EEENS1_30default_config_static_selectorELNS0_4arch9wavefront6targetE0EEEvT1_,comdat
.Lfunc_end60:
	.size	_ZN7rocprim17ROCPRIM_400000_NS6detail17trampoline_kernelINS0_14default_configENS1_33run_length_encode_config_selectorIbjNS0_4plusIjEEEEZZNS1_33reduce_by_key_impl_wrapped_configILNS1_25lookback_scan_determinismE0ES3_S7_N6hipcub16HIPCUB_304000_NS22TransformInputIteratorIbN2at6native8internal12_GLOBAL__N_110LoadBoolOpEPKhlEENS0_17constant_iteratorIjlEEPbPlSO_S6_NS0_8equal_toIbEEEE10hipError_tPvRmT2_T3_mT4_T5_T6_T7_T8_P12ihipStream_tbENKUlT_T0_E_clISt17integral_constantIbLb0EES18_EEDaS13_S14_EUlS13_E_NS1_11comp_targetILNS1_3genE4ELNS1_11target_archE910ELNS1_3gpuE8ELNS1_3repE0EEENS1_30default_config_static_selectorELNS0_4arch9wavefront6targetE0EEEvT1_, .Lfunc_end60-_ZN7rocprim17ROCPRIM_400000_NS6detail17trampoline_kernelINS0_14default_configENS1_33run_length_encode_config_selectorIbjNS0_4plusIjEEEEZZNS1_33reduce_by_key_impl_wrapped_configILNS1_25lookback_scan_determinismE0ES3_S7_N6hipcub16HIPCUB_304000_NS22TransformInputIteratorIbN2at6native8internal12_GLOBAL__N_110LoadBoolOpEPKhlEENS0_17constant_iteratorIjlEEPbPlSO_S6_NS0_8equal_toIbEEEE10hipError_tPvRmT2_T3_mT4_T5_T6_T7_T8_P12ihipStream_tbENKUlT_T0_E_clISt17integral_constantIbLb0EES18_EEDaS13_S14_EUlS13_E_NS1_11comp_targetILNS1_3genE4ELNS1_11target_archE910ELNS1_3gpuE8ELNS1_3repE0EEENS1_30default_config_static_selectorELNS0_4arch9wavefront6targetE0EEEvT1_
                                        ; -- End function
	.set _ZN7rocprim17ROCPRIM_400000_NS6detail17trampoline_kernelINS0_14default_configENS1_33run_length_encode_config_selectorIbjNS0_4plusIjEEEEZZNS1_33reduce_by_key_impl_wrapped_configILNS1_25lookback_scan_determinismE0ES3_S7_N6hipcub16HIPCUB_304000_NS22TransformInputIteratorIbN2at6native8internal12_GLOBAL__N_110LoadBoolOpEPKhlEENS0_17constant_iteratorIjlEEPbPlSO_S6_NS0_8equal_toIbEEEE10hipError_tPvRmT2_T3_mT4_T5_T6_T7_T8_P12ihipStream_tbENKUlT_T0_E_clISt17integral_constantIbLb0EES18_EEDaS13_S14_EUlS13_E_NS1_11comp_targetILNS1_3genE4ELNS1_11target_archE910ELNS1_3gpuE8ELNS1_3repE0EEENS1_30default_config_static_selectorELNS0_4arch9wavefront6targetE0EEEvT1_.num_vgpr, 0
	.set _ZN7rocprim17ROCPRIM_400000_NS6detail17trampoline_kernelINS0_14default_configENS1_33run_length_encode_config_selectorIbjNS0_4plusIjEEEEZZNS1_33reduce_by_key_impl_wrapped_configILNS1_25lookback_scan_determinismE0ES3_S7_N6hipcub16HIPCUB_304000_NS22TransformInputIteratorIbN2at6native8internal12_GLOBAL__N_110LoadBoolOpEPKhlEENS0_17constant_iteratorIjlEEPbPlSO_S6_NS0_8equal_toIbEEEE10hipError_tPvRmT2_T3_mT4_T5_T6_T7_T8_P12ihipStream_tbENKUlT_T0_E_clISt17integral_constantIbLb0EES18_EEDaS13_S14_EUlS13_E_NS1_11comp_targetILNS1_3genE4ELNS1_11target_archE910ELNS1_3gpuE8ELNS1_3repE0EEENS1_30default_config_static_selectorELNS0_4arch9wavefront6targetE0EEEvT1_.num_agpr, 0
	.set _ZN7rocprim17ROCPRIM_400000_NS6detail17trampoline_kernelINS0_14default_configENS1_33run_length_encode_config_selectorIbjNS0_4plusIjEEEEZZNS1_33reduce_by_key_impl_wrapped_configILNS1_25lookback_scan_determinismE0ES3_S7_N6hipcub16HIPCUB_304000_NS22TransformInputIteratorIbN2at6native8internal12_GLOBAL__N_110LoadBoolOpEPKhlEENS0_17constant_iteratorIjlEEPbPlSO_S6_NS0_8equal_toIbEEEE10hipError_tPvRmT2_T3_mT4_T5_T6_T7_T8_P12ihipStream_tbENKUlT_T0_E_clISt17integral_constantIbLb0EES18_EEDaS13_S14_EUlS13_E_NS1_11comp_targetILNS1_3genE4ELNS1_11target_archE910ELNS1_3gpuE8ELNS1_3repE0EEENS1_30default_config_static_selectorELNS0_4arch9wavefront6targetE0EEEvT1_.numbered_sgpr, 0
	.set _ZN7rocprim17ROCPRIM_400000_NS6detail17trampoline_kernelINS0_14default_configENS1_33run_length_encode_config_selectorIbjNS0_4plusIjEEEEZZNS1_33reduce_by_key_impl_wrapped_configILNS1_25lookback_scan_determinismE0ES3_S7_N6hipcub16HIPCUB_304000_NS22TransformInputIteratorIbN2at6native8internal12_GLOBAL__N_110LoadBoolOpEPKhlEENS0_17constant_iteratorIjlEEPbPlSO_S6_NS0_8equal_toIbEEEE10hipError_tPvRmT2_T3_mT4_T5_T6_T7_T8_P12ihipStream_tbENKUlT_T0_E_clISt17integral_constantIbLb0EES18_EEDaS13_S14_EUlS13_E_NS1_11comp_targetILNS1_3genE4ELNS1_11target_archE910ELNS1_3gpuE8ELNS1_3repE0EEENS1_30default_config_static_selectorELNS0_4arch9wavefront6targetE0EEEvT1_.num_named_barrier, 0
	.set _ZN7rocprim17ROCPRIM_400000_NS6detail17trampoline_kernelINS0_14default_configENS1_33run_length_encode_config_selectorIbjNS0_4plusIjEEEEZZNS1_33reduce_by_key_impl_wrapped_configILNS1_25lookback_scan_determinismE0ES3_S7_N6hipcub16HIPCUB_304000_NS22TransformInputIteratorIbN2at6native8internal12_GLOBAL__N_110LoadBoolOpEPKhlEENS0_17constant_iteratorIjlEEPbPlSO_S6_NS0_8equal_toIbEEEE10hipError_tPvRmT2_T3_mT4_T5_T6_T7_T8_P12ihipStream_tbENKUlT_T0_E_clISt17integral_constantIbLb0EES18_EEDaS13_S14_EUlS13_E_NS1_11comp_targetILNS1_3genE4ELNS1_11target_archE910ELNS1_3gpuE8ELNS1_3repE0EEENS1_30default_config_static_selectorELNS0_4arch9wavefront6targetE0EEEvT1_.private_seg_size, 0
	.set _ZN7rocprim17ROCPRIM_400000_NS6detail17trampoline_kernelINS0_14default_configENS1_33run_length_encode_config_selectorIbjNS0_4plusIjEEEEZZNS1_33reduce_by_key_impl_wrapped_configILNS1_25lookback_scan_determinismE0ES3_S7_N6hipcub16HIPCUB_304000_NS22TransformInputIteratorIbN2at6native8internal12_GLOBAL__N_110LoadBoolOpEPKhlEENS0_17constant_iteratorIjlEEPbPlSO_S6_NS0_8equal_toIbEEEE10hipError_tPvRmT2_T3_mT4_T5_T6_T7_T8_P12ihipStream_tbENKUlT_T0_E_clISt17integral_constantIbLb0EES18_EEDaS13_S14_EUlS13_E_NS1_11comp_targetILNS1_3genE4ELNS1_11target_archE910ELNS1_3gpuE8ELNS1_3repE0EEENS1_30default_config_static_selectorELNS0_4arch9wavefront6targetE0EEEvT1_.uses_vcc, 0
	.set _ZN7rocprim17ROCPRIM_400000_NS6detail17trampoline_kernelINS0_14default_configENS1_33run_length_encode_config_selectorIbjNS0_4plusIjEEEEZZNS1_33reduce_by_key_impl_wrapped_configILNS1_25lookback_scan_determinismE0ES3_S7_N6hipcub16HIPCUB_304000_NS22TransformInputIteratorIbN2at6native8internal12_GLOBAL__N_110LoadBoolOpEPKhlEENS0_17constant_iteratorIjlEEPbPlSO_S6_NS0_8equal_toIbEEEE10hipError_tPvRmT2_T3_mT4_T5_T6_T7_T8_P12ihipStream_tbENKUlT_T0_E_clISt17integral_constantIbLb0EES18_EEDaS13_S14_EUlS13_E_NS1_11comp_targetILNS1_3genE4ELNS1_11target_archE910ELNS1_3gpuE8ELNS1_3repE0EEENS1_30default_config_static_selectorELNS0_4arch9wavefront6targetE0EEEvT1_.uses_flat_scratch, 0
	.set _ZN7rocprim17ROCPRIM_400000_NS6detail17trampoline_kernelINS0_14default_configENS1_33run_length_encode_config_selectorIbjNS0_4plusIjEEEEZZNS1_33reduce_by_key_impl_wrapped_configILNS1_25lookback_scan_determinismE0ES3_S7_N6hipcub16HIPCUB_304000_NS22TransformInputIteratorIbN2at6native8internal12_GLOBAL__N_110LoadBoolOpEPKhlEENS0_17constant_iteratorIjlEEPbPlSO_S6_NS0_8equal_toIbEEEE10hipError_tPvRmT2_T3_mT4_T5_T6_T7_T8_P12ihipStream_tbENKUlT_T0_E_clISt17integral_constantIbLb0EES18_EEDaS13_S14_EUlS13_E_NS1_11comp_targetILNS1_3genE4ELNS1_11target_archE910ELNS1_3gpuE8ELNS1_3repE0EEENS1_30default_config_static_selectorELNS0_4arch9wavefront6targetE0EEEvT1_.has_dyn_sized_stack, 0
	.set _ZN7rocprim17ROCPRIM_400000_NS6detail17trampoline_kernelINS0_14default_configENS1_33run_length_encode_config_selectorIbjNS0_4plusIjEEEEZZNS1_33reduce_by_key_impl_wrapped_configILNS1_25lookback_scan_determinismE0ES3_S7_N6hipcub16HIPCUB_304000_NS22TransformInputIteratorIbN2at6native8internal12_GLOBAL__N_110LoadBoolOpEPKhlEENS0_17constant_iteratorIjlEEPbPlSO_S6_NS0_8equal_toIbEEEE10hipError_tPvRmT2_T3_mT4_T5_T6_T7_T8_P12ihipStream_tbENKUlT_T0_E_clISt17integral_constantIbLb0EES18_EEDaS13_S14_EUlS13_E_NS1_11comp_targetILNS1_3genE4ELNS1_11target_archE910ELNS1_3gpuE8ELNS1_3repE0EEENS1_30default_config_static_selectorELNS0_4arch9wavefront6targetE0EEEvT1_.has_recursion, 0
	.set _ZN7rocprim17ROCPRIM_400000_NS6detail17trampoline_kernelINS0_14default_configENS1_33run_length_encode_config_selectorIbjNS0_4plusIjEEEEZZNS1_33reduce_by_key_impl_wrapped_configILNS1_25lookback_scan_determinismE0ES3_S7_N6hipcub16HIPCUB_304000_NS22TransformInputIteratorIbN2at6native8internal12_GLOBAL__N_110LoadBoolOpEPKhlEENS0_17constant_iteratorIjlEEPbPlSO_S6_NS0_8equal_toIbEEEE10hipError_tPvRmT2_T3_mT4_T5_T6_T7_T8_P12ihipStream_tbENKUlT_T0_E_clISt17integral_constantIbLb0EES18_EEDaS13_S14_EUlS13_E_NS1_11comp_targetILNS1_3genE4ELNS1_11target_archE910ELNS1_3gpuE8ELNS1_3repE0EEENS1_30default_config_static_selectorELNS0_4arch9wavefront6targetE0EEEvT1_.has_indirect_call, 0
	.section	.AMDGPU.csdata,"",@progbits
; Kernel info:
; codeLenInByte = 0
; TotalNumSgprs: 0
; NumVgprs: 0
; ScratchSize: 0
; MemoryBound: 0
; FloatMode: 240
; IeeeMode: 1
; LDSByteSize: 0 bytes/workgroup (compile time only)
; SGPRBlocks: 0
; VGPRBlocks: 0
; NumSGPRsForWavesPerEU: 1
; NumVGPRsForWavesPerEU: 1
; NamedBarCnt: 0
; Occupancy: 16
; WaveLimiterHint : 0
; COMPUTE_PGM_RSRC2:SCRATCH_EN: 0
; COMPUTE_PGM_RSRC2:USER_SGPR: 2
; COMPUTE_PGM_RSRC2:TRAP_HANDLER: 0
; COMPUTE_PGM_RSRC2:TGID_X_EN: 1
; COMPUTE_PGM_RSRC2:TGID_Y_EN: 0
; COMPUTE_PGM_RSRC2:TGID_Z_EN: 0
; COMPUTE_PGM_RSRC2:TIDIG_COMP_CNT: 0
	.section	.text._ZN7rocprim17ROCPRIM_400000_NS6detail17trampoline_kernelINS0_14default_configENS1_33run_length_encode_config_selectorIbjNS0_4plusIjEEEEZZNS1_33reduce_by_key_impl_wrapped_configILNS1_25lookback_scan_determinismE0ES3_S7_N6hipcub16HIPCUB_304000_NS22TransformInputIteratorIbN2at6native8internal12_GLOBAL__N_110LoadBoolOpEPKhlEENS0_17constant_iteratorIjlEEPbPlSO_S6_NS0_8equal_toIbEEEE10hipError_tPvRmT2_T3_mT4_T5_T6_T7_T8_P12ihipStream_tbENKUlT_T0_E_clISt17integral_constantIbLb0EES18_EEDaS13_S14_EUlS13_E_NS1_11comp_targetILNS1_3genE3ELNS1_11target_archE908ELNS1_3gpuE7ELNS1_3repE0EEENS1_30default_config_static_selectorELNS0_4arch9wavefront6targetE0EEEvT1_,"axG",@progbits,_ZN7rocprim17ROCPRIM_400000_NS6detail17trampoline_kernelINS0_14default_configENS1_33run_length_encode_config_selectorIbjNS0_4plusIjEEEEZZNS1_33reduce_by_key_impl_wrapped_configILNS1_25lookback_scan_determinismE0ES3_S7_N6hipcub16HIPCUB_304000_NS22TransformInputIteratorIbN2at6native8internal12_GLOBAL__N_110LoadBoolOpEPKhlEENS0_17constant_iteratorIjlEEPbPlSO_S6_NS0_8equal_toIbEEEE10hipError_tPvRmT2_T3_mT4_T5_T6_T7_T8_P12ihipStream_tbENKUlT_T0_E_clISt17integral_constantIbLb0EES18_EEDaS13_S14_EUlS13_E_NS1_11comp_targetILNS1_3genE3ELNS1_11target_archE908ELNS1_3gpuE7ELNS1_3repE0EEENS1_30default_config_static_selectorELNS0_4arch9wavefront6targetE0EEEvT1_,comdat
	.globl	_ZN7rocprim17ROCPRIM_400000_NS6detail17trampoline_kernelINS0_14default_configENS1_33run_length_encode_config_selectorIbjNS0_4plusIjEEEEZZNS1_33reduce_by_key_impl_wrapped_configILNS1_25lookback_scan_determinismE0ES3_S7_N6hipcub16HIPCUB_304000_NS22TransformInputIteratorIbN2at6native8internal12_GLOBAL__N_110LoadBoolOpEPKhlEENS0_17constant_iteratorIjlEEPbPlSO_S6_NS0_8equal_toIbEEEE10hipError_tPvRmT2_T3_mT4_T5_T6_T7_T8_P12ihipStream_tbENKUlT_T0_E_clISt17integral_constantIbLb0EES18_EEDaS13_S14_EUlS13_E_NS1_11comp_targetILNS1_3genE3ELNS1_11target_archE908ELNS1_3gpuE7ELNS1_3repE0EEENS1_30default_config_static_selectorELNS0_4arch9wavefront6targetE0EEEvT1_ ; -- Begin function _ZN7rocprim17ROCPRIM_400000_NS6detail17trampoline_kernelINS0_14default_configENS1_33run_length_encode_config_selectorIbjNS0_4plusIjEEEEZZNS1_33reduce_by_key_impl_wrapped_configILNS1_25lookback_scan_determinismE0ES3_S7_N6hipcub16HIPCUB_304000_NS22TransformInputIteratorIbN2at6native8internal12_GLOBAL__N_110LoadBoolOpEPKhlEENS0_17constant_iteratorIjlEEPbPlSO_S6_NS0_8equal_toIbEEEE10hipError_tPvRmT2_T3_mT4_T5_T6_T7_T8_P12ihipStream_tbENKUlT_T0_E_clISt17integral_constantIbLb0EES18_EEDaS13_S14_EUlS13_E_NS1_11comp_targetILNS1_3genE3ELNS1_11target_archE908ELNS1_3gpuE7ELNS1_3repE0EEENS1_30default_config_static_selectorELNS0_4arch9wavefront6targetE0EEEvT1_
	.p2align	8
	.type	_ZN7rocprim17ROCPRIM_400000_NS6detail17trampoline_kernelINS0_14default_configENS1_33run_length_encode_config_selectorIbjNS0_4plusIjEEEEZZNS1_33reduce_by_key_impl_wrapped_configILNS1_25lookback_scan_determinismE0ES3_S7_N6hipcub16HIPCUB_304000_NS22TransformInputIteratorIbN2at6native8internal12_GLOBAL__N_110LoadBoolOpEPKhlEENS0_17constant_iteratorIjlEEPbPlSO_S6_NS0_8equal_toIbEEEE10hipError_tPvRmT2_T3_mT4_T5_T6_T7_T8_P12ihipStream_tbENKUlT_T0_E_clISt17integral_constantIbLb0EES18_EEDaS13_S14_EUlS13_E_NS1_11comp_targetILNS1_3genE3ELNS1_11target_archE908ELNS1_3gpuE7ELNS1_3repE0EEENS1_30default_config_static_selectorELNS0_4arch9wavefront6targetE0EEEvT1_,@function
_ZN7rocprim17ROCPRIM_400000_NS6detail17trampoline_kernelINS0_14default_configENS1_33run_length_encode_config_selectorIbjNS0_4plusIjEEEEZZNS1_33reduce_by_key_impl_wrapped_configILNS1_25lookback_scan_determinismE0ES3_S7_N6hipcub16HIPCUB_304000_NS22TransformInputIteratorIbN2at6native8internal12_GLOBAL__N_110LoadBoolOpEPKhlEENS0_17constant_iteratorIjlEEPbPlSO_S6_NS0_8equal_toIbEEEE10hipError_tPvRmT2_T3_mT4_T5_T6_T7_T8_P12ihipStream_tbENKUlT_T0_E_clISt17integral_constantIbLb0EES18_EEDaS13_S14_EUlS13_E_NS1_11comp_targetILNS1_3genE3ELNS1_11target_archE908ELNS1_3gpuE7ELNS1_3repE0EEENS1_30default_config_static_selectorELNS0_4arch9wavefront6targetE0EEEvT1_: ; @_ZN7rocprim17ROCPRIM_400000_NS6detail17trampoline_kernelINS0_14default_configENS1_33run_length_encode_config_selectorIbjNS0_4plusIjEEEEZZNS1_33reduce_by_key_impl_wrapped_configILNS1_25lookback_scan_determinismE0ES3_S7_N6hipcub16HIPCUB_304000_NS22TransformInputIteratorIbN2at6native8internal12_GLOBAL__N_110LoadBoolOpEPKhlEENS0_17constant_iteratorIjlEEPbPlSO_S6_NS0_8equal_toIbEEEE10hipError_tPvRmT2_T3_mT4_T5_T6_T7_T8_P12ihipStream_tbENKUlT_T0_E_clISt17integral_constantIbLb0EES18_EEDaS13_S14_EUlS13_E_NS1_11comp_targetILNS1_3genE3ELNS1_11target_archE908ELNS1_3gpuE7ELNS1_3repE0EEENS1_30default_config_static_selectorELNS0_4arch9wavefront6targetE0EEEvT1_
; %bb.0:
	.section	.rodata,"a",@progbits
	.p2align	6, 0x0
	.amdhsa_kernel _ZN7rocprim17ROCPRIM_400000_NS6detail17trampoline_kernelINS0_14default_configENS1_33run_length_encode_config_selectorIbjNS0_4plusIjEEEEZZNS1_33reduce_by_key_impl_wrapped_configILNS1_25lookback_scan_determinismE0ES3_S7_N6hipcub16HIPCUB_304000_NS22TransformInputIteratorIbN2at6native8internal12_GLOBAL__N_110LoadBoolOpEPKhlEENS0_17constant_iteratorIjlEEPbPlSO_S6_NS0_8equal_toIbEEEE10hipError_tPvRmT2_T3_mT4_T5_T6_T7_T8_P12ihipStream_tbENKUlT_T0_E_clISt17integral_constantIbLb0EES18_EEDaS13_S14_EUlS13_E_NS1_11comp_targetILNS1_3genE3ELNS1_11target_archE908ELNS1_3gpuE7ELNS1_3repE0EEENS1_30default_config_static_selectorELNS0_4arch9wavefront6targetE0EEEvT1_
		.amdhsa_group_segment_fixed_size 0
		.amdhsa_private_segment_fixed_size 0
		.amdhsa_kernarg_size 136
		.amdhsa_user_sgpr_count 2
		.amdhsa_user_sgpr_dispatch_ptr 0
		.amdhsa_user_sgpr_queue_ptr 0
		.amdhsa_user_sgpr_kernarg_segment_ptr 1
		.amdhsa_user_sgpr_dispatch_id 0
		.amdhsa_user_sgpr_kernarg_preload_length 0
		.amdhsa_user_sgpr_kernarg_preload_offset 0
		.amdhsa_user_sgpr_private_segment_size 0
		.amdhsa_wavefront_size32 1
		.amdhsa_uses_dynamic_stack 0
		.amdhsa_enable_private_segment 0
		.amdhsa_system_sgpr_workgroup_id_x 1
		.amdhsa_system_sgpr_workgroup_id_y 0
		.amdhsa_system_sgpr_workgroup_id_z 0
		.amdhsa_system_sgpr_workgroup_info 0
		.amdhsa_system_vgpr_workitem_id 0
		.amdhsa_next_free_vgpr 1
		.amdhsa_next_free_sgpr 1
		.amdhsa_named_barrier_count 0
		.amdhsa_reserve_vcc 0
		.amdhsa_float_round_mode_32 0
		.amdhsa_float_round_mode_16_64 0
		.amdhsa_float_denorm_mode_32 3
		.amdhsa_float_denorm_mode_16_64 3
		.amdhsa_fp16_overflow 0
		.amdhsa_memory_ordered 1
		.amdhsa_forward_progress 1
		.amdhsa_inst_pref_size 0
		.amdhsa_round_robin_scheduling 0
		.amdhsa_exception_fp_ieee_invalid_op 0
		.amdhsa_exception_fp_denorm_src 0
		.amdhsa_exception_fp_ieee_div_zero 0
		.amdhsa_exception_fp_ieee_overflow 0
		.amdhsa_exception_fp_ieee_underflow 0
		.amdhsa_exception_fp_ieee_inexact 0
		.amdhsa_exception_int_div_zero 0
	.end_amdhsa_kernel
	.section	.text._ZN7rocprim17ROCPRIM_400000_NS6detail17trampoline_kernelINS0_14default_configENS1_33run_length_encode_config_selectorIbjNS0_4plusIjEEEEZZNS1_33reduce_by_key_impl_wrapped_configILNS1_25lookback_scan_determinismE0ES3_S7_N6hipcub16HIPCUB_304000_NS22TransformInputIteratorIbN2at6native8internal12_GLOBAL__N_110LoadBoolOpEPKhlEENS0_17constant_iteratorIjlEEPbPlSO_S6_NS0_8equal_toIbEEEE10hipError_tPvRmT2_T3_mT4_T5_T6_T7_T8_P12ihipStream_tbENKUlT_T0_E_clISt17integral_constantIbLb0EES18_EEDaS13_S14_EUlS13_E_NS1_11comp_targetILNS1_3genE3ELNS1_11target_archE908ELNS1_3gpuE7ELNS1_3repE0EEENS1_30default_config_static_selectorELNS0_4arch9wavefront6targetE0EEEvT1_,"axG",@progbits,_ZN7rocprim17ROCPRIM_400000_NS6detail17trampoline_kernelINS0_14default_configENS1_33run_length_encode_config_selectorIbjNS0_4plusIjEEEEZZNS1_33reduce_by_key_impl_wrapped_configILNS1_25lookback_scan_determinismE0ES3_S7_N6hipcub16HIPCUB_304000_NS22TransformInputIteratorIbN2at6native8internal12_GLOBAL__N_110LoadBoolOpEPKhlEENS0_17constant_iteratorIjlEEPbPlSO_S6_NS0_8equal_toIbEEEE10hipError_tPvRmT2_T3_mT4_T5_T6_T7_T8_P12ihipStream_tbENKUlT_T0_E_clISt17integral_constantIbLb0EES18_EEDaS13_S14_EUlS13_E_NS1_11comp_targetILNS1_3genE3ELNS1_11target_archE908ELNS1_3gpuE7ELNS1_3repE0EEENS1_30default_config_static_selectorELNS0_4arch9wavefront6targetE0EEEvT1_,comdat
.Lfunc_end61:
	.size	_ZN7rocprim17ROCPRIM_400000_NS6detail17trampoline_kernelINS0_14default_configENS1_33run_length_encode_config_selectorIbjNS0_4plusIjEEEEZZNS1_33reduce_by_key_impl_wrapped_configILNS1_25lookback_scan_determinismE0ES3_S7_N6hipcub16HIPCUB_304000_NS22TransformInputIteratorIbN2at6native8internal12_GLOBAL__N_110LoadBoolOpEPKhlEENS0_17constant_iteratorIjlEEPbPlSO_S6_NS0_8equal_toIbEEEE10hipError_tPvRmT2_T3_mT4_T5_T6_T7_T8_P12ihipStream_tbENKUlT_T0_E_clISt17integral_constantIbLb0EES18_EEDaS13_S14_EUlS13_E_NS1_11comp_targetILNS1_3genE3ELNS1_11target_archE908ELNS1_3gpuE7ELNS1_3repE0EEENS1_30default_config_static_selectorELNS0_4arch9wavefront6targetE0EEEvT1_, .Lfunc_end61-_ZN7rocprim17ROCPRIM_400000_NS6detail17trampoline_kernelINS0_14default_configENS1_33run_length_encode_config_selectorIbjNS0_4plusIjEEEEZZNS1_33reduce_by_key_impl_wrapped_configILNS1_25lookback_scan_determinismE0ES3_S7_N6hipcub16HIPCUB_304000_NS22TransformInputIteratorIbN2at6native8internal12_GLOBAL__N_110LoadBoolOpEPKhlEENS0_17constant_iteratorIjlEEPbPlSO_S6_NS0_8equal_toIbEEEE10hipError_tPvRmT2_T3_mT4_T5_T6_T7_T8_P12ihipStream_tbENKUlT_T0_E_clISt17integral_constantIbLb0EES18_EEDaS13_S14_EUlS13_E_NS1_11comp_targetILNS1_3genE3ELNS1_11target_archE908ELNS1_3gpuE7ELNS1_3repE0EEENS1_30default_config_static_selectorELNS0_4arch9wavefront6targetE0EEEvT1_
                                        ; -- End function
	.set _ZN7rocprim17ROCPRIM_400000_NS6detail17trampoline_kernelINS0_14default_configENS1_33run_length_encode_config_selectorIbjNS0_4plusIjEEEEZZNS1_33reduce_by_key_impl_wrapped_configILNS1_25lookback_scan_determinismE0ES3_S7_N6hipcub16HIPCUB_304000_NS22TransformInputIteratorIbN2at6native8internal12_GLOBAL__N_110LoadBoolOpEPKhlEENS0_17constant_iteratorIjlEEPbPlSO_S6_NS0_8equal_toIbEEEE10hipError_tPvRmT2_T3_mT4_T5_T6_T7_T8_P12ihipStream_tbENKUlT_T0_E_clISt17integral_constantIbLb0EES18_EEDaS13_S14_EUlS13_E_NS1_11comp_targetILNS1_3genE3ELNS1_11target_archE908ELNS1_3gpuE7ELNS1_3repE0EEENS1_30default_config_static_selectorELNS0_4arch9wavefront6targetE0EEEvT1_.num_vgpr, 0
	.set _ZN7rocprim17ROCPRIM_400000_NS6detail17trampoline_kernelINS0_14default_configENS1_33run_length_encode_config_selectorIbjNS0_4plusIjEEEEZZNS1_33reduce_by_key_impl_wrapped_configILNS1_25lookback_scan_determinismE0ES3_S7_N6hipcub16HIPCUB_304000_NS22TransformInputIteratorIbN2at6native8internal12_GLOBAL__N_110LoadBoolOpEPKhlEENS0_17constant_iteratorIjlEEPbPlSO_S6_NS0_8equal_toIbEEEE10hipError_tPvRmT2_T3_mT4_T5_T6_T7_T8_P12ihipStream_tbENKUlT_T0_E_clISt17integral_constantIbLb0EES18_EEDaS13_S14_EUlS13_E_NS1_11comp_targetILNS1_3genE3ELNS1_11target_archE908ELNS1_3gpuE7ELNS1_3repE0EEENS1_30default_config_static_selectorELNS0_4arch9wavefront6targetE0EEEvT1_.num_agpr, 0
	.set _ZN7rocprim17ROCPRIM_400000_NS6detail17trampoline_kernelINS0_14default_configENS1_33run_length_encode_config_selectorIbjNS0_4plusIjEEEEZZNS1_33reduce_by_key_impl_wrapped_configILNS1_25lookback_scan_determinismE0ES3_S7_N6hipcub16HIPCUB_304000_NS22TransformInputIteratorIbN2at6native8internal12_GLOBAL__N_110LoadBoolOpEPKhlEENS0_17constant_iteratorIjlEEPbPlSO_S6_NS0_8equal_toIbEEEE10hipError_tPvRmT2_T3_mT4_T5_T6_T7_T8_P12ihipStream_tbENKUlT_T0_E_clISt17integral_constantIbLb0EES18_EEDaS13_S14_EUlS13_E_NS1_11comp_targetILNS1_3genE3ELNS1_11target_archE908ELNS1_3gpuE7ELNS1_3repE0EEENS1_30default_config_static_selectorELNS0_4arch9wavefront6targetE0EEEvT1_.numbered_sgpr, 0
	.set _ZN7rocprim17ROCPRIM_400000_NS6detail17trampoline_kernelINS0_14default_configENS1_33run_length_encode_config_selectorIbjNS0_4plusIjEEEEZZNS1_33reduce_by_key_impl_wrapped_configILNS1_25lookback_scan_determinismE0ES3_S7_N6hipcub16HIPCUB_304000_NS22TransformInputIteratorIbN2at6native8internal12_GLOBAL__N_110LoadBoolOpEPKhlEENS0_17constant_iteratorIjlEEPbPlSO_S6_NS0_8equal_toIbEEEE10hipError_tPvRmT2_T3_mT4_T5_T6_T7_T8_P12ihipStream_tbENKUlT_T0_E_clISt17integral_constantIbLb0EES18_EEDaS13_S14_EUlS13_E_NS1_11comp_targetILNS1_3genE3ELNS1_11target_archE908ELNS1_3gpuE7ELNS1_3repE0EEENS1_30default_config_static_selectorELNS0_4arch9wavefront6targetE0EEEvT1_.num_named_barrier, 0
	.set _ZN7rocprim17ROCPRIM_400000_NS6detail17trampoline_kernelINS0_14default_configENS1_33run_length_encode_config_selectorIbjNS0_4plusIjEEEEZZNS1_33reduce_by_key_impl_wrapped_configILNS1_25lookback_scan_determinismE0ES3_S7_N6hipcub16HIPCUB_304000_NS22TransformInputIteratorIbN2at6native8internal12_GLOBAL__N_110LoadBoolOpEPKhlEENS0_17constant_iteratorIjlEEPbPlSO_S6_NS0_8equal_toIbEEEE10hipError_tPvRmT2_T3_mT4_T5_T6_T7_T8_P12ihipStream_tbENKUlT_T0_E_clISt17integral_constantIbLb0EES18_EEDaS13_S14_EUlS13_E_NS1_11comp_targetILNS1_3genE3ELNS1_11target_archE908ELNS1_3gpuE7ELNS1_3repE0EEENS1_30default_config_static_selectorELNS0_4arch9wavefront6targetE0EEEvT1_.private_seg_size, 0
	.set _ZN7rocprim17ROCPRIM_400000_NS6detail17trampoline_kernelINS0_14default_configENS1_33run_length_encode_config_selectorIbjNS0_4plusIjEEEEZZNS1_33reduce_by_key_impl_wrapped_configILNS1_25lookback_scan_determinismE0ES3_S7_N6hipcub16HIPCUB_304000_NS22TransformInputIteratorIbN2at6native8internal12_GLOBAL__N_110LoadBoolOpEPKhlEENS0_17constant_iteratorIjlEEPbPlSO_S6_NS0_8equal_toIbEEEE10hipError_tPvRmT2_T3_mT4_T5_T6_T7_T8_P12ihipStream_tbENKUlT_T0_E_clISt17integral_constantIbLb0EES18_EEDaS13_S14_EUlS13_E_NS1_11comp_targetILNS1_3genE3ELNS1_11target_archE908ELNS1_3gpuE7ELNS1_3repE0EEENS1_30default_config_static_selectorELNS0_4arch9wavefront6targetE0EEEvT1_.uses_vcc, 0
	.set _ZN7rocprim17ROCPRIM_400000_NS6detail17trampoline_kernelINS0_14default_configENS1_33run_length_encode_config_selectorIbjNS0_4plusIjEEEEZZNS1_33reduce_by_key_impl_wrapped_configILNS1_25lookback_scan_determinismE0ES3_S7_N6hipcub16HIPCUB_304000_NS22TransformInputIteratorIbN2at6native8internal12_GLOBAL__N_110LoadBoolOpEPKhlEENS0_17constant_iteratorIjlEEPbPlSO_S6_NS0_8equal_toIbEEEE10hipError_tPvRmT2_T3_mT4_T5_T6_T7_T8_P12ihipStream_tbENKUlT_T0_E_clISt17integral_constantIbLb0EES18_EEDaS13_S14_EUlS13_E_NS1_11comp_targetILNS1_3genE3ELNS1_11target_archE908ELNS1_3gpuE7ELNS1_3repE0EEENS1_30default_config_static_selectorELNS0_4arch9wavefront6targetE0EEEvT1_.uses_flat_scratch, 0
	.set _ZN7rocprim17ROCPRIM_400000_NS6detail17trampoline_kernelINS0_14default_configENS1_33run_length_encode_config_selectorIbjNS0_4plusIjEEEEZZNS1_33reduce_by_key_impl_wrapped_configILNS1_25lookback_scan_determinismE0ES3_S7_N6hipcub16HIPCUB_304000_NS22TransformInputIteratorIbN2at6native8internal12_GLOBAL__N_110LoadBoolOpEPKhlEENS0_17constant_iteratorIjlEEPbPlSO_S6_NS0_8equal_toIbEEEE10hipError_tPvRmT2_T3_mT4_T5_T6_T7_T8_P12ihipStream_tbENKUlT_T0_E_clISt17integral_constantIbLb0EES18_EEDaS13_S14_EUlS13_E_NS1_11comp_targetILNS1_3genE3ELNS1_11target_archE908ELNS1_3gpuE7ELNS1_3repE0EEENS1_30default_config_static_selectorELNS0_4arch9wavefront6targetE0EEEvT1_.has_dyn_sized_stack, 0
	.set _ZN7rocprim17ROCPRIM_400000_NS6detail17trampoline_kernelINS0_14default_configENS1_33run_length_encode_config_selectorIbjNS0_4plusIjEEEEZZNS1_33reduce_by_key_impl_wrapped_configILNS1_25lookback_scan_determinismE0ES3_S7_N6hipcub16HIPCUB_304000_NS22TransformInputIteratorIbN2at6native8internal12_GLOBAL__N_110LoadBoolOpEPKhlEENS0_17constant_iteratorIjlEEPbPlSO_S6_NS0_8equal_toIbEEEE10hipError_tPvRmT2_T3_mT4_T5_T6_T7_T8_P12ihipStream_tbENKUlT_T0_E_clISt17integral_constantIbLb0EES18_EEDaS13_S14_EUlS13_E_NS1_11comp_targetILNS1_3genE3ELNS1_11target_archE908ELNS1_3gpuE7ELNS1_3repE0EEENS1_30default_config_static_selectorELNS0_4arch9wavefront6targetE0EEEvT1_.has_recursion, 0
	.set _ZN7rocprim17ROCPRIM_400000_NS6detail17trampoline_kernelINS0_14default_configENS1_33run_length_encode_config_selectorIbjNS0_4plusIjEEEEZZNS1_33reduce_by_key_impl_wrapped_configILNS1_25lookback_scan_determinismE0ES3_S7_N6hipcub16HIPCUB_304000_NS22TransformInputIteratorIbN2at6native8internal12_GLOBAL__N_110LoadBoolOpEPKhlEENS0_17constant_iteratorIjlEEPbPlSO_S6_NS0_8equal_toIbEEEE10hipError_tPvRmT2_T3_mT4_T5_T6_T7_T8_P12ihipStream_tbENKUlT_T0_E_clISt17integral_constantIbLb0EES18_EEDaS13_S14_EUlS13_E_NS1_11comp_targetILNS1_3genE3ELNS1_11target_archE908ELNS1_3gpuE7ELNS1_3repE0EEENS1_30default_config_static_selectorELNS0_4arch9wavefront6targetE0EEEvT1_.has_indirect_call, 0
	.section	.AMDGPU.csdata,"",@progbits
; Kernel info:
; codeLenInByte = 0
; TotalNumSgprs: 0
; NumVgprs: 0
; ScratchSize: 0
; MemoryBound: 0
; FloatMode: 240
; IeeeMode: 1
; LDSByteSize: 0 bytes/workgroup (compile time only)
; SGPRBlocks: 0
; VGPRBlocks: 0
; NumSGPRsForWavesPerEU: 1
; NumVGPRsForWavesPerEU: 1
; NamedBarCnt: 0
; Occupancy: 16
; WaveLimiterHint : 0
; COMPUTE_PGM_RSRC2:SCRATCH_EN: 0
; COMPUTE_PGM_RSRC2:USER_SGPR: 2
; COMPUTE_PGM_RSRC2:TRAP_HANDLER: 0
; COMPUTE_PGM_RSRC2:TGID_X_EN: 1
; COMPUTE_PGM_RSRC2:TGID_Y_EN: 0
; COMPUTE_PGM_RSRC2:TGID_Z_EN: 0
; COMPUTE_PGM_RSRC2:TIDIG_COMP_CNT: 0
	.section	.text._ZN7rocprim17ROCPRIM_400000_NS6detail17trampoline_kernelINS0_14default_configENS1_33run_length_encode_config_selectorIbjNS0_4plusIjEEEEZZNS1_33reduce_by_key_impl_wrapped_configILNS1_25lookback_scan_determinismE0ES3_S7_N6hipcub16HIPCUB_304000_NS22TransformInputIteratorIbN2at6native8internal12_GLOBAL__N_110LoadBoolOpEPKhlEENS0_17constant_iteratorIjlEEPbPlSO_S6_NS0_8equal_toIbEEEE10hipError_tPvRmT2_T3_mT4_T5_T6_T7_T8_P12ihipStream_tbENKUlT_T0_E_clISt17integral_constantIbLb0EES18_EEDaS13_S14_EUlS13_E_NS1_11comp_targetILNS1_3genE2ELNS1_11target_archE906ELNS1_3gpuE6ELNS1_3repE0EEENS1_30default_config_static_selectorELNS0_4arch9wavefront6targetE0EEEvT1_,"axG",@progbits,_ZN7rocprim17ROCPRIM_400000_NS6detail17trampoline_kernelINS0_14default_configENS1_33run_length_encode_config_selectorIbjNS0_4plusIjEEEEZZNS1_33reduce_by_key_impl_wrapped_configILNS1_25lookback_scan_determinismE0ES3_S7_N6hipcub16HIPCUB_304000_NS22TransformInputIteratorIbN2at6native8internal12_GLOBAL__N_110LoadBoolOpEPKhlEENS0_17constant_iteratorIjlEEPbPlSO_S6_NS0_8equal_toIbEEEE10hipError_tPvRmT2_T3_mT4_T5_T6_T7_T8_P12ihipStream_tbENKUlT_T0_E_clISt17integral_constantIbLb0EES18_EEDaS13_S14_EUlS13_E_NS1_11comp_targetILNS1_3genE2ELNS1_11target_archE906ELNS1_3gpuE6ELNS1_3repE0EEENS1_30default_config_static_selectorELNS0_4arch9wavefront6targetE0EEEvT1_,comdat
	.globl	_ZN7rocprim17ROCPRIM_400000_NS6detail17trampoline_kernelINS0_14default_configENS1_33run_length_encode_config_selectorIbjNS0_4plusIjEEEEZZNS1_33reduce_by_key_impl_wrapped_configILNS1_25lookback_scan_determinismE0ES3_S7_N6hipcub16HIPCUB_304000_NS22TransformInputIteratorIbN2at6native8internal12_GLOBAL__N_110LoadBoolOpEPKhlEENS0_17constant_iteratorIjlEEPbPlSO_S6_NS0_8equal_toIbEEEE10hipError_tPvRmT2_T3_mT4_T5_T6_T7_T8_P12ihipStream_tbENKUlT_T0_E_clISt17integral_constantIbLb0EES18_EEDaS13_S14_EUlS13_E_NS1_11comp_targetILNS1_3genE2ELNS1_11target_archE906ELNS1_3gpuE6ELNS1_3repE0EEENS1_30default_config_static_selectorELNS0_4arch9wavefront6targetE0EEEvT1_ ; -- Begin function _ZN7rocprim17ROCPRIM_400000_NS6detail17trampoline_kernelINS0_14default_configENS1_33run_length_encode_config_selectorIbjNS0_4plusIjEEEEZZNS1_33reduce_by_key_impl_wrapped_configILNS1_25lookback_scan_determinismE0ES3_S7_N6hipcub16HIPCUB_304000_NS22TransformInputIteratorIbN2at6native8internal12_GLOBAL__N_110LoadBoolOpEPKhlEENS0_17constant_iteratorIjlEEPbPlSO_S6_NS0_8equal_toIbEEEE10hipError_tPvRmT2_T3_mT4_T5_T6_T7_T8_P12ihipStream_tbENKUlT_T0_E_clISt17integral_constantIbLb0EES18_EEDaS13_S14_EUlS13_E_NS1_11comp_targetILNS1_3genE2ELNS1_11target_archE906ELNS1_3gpuE6ELNS1_3repE0EEENS1_30default_config_static_selectorELNS0_4arch9wavefront6targetE0EEEvT1_
	.p2align	8
	.type	_ZN7rocprim17ROCPRIM_400000_NS6detail17trampoline_kernelINS0_14default_configENS1_33run_length_encode_config_selectorIbjNS0_4plusIjEEEEZZNS1_33reduce_by_key_impl_wrapped_configILNS1_25lookback_scan_determinismE0ES3_S7_N6hipcub16HIPCUB_304000_NS22TransformInputIteratorIbN2at6native8internal12_GLOBAL__N_110LoadBoolOpEPKhlEENS0_17constant_iteratorIjlEEPbPlSO_S6_NS0_8equal_toIbEEEE10hipError_tPvRmT2_T3_mT4_T5_T6_T7_T8_P12ihipStream_tbENKUlT_T0_E_clISt17integral_constantIbLb0EES18_EEDaS13_S14_EUlS13_E_NS1_11comp_targetILNS1_3genE2ELNS1_11target_archE906ELNS1_3gpuE6ELNS1_3repE0EEENS1_30default_config_static_selectorELNS0_4arch9wavefront6targetE0EEEvT1_,@function
_ZN7rocprim17ROCPRIM_400000_NS6detail17trampoline_kernelINS0_14default_configENS1_33run_length_encode_config_selectorIbjNS0_4plusIjEEEEZZNS1_33reduce_by_key_impl_wrapped_configILNS1_25lookback_scan_determinismE0ES3_S7_N6hipcub16HIPCUB_304000_NS22TransformInputIteratorIbN2at6native8internal12_GLOBAL__N_110LoadBoolOpEPKhlEENS0_17constant_iteratorIjlEEPbPlSO_S6_NS0_8equal_toIbEEEE10hipError_tPvRmT2_T3_mT4_T5_T6_T7_T8_P12ihipStream_tbENKUlT_T0_E_clISt17integral_constantIbLb0EES18_EEDaS13_S14_EUlS13_E_NS1_11comp_targetILNS1_3genE2ELNS1_11target_archE906ELNS1_3gpuE6ELNS1_3repE0EEENS1_30default_config_static_selectorELNS0_4arch9wavefront6targetE0EEEvT1_: ; @_ZN7rocprim17ROCPRIM_400000_NS6detail17trampoline_kernelINS0_14default_configENS1_33run_length_encode_config_selectorIbjNS0_4plusIjEEEEZZNS1_33reduce_by_key_impl_wrapped_configILNS1_25lookback_scan_determinismE0ES3_S7_N6hipcub16HIPCUB_304000_NS22TransformInputIteratorIbN2at6native8internal12_GLOBAL__N_110LoadBoolOpEPKhlEENS0_17constant_iteratorIjlEEPbPlSO_S6_NS0_8equal_toIbEEEE10hipError_tPvRmT2_T3_mT4_T5_T6_T7_T8_P12ihipStream_tbENKUlT_T0_E_clISt17integral_constantIbLb0EES18_EEDaS13_S14_EUlS13_E_NS1_11comp_targetILNS1_3genE2ELNS1_11target_archE906ELNS1_3gpuE6ELNS1_3repE0EEENS1_30default_config_static_selectorELNS0_4arch9wavefront6targetE0EEEvT1_
; %bb.0:
	.section	.rodata,"a",@progbits
	.p2align	6, 0x0
	.amdhsa_kernel _ZN7rocprim17ROCPRIM_400000_NS6detail17trampoline_kernelINS0_14default_configENS1_33run_length_encode_config_selectorIbjNS0_4plusIjEEEEZZNS1_33reduce_by_key_impl_wrapped_configILNS1_25lookback_scan_determinismE0ES3_S7_N6hipcub16HIPCUB_304000_NS22TransformInputIteratorIbN2at6native8internal12_GLOBAL__N_110LoadBoolOpEPKhlEENS0_17constant_iteratorIjlEEPbPlSO_S6_NS0_8equal_toIbEEEE10hipError_tPvRmT2_T3_mT4_T5_T6_T7_T8_P12ihipStream_tbENKUlT_T0_E_clISt17integral_constantIbLb0EES18_EEDaS13_S14_EUlS13_E_NS1_11comp_targetILNS1_3genE2ELNS1_11target_archE906ELNS1_3gpuE6ELNS1_3repE0EEENS1_30default_config_static_selectorELNS0_4arch9wavefront6targetE0EEEvT1_
		.amdhsa_group_segment_fixed_size 0
		.amdhsa_private_segment_fixed_size 0
		.amdhsa_kernarg_size 136
		.amdhsa_user_sgpr_count 2
		.amdhsa_user_sgpr_dispatch_ptr 0
		.amdhsa_user_sgpr_queue_ptr 0
		.amdhsa_user_sgpr_kernarg_segment_ptr 1
		.amdhsa_user_sgpr_dispatch_id 0
		.amdhsa_user_sgpr_kernarg_preload_length 0
		.amdhsa_user_sgpr_kernarg_preload_offset 0
		.amdhsa_user_sgpr_private_segment_size 0
		.amdhsa_wavefront_size32 1
		.amdhsa_uses_dynamic_stack 0
		.amdhsa_enable_private_segment 0
		.amdhsa_system_sgpr_workgroup_id_x 1
		.amdhsa_system_sgpr_workgroup_id_y 0
		.amdhsa_system_sgpr_workgroup_id_z 0
		.amdhsa_system_sgpr_workgroup_info 0
		.amdhsa_system_vgpr_workitem_id 0
		.amdhsa_next_free_vgpr 1
		.amdhsa_next_free_sgpr 1
		.amdhsa_named_barrier_count 0
		.amdhsa_reserve_vcc 0
		.amdhsa_float_round_mode_32 0
		.amdhsa_float_round_mode_16_64 0
		.amdhsa_float_denorm_mode_32 3
		.amdhsa_float_denorm_mode_16_64 3
		.amdhsa_fp16_overflow 0
		.amdhsa_memory_ordered 1
		.amdhsa_forward_progress 1
		.amdhsa_inst_pref_size 0
		.amdhsa_round_robin_scheduling 0
		.amdhsa_exception_fp_ieee_invalid_op 0
		.amdhsa_exception_fp_denorm_src 0
		.amdhsa_exception_fp_ieee_div_zero 0
		.amdhsa_exception_fp_ieee_overflow 0
		.amdhsa_exception_fp_ieee_underflow 0
		.amdhsa_exception_fp_ieee_inexact 0
		.amdhsa_exception_int_div_zero 0
	.end_amdhsa_kernel
	.section	.text._ZN7rocprim17ROCPRIM_400000_NS6detail17trampoline_kernelINS0_14default_configENS1_33run_length_encode_config_selectorIbjNS0_4plusIjEEEEZZNS1_33reduce_by_key_impl_wrapped_configILNS1_25lookback_scan_determinismE0ES3_S7_N6hipcub16HIPCUB_304000_NS22TransformInputIteratorIbN2at6native8internal12_GLOBAL__N_110LoadBoolOpEPKhlEENS0_17constant_iteratorIjlEEPbPlSO_S6_NS0_8equal_toIbEEEE10hipError_tPvRmT2_T3_mT4_T5_T6_T7_T8_P12ihipStream_tbENKUlT_T0_E_clISt17integral_constantIbLb0EES18_EEDaS13_S14_EUlS13_E_NS1_11comp_targetILNS1_3genE2ELNS1_11target_archE906ELNS1_3gpuE6ELNS1_3repE0EEENS1_30default_config_static_selectorELNS0_4arch9wavefront6targetE0EEEvT1_,"axG",@progbits,_ZN7rocprim17ROCPRIM_400000_NS6detail17trampoline_kernelINS0_14default_configENS1_33run_length_encode_config_selectorIbjNS0_4plusIjEEEEZZNS1_33reduce_by_key_impl_wrapped_configILNS1_25lookback_scan_determinismE0ES3_S7_N6hipcub16HIPCUB_304000_NS22TransformInputIteratorIbN2at6native8internal12_GLOBAL__N_110LoadBoolOpEPKhlEENS0_17constant_iteratorIjlEEPbPlSO_S6_NS0_8equal_toIbEEEE10hipError_tPvRmT2_T3_mT4_T5_T6_T7_T8_P12ihipStream_tbENKUlT_T0_E_clISt17integral_constantIbLb0EES18_EEDaS13_S14_EUlS13_E_NS1_11comp_targetILNS1_3genE2ELNS1_11target_archE906ELNS1_3gpuE6ELNS1_3repE0EEENS1_30default_config_static_selectorELNS0_4arch9wavefront6targetE0EEEvT1_,comdat
.Lfunc_end62:
	.size	_ZN7rocprim17ROCPRIM_400000_NS6detail17trampoline_kernelINS0_14default_configENS1_33run_length_encode_config_selectorIbjNS0_4plusIjEEEEZZNS1_33reduce_by_key_impl_wrapped_configILNS1_25lookback_scan_determinismE0ES3_S7_N6hipcub16HIPCUB_304000_NS22TransformInputIteratorIbN2at6native8internal12_GLOBAL__N_110LoadBoolOpEPKhlEENS0_17constant_iteratorIjlEEPbPlSO_S6_NS0_8equal_toIbEEEE10hipError_tPvRmT2_T3_mT4_T5_T6_T7_T8_P12ihipStream_tbENKUlT_T0_E_clISt17integral_constantIbLb0EES18_EEDaS13_S14_EUlS13_E_NS1_11comp_targetILNS1_3genE2ELNS1_11target_archE906ELNS1_3gpuE6ELNS1_3repE0EEENS1_30default_config_static_selectorELNS0_4arch9wavefront6targetE0EEEvT1_, .Lfunc_end62-_ZN7rocprim17ROCPRIM_400000_NS6detail17trampoline_kernelINS0_14default_configENS1_33run_length_encode_config_selectorIbjNS0_4plusIjEEEEZZNS1_33reduce_by_key_impl_wrapped_configILNS1_25lookback_scan_determinismE0ES3_S7_N6hipcub16HIPCUB_304000_NS22TransformInputIteratorIbN2at6native8internal12_GLOBAL__N_110LoadBoolOpEPKhlEENS0_17constant_iteratorIjlEEPbPlSO_S6_NS0_8equal_toIbEEEE10hipError_tPvRmT2_T3_mT4_T5_T6_T7_T8_P12ihipStream_tbENKUlT_T0_E_clISt17integral_constantIbLb0EES18_EEDaS13_S14_EUlS13_E_NS1_11comp_targetILNS1_3genE2ELNS1_11target_archE906ELNS1_3gpuE6ELNS1_3repE0EEENS1_30default_config_static_selectorELNS0_4arch9wavefront6targetE0EEEvT1_
                                        ; -- End function
	.set _ZN7rocprim17ROCPRIM_400000_NS6detail17trampoline_kernelINS0_14default_configENS1_33run_length_encode_config_selectorIbjNS0_4plusIjEEEEZZNS1_33reduce_by_key_impl_wrapped_configILNS1_25lookback_scan_determinismE0ES3_S7_N6hipcub16HIPCUB_304000_NS22TransformInputIteratorIbN2at6native8internal12_GLOBAL__N_110LoadBoolOpEPKhlEENS0_17constant_iteratorIjlEEPbPlSO_S6_NS0_8equal_toIbEEEE10hipError_tPvRmT2_T3_mT4_T5_T6_T7_T8_P12ihipStream_tbENKUlT_T0_E_clISt17integral_constantIbLb0EES18_EEDaS13_S14_EUlS13_E_NS1_11comp_targetILNS1_3genE2ELNS1_11target_archE906ELNS1_3gpuE6ELNS1_3repE0EEENS1_30default_config_static_selectorELNS0_4arch9wavefront6targetE0EEEvT1_.num_vgpr, 0
	.set _ZN7rocprim17ROCPRIM_400000_NS6detail17trampoline_kernelINS0_14default_configENS1_33run_length_encode_config_selectorIbjNS0_4plusIjEEEEZZNS1_33reduce_by_key_impl_wrapped_configILNS1_25lookback_scan_determinismE0ES3_S7_N6hipcub16HIPCUB_304000_NS22TransformInputIteratorIbN2at6native8internal12_GLOBAL__N_110LoadBoolOpEPKhlEENS0_17constant_iteratorIjlEEPbPlSO_S6_NS0_8equal_toIbEEEE10hipError_tPvRmT2_T3_mT4_T5_T6_T7_T8_P12ihipStream_tbENKUlT_T0_E_clISt17integral_constantIbLb0EES18_EEDaS13_S14_EUlS13_E_NS1_11comp_targetILNS1_3genE2ELNS1_11target_archE906ELNS1_3gpuE6ELNS1_3repE0EEENS1_30default_config_static_selectorELNS0_4arch9wavefront6targetE0EEEvT1_.num_agpr, 0
	.set _ZN7rocprim17ROCPRIM_400000_NS6detail17trampoline_kernelINS0_14default_configENS1_33run_length_encode_config_selectorIbjNS0_4plusIjEEEEZZNS1_33reduce_by_key_impl_wrapped_configILNS1_25lookback_scan_determinismE0ES3_S7_N6hipcub16HIPCUB_304000_NS22TransformInputIteratorIbN2at6native8internal12_GLOBAL__N_110LoadBoolOpEPKhlEENS0_17constant_iteratorIjlEEPbPlSO_S6_NS0_8equal_toIbEEEE10hipError_tPvRmT2_T3_mT4_T5_T6_T7_T8_P12ihipStream_tbENKUlT_T0_E_clISt17integral_constantIbLb0EES18_EEDaS13_S14_EUlS13_E_NS1_11comp_targetILNS1_3genE2ELNS1_11target_archE906ELNS1_3gpuE6ELNS1_3repE0EEENS1_30default_config_static_selectorELNS0_4arch9wavefront6targetE0EEEvT1_.numbered_sgpr, 0
	.set _ZN7rocprim17ROCPRIM_400000_NS6detail17trampoline_kernelINS0_14default_configENS1_33run_length_encode_config_selectorIbjNS0_4plusIjEEEEZZNS1_33reduce_by_key_impl_wrapped_configILNS1_25lookback_scan_determinismE0ES3_S7_N6hipcub16HIPCUB_304000_NS22TransformInputIteratorIbN2at6native8internal12_GLOBAL__N_110LoadBoolOpEPKhlEENS0_17constant_iteratorIjlEEPbPlSO_S6_NS0_8equal_toIbEEEE10hipError_tPvRmT2_T3_mT4_T5_T6_T7_T8_P12ihipStream_tbENKUlT_T0_E_clISt17integral_constantIbLb0EES18_EEDaS13_S14_EUlS13_E_NS1_11comp_targetILNS1_3genE2ELNS1_11target_archE906ELNS1_3gpuE6ELNS1_3repE0EEENS1_30default_config_static_selectorELNS0_4arch9wavefront6targetE0EEEvT1_.num_named_barrier, 0
	.set _ZN7rocprim17ROCPRIM_400000_NS6detail17trampoline_kernelINS0_14default_configENS1_33run_length_encode_config_selectorIbjNS0_4plusIjEEEEZZNS1_33reduce_by_key_impl_wrapped_configILNS1_25lookback_scan_determinismE0ES3_S7_N6hipcub16HIPCUB_304000_NS22TransformInputIteratorIbN2at6native8internal12_GLOBAL__N_110LoadBoolOpEPKhlEENS0_17constant_iteratorIjlEEPbPlSO_S6_NS0_8equal_toIbEEEE10hipError_tPvRmT2_T3_mT4_T5_T6_T7_T8_P12ihipStream_tbENKUlT_T0_E_clISt17integral_constantIbLb0EES18_EEDaS13_S14_EUlS13_E_NS1_11comp_targetILNS1_3genE2ELNS1_11target_archE906ELNS1_3gpuE6ELNS1_3repE0EEENS1_30default_config_static_selectorELNS0_4arch9wavefront6targetE0EEEvT1_.private_seg_size, 0
	.set _ZN7rocprim17ROCPRIM_400000_NS6detail17trampoline_kernelINS0_14default_configENS1_33run_length_encode_config_selectorIbjNS0_4plusIjEEEEZZNS1_33reduce_by_key_impl_wrapped_configILNS1_25lookback_scan_determinismE0ES3_S7_N6hipcub16HIPCUB_304000_NS22TransformInputIteratorIbN2at6native8internal12_GLOBAL__N_110LoadBoolOpEPKhlEENS0_17constant_iteratorIjlEEPbPlSO_S6_NS0_8equal_toIbEEEE10hipError_tPvRmT2_T3_mT4_T5_T6_T7_T8_P12ihipStream_tbENKUlT_T0_E_clISt17integral_constantIbLb0EES18_EEDaS13_S14_EUlS13_E_NS1_11comp_targetILNS1_3genE2ELNS1_11target_archE906ELNS1_3gpuE6ELNS1_3repE0EEENS1_30default_config_static_selectorELNS0_4arch9wavefront6targetE0EEEvT1_.uses_vcc, 0
	.set _ZN7rocprim17ROCPRIM_400000_NS6detail17trampoline_kernelINS0_14default_configENS1_33run_length_encode_config_selectorIbjNS0_4plusIjEEEEZZNS1_33reduce_by_key_impl_wrapped_configILNS1_25lookback_scan_determinismE0ES3_S7_N6hipcub16HIPCUB_304000_NS22TransformInputIteratorIbN2at6native8internal12_GLOBAL__N_110LoadBoolOpEPKhlEENS0_17constant_iteratorIjlEEPbPlSO_S6_NS0_8equal_toIbEEEE10hipError_tPvRmT2_T3_mT4_T5_T6_T7_T8_P12ihipStream_tbENKUlT_T0_E_clISt17integral_constantIbLb0EES18_EEDaS13_S14_EUlS13_E_NS1_11comp_targetILNS1_3genE2ELNS1_11target_archE906ELNS1_3gpuE6ELNS1_3repE0EEENS1_30default_config_static_selectorELNS0_4arch9wavefront6targetE0EEEvT1_.uses_flat_scratch, 0
	.set _ZN7rocprim17ROCPRIM_400000_NS6detail17trampoline_kernelINS0_14default_configENS1_33run_length_encode_config_selectorIbjNS0_4plusIjEEEEZZNS1_33reduce_by_key_impl_wrapped_configILNS1_25lookback_scan_determinismE0ES3_S7_N6hipcub16HIPCUB_304000_NS22TransformInputIteratorIbN2at6native8internal12_GLOBAL__N_110LoadBoolOpEPKhlEENS0_17constant_iteratorIjlEEPbPlSO_S6_NS0_8equal_toIbEEEE10hipError_tPvRmT2_T3_mT4_T5_T6_T7_T8_P12ihipStream_tbENKUlT_T0_E_clISt17integral_constantIbLb0EES18_EEDaS13_S14_EUlS13_E_NS1_11comp_targetILNS1_3genE2ELNS1_11target_archE906ELNS1_3gpuE6ELNS1_3repE0EEENS1_30default_config_static_selectorELNS0_4arch9wavefront6targetE0EEEvT1_.has_dyn_sized_stack, 0
	.set _ZN7rocprim17ROCPRIM_400000_NS6detail17trampoline_kernelINS0_14default_configENS1_33run_length_encode_config_selectorIbjNS0_4plusIjEEEEZZNS1_33reduce_by_key_impl_wrapped_configILNS1_25lookback_scan_determinismE0ES3_S7_N6hipcub16HIPCUB_304000_NS22TransformInputIteratorIbN2at6native8internal12_GLOBAL__N_110LoadBoolOpEPKhlEENS0_17constant_iteratorIjlEEPbPlSO_S6_NS0_8equal_toIbEEEE10hipError_tPvRmT2_T3_mT4_T5_T6_T7_T8_P12ihipStream_tbENKUlT_T0_E_clISt17integral_constantIbLb0EES18_EEDaS13_S14_EUlS13_E_NS1_11comp_targetILNS1_3genE2ELNS1_11target_archE906ELNS1_3gpuE6ELNS1_3repE0EEENS1_30default_config_static_selectorELNS0_4arch9wavefront6targetE0EEEvT1_.has_recursion, 0
	.set _ZN7rocprim17ROCPRIM_400000_NS6detail17trampoline_kernelINS0_14default_configENS1_33run_length_encode_config_selectorIbjNS0_4plusIjEEEEZZNS1_33reduce_by_key_impl_wrapped_configILNS1_25lookback_scan_determinismE0ES3_S7_N6hipcub16HIPCUB_304000_NS22TransformInputIteratorIbN2at6native8internal12_GLOBAL__N_110LoadBoolOpEPKhlEENS0_17constant_iteratorIjlEEPbPlSO_S6_NS0_8equal_toIbEEEE10hipError_tPvRmT2_T3_mT4_T5_T6_T7_T8_P12ihipStream_tbENKUlT_T0_E_clISt17integral_constantIbLb0EES18_EEDaS13_S14_EUlS13_E_NS1_11comp_targetILNS1_3genE2ELNS1_11target_archE906ELNS1_3gpuE6ELNS1_3repE0EEENS1_30default_config_static_selectorELNS0_4arch9wavefront6targetE0EEEvT1_.has_indirect_call, 0
	.section	.AMDGPU.csdata,"",@progbits
; Kernel info:
; codeLenInByte = 0
; TotalNumSgprs: 0
; NumVgprs: 0
; ScratchSize: 0
; MemoryBound: 0
; FloatMode: 240
; IeeeMode: 1
; LDSByteSize: 0 bytes/workgroup (compile time only)
; SGPRBlocks: 0
; VGPRBlocks: 0
; NumSGPRsForWavesPerEU: 1
; NumVGPRsForWavesPerEU: 1
; NamedBarCnt: 0
; Occupancy: 16
; WaveLimiterHint : 0
; COMPUTE_PGM_RSRC2:SCRATCH_EN: 0
; COMPUTE_PGM_RSRC2:USER_SGPR: 2
; COMPUTE_PGM_RSRC2:TRAP_HANDLER: 0
; COMPUTE_PGM_RSRC2:TGID_X_EN: 1
; COMPUTE_PGM_RSRC2:TGID_Y_EN: 0
; COMPUTE_PGM_RSRC2:TGID_Z_EN: 0
; COMPUTE_PGM_RSRC2:TIDIG_COMP_CNT: 0
	.section	.text._ZN7rocprim17ROCPRIM_400000_NS6detail17trampoline_kernelINS0_14default_configENS1_33run_length_encode_config_selectorIbjNS0_4plusIjEEEEZZNS1_33reduce_by_key_impl_wrapped_configILNS1_25lookback_scan_determinismE0ES3_S7_N6hipcub16HIPCUB_304000_NS22TransformInputIteratorIbN2at6native8internal12_GLOBAL__N_110LoadBoolOpEPKhlEENS0_17constant_iteratorIjlEEPbPlSO_S6_NS0_8equal_toIbEEEE10hipError_tPvRmT2_T3_mT4_T5_T6_T7_T8_P12ihipStream_tbENKUlT_T0_E_clISt17integral_constantIbLb0EES18_EEDaS13_S14_EUlS13_E_NS1_11comp_targetILNS1_3genE10ELNS1_11target_archE1201ELNS1_3gpuE5ELNS1_3repE0EEENS1_30default_config_static_selectorELNS0_4arch9wavefront6targetE0EEEvT1_,"axG",@progbits,_ZN7rocprim17ROCPRIM_400000_NS6detail17trampoline_kernelINS0_14default_configENS1_33run_length_encode_config_selectorIbjNS0_4plusIjEEEEZZNS1_33reduce_by_key_impl_wrapped_configILNS1_25lookback_scan_determinismE0ES3_S7_N6hipcub16HIPCUB_304000_NS22TransformInputIteratorIbN2at6native8internal12_GLOBAL__N_110LoadBoolOpEPKhlEENS0_17constant_iteratorIjlEEPbPlSO_S6_NS0_8equal_toIbEEEE10hipError_tPvRmT2_T3_mT4_T5_T6_T7_T8_P12ihipStream_tbENKUlT_T0_E_clISt17integral_constantIbLb0EES18_EEDaS13_S14_EUlS13_E_NS1_11comp_targetILNS1_3genE10ELNS1_11target_archE1201ELNS1_3gpuE5ELNS1_3repE0EEENS1_30default_config_static_selectorELNS0_4arch9wavefront6targetE0EEEvT1_,comdat
	.globl	_ZN7rocprim17ROCPRIM_400000_NS6detail17trampoline_kernelINS0_14default_configENS1_33run_length_encode_config_selectorIbjNS0_4plusIjEEEEZZNS1_33reduce_by_key_impl_wrapped_configILNS1_25lookback_scan_determinismE0ES3_S7_N6hipcub16HIPCUB_304000_NS22TransformInputIteratorIbN2at6native8internal12_GLOBAL__N_110LoadBoolOpEPKhlEENS0_17constant_iteratorIjlEEPbPlSO_S6_NS0_8equal_toIbEEEE10hipError_tPvRmT2_T3_mT4_T5_T6_T7_T8_P12ihipStream_tbENKUlT_T0_E_clISt17integral_constantIbLb0EES18_EEDaS13_S14_EUlS13_E_NS1_11comp_targetILNS1_3genE10ELNS1_11target_archE1201ELNS1_3gpuE5ELNS1_3repE0EEENS1_30default_config_static_selectorELNS0_4arch9wavefront6targetE0EEEvT1_ ; -- Begin function _ZN7rocprim17ROCPRIM_400000_NS6detail17trampoline_kernelINS0_14default_configENS1_33run_length_encode_config_selectorIbjNS0_4plusIjEEEEZZNS1_33reduce_by_key_impl_wrapped_configILNS1_25lookback_scan_determinismE0ES3_S7_N6hipcub16HIPCUB_304000_NS22TransformInputIteratorIbN2at6native8internal12_GLOBAL__N_110LoadBoolOpEPKhlEENS0_17constant_iteratorIjlEEPbPlSO_S6_NS0_8equal_toIbEEEE10hipError_tPvRmT2_T3_mT4_T5_T6_T7_T8_P12ihipStream_tbENKUlT_T0_E_clISt17integral_constantIbLb0EES18_EEDaS13_S14_EUlS13_E_NS1_11comp_targetILNS1_3genE10ELNS1_11target_archE1201ELNS1_3gpuE5ELNS1_3repE0EEENS1_30default_config_static_selectorELNS0_4arch9wavefront6targetE0EEEvT1_
	.p2align	8
	.type	_ZN7rocprim17ROCPRIM_400000_NS6detail17trampoline_kernelINS0_14default_configENS1_33run_length_encode_config_selectorIbjNS0_4plusIjEEEEZZNS1_33reduce_by_key_impl_wrapped_configILNS1_25lookback_scan_determinismE0ES3_S7_N6hipcub16HIPCUB_304000_NS22TransformInputIteratorIbN2at6native8internal12_GLOBAL__N_110LoadBoolOpEPKhlEENS0_17constant_iteratorIjlEEPbPlSO_S6_NS0_8equal_toIbEEEE10hipError_tPvRmT2_T3_mT4_T5_T6_T7_T8_P12ihipStream_tbENKUlT_T0_E_clISt17integral_constantIbLb0EES18_EEDaS13_S14_EUlS13_E_NS1_11comp_targetILNS1_3genE10ELNS1_11target_archE1201ELNS1_3gpuE5ELNS1_3repE0EEENS1_30default_config_static_selectorELNS0_4arch9wavefront6targetE0EEEvT1_,@function
_ZN7rocprim17ROCPRIM_400000_NS6detail17trampoline_kernelINS0_14default_configENS1_33run_length_encode_config_selectorIbjNS0_4plusIjEEEEZZNS1_33reduce_by_key_impl_wrapped_configILNS1_25lookback_scan_determinismE0ES3_S7_N6hipcub16HIPCUB_304000_NS22TransformInputIteratorIbN2at6native8internal12_GLOBAL__N_110LoadBoolOpEPKhlEENS0_17constant_iteratorIjlEEPbPlSO_S6_NS0_8equal_toIbEEEE10hipError_tPvRmT2_T3_mT4_T5_T6_T7_T8_P12ihipStream_tbENKUlT_T0_E_clISt17integral_constantIbLb0EES18_EEDaS13_S14_EUlS13_E_NS1_11comp_targetILNS1_3genE10ELNS1_11target_archE1201ELNS1_3gpuE5ELNS1_3repE0EEENS1_30default_config_static_selectorELNS0_4arch9wavefront6targetE0EEEvT1_: ; @_ZN7rocprim17ROCPRIM_400000_NS6detail17trampoline_kernelINS0_14default_configENS1_33run_length_encode_config_selectorIbjNS0_4plusIjEEEEZZNS1_33reduce_by_key_impl_wrapped_configILNS1_25lookback_scan_determinismE0ES3_S7_N6hipcub16HIPCUB_304000_NS22TransformInputIteratorIbN2at6native8internal12_GLOBAL__N_110LoadBoolOpEPKhlEENS0_17constant_iteratorIjlEEPbPlSO_S6_NS0_8equal_toIbEEEE10hipError_tPvRmT2_T3_mT4_T5_T6_T7_T8_P12ihipStream_tbENKUlT_T0_E_clISt17integral_constantIbLb0EES18_EEDaS13_S14_EUlS13_E_NS1_11comp_targetILNS1_3genE10ELNS1_11target_archE1201ELNS1_3gpuE5ELNS1_3repE0EEENS1_30default_config_static_selectorELNS0_4arch9wavefront6targetE0EEEvT1_
; %bb.0:
	.section	.rodata,"a",@progbits
	.p2align	6, 0x0
	.amdhsa_kernel _ZN7rocprim17ROCPRIM_400000_NS6detail17trampoline_kernelINS0_14default_configENS1_33run_length_encode_config_selectorIbjNS0_4plusIjEEEEZZNS1_33reduce_by_key_impl_wrapped_configILNS1_25lookback_scan_determinismE0ES3_S7_N6hipcub16HIPCUB_304000_NS22TransformInputIteratorIbN2at6native8internal12_GLOBAL__N_110LoadBoolOpEPKhlEENS0_17constant_iteratorIjlEEPbPlSO_S6_NS0_8equal_toIbEEEE10hipError_tPvRmT2_T3_mT4_T5_T6_T7_T8_P12ihipStream_tbENKUlT_T0_E_clISt17integral_constantIbLb0EES18_EEDaS13_S14_EUlS13_E_NS1_11comp_targetILNS1_3genE10ELNS1_11target_archE1201ELNS1_3gpuE5ELNS1_3repE0EEENS1_30default_config_static_selectorELNS0_4arch9wavefront6targetE0EEEvT1_
		.amdhsa_group_segment_fixed_size 0
		.amdhsa_private_segment_fixed_size 0
		.amdhsa_kernarg_size 136
		.amdhsa_user_sgpr_count 2
		.amdhsa_user_sgpr_dispatch_ptr 0
		.amdhsa_user_sgpr_queue_ptr 0
		.amdhsa_user_sgpr_kernarg_segment_ptr 1
		.amdhsa_user_sgpr_dispatch_id 0
		.amdhsa_user_sgpr_kernarg_preload_length 0
		.amdhsa_user_sgpr_kernarg_preload_offset 0
		.amdhsa_user_sgpr_private_segment_size 0
		.amdhsa_wavefront_size32 1
		.amdhsa_uses_dynamic_stack 0
		.amdhsa_enable_private_segment 0
		.amdhsa_system_sgpr_workgroup_id_x 1
		.amdhsa_system_sgpr_workgroup_id_y 0
		.amdhsa_system_sgpr_workgroup_id_z 0
		.amdhsa_system_sgpr_workgroup_info 0
		.amdhsa_system_vgpr_workitem_id 0
		.amdhsa_next_free_vgpr 1
		.amdhsa_next_free_sgpr 1
		.amdhsa_named_barrier_count 0
		.amdhsa_reserve_vcc 0
		.amdhsa_float_round_mode_32 0
		.amdhsa_float_round_mode_16_64 0
		.amdhsa_float_denorm_mode_32 3
		.amdhsa_float_denorm_mode_16_64 3
		.amdhsa_fp16_overflow 0
		.amdhsa_memory_ordered 1
		.amdhsa_forward_progress 1
		.amdhsa_inst_pref_size 0
		.amdhsa_round_robin_scheduling 0
		.amdhsa_exception_fp_ieee_invalid_op 0
		.amdhsa_exception_fp_denorm_src 0
		.amdhsa_exception_fp_ieee_div_zero 0
		.amdhsa_exception_fp_ieee_overflow 0
		.amdhsa_exception_fp_ieee_underflow 0
		.amdhsa_exception_fp_ieee_inexact 0
		.amdhsa_exception_int_div_zero 0
	.end_amdhsa_kernel
	.section	.text._ZN7rocprim17ROCPRIM_400000_NS6detail17trampoline_kernelINS0_14default_configENS1_33run_length_encode_config_selectorIbjNS0_4plusIjEEEEZZNS1_33reduce_by_key_impl_wrapped_configILNS1_25lookback_scan_determinismE0ES3_S7_N6hipcub16HIPCUB_304000_NS22TransformInputIteratorIbN2at6native8internal12_GLOBAL__N_110LoadBoolOpEPKhlEENS0_17constant_iteratorIjlEEPbPlSO_S6_NS0_8equal_toIbEEEE10hipError_tPvRmT2_T3_mT4_T5_T6_T7_T8_P12ihipStream_tbENKUlT_T0_E_clISt17integral_constantIbLb0EES18_EEDaS13_S14_EUlS13_E_NS1_11comp_targetILNS1_3genE10ELNS1_11target_archE1201ELNS1_3gpuE5ELNS1_3repE0EEENS1_30default_config_static_selectorELNS0_4arch9wavefront6targetE0EEEvT1_,"axG",@progbits,_ZN7rocprim17ROCPRIM_400000_NS6detail17trampoline_kernelINS0_14default_configENS1_33run_length_encode_config_selectorIbjNS0_4plusIjEEEEZZNS1_33reduce_by_key_impl_wrapped_configILNS1_25lookback_scan_determinismE0ES3_S7_N6hipcub16HIPCUB_304000_NS22TransformInputIteratorIbN2at6native8internal12_GLOBAL__N_110LoadBoolOpEPKhlEENS0_17constant_iteratorIjlEEPbPlSO_S6_NS0_8equal_toIbEEEE10hipError_tPvRmT2_T3_mT4_T5_T6_T7_T8_P12ihipStream_tbENKUlT_T0_E_clISt17integral_constantIbLb0EES18_EEDaS13_S14_EUlS13_E_NS1_11comp_targetILNS1_3genE10ELNS1_11target_archE1201ELNS1_3gpuE5ELNS1_3repE0EEENS1_30default_config_static_selectorELNS0_4arch9wavefront6targetE0EEEvT1_,comdat
.Lfunc_end63:
	.size	_ZN7rocprim17ROCPRIM_400000_NS6detail17trampoline_kernelINS0_14default_configENS1_33run_length_encode_config_selectorIbjNS0_4plusIjEEEEZZNS1_33reduce_by_key_impl_wrapped_configILNS1_25lookback_scan_determinismE0ES3_S7_N6hipcub16HIPCUB_304000_NS22TransformInputIteratorIbN2at6native8internal12_GLOBAL__N_110LoadBoolOpEPKhlEENS0_17constant_iteratorIjlEEPbPlSO_S6_NS0_8equal_toIbEEEE10hipError_tPvRmT2_T3_mT4_T5_T6_T7_T8_P12ihipStream_tbENKUlT_T0_E_clISt17integral_constantIbLb0EES18_EEDaS13_S14_EUlS13_E_NS1_11comp_targetILNS1_3genE10ELNS1_11target_archE1201ELNS1_3gpuE5ELNS1_3repE0EEENS1_30default_config_static_selectorELNS0_4arch9wavefront6targetE0EEEvT1_, .Lfunc_end63-_ZN7rocprim17ROCPRIM_400000_NS6detail17trampoline_kernelINS0_14default_configENS1_33run_length_encode_config_selectorIbjNS0_4plusIjEEEEZZNS1_33reduce_by_key_impl_wrapped_configILNS1_25lookback_scan_determinismE0ES3_S7_N6hipcub16HIPCUB_304000_NS22TransformInputIteratorIbN2at6native8internal12_GLOBAL__N_110LoadBoolOpEPKhlEENS0_17constant_iteratorIjlEEPbPlSO_S6_NS0_8equal_toIbEEEE10hipError_tPvRmT2_T3_mT4_T5_T6_T7_T8_P12ihipStream_tbENKUlT_T0_E_clISt17integral_constantIbLb0EES18_EEDaS13_S14_EUlS13_E_NS1_11comp_targetILNS1_3genE10ELNS1_11target_archE1201ELNS1_3gpuE5ELNS1_3repE0EEENS1_30default_config_static_selectorELNS0_4arch9wavefront6targetE0EEEvT1_
                                        ; -- End function
	.set _ZN7rocprim17ROCPRIM_400000_NS6detail17trampoline_kernelINS0_14default_configENS1_33run_length_encode_config_selectorIbjNS0_4plusIjEEEEZZNS1_33reduce_by_key_impl_wrapped_configILNS1_25lookback_scan_determinismE0ES3_S7_N6hipcub16HIPCUB_304000_NS22TransformInputIteratorIbN2at6native8internal12_GLOBAL__N_110LoadBoolOpEPKhlEENS0_17constant_iteratorIjlEEPbPlSO_S6_NS0_8equal_toIbEEEE10hipError_tPvRmT2_T3_mT4_T5_T6_T7_T8_P12ihipStream_tbENKUlT_T0_E_clISt17integral_constantIbLb0EES18_EEDaS13_S14_EUlS13_E_NS1_11comp_targetILNS1_3genE10ELNS1_11target_archE1201ELNS1_3gpuE5ELNS1_3repE0EEENS1_30default_config_static_selectorELNS0_4arch9wavefront6targetE0EEEvT1_.num_vgpr, 0
	.set _ZN7rocprim17ROCPRIM_400000_NS6detail17trampoline_kernelINS0_14default_configENS1_33run_length_encode_config_selectorIbjNS0_4plusIjEEEEZZNS1_33reduce_by_key_impl_wrapped_configILNS1_25lookback_scan_determinismE0ES3_S7_N6hipcub16HIPCUB_304000_NS22TransformInputIteratorIbN2at6native8internal12_GLOBAL__N_110LoadBoolOpEPKhlEENS0_17constant_iteratorIjlEEPbPlSO_S6_NS0_8equal_toIbEEEE10hipError_tPvRmT2_T3_mT4_T5_T6_T7_T8_P12ihipStream_tbENKUlT_T0_E_clISt17integral_constantIbLb0EES18_EEDaS13_S14_EUlS13_E_NS1_11comp_targetILNS1_3genE10ELNS1_11target_archE1201ELNS1_3gpuE5ELNS1_3repE0EEENS1_30default_config_static_selectorELNS0_4arch9wavefront6targetE0EEEvT1_.num_agpr, 0
	.set _ZN7rocprim17ROCPRIM_400000_NS6detail17trampoline_kernelINS0_14default_configENS1_33run_length_encode_config_selectorIbjNS0_4plusIjEEEEZZNS1_33reduce_by_key_impl_wrapped_configILNS1_25lookback_scan_determinismE0ES3_S7_N6hipcub16HIPCUB_304000_NS22TransformInputIteratorIbN2at6native8internal12_GLOBAL__N_110LoadBoolOpEPKhlEENS0_17constant_iteratorIjlEEPbPlSO_S6_NS0_8equal_toIbEEEE10hipError_tPvRmT2_T3_mT4_T5_T6_T7_T8_P12ihipStream_tbENKUlT_T0_E_clISt17integral_constantIbLb0EES18_EEDaS13_S14_EUlS13_E_NS1_11comp_targetILNS1_3genE10ELNS1_11target_archE1201ELNS1_3gpuE5ELNS1_3repE0EEENS1_30default_config_static_selectorELNS0_4arch9wavefront6targetE0EEEvT1_.numbered_sgpr, 0
	.set _ZN7rocprim17ROCPRIM_400000_NS6detail17trampoline_kernelINS0_14default_configENS1_33run_length_encode_config_selectorIbjNS0_4plusIjEEEEZZNS1_33reduce_by_key_impl_wrapped_configILNS1_25lookback_scan_determinismE0ES3_S7_N6hipcub16HIPCUB_304000_NS22TransformInputIteratorIbN2at6native8internal12_GLOBAL__N_110LoadBoolOpEPKhlEENS0_17constant_iteratorIjlEEPbPlSO_S6_NS0_8equal_toIbEEEE10hipError_tPvRmT2_T3_mT4_T5_T6_T7_T8_P12ihipStream_tbENKUlT_T0_E_clISt17integral_constantIbLb0EES18_EEDaS13_S14_EUlS13_E_NS1_11comp_targetILNS1_3genE10ELNS1_11target_archE1201ELNS1_3gpuE5ELNS1_3repE0EEENS1_30default_config_static_selectorELNS0_4arch9wavefront6targetE0EEEvT1_.num_named_barrier, 0
	.set _ZN7rocprim17ROCPRIM_400000_NS6detail17trampoline_kernelINS0_14default_configENS1_33run_length_encode_config_selectorIbjNS0_4plusIjEEEEZZNS1_33reduce_by_key_impl_wrapped_configILNS1_25lookback_scan_determinismE0ES3_S7_N6hipcub16HIPCUB_304000_NS22TransformInputIteratorIbN2at6native8internal12_GLOBAL__N_110LoadBoolOpEPKhlEENS0_17constant_iteratorIjlEEPbPlSO_S6_NS0_8equal_toIbEEEE10hipError_tPvRmT2_T3_mT4_T5_T6_T7_T8_P12ihipStream_tbENKUlT_T0_E_clISt17integral_constantIbLb0EES18_EEDaS13_S14_EUlS13_E_NS1_11comp_targetILNS1_3genE10ELNS1_11target_archE1201ELNS1_3gpuE5ELNS1_3repE0EEENS1_30default_config_static_selectorELNS0_4arch9wavefront6targetE0EEEvT1_.private_seg_size, 0
	.set _ZN7rocprim17ROCPRIM_400000_NS6detail17trampoline_kernelINS0_14default_configENS1_33run_length_encode_config_selectorIbjNS0_4plusIjEEEEZZNS1_33reduce_by_key_impl_wrapped_configILNS1_25lookback_scan_determinismE0ES3_S7_N6hipcub16HIPCUB_304000_NS22TransformInputIteratorIbN2at6native8internal12_GLOBAL__N_110LoadBoolOpEPKhlEENS0_17constant_iteratorIjlEEPbPlSO_S6_NS0_8equal_toIbEEEE10hipError_tPvRmT2_T3_mT4_T5_T6_T7_T8_P12ihipStream_tbENKUlT_T0_E_clISt17integral_constantIbLb0EES18_EEDaS13_S14_EUlS13_E_NS1_11comp_targetILNS1_3genE10ELNS1_11target_archE1201ELNS1_3gpuE5ELNS1_3repE0EEENS1_30default_config_static_selectorELNS0_4arch9wavefront6targetE0EEEvT1_.uses_vcc, 0
	.set _ZN7rocprim17ROCPRIM_400000_NS6detail17trampoline_kernelINS0_14default_configENS1_33run_length_encode_config_selectorIbjNS0_4plusIjEEEEZZNS1_33reduce_by_key_impl_wrapped_configILNS1_25lookback_scan_determinismE0ES3_S7_N6hipcub16HIPCUB_304000_NS22TransformInputIteratorIbN2at6native8internal12_GLOBAL__N_110LoadBoolOpEPKhlEENS0_17constant_iteratorIjlEEPbPlSO_S6_NS0_8equal_toIbEEEE10hipError_tPvRmT2_T3_mT4_T5_T6_T7_T8_P12ihipStream_tbENKUlT_T0_E_clISt17integral_constantIbLb0EES18_EEDaS13_S14_EUlS13_E_NS1_11comp_targetILNS1_3genE10ELNS1_11target_archE1201ELNS1_3gpuE5ELNS1_3repE0EEENS1_30default_config_static_selectorELNS0_4arch9wavefront6targetE0EEEvT1_.uses_flat_scratch, 0
	.set _ZN7rocprim17ROCPRIM_400000_NS6detail17trampoline_kernelINS0_14default_configENS1_33run_length_encode_config_selectorIbjNS0_4plusIjEEEEZZNS1_33reduce_by_key_impl_wrapped_configILNS1_25lookback_scan_determinismE0ES3_S7_N6hipcub16HIPCUB_304000_NS22TransformInputIteratorIbN2at6native8internal12_GLOBAL__N_110LoadBoolOpEPKhlEENS0_17constant_iteratorIjlEEPbPlSO_S6_NS0_8equal_toIbEEEE10hipError_tPvRmT2_T3_mT4_T5_T6_T7_T8_P12ihipStream_tbENKUlT_T0_E_clISt17integral_constantIbLb0EES18_EEDaS13_S14_EUlS13_E_NS1_11comp_targetILNS1_3genE10ELNS1_11target_archE1201ELNS1_3gpuE5ELNS1_3repE0EEENS1_30default_config_static_selectorELNS0_4arch9wavefront6targetE0EEEvT1_.has_dyn_sized_stack, 0
	.set _ZN7rocprim17ROCPRIM_400000_NS6detail17trampoline_kernelINS0_14default_configENS1_33run_length_encode_config_selectorIbjNS0_4plusIjEEEEZZNS1_33reduce_by_key_impl_wrapped_configILNS1_25lookback_scan_determinismE0ES3_S7_N6hipcub16HIPCUB_304000_NS22TransformInputIteratorIbN2at6native8internal12_GLOBAL__N_110LoadBoolOpEPKhlEENS0_17constant_iteratorIjlEEPbPlSO_S6_NS0_8equal_toIbEEEE10hipError_tPvRmT2_T3_mT4_T5_T6_T7_T8_P12ihipStream_tbENKUlT_T0_E_clISt17integral_constantIbLb0EES18_EEDaS13_S14_EUlS13_E_NS1_11comp_targetILNS1_3genE10ELNS1_11target_archE1201ELNS1_3gpuE5ELNS1_3repE0EEENS1_30default_config_static_selectorELNS0_4arch9wavefront6targetE0EEEvT1_.has_recursion, 0
	.set _ZN7rocprim17ROCPRIM_400000_NS6detail17trampoline_kernelINS0_14default_configENS1_33run_length_encode_config_selectorIbjNS0_4plusIjEEEEZZNS1_33reduce_by_key_impl_wrapped_configILNS1_25lookback_scan_determinismE0ES3_S7_N6hipcub16HIPCUB_304000_NS22TransformInputIteratorIbN2at6native8internal12_GLOBAL__N_110LoadBoolOpEPKhlEENS0_17constant_iteratorIjlEEPbPlSO_S6_NS0_8equal_toIbEEEE10hipError_tPvRmT2_T3_mT4_T5_T6_T7_T8_P12ihipStream_tbENKUlT_T0_E_clISt17integral_constantIbLb0EES18_EEDaS13_S14_EUlS13_E_NS1_11comp_targetILNS1_3genE10ELNS1_11target_archE1201ELNS1_3gpuE5ELNS1_3repE0EEENS1_30default_config_static_selectorELNS0_4arch9wavefront6targetE0EEEvT1_.has_indirect_call, 0
	.section	.AMDGPU.csdata,"",@progbits
; Kernel info:
; codeLenInByte = 0
; TotalNumSgprs: 0
; NumVgprs: 0
; ScratchSize: 0
; MemoryBound: 0
; FloatMode: 240
; IeeeMode: 1
; LDSByteSize: 0 bytes/workgroup (compile time only)
; SGPRBlocks: 0
; VGPRBlocks: 0
; NumSGPRsForWavesPerEU: 1
; NumVGPRsForWavesPerEU: 1
; NamedBarCnt: 0
; Occupancy: 16
; WaveLimiterHint : 0
; COMPUTE_PGM_RSRC2:SCRATCH_EN: 0
; COMPUTE_PGM_RSRC2:USER_SGPR: 2
; COMPUTE_PGM_RSRC2:TRAP_HANDLER: 0
; COMPUTE_PGM_RSRC2:TGID_X_EN: 1
; COMPUTE_PGM_RSRC2:TGID_Y_EN: 0
; COMPUTE_PGM_RSRC2:TGID_Z_EN: 0
; COMPUTE_PGM_RSRC2:TIDIG_COMP_CNT: 0
	.section	.text._ZN7rocprim17ROCPRIM_400000_NS6detail17trampoline_kernelINS0_14default_configENS1_33run_length_encode_config_selectorIbjNS0_4plusIjEEEEZZNS1_33reduce_by_key_impl_wrapped_configILNS1_25lookback_scan_determinismE0ES3_S7_N6hipcub16HIPCUB_304000_NS22TransformInputIteratorIbN2at6native8internal12_GLOBAL__N_110LoadBoolOpEPKhlEENS0_17constant_iteratorIjlEEPbPlSO_S6_NS0_8equal_toIbEEEE10hipError_tPvRmT2_T3_mT4_T5_T6_T7_T8_P12ihipStream_tbENKUlT_T0_E_clISt17integral_constantIbLb0EES18_EEDaS13_S14_EUlS13_E_NS1_11comp_targetILNS1_3genE10ELNS1_11target_archE1200ELNS1_3gpuE4ELNS1_3repE0EEENS1_30default_config_static_selectorELNS0_4arch9wavefront6targetE0EEEvT1_,"axG",@progbits,_ZN7rocprim17ROCPRIM_400000_NS6detail17trampoline_kernelINS0_14default_configENS1_33run_length_encode_config_selectorIbjNS0_4plusIjEEEEZZNS1_33reduce_by_key_impl_wrapped_configILNS1_25lookback_scan_determinismE0ES3_S7_N6hipcub16HIPCUB_304000_NS22TransformInputIteratorIbN2at6native8internal12_GLOBAL__N_110LoadBoolOpEPKhlEENS0_17constant_iteratorIjlEEPbPlSO_S6_NS0_8equal_toIbEEEE10hipError_tPvRmT2_T3_mT4_T5_T6_T7_T8_P12ihipStream_tbENKUlT_T0_E_clISt17integral_constantIbLb0EES18_EEDaS13_S14_EUlS13_E_NS1_11comp_targetILNS1_3genE10ELNS1_11target_archE1200ELNS1_3gpuE4ELNS1_3repE0EEENS1_30default_config_static_selectorELNS0_4arch9wavefront6targetE0EEEvT1_,comdat
	.globl	_ZN7rocprim17ROCPRIM_400000_NS6detail17trampoline_kernelINS0_14default_configENS1_33run_length_encode_config_selectorIbjNS0_4plusIjEEEEZZNS1_33reduce_by_key_impl_wrapped_configILNS1_25lookback_scan_determinismE0ES3_S7_N6hipcub16HIPCUB_304000_NS22TransformInputIteratorIbN2at6native8internal12_GLOBAL__N_110LoadBoolOpEPKhlEENS0_17constant_iteratorIjlEEPbPlSO_S6_NS0_8equal_toIbEEEE10hipError_tPvRmT2_T3_mT4_T5_T6_T7_T8_P12ihipStream_tbENKUlT_T0_E_clISt17integral_constantIbLb0EES18_EEDaS13_S14_EUlS13_E_NS1_11comp_targetILNS1_3genE10ELNS1_11target_archE1200ELNS1_3gpuE4ELNS1_3repE0EEENS1_30default_config_static_selectorELNS0_4arch9wavefront6targetE0EEEvT1_ ; -- Begin function _ZN7rocprim17ROCPRIM_400000_NS6detail17trampoline_kernelINS0_14default_configENS1_33run_length_encode_config_selectorIbjNS0_4plusIjEEEEZZNS1_33reduce_by_key_impl_wrapped_configILNS1_25lookback_scan_determinismE0ES3_S7_N6hipcub16HIPCUB_304000_NS22TransformInputIteratorIbN2at6native8internal12_GLOBAL__N_110LoadBoolOpEPKhlEENS0_17constant_iteratorIjlEEPbPlSO_S6_NS0_8equal_toIbEEEE10hipError_tPvRmT2_T3_mT4_T5_T6_T7_T8_P12ihipStream_tbENKUlT_T0_E_clISt17integral_constantIbLb0EES18_EEDaS13_S14_EUlS13_E_NS1_11comp_targetILNS1_3genE10ELNS1_11target_archE1200ELNS1_3gpuE4ELNS1_3repE0EEENS1_30default_config_static_selectorELNS0_4arch9wavefront6targetE0EEEvT1_
	.p2align	8
	.type	_ZN7rocprim17ROCPRIM_400000_NS6detail17trampoline_kernelINS0_14default_configENS1_33run_length_encode_config_selectorIbjNS0_4plusIjEEEEZZNS1_33reduce_by_key_impl_wrapped_configILNS1_25lookback_scan_determinismE0ES3_S7_N6hipcub16HIPCUB_304000_NS22TransformInputIteratorIbN2at6native8internal12_GLOBAL__N_110LoadBoolOpEPKhlEENS0_17constant_iteratorIjlEEPbPlSO_S6_NS0_8equal_toIbEEEE10hipError_tPvRmT2_T3_mT4_T5_T6_T7_T8_P12ihipStream_tbENKUlT_T0_E_clISt17integral_constantIbLb0EES18_EEDaS13_S14_EUlS13_E_NS1_11comp_targetILNS1_3genE10ELNS1_11target_archE1200ELNS1_3gpuE4ELNS1_3repE0EEENS1_30default_config_static_selectorELNS0_4arch9wavefront6targetE0EEEvT1_,@function
_ZN7rocprim17ROCPRIM_400000_NS6detail17trampoline_kernelINS0_14default_configENS1_33run_length_encode_config_selectorIbjNS0_4plusIjEEEEZZNS1_33reduce_by_key_impl_wrapped_configILNS1_25lookback_scan_determinismE0ES3_S7_N6hipcub16HIPCUB_304000_NS22TransformInputIteratorIbN2at6native8internal12_GLOBAL__N_110LoadBoolOpEPKhlEENS0_17constant_iteratorIjlEEPbPlSO_S6_NS0_8equal_toIbEEEE10hipError_tPvRmT2_T3_mT4_T5_T6_T7_T8_P12ihipStream_tbENKUlT_T0_E_clISt17integral_constantIbLb0EES18_EEDaS13_S14_EUlS13_E_NS1_11comp_targetILNS1_3genE10ELNS1_11target_archE1200ELNS1_3gpuE4ELNS1_3repE0EEENS1_30default_config_static_selectorELNS0_4arch9wavefront6targetE0EEEvT1_: ; @_ZN7rocprim17ROCPRIM_400000_NS6detail17trampoline_kernelINS0_14default_configENS1_33run_length_encode_config_selectorIbjNS0_4plusIjEEEEZZNS1_33reduce_by_key_impl_wrapped_configILNS1_25lookback_scan_determinismE0ES3_S7_N6hipcub16HIPCUB_304000_NS22TransformInputIteratorIbN2at6native8internal12_GLOBAL__N_110LoadBoolOpEPKhlEENS0_17constant_iteratorIjlEEPbPlSO_S6_NS0_8equal_toIbEEEE10hipError_tPvRmT2_T3_mT4_T5_T6_T7_T8_P12ihipStream_tbENKUlT_T0_E_clISt17integral_constantIbLb0EES18_EEDaS13_S14_EUlS13_E_NS1_11comp_targetILNS1_3genE10ELNS1_11target_archE1200ELNS1_3gpuE4ELNS1_3repE0EEENS1_30default_config_static_selectorELNS0_4arch9wavefront6targetE0EEEvT1_
; %bb.0:
	.section	.rodata,"a",@progbits
	.p2align	6, 0x0
	.amdhsa_kernel _ZN7rocprim17ROCPRIM_400000_NS6detail17trampoline_kernelINS0_14default_configENS1_33run_length_encode_config_selectorIbjNS0_4plusIjEEEEZZNS1_33reduce_by_key_impl_wrapped_configILNS1_25lookback_scan_determinismE0ES3_S7_N6hipcub16HIPCUB_304000_NS22TransformInputIteratorIbN2at6native8internal12_GLOBAL__N_110LoadBoolOpEPKhlEENS0_17constant_iteratorIjlEEPbPlSO_S6_NS0_8equal_toIbEEEE10hipError_tPvRmT2_T3_mT4_T5_T6_T7_T8_P12ihipStream_tbENKUlT_T0_E_clISt17integral_constantIbLb0EES18_EEDaS13_S14_EUlS13_E_NS1_11comp_targetILNS1_3genE10ELNS1_11target_archE1200ELNS1_3gpuE4ELNS1_3repE0EEENS1_30default_config_static_selectorELNS0_4arch9wavefront6targetE0EEEvT1_
		.amdhsa_group_segment_fixed_size 0
		.amdhsa_private_segment_fixed_size 0
		.amdhsa_kernarg_size 136
		.amdhsa_user_sgpr_count 2
		.amdhsa_user_sgpr_dispatch_ptr 0
		.amdhsa_user_sgpr_queue_ptr 0
		.amdhsa_user_sgpr_kernarg_segment_ptr 1
		.amdhsa_user_sgpr_dispatch_id 0
		.amdhsa_user_sgpr_kernarg_preload_length 0
		.amdhsa_user_sgpr_kernarg_preload_offset 0
		.amdhsa_user_sgpr_private_segment_size 0
		.amdhsa_wavefront_size32 1
		.amdhsa_uses_dynamic_stack 0
		.amdhsa_enable_private_segment 0
		.amdhsa_system_sgpr_workgroup_id_x 1
		.amdhsa_system_sgpr_workgroup_id_y 0
		.amdhsa_system_sgpr_workgroup_id_z 0
		.amdhsa_system_sgpr_workgroup_info 0
		.amdhsa_system_vgpr_workitem_id 0
		.amdhsa_next_free_vgpr 1
		.amdhsa_next_free_sgpr 1
		.amdhsa_named_barrier_count 0
		.amdhsa_reserve_vcc 0
		.amdhsa_float_round_mode_32 0
		.amdhsa_float_round_mode_16_64 0
		.amdhsa_float_denorm_mode_32 3
		.amdhsa_float_denorm_mode_16_64 3
		.amdhsa_fp16_overflow 0
		.amdhsa_memory_ordered 1
		.amdhsa_forward_progress 1
		.amdhsa_inst_pref_size 0
		.amdhsa_round_robin_scheduling 0
		.amdhsa_exception_fp_ieee_invalid_op 0
		.amdhsa_exception_fp_denorm_src 0
		.amdhsa_exception_fp_ieee_div_zero 0
		.amdhsa_exception_fp_ieee_overflow 0
		.amdhsa_exception_fp_ieee_underflow 0
		.amdhsa_exception_fp_ieee_inexact 0
		.amdhsa_exception_int_div_zero 0
	.end_amdhsa_kernel
	.section	.text._ZN7rocprim17ROCPRIM_400000_NS6detail17trampoline_kernelINS0_14default_configENS1_33run_length_encode_config_selectorIbjNS0_4plusIjEEEEZZNS1_33reduce_by_key_impl_wrapped_configILNS1_25lookback_scan_determinismE0ES3_S7_N6hipcub16HIPCUB_304000_NS22TransformInputIteratorIbN2at6native8internal12_GLOBAL__N_110LoadBoolOpEPKhlEENS0_17constant_iteratorIjlEEPbPlSO_S6_NS0_8equal_toIbEEEE10hipError_tPvRmT2_T3_mT4_T5_T6_T7_T8_P12ihipStream_tbENKUlT_T0_E_clISt17integral_constantIbLb0EES18_EEDaS13_S14_EUlS13_E_NS1_11comp_targetILNS1_3genE10ELNS1_11target_archE1200ELNS1_3gpuE4ELNS1_3repE0EEENS1_30default_config_static_selectorELNS0_4arch9wavefront6targetE0EEEvT1_,"axG",@progbits,_ZN7rocprim17ROCPRIM_400000_NS6detail17trampoline_kernelINS0_14default_configENS1_33run_length_encode_config_selectorIbjNS0_4plusIjEEEEZZNS1_33reduce_by_key_impl_wrapped_configILNS1_25lookback_scan_determinismE0ES3_S7_N6hipcub16HIPCUB_304000_NS22TransformInputIteratorIbN2at6native8internal12_GLOBAL__N_110LoadBoolOpEPKhlEENS0_17constant_iteratorIjlEEPbPlSO_S6_NS0_8equal_toIbEEEE10hipError_tPvRmT2_T3_mT4_T5_T6_T7_T8_P12ihipStream_tbENKUlT_T0_E_clISt17integral_constantIbLb0EES18_EEDaS13_S14_EUlS13_E_NS1_11comp_targetILNS1_3genE10ELNS1_11target_archE1200ELNS1_3gpuE4ELNS1_3repE0EEENS1_30default_config_static_selectorELNS0_4arch9wavefront6targetE0EEEvT1_,comdat
.Lfunc_end64:
	.size	_ZN7rocprim17ROCPRIM_400000_NS6detail17trampoline_kernelINS0_14default_configENS1_33run_length_encode_config_selectorIbjNS0_4plusIjEEEEZZNS1_33reduce_by_key_impl_wrapped_configILNS1_25lookback_scan_determinismE0ES3_S7_N6hipcub16HIPCUB_304000_NS22TransformInputIteratorIbN2at6native8internal12_GLOBAL__N_110LoadBoolOpEPKhlEENS0_17constant_iteratorIjlEEPbPlSO_S6_NS0_8equal_toIbEEEE10hipError_tPvRmT2_T3_mT4_T5_T6_T7_T8_P12ihipStream_tbENKUlT_T0_E_clISt17integral_constantIbLb0EES18_EEDaS13_S14_EUlS13_E_NS1_11comp_targetILNS1_3genE10ELNS1_11target_archE1200ELNS1_3gpuE4ELNS1_3repE0EEENS1_30default_config_static_selectorELNS0_4arch9wavefront6targetE0EEEvT1_, .Lfunc_end64-_ZN7rocprim17ROCPRIM_400000_NS6detail17trampoline_kernelINS0_14default_configENS1_33run_length_encode_config_selectorIbjNS0_4plusIjEEEEZZNS1_33reduce_by_key_impl_wrapped_configILNS1_25lookback_scan_determinismE0ES3_S7_N6hipcub16HIPCUB_304000_NS22TransformInputIteratorIbN2at6native8internal12_GLOBAL__N_110LoadBoolOpEPKhlEENS0_17constant_iteratorIjlEEPbPlSO_S6_NS0_8equal_toIbEEEE10hipError_tPvRmT2_T3_mT4_T5_T6_T7_T8_P12ihipStream_tbENKUlT_T0_E_clISt17integral_constantIbLb0EES18_EEDaS13_S14_EUlS13_E_NS1_11comp_targetILNS1_3genE10ELNS1_11target_archE1200ELNS1_3gpuE4ELNS1_3repE0EEENS1_30default_config_static_selectorELNS0_4arch9wavefront6targetE0EEEvT1_
                                        ; -- End function
	.set _ZN7rocprim17ROCPRIM_400000_NS6detail17trampoline_kernelINS0_14default_configENS1_33run_length_encode_config_selectorIbjNS0_4plusIjEEEEZZNS1_33reduce_by_key_impl_wrapped_configILNS1_25lookback_scan_determinismE0ES3_S7_N6hipcub16HIPCUB_304000_NS22TransformInputIteratorIbN2at6native8internal12_GLOBAL__N_110LoadBoolOpEPKhlEENS0_17constant_iteratorIjlEEPbPlSO_S6_NS0_8equal_toIbEEEE10hipError_tPvRmT2_T3_mT4_T5_T6_T7_T8_P12ihipStream_tbENKUlT_T0_E_clISt17integral_constantIbLb0EES18_EEDaS13_S14_EUlS13_E_NS1_11comp_targetILNS1_3genE10ELNS1_11target_archE1200ELNS1_3gpuE4ELNS1_3repE0EEENS1_30default_config_static_selectorELNS0_4arch9wavefront6targetE0EEEvT1_.num_vgpr, 0
	.set _ZN7rocprim17ROCPRIM_400000_NS6detail17trampoline_kernelINS0_14default_configENS1_33run_length_encode_config_selectorIbjNS0_4plusIjEEEEZZNS1_33reduce_by_key_impl_wrapped_configILNS1_25lookback_scan_determinismE0ES3_S7_N6hipcub16HIPCUB_304000_NS22TransformInputIteratorIbN2at6native8internal12_GLOBAL__N_110LoadBoolOpEPKhlEENS0_17constant_iteratorIjlEEPbPlSO_S6_NS0_8equal_toIbEEEE10hipError_tPvRmT2_T3_mT4_T5_T6_T7_T8_P12ihipStream_tbENKUlT_T0_E_clISt17integral_constantIbLb0EES18_EEDaS13_S14_EUlS13_E_NS1_11comp_targetILNS1_3genE10ELNS1_11target_archE1200ELNS1_3gpuE4ELNS1_3repE0EEENS1_30default_config_static_selectorELNS0_4arch9wavefront6targetE0EEEvT1_.num_agpr, 0
	.set _ZN7rocprim17ROCPRIM_400000_NS6detail17trampoline_kernelINS0_14default_configENS1_33run_length_encode_config_selectorIbjNS0_4plusIjEEEEZZNS1_33reduce_by_key_impl_wrapped_configILNS1_25lookback_scan_determinismE0ES3_S7_N6hipcub16HIPCUB_304000_NS22TransformInputIteratorIbN2at6native8internal12_GLOBAL__N_110LoadBoolOpEPKhlEENS0_17constant_iteratorIjlEEPbPlSO_S6_NS0_8equal_toIbEEEE10hipError_tPvRmT2_T3_mT4_T5_T6_T7_T8_P12ihipStream_tbENKUlT_T0_E_clISt17integral_constantIbLb0EES18_EEDaS13_S14_EUlS13_E_NS1_11comp_targetILNS1_3genE10ELNS1_11target_archE1200ELNS1_3gpuE4ELNS1_3repE0EEENS1_30default_config_static_selectorELNS0_4arch9wavefront6targetE0EEEvT1_.numbered_sgpr, 0
	.set _ZN7rocprim17ROCPRIM_400000_NS6detail17trampoline_kernelINS0_14default_configENS1_33run_length_encode_config_selectorIbjNS0_4plusIjEEEEZZNS1_33reduce_by_key_impl_wrapped_configILNS1_25lookback_scan_determinismE0ES3_S7_N6hipcub16HIPCUB_304000_NS22TransformInputIteratorIbN2at6native8internal12_GLOBAL__N_110LoadBoolOpEPKhlEENS0_17constant_iteratorIjlEEPbPlSO_S6_NS0_8equal_toIbEEEE10hipError_tPvRmT2_T3_mT4_T5_T6_T7_T8_P12ihipStream_tbENKUlT_T0_E_clISt17integral_constantIbLb0EES18_EEDaS13_S14_EUlS13_E_NS1_11comp_targetILNS1_3genE10ELNS1_11target_archE1200ELNS1_3gpuE4ELNS1_3repE0EEENS1_30default_config_static_selectorELNS0_4arch9wavefront6targetE0EEEvT1_.num_named_barrier, 0
	.set _ZN7rocprim17ROCPRIM_400000_NS6detail17trampoline_kernelINS0_14default_configENS1_33run_length_encode_config_selectorIbjNS0_4plusIjEEEEZZNS1_33reduce_by_key_impl_wrapped_configILNS1_25lookback_scan_determinismE0ES3_S7_N6hipcub16HIPCUB_304000_NS22TransformInputIteratorIbN2at6native8internal12_GLOBAL__N_110LoadBoolOpEPKhlEENS0_17constant_iteratorIjlEEPbPlSO_S6_NS0_8equal_toIbEEEE10hipError_tPvRmT2_T3_mT4_T5_T6_T7_T8_P12ihipStream_tbENKUlT_T0_E_clISt17integral_constantIbLb0EES18_EEDaS13_S14_EUlS13_E_NS1_11comp_targetILNS1_3genE10ELNS1_11target_archE1200ELNS1_3gpuE4ELNS1_3repE0EEENS1_30default_config_static_selectorELNS0_4arch9wavefront6targetE0EEEvT1_.private_seg_size, 0
	.set _ZN7rocprim17ROCPRIM_400000_NS6detail17trampoline_kernelINS0_14default_configENS1_33run_length_encode_config_selectorIbjNS0_4plusIjEEEEZZNS1_33reduce_by_key_impl_wrapped_configILNS1_25lookback_scan_determinismE0ES3_S7_N6hipcub16HIPCUB_304000_NS22TransformInputIteratorIbN2at6native8internal12_GLOBAL__N_110LoadBoolOpEPKhlEENS0_17constant_iteratorIjlEEPbPlSO_S6_NS0_8equal_toIbEEEE10hipError_tPvRmT2_T3_mT4_T5_T6_T7_T8_P12ihipStream_tbENKUlT_T0_E_clISt17integral_constantIbLb0EES18_EEDaS13_S14_EUlS13_E_NS1_11comp_targetILNS1_3genE10ELNS1_11target_archE1200ELNS1_3gpuE4ELNS1_3repE0EEENS1_30default_config_static_selectorELNS0_4arch9wavefront6targetE0EEEvT1_.uses_vcc, 0
	.set _ZN7rocprim17ROCPRIM_400000_NS6detail17trampoline_kernelINS0_14default_configENS1_33run_length_encode_config_selectorIbjNS0_4plusIjEEEEZZNS1_33reduce_by_key_impl_wrapped_configILNS1_25lookback_scan_determinismE0ES3_S7_N6hipcub16HIPCUB_304000_NS22TransformInputIteratorIbN2at6native8internal12_GLOBAL__N_110LoadBoolOpEPKhlEENS0_17constant_iteratorIjlEEPbPlSO_S6_NS0_8equal_toIbEEEE10hipError_tPvRmT2_T3_mT4_T5_T6_T7_T8_P12ihipStream_tbENKUlT_T0_E_clISt17integral_constantIbLb0EES18_EEDaS13_S14_EUlS13_E_NS1_11comp_targetILNS1_3genE10ELNS1_11target_archE1200ELNS1_3gpuE4ELNS1_3repE0EEENS1_30default_config_static_selectorELNS0_4arch9wavefront6targetE0EEEvT1_.uses_flat_scratch, 0
	.set _ZN7rocprim17ROCPRIM_400000_NS6detail17trampoline_kernelINS0_14default_configENS1_33run_length_encode_config_selectorIbjNS0_4plusIjEEEEZZNS1_33reduce_by_key_impl_wrapped_configILNS1_25lookback_scan_determinismE0ES3_S7_N6hipcub16HIPCUB_304000_NS22TransformInputIteratorIbN2at6native8internal12_GLOBAL__N_110LoadBoolOpEPKhlEENS0_17constant_iteratorIjlEEPbPlSO_S6_NS0_8equal_toIbEEEE10hipError_tPvRmT2_T3_mT4_T5_T6_T7_T8_P12ihipStream_tbENKUlT_T0_E_clISt17integral_constantIbLb0EES18_EEDaS13_S14_EUlS13_E_NS1_11comp_targetILNS1_3genE10ELNS1_11target_archE1200ELNS1_3gpuE4ELNS1_3repE0EEENS1_30default_config_static_selectorELNS0_4arch9wavefront6targetE0EEEvT1_.has_dyn_sized_stack, 0
	.set _ZN7rocprim17ROCPRIM_400000_NS6detail17trampoline_kernelINS0_14default_configENS1_33run_length_encode_config_selectorIbjNS0_4plusIjEEEEZZNS1_33reduce_by_key_impl_wrapped_configILNS1_25lookback_scan_determinismE0ES3_S7_N6hipcub16HIPCUB_304000_NS22TransformInputIteratorIbN2at6native8internal12_GLOBAL__N_110LoadBoolOpEPKhlEENS0_17constant_iteratorIjlEEPbPlSO_S6_NS0_8equal_toIbEEEE10hipError_tPvRmT2_T3_mT4_T5_T6_T7_T8_P12ihipStream_tbENKUlT_T0_E_clISt17integral_constantIbLb0EES18_EEDaS13_S14_EUlS13_E_NS1_11comp_targetILNS1_3genE10ELNS1_11target_archE1200ELNS1_3gpuE4ELNS1_3repE0EEENS1_30default_config_static_selectorELNS0_4arch9wavefront6targetE0EEEvT1_.has_recursion, 0
	.set _ZN7rocprim17ROCPRIM_400000_NS6detail17trampoline_kernelINS0_14default_configENS1_33run_length_encode_config_selectorIbjNS0_4plusIjEEEEZZNS1_33reduce_by_key_impl_wrapped_configILNS1_25lookback_scan_determinismE0ES3_S7_N6hipcub16HIPCUB_304000_NS22TransformInputIteratorIbN2at6native8internal12_GLOBAL__N_110LoadBoolOpEPKhlEENS0_17constant_iteratorIjlEEPbPlSO_S6_NS0_8equal_toIbEEEE10hipError_tPvRmT2_T3_mT4_T5_T6_T7_T8_P12ihipStream_tbENKUlT_T0_E_clISt17integral_constantIbLb0EES18_EEDaS13_S14_EUlS13_E_NS1_11comp_targetILNS1_3genE10ELNS1_11target_archE1200ELNS1_3gpuE4ELNS1_3repE0EEENS1_30default_config_static_selectorELNS0_4arch9wavefront6targetE0EEEvT1_.has_indirect_call, 0
	.section	.AMDGPU.csdata,"",@progbits
; Kernel info:
; codeLenInByte = 0
; TotalNumSgprs: 0
; NumVgprs: 0
; ScratchSize: 0
; MemoryBound: 0
; FloatMode: 240
; IeeeMode: 1
; LDSByteSize: 0 bytes/workgroup (compile time only)
; SGPRBlocks: 0
; VGPRBlocks: 0
; NumSGPRsForWavesPerEU: 1
; NumVGPRsForWavesPerEU: 1
; NamedBarCnt: 0
; Occupancy: 16
; WaveLimiterHint : 0
; COMPUTE_PGM_RSRC2:SCRATCH_EN: 0
; COMPUTE_PGM_RSRC2:USER_SGPR: 2
; COMPUTE_PGM_RSRC2:TRAP_HANDLER: 0
; COMPUTE_PGM_RSRC2:TGID_X_EN: 1
; COMPUTE_PGM_RSRC2:TGID_Y_EN: 0
; COMPUTE_PGM_RSRC2:TGID_Z_EN: 0
; COMPUTE_PGM_RSRC2:TIDIG_COMP_CNT: 0
	.section	.text._ZN7rocprim17ROCPRIM_400000_NS6detail17trampoline_kernelINS0_14default_configENS1_33run_length_encode_config_selectorIbjNS0_4plusIjEEEEZZNS1_33reduce_by_key_impl_wrapped_configILNS1_25lookback_scan_determinismE0ES3_S7_N6hipcub16HIPCUB_304000_NS22TransformInputIteratorIbN2at6native8internal12_GLOBAL__N_110LoadBoolOpEPKhlEENS0_17constant_iteratorIjlEEPbPlSO_S6_NS0_8equal_toIbEEEE10hipError_tPvRmT2_T3_mT4_T5_T6_T7_T8_P12ihipStream_tbENKUlT_T0_E_clISt17integral_constantIbLb0EES18_EEDaS13_S14_EUlS13_E_NS1_11comp_targetILNS1_3genE9ELNS1_11target_archE1100ELNS1_3gpuE3ELNS1_3repE0EEENS1_30default_config_static_selectorELNS0_4arch9wavefront6targetE0EEEvT1_,"axG",@progbits,_ZN7rocprim17ROCPRIM_400000_NS6detail17trampoline_kernelINS0_14default_configENS1_33run_length_encode_config_selectorIbjNS0_4plusIjEEEEZZNS1_33reduce_by_key_impl_wrapped_configILNS1_25lookback_scan_determinismE0ES3_S7_N6hipcub16HIPCUB_304000_NS22TransformInputIteratorIbN2at6native8internal12_GLOBAL__N_110LoadBoolOpEPKhlEENS0_17constant_iteratorIjlEEPbPlSO_S6_NS0_8equal_toIbEEEE10hipError_tPvRmT2_T3_mT4_T5_T6_T7_T8_P12ihipStream_tbENKUlT_T0_E_clISt17integral_constantIbLb0EES18_EEDaS13_S14_EUlS13_E_NS1_11comp_targetILNS1_3genE9ELNS1_11target_archE1100ELNS1_3gpuE3ELNS1_3repE0EEENS1_30default_config_static_selectorELNS0_4arch9wavefront6targetE0EEEvT1_,comdat
	.globl	_ZN7rocprim17ROCPRIM_400000_NS6detail17trampoline_kernelINS0_14default_configENS1_33run_length_encode_config_selectorIbjNS0_4plusIjEEEEZZNS1_33reduce_by_key_impl_wrapped_configILNS1_25lookback_scan_determinismE0ES3_S7_N6hipcub16HIPCUB_304000_NS22TransformInputIteratorIbN2at6native8internal12_GLOBAL__N_110LoadBoolOpEPKhlEENS0_17constant_iteratorIjlEEPbPlSO_S6_NS0_8equal_toIbEEEE10hipError_tPvRmT2_T3_mT4_T5_T6_T7_T8_P12ihipStream_tbENKUlT_T0_E_clISt17integral_constantIbLb0EES18_EEDaS13_S14_EUlS13_E_NS1_11comp_targetILNS1_3genE9ELNS1_11target_archE1100ELNS1_3gpuE3ELNS1_3repE0EEENS1_30default_config_static_selectorELNS0_4arch9wavefront6targetE0EEEvT1_ ; -- Begin function _ZN7rocprim17ROCPRIM_400000_NS6detail17trampoline_kernelINS0_14default_configENS1_33run_length_encode_config_selectorIbjNS0_4plusIjEEEEZZNS1_33reduce_by_key_impl_wrapped_configILNS1_25lookback_scan_determinismE0ES3_S7_N6hipcub16HIPCUB_304000_NS22TransformInputIteratorIbN2at6native8internal12_GLOBAL__N_110LoadBoolOpEPKhlEENS0_17constant_iteratorIjlEEPbPlSO_S6_NS0_8equal_toIbEEEE10hipError_tPvRmT2_T3_mT4_T5_T6_T7_T8_P12ihipStream_tbENKUlT_T0_E_clISt17integral_constantIbLb0EES18_EEDaS13_S14_EUlS13_E_NS1_11comp_targetILNS1_3genE9ELNS1_11target_archE1100ELNS1_3gpuE3ELNS1_3repE0EEENS1_30default_config_static_selectorELNS0_4arch9wavefront6targetE0EEEvT1_
	.p2align	8
	.type	_ZN7rocprim17ROCPRIM_400000_NS6detail17trampoline_kernelINS0_14default_configENS1_33run_length_encode_config_selectorIbjNS0_4plusIjEEEEZZNS1_33reduce_by_key_impl_wrapped_configILNS1_25lookback_scan_determinismE0ES3_S7_N6hipcub16HIPCUB_304000_NS22TransformInputIteratorIbN2at6native8internal12_GLOBAL__N_110LoadBoolOpEPKhlEENS0_17constant_iteratorIjlEEPbPlSO_S6_NS0_8equal_toIbEEEE10hipError_tPvRmT2_T3_mT4_T5_T6_T7_T8_P12ihipStream_tbENKUlT_T0_E_clISt17integral_constantIbLb0EES18_EEDaS13_S14_EUlS13_E_NS1_11comp_targetILNS1_3genE9ELNS1_11target_archE1100ELNS1_3gpuE3ELNS1_3repE0EEENS1_30default_config_static_selectorELNS0_4arch9wavefront6targetE0EEEvT1_,@function
_ZN7rocprim17ROCPRIM_400000_NS6detail17trampoline_kernelINS0_14default_configENS1_33run_length_encode_config_selectorIbjNS0_4plusIjEEEEZZNS1_33reduce_by_key_impl_wrapped_configILNS1_25lookback_scan_determinismE0ES3_S7_N6hipcub16HIPCUB_304000_NS22TransformInputIteratorIbN2at6native8internal12_GLOBAL__N_110LoadBoolOpEPKhlEENS0_17constant_iteratorIjlEEPbPlSO_S6_NS0_8equal_toIbEEEE10hipError_tPvRmT2_T3_mT4_T5_T6_T7_T8_P12ihipStream_tbENKUlT_T0_E_clISt17integral_constantIbLb0EES18_EEDaS13_S14_EUlS13_E_NS1_11comp_targetILNS1_3genE9ELNS1_11target_archE1100ELNS1_3gpuE3ELNS1_3repE0EEENS1_30default_config_static_selectorELNS0_4arch9wavefront6targetE0EEEvT1_: ; @_ZN7rocprim17ROCPRIM_400000_NS6detail17trampoline_kernelINS0_14default_configENS1_33run_length_encode_config_selectorIbjNS0_4plusIjEEEEZZNS1_33reduce_by_key_impl_wrapped_configILNS1_25lookback_scan_determinismE0ES3_S7_N6hipcub16HIPCUB_304000_NS22TransformInputIteratorIbN2at6native8internal12_GLOBAL__N_110LoadBoolOpEPKhlEENS0_17constant_iteratorIjlEEPbPlSO_S6_NS0_8equal_toIbEEEE10hipError_tPvRmT2_T3_mT4_T5_T6_T7_T8_P12ihipStream_tbENKUlT_T0_E_clISt17integral_constantIbLb0EES18_EEDaS13_S14_EUlS13_E_NS1_11comp_targetILNS1_3genE9ELNS1_11target_archE1100ELNS1_3gpuE3ELNS1_3repE0EEENS1_30default_config_static_selectorELNS0_4arch9wavefront6targetE0EEEvT1_
; %bb.0:
	.section	.rodata,"a",@progbits
	.p2align	6, 0x0
	.amdhsa_kernel _ZN7rocprim17ROCPRIM_400000_NS6detail17trampoline_kernelINS0_14default_configENS1_33run_length_encode_config_selectorIbjNS0_4plusIjEEEEZZNS1_33reduce_by_key_impl_wrapped_configILNS1_25lookback_scan_determinismE0ES3_S7_N6hipcub16HIPCUB_304000_NS22TransformInputIteratorIbN2at6native8internal12_GLOBAL__N_110LoadBoolOpEPKhlEENS0_17constant_iteratorIjlEEPbPlSO_S6_NS0_8equal_toIbEEEE10hipError_tPvRmT2_T3_mT4_T5_T6_T7_T8_P12ihipStream_tbENKUlT_T0_E_clISt17integral_constantIbLb0EES18_EEDaS13_S14_EUlS13_E_NS1_11comp_targetILNS1_3genE9ELNS1_11target_archE1100ELNS1_3gpuE3ELNS1_3repE0EEENS1_30default_config_static_selectorELNS0_4arch9wavefront6targetE0EEEvT1_
		.amdhsa_group_segment_fixed_size 0
		.amdhsa_private_segment_fixed_size 0
		.amdhsa_kernarg_size 136
		.amdhsa_user_sgpr_count 2
		.amdhsa_user_sgpr_dispatch_ptr 0
		.amdhsa_user_sgpr_queue_ptr 0
		.amdhsa_user_sgpr_kernarg_segment_ptr 1
		.amdhsa_user_sgpr_dispatch_id 0
		.amdhsa_user_sgpr_kernarg_preload_length 0
		.amdhsa_user_sgpr_kernarg_preload_offset 0
		.amdhsa_user_sgpr_private_segment_size 0
		.amdhsa_wavefront_size32 1
		.amdhsa_uses_dynamic_stack 0
		.amdhsa_enable_private_segment 0
		.amdhsa_system_sgpr_workgroup_id_x 1
		.amdhsa_system_sgpr_workgroup_id_y 0
		.amdhsa_system_sgpr_workgroup_id_z 0
		.amdhsa_system_sgpr_workgroup_info 0
		.amdhsa_system_vgpr_workitem_id 0
		.amdhsa_next_free_vgpr 1
		.amdhsa_next_free_sgpr 1
		.amdhsa_named_barrier_count 0
		.amdhsa_reserve_vcc 0
		.amdhsa_float_round_mode_32 0
		.amdhsa_float_round_mode_16_64 0
		.amdhsa_float_denorm_mode_32 3
		.amdhsa_float_denorm_mode_16_64 3
		.amdhsa_fp16_overflow 0
		.amdhsa_memory_ordered 1
		.amdhsa_forward_progress 1
		.amdhsa_inst_pref_size 0
		.amdhsa_round_robin_scheduling 0
		.amdhsa_exception_fp_ieee_invalid_op 0
		.amdhsa_exception_fp_denorm_src 0
		.amdhsa_exception_fp_ieee_div_zero 0
		.amdhsa_exception_fp_ieee_overflow 0
		.amdhsa_exception_fp_ieee_underflow 0
		.amdhsa_exception_fp_ieee_inexact 0
		.amdhsa_exception_int_div_zero 0
	.end_amdhsa_kernel
	.section	.text._ZN7rocprim17ROCPRIM_400000_NS6detail17trampoline_kernelINS0_14default_configENS1_33run_length_encode_config_selectorIbjNS0_4plusIjEEEEZZNS1_33reduce_by_key_impl_wrapped_configILNS1_25lookback_scan_determinismE0ES3_S7_N6hipcub16HIPCUB_304000_NS22TransformInputIteratorIbN2at6native8internal12_GLOBAL__N_110LoadBoolOpEPKhlEENS0_17constant_iteratorIjlEEPbPlSO_S6_NS0_8equal_toIbEEEE10hipError_tPvRmT2_T3_mT4_T5_T6_T7_T8_P12ihipStream_tbENKUlT_T0_E_clISt17integral_constantIbLb0EES18_EEDaS13_S14_EUlS13_E_NS1_11comp_targetILNS1_3genE9ELNS1_11target_archE1100ELNS1_3gpuE3ELNS1_3repE0EEENS1_30default_config_static_selectorELNS0_4arch9wavefront6targetE0EEEvT1_,"axG",@progbits,_ZN7rocprim17ROCPRIM_400000_NS6detail17trampoline_kernelINS0_14default_configENS1_33run_length_encode_config_selectorIbjNS0_4plusIjEEEEZZNS1_33reduce_by_key_impl_wrapped_configILNS1_25lookback_scan_determinismE0ES3_S7_N6hipcub16HIPCUB_304000_NS22TransformInputIteratorIbN2at6native8internal12_GLOBAL__N_110LoadBoolOpEPKhlEENS0_17constant_iteratorIjlEEPbPlSO_S6_NS0_8equal_toIbEEEE10hipError_tPvRmT2_T3_mT4_T5_T6_T7_T8_P12ihipStream_tbENKUlT_T0_E_clISt17integral_constantIbLb0EES18_EEDaS13_S14_EUlS13_E_NS1_11comp_targetILNS1_3genE9ELNS1_11target_archE1100ELNS1_3gpuE3ELNS1_3repE0EEENS1_30default_config_static_selectorELNS0_4arch9wavefront6targetE0EEEvT1_,comdat
.Lfunc_end65:
	.size	_ZN7rocprim17ROCPRIM_400000_NS6detail17trampoline_kernelINS0_14default_configENS1_33run_length_encode_config_selectorIbjNS0_4plusIjEEEEZZNS1_33reduce_by_key_impl_wrapped_configILNS1_25lookback_scan_determinismE0ES3_S7_N6hipcub16HIPCUB_304000_NS22TransformInputIteratorIbN2at6native8internal12_GLOBAL__N_110LoadBoolOpEPKhlEENS0_17constant_iteratorIjlEEPbPlSO_S6_NS0_8equal_toIbEEEE10hipError_tPvRmT2_T3_mT4_T5_T6_T7_T8_P12ihipStream_tbENKUlT_T0_E_clISt17integral_constantIbLb0EES18_EEDaS13_S14_EUlS13_E_NS1_11comp_targetILNS1_3genE9ELNS1_11target_archE1100ELNS1_3gpuE3ELNS1_3repE0EEENS1_30default_config_static_selectorELNS0_4arch9wavefront6targetE0EEEvT1_, .Lfunc_end65-_ZN7rocprim17ROCPRIM_400000_NS6detail17trampoline_kernelINS0_14default_configENS1_33run_length_encode_config_selectorIbjNS0_4plusIjEEEEZZNS1_33reduce_by_key_impl_wrapped_configILNS1_25lookback_scan_determinismE0ES3_S7_N6hipcub16HIPCUB_304000_NS22TransformInputIteratorIbN2at6native8internal12_GLOBAL__N_110LoadBoolOpEPKhlEENS0_17constant_iteratorIjlEEPbPlSO_S6_NS0_8equal_toIbEEEE10hipError_tPvRmT2_T3_mT4_T5_T6_T7_T8_P12ihipStream_tbENKUlT_T0_E_clISt17integral_constantIbLb0EES18_EEDaS13_S14_EUlS13_E_NS1_11comp_targetILNS1_3genE9ELNS1_11target_archE1100ELNS1_3gpuE3ELNS1_3repE0EEENS1_30default_config_static_selectorELNS0_4arch9wavefront6targetE0EEEvT1_
                                        ; -- End function
	.set _ZN7rocprim17ROCPRIM_400000_NS6detail17trampoline_kernelINS0_14default_configENS1_33run_length_encode_config_selectorIbjNS0_4plusIjEEEEZZNS1_33reduce_by_key_impl_wrapped_configILNS1_25lookback_scan_determinismE0ES3_S7_N6hipcub16HIPCUB_304000_NS22TransformInputIteratorIbN2at6native8internal12_GLOBAL__N_110LoadBoolOpEPKhlEENS0_17constant_iteratorIjlEEPbPlSO_S6_NS0_8equal_toIbEEEE10hipError_tPvRmT2_T3_mT4_T5_T6_T7_T8_P12ihipStream_tbENKUlT_T0_E_clISt17integral_constantIbLb0EES18_EEDaS13_S14_EUlS13_E_NS1_11comp_targetILNS1_3genE9ELNS1_11target_archE1100ELNS1_3gpuE3ELNS1_3repE0EEENS1_30default_config_static_selectorELNS0_4arch9wavefront6targetE0EEEvT1_.num_vgpr, 0
	.set _ZN7rocprim17ROCPRIM_400000_NS6detail17trampoline_kernelINS0_14default_configENS1_33run_length_encode_config_selectorIbjNS0_4plusIjEEEEZZNS1_33reduce_by_key_impl_wrapped_configILNS1_25lookback_scan_determinismE0ES3_S7_N6hipcub16HIPCUB_304000_NS22TransformInputIteratorIbN2at6native8internal12_GLOBAL__N_110LoadBoolOpEPKhlEENS0_17constant_iteratorIjlEEPbPlSO_S6_NS0_8equal_toIbEEEE10hipError_tPvRmT2_T3_mT4_T5_T6_T7_T8_P12ihipStream_tbENKUlT_T0_E_clISt17integral_constantIbLb0EES18_EEDaS13_S14_EUlS13_E_NS1_11comp_targetILNS1_3genE9ELNS1_11target_archE1100ELNS1_3gpuE3ELNS1_3repE0EEENS1_30default_config_static_selectorELNS0_4arch9wavefront6targetE0EEEvT1_.num_agpr, 0
	.set _ZN7rocprim17ROCPRIM_400000_NS6detail17trampoline_kernelINS0_14default_configENS1_33run_length_encode_config_selectorIbjNS0_4plusIjEEEEZZNS1_33reduce_by_key_impl_wrapped_configILNS1_25lookback_scan_determinismE0ES3_S7_N6hipcub16HIPCUB_304000_NS22TransformInputIteratorIbN2at6native8internal12_GLOBAL__N_110LoadBoolOpEPKhlEENS0_17constant_iteratorIjlEEPbPlSO_S6_NS0_8equal_toIbEEEE10hipError_tPvRmT2_T3_mT4_T5_T6_T7_T8_P12ihipStream_tbENKUlT_T0_E_clISt17integral_constantIbLb0EES18_EEDaS13_S14_EUlS13_E_NS1_11comp_targetILNS1_3genE9ELNS1_11target_archE1100ELNS1_3gpuE3ELNS1_3repE0EEENS1_30default_config_static_selectorELNS0_4arch9wavefront6targetE0EEEvT1_.numbered_sgpr, 0
	.set _ZN7rocprim17ROCPRIM_400000_NS6detail17trampoline_kernelINS0_14default_configENS1_33run_length_encode_config_selectorIbjNS0_4plusIjEEEEZZNS1_33reduce_by_key_impl_wrapped_configILNS1_25lookback_scan_determinismE0ES3_S7_N6hipcub16HIPCUB_304000_NS22TransformInputIteratorIbN2at6native8internal12_GLOBAL__N_110LoadBoolOpEPKhlEENS0_17constant_iteratorIjlEEPbPlSO_S6_NS0_8equal_toIbEEEE10hipError_tPvRmT2_T3_mT4_T5_T6_T7_T8_P12ihipStream_tbENKUlT_T0_E_clISt17integral_constantIbLb0EES18_EEDaS13_S14_EUlS13_E_NS1_11comp_targetILNS1_3genE9ELNS1_11target_archE1100ELNS1_3gpuE3ELNS1_3repE0EEENS1_30default_config_static_selectorELNS0_4arch9wavefront6targetE0EEEvT1_.num_named_barrier, 0
	.set _ZN7rocprim17ROCPRIM_400000_NS6detail17trampoline_kernelINS0_14default_configENS1_33run_length_encode_config_selectorIbjNS0_4plusIjEEEEZZNS1_33reduce_by_key_impl_wrapped_configILNS1_25lookback_scan_determinismE0ES3_S7_N6hipcub16HIPCUB_304000_NS22TransformInputIteratorIbN2at6native8internal12_GLOBAL__N_110LoadBoolOpEPKhlEENS0_17constant_iteratorIjlEEPbPlSO_S6_NS0_8equal_toIbEEEE10hipError_tPvRmT2_T3_mT4_T5_T6_T7_T8_P12ihipStream_tbENKUlT_T0_E_clISt17integral_constantIbLb0EES18_EEDaS13_S14_EUlS13_E_NS1_11comp_targetILNS1_3genE9ELNS1_11target_archE1100ELNS1_3gpuE3ELNS1_3repE0EEENS1_30default_config_static_selectorELNS0_4arch9wavefront6targetE0EEEvT1_.private_seg_size, 0
	.set _ZN7rocprim17ROCPRIM_400000_NS6detail17trampoline_kernelINS0_14default_configENS1_33run_length_encode_config_selectorIbjNS0_4plusIjEEEEZZNS1_33reduce_by_key_impl_wrapped_configILNS1_25lookback_scan_determinismE0ES3_S7_N6hipcub16HIPCUB_304000_NS22TransformInputIteratorIbN2at6native8internal12_GLOBAL__N_110LoadBoolOpEPKhlEENS0_17constant_iteratorIjlEEPbPlSO_S6_NS0_8equal_toIbEEEE10hipError_tPvRmT2_T3_mT4_T5_T6_T7_T8_P12ihipStream_tbENKUlT_T0_E_clISt17integral_constantIbLb0EES18_EEDaS13_S14_EUlS13_E_NS1_11comp_targetILNS1_3genE9ELNS1_11target_archE1100ELNS1_3gpuE3ELNS1_3repE0EEENS1_30default_config_static_selectorELNS0_4arch9wavefront6targetE0EEEvT1_.uses_vcc, 0
	.set _ZN7rocprim17ROCPRIM_400000_NS6detail17trampoline_kernelINS0_14default_configENS1_33run_length_encode_config_selectorIbjNS0_4plusIjEEEEZZNS1_33reduce_by_key_impl_wrapped_configILNS1_25lookback_scan_determinismE0ES3_S7_N6hipcub16HIPCUB_304000_NS22TransformInputIteratorIbN2at6native8internal12_GLOBAL__N_110LoadBoolOpEPKhlEENS0_17constant_iteratorIjlEEPbPlSO_S6_NS0_8equal_toIbEEEE10hipError_tPvRmT2_T3_mT4_T5_T6_T7_T8_P12ihipStream_tbENKUlT_T0_E_clISt17integral_constantIbLb0EES18_EEDaS13_S14_EUlS13_E_NS1_11comp_targetILNS1_3genE9ELNS1_11target_archE1100ELNS1_3gpuE3ELNS1_3repE0EEENS1_30default_config_static_selectorELNS0_4arch9wavefront6targetE0EEEvT1_.uses_flat_scratch, 0
	.set _ZN7rocprim17ROCPRIM_400000_NS6detail17trampoline_kernelINS0_14default_configENS1_33run_length_encode_config_selectorIbjNS0_4plusIjEEEEZZNS1_33reduce_by_key_impl_wrapped_configILNS1_25lookback_scan_determinismE0ES3_S7_N6hipcub16HIPCUB_304000_NS22TransformInputIteratorIbN2at6native8internal12_GLOBAL__N_110LoadBoolOpEPKhlEENS0_17constant_iteratorIjlEEPbPlSO_S6_NS0_8equal_toIbEEEE10hipError_tPvRmT2_T3_mT4_T5_T6_T7_T8_P12ihipStream_tbENKUlT_T0_E_clISt17integral_constantIbLb0EES18_EEDaS13_S14_EUlS13_E_NS1_11comp_targetILNS1_3genE9ELNS1_11target_archE1100ELNS1_3gpuE3ELNS1_3repE0EEENS1_30default_config_static_selectorELNS0_4arch9wavefront6targetE0EEEvT1_.has_dyn_sized_stack, 0
	.set _ZN7rocprim17ROCPRIM_400000_NS6detail17trampoline_kernelINS0_14default_configENS1_33run_length_encode_config_selectorIbjNS0_4plusIjEEEEZZNS1_33reduce_by_key_impl_wrapped_configILNS1_25lookback_scan_determinismE0ES3_S7_N6hipcub16HIPCUB_304000_NS22TransformInputIteratorIbN2at6native8internal12_GLOBAL__N_110LoadBoolOpEPKhlEENS0_17constant_iteratorIjlEEPbPlSO_S6_NS0_8equal_toIbEEEE10hipError_tPvRmT2_T3_mT4_T5_T6_T7_T8_P12ihipStream_tbENKUlT_T0_E_clISt17integral_constantIbLb0EES18_EEDaS13_S14_EUlS13_E_NS1_11comp_targetILNS1_3genE9ELNS1_11target_archE1100ELNS1_3gpuE3ELNS1_3repE0EEENS1_30default_config_static_selectorELNS0_4arch9wavefront6targetE0EEEvT1_.has_recursion, 0
	.set _ZN7rocprim17ROCPRIM_400000_NS6detail17trampoline_kernelINS0_14default_configENS1_33run_length_encode_config_selectorIbjNS0_4plusIjEEEEZZNS1_33reduce_by_key_impl_wrapped_configILNS1_25lookback_scan_determinismE0ES3_S7_N6hipcub16HIPCUB_304000_NS22TransformInputIteratorIbN2at6native8internal12_GLOBAL__N_110LoadBoolOpEPKhlEENS0_17constant_iteratorIjlEEPbPlSO_S6_NS0_8equal_toIbEEEE10hipError_tPvRmT2_T3_mT4_T5_T6_T7_T8_P12ihipStream_tbENKUlT_T0_E_clISt17integral_constantIbLb0EES18_EEDaS13_S14_EUlS13_E_NS1_11comp_targetILNS1_3genE9ELNS1_11target_archE1100ELNS1_3gpuE3ELNS1_3repE0EEENS1_30default_config_static_selectorELNS0_4arch9wavefront6targetE0EEEvT1_.has_indirect_call, 0
	.section	.AMDGPU.csdata,"",@progbits
; Kernel info:
; codeLenInByte = 0
; TotalNumSgprs: 0
; NumVgprs: 0
; ScratchSize: 0
; MemoryBound: 0
; FloatMode: 240
; IeeeMode: 1
; LDSByteSize: 0 bytes/workgroup (compile time only)
; SGPRBlocks: 0
; VGPRBlocks: 0
; NumSGPRsForWavesPerEU: 1
; NumVGPRsForWavesPerEU: 1
; NamedBarCnt: 0
; Occupancy: 16
; WaveLimiterHint : 0
; COMPUTE_PGM_RSRC2:SCRATCH_EN: 0
; COMPUTE_PGM_RSRC2:USER_SGPR: 2
; COMPUTE_PGM_RSRC2:TRAP_HANDLER: 0
; COMPUTE_PGM_RSRC2:TGID_X_EN: 1
; COMPUTE_PGM_RSRC2:TGID_Y_EN: 0
; COMPUTE_PGM_RSRC2:TGID_Z_EN: 0
; COMPUTE_PGM_RSRC2:TIDIG_COMP_CNT: 0
	.section	.text._ZN7rocprim17ROCPRIM_400000_NS6detail17trampoline_kernelINS0_14default_configENS1_33run_length_encode_config_selectorIbjNS0_4plusIjEEEEZZNS1_33reduce_by_key_impl_wrapped_configILNS1_25lookback_scan_determinismE0ES3_S7_N6hipcub16HIPCUB_304000_NS22TransformInputIteratorIbN2at6native8internal12_GLOBAL__N_110LoadBoolOpEPKhlEENS0_17constant_iteratorIjlEEPbPlSO_S6_NS0_8equal_toIbEEEE10hipError_tPvRmT2_T3_mT4_T5_T6_T7_T8_P12ihipStream_tbENKUlT_T0_E_clISt17integral_constantIbLb0EES18_EEDaS13_S14_EUlS13_E_NS1_11comp_targetILNS1_3genE8ELNS1_11target_archE1030ELNS1_3gpuE2ELNS1_3repE0EEENS1_30default_config_static_selectorELNS0_4arch9wavefront6targetE0EEEvT1_,"axG",@progbits,_ZN7rocprim17ROCPRIM_400000_NS6detail17trampoline_kernelINS0_14default_configENS1_33run_length_encode_config_selectorIbjNS0_4plusIjEEEEZZNS1_33reduce_by_key_impl_wrapped_configILNS1_25lookback_scan_determinismE0ES3_S7_N6hipcub16HIPCUB_304000_NS22TransformInputIteratorIbN2at6native8internal12_GLOBAL__N_110LoadBoolOpEPKhlEENS0_17constant_iteratorIjlEEPbPlSO_S6_NS0_8equal_toIbEEEE10hipError_tPvRmT2_T3_mT4_T5_T6_T7_T8_P12ihipStream_tbENKUlT_T0_E_clISt17integral_constantIbLb0EES18_EEDaS13_S14_EUlS13_E_NS1_11comp_targetILNS1_3genE8ELNS1_11target_archE1030ELNS1_3gpuE2ELNS1_3repE0EEENS1_30default_config_static_selectorELNS0_4arch9wavefront6targetE0EEEvT1_,comdat
	.globl	_ZN7rocprim17ROCPRIM_400000_NS6detail17trampoline_kernelINS0_14default_configENS1_33run_length_encode_config_selectorIbjNS0_4plusIjEEEEZZNS1_33reduce_by_key_impl_wrapped_configILNS1_25lookback_scan_determinismE0ES3_S7_N6hipcub16HIPCUB_304000_NS22TransformInputIteratorIbN2at6native8internal12_GLOBAL__N_110LoadBoolOpEPKhlEENS0_17constant_iteratorIjlEEPbPlSO_S6_NS0_8equal_toIbEEEE10hipError_tPvRmT2_T3_mT4_T5_T6_T7_T8_P12ihipStream_tbENKUlT_T0_E_clISt17integral_constantIbLb0EES18_EEDaS13_S14_EUlS13_E_NS1_11comp_targetILNS1_3genE8ELNS1_11target_archE1030ELNS1_3gpuE2ELNS1_3repE0EEENS1_30default_config_static_selectorELNS0_4arch9wavefront6targetE0EEEvT1_ ; -- Begin function _ZN7rocprim17ROCPRIM_400000_NS6detail17trampoline_kernelINS0_14default_configENS1_33run_length_encode_config_selectorIbjNS0_4plusIjEEEEZZNS1_33reduce_by_key_impl_wrapped_configILNS1_25lookback_scan_determinismE0ES3_S7_N6hipcub16HIPCUB_304000_NS22TransformInputIteratorIbN2at6native8internal12_GLOBAL__N_110LoadBoolOpEPKhlEENS0_17constant_iteratorIjlEEPbPlSO_S6_NS0_8equal_toIbEEEE10hipError_tPvRmT2_T3_mT4_T5_T6_T7_T8_P12ihipStream_tbENKUlT_T0_E_clISt17integral_constantIbLb0EES18_EEDaS13_S14_EUlS13_E_NS1_11comp_targetILNS1_3genE8ELNS1_11target_archE1030ELNS1_3gpuE2ELNS1_3repE0EEENS1_30default_config_static_selectorELNS0_4arch9wavefront6targetE0EEEvT1_
	.p2align	8
	.type	_ZN7rocprim17ROCPRIM_400000_NS6detail17trampoline_kernelINS0_14default_configENS1_33run_length_encode_config_selectorIbjNS0_4plusIjEEEEZZNS1_33reduce_by_key_impl_wrapped_configILNS1_25lookback_scan_determinismE0ES3_S7_N6hipcub16HIPCUB_304000_NS22TransformInputIteratorIbN2at6native8internal12_GLOBAL__N_110LoadBoolOpEPKhlEENS0_17constant_iteratorIjlEEPbPlSO_S6_NS0_8equal_toIbEEEE10hipError_tPvRmT2_T3_mT4_T5_T6_T7_T8_P12ihipStream_tbENKUlT_T0_E_clISt17integral_constantIbLb0EES18_EEDaS13_S14_EUlS13_E_NS1_11comp_targetILNS1_3genE8ELNS1_11target_archE1030ELNS1_3gpuE2ELNS1_3repE0EEENS1_30default_config_static_selectorELNS0_4arch9wavefront6targetE0EEEvT1_,@function
_ZN7rocprim17ROCPRIM_400000_NS6detail17trampoline_kernelINS0_14default_configENS1_33run_length_encode_config_selectorIbjNS0_4plusIjEEEEZZNS1_33reduce_by_key_impl_wrapped_configILNS1_25lookback_scan_determinismE0ES3_S7_N6hipcub16HIPCUB_304000_NS22TransformInputIteratorIbN2at6native8internal12_GLOBAL__N_110LoadBoolOpEPKhlEENS0_17constant_iteratorIjlEEPbPlSO_S6_NS0_8equal_toIbEEEE10hipError_tPvRmT2_T3_mT4_T5_T6_T7_T8_P12ihipStream_tbENKUlT_T0_E_clISt17integral_constantIbLb0EES18_EEDaS13_S14_EUlS13_E_NS1_11comp_targetILNS1_3genE8ELNS1_11target_archE1030ELNS1_3gpuE2ELNS1_3repE0EEENS1_30default_config_static_selectorELNS0_4arch9wavefront6targetE0EEEvT1_: ; @_ZN7rocprim17ROCPRIM_400000_NS6detail17trampoline_kernelINS0_14default_configENS1_33run_length_encode_config_selectorIbjNS0_4plusIjEEEEZZNS1_33reduce_by_key_impl_wrapped_configILNS1_25lookback_scan_determinismE0ES3_S7_N6hipcub16HIPCUB_304000_NS22TransformInputIteratorIbN2at6native8internal12_GLOBAL__N_110LoadBoolOpEPKhlEENS0_17constant_iteratorIjlEEPbPlSO_S6_NS0_8equal_toIbEEEE10hipError_tPvRmT2_T3_mT4_T5_T6_T7_T8_P12ihipStream_tbENKUlT_T0_E_clISt17integral_constantIbLb0EES18_EEDaS13_S14_EUlS13_E_NS1_11comp_targetILNS1_3genE8ELNS1_11target_archE1030ELNS1_3gpuE2ELNS1_3repE0EEENS1_30default_config_static_selectorELNS0_4arch9wavefront6targetE0EEEvT1_
; %bb.0:
	.section	.rodata,"a",@progbits
	.p2align	6, 0x0
	.amdhsa_kernel _ZN7rocprim17ROCPRIM_400000_NS6detail17trampoline_kernelINS0_14default_configENS1_33run_length_encode_config_selectorIbjNS0_4plusIjEEEEZZNS1_33reduce_by_key_impl_wrapped_configILNS1_25lookback_scan_determinismE0ES3_S7_N6hipcub16HIPCUB_304000_NS22TransformInputIteratorIbN2at6native8internal12_GLOBAL__N_110LoadBoolOpEPKhlEENS0_17constant_iteratorIjlEEPbPlSO_S6_NS0_8equal_toIbEEEE10hipError_tPvRmT2_T3_mT4_T5_T6_T7_T8_P12ihipStream_tbENKUlT_T0_E_clISt17integral_constantIbLb0EES18_EEDaS13_S14_EUlS13_E_NS1_11comp_targetILNS1_3genE8ELNS1_11target_archE1030ELNS1_3gpuE2ELNS1_3repE0EEENS1_30default_config_static_selectorELNS0_4arch9wavefront6targetE0EEEvT1_
		.amdhsa_group_segment_fixed_size 0
		.amdhsa_private_segment_fixed_size 0
		.amdhsa_kernarg_size 136
		.amdhsa_user_sgpr_count 2
		.amdhsa_user_sgpr_dispatch_ptr 0
		.amdhsa_user_sgpr_queue_ptr 0
		.amdhsa_user_sgpr_kernarg_segment_ptr 1
		.amdhsa_user_sgpr_dispatch_id 0
		.amdhsa_user_sgpr_kernarg_preload_length 0
		.amdhsa_user_sgpr_kernarg_preload_offset 0
		.amdhsa_user_sgpr_private_segment_size 0
		.amdhsa_wavefront_size32 1
		.amdhsa_uses_dynamic_stack 0
		.amdhsa_enable_private_segment 0
		.amdhsa_system_sgpr_workgroup_id_x 1
		.amdhsa_system_sgpr_workgroup_id_y 0
		.amdhsa_system_sgpr_workgroup_id_z 0
		.amdhsa_system_sgpr_workgroup_info 0
		.amdhsa_system_vgpr_workitem_id 0
		.amdhsa_next_free_vgpr 1
		.amdhsa_next_free_sgpr 1
		.amdhsa_named_barrier_count 0
		.amdhsa_reserve_vcc 0
		.amdhsa_float_round_mode_32 0
		.amdhsa_float_round_mode_16_64 0
		.amdhsa_float_denorm_mode_32 3
		.amdhsa_float_denorm_mode_16_64 3
		.amdhsa_fp16_overflow 0
		.amdhsa_memory_ordered 1
		.amdhsa_forward_progress 1
		.amdhsa_inst_pref_size 0
		.amdhsa_round_robin_scheduling 0
		.amdhsa_exception_fp_ieee_invalid_op 0
		.amdhsa_exception_fp_denorm_src 0
		.amdhsa_exception_fp_ieee_div_zero 0
		.amdhsa_exception_fp_ieee_overflow 0
		.amdhsa_exception_fp_ieee_underflow 0
		.amdhsa_exception_fp_ieee_inexact 0
		.amdhsa_exception_int_div_zero 0
	.end_amdhsa_kernel
	.section	.text._ZN7rocprim17ROCPRIM_400000_NS6detail17trampoline_kernelINS0_14default_configENS1_33run_length_encode_config_selectorIbjNS0_4plusIjEEEEZZNS1_33reduce_by_key_impl_wrapped_configILNS1_25lookback_scan_determinismE0ES3_S7_N6hipcub16HIPCUB_304000_NS22TransformInputIteratorIbN2at6native8internal12_GLOBAL__N_110LoadBoolOpEPKhlEENS0_17constant_iteratorIjlEEPbPlSO_S6_NS0_8equal_toIbEEEE10hipError_tPvRmT2_T3_mT4_T5_T6_T7_T8_P12ihipStream_tbENKUlT_T0_E_clISt17integral_constantIbLb0EES18_EEDaS13_S14_EUlS13_E_NS1_11comp_targetILNS1_3genE8ELNS1_11target_archE1030ELNS1_3gpuE2ELNS1_3repE0EEENS1_30default_config_static_selectorELNS0_4arch9wavefront6targetE0EEEvT1_,"axG",@progbits,_ZN7rocprim17ROCPRIM_400000_NS6detail17trampoline_kernelINS0_14default_configENS1_33run_length_encode_config_selectorIbjNS0_4plusIjEEEEZZNS1_33reduce_by_key_impl_wrapped_configILNS1_25lookback_scan_determinismE0ES3_S7_N6hipcub16HIPCUB_304000_NS22TransformInputIteratorIbN2at6native8internal12_GLOBAL__N_110LoadBoolOpEPKhlEENS0_17constant_iteratorIjlEEPbPlSO_S6_NS0_8equal_toIbEEEE10hipError_tPvRmT2_T3_mT4_T5_T6_T7_T8_P12ihipStream_tbENKUlT_T0_E_clISt17integral_constantIbLb0EES18_EEDaS13_S14_EUlS13_E_NS1_11comp_targetILNS1_3genE8ELNS1_11target_archE1030ELNS1_3gpuE2ELNS1_3repE0EEENS1_30default_config_static_selectorELNS0_4arch9wavefront6targetE0EEEvT1_,comdat
.Lfunc_end66:
	.size	_ZN7rocprim17ROCPRIM_400000_NS6detail17trampoline_kernelINS0_14default_configENS1_33run_length_encode_config_selectorIbjNS0_4plusIjEEEEZZNS1_33reduce_by_key_impl_wrapped_configILNS1_25lookback_scan_determinismE0ES3_S7_N6hipcub16HIPCUB_304000_NS22TransformInputIteratorIbN2at6native8internal12_GLOBAL__N_110LoadBoolOpEPKhlEENS0_17constant_iteratorIjlEEPbPlSO_S6_NS0_8equal_toIbEEEE10hipError_tPvRmT2_T3_mT4_T5_T6_T7_T8_P12ihipStream_tbENKUlT_T0_E_clISt17integral_constantIbLb0EES18_EEDaS13_S14_EUlS13_E_NS1_11comp_targetILNS1_3genE8ELNS1_11target_archE1030ELNS1_3gpuE2ELNS1_3repE0EEENS1_30default_config_static_selectorELNS0_4arch9wavefront6targetE0EEEvT1_, .Lfunc_end66-_ZN7rocprim17ROCPRIM_400000_NS6detail17trampoline_kernelINS0_14default_configENS1_33run_length_encode_config_selectorIbjNS0_4plusIjEEEEZZNS1_33reduce_by_key_impl_wrapped_configILNS1_25lookback_scan_determinismE0ES3_S7_N6hipcub16HIPCUB_304000_NS22TransformInputIteratorIbN2at6native8internal12_GLOBAL__N_110LoadBoolOpEPKhlEENS0_17constant_iteratorIjlEEPbPlSO_S6_NS0_8equal_toIbEEEE10hipError_tPvRmT2_T3_mT4_T5_T6_T7_T8_P12ihipStream_tbENKUlT_T0_E_clISt17integral_constantIbLb0EES18_EEDaS13_S14_EUlS13_E_NS1_11comp_targetILNS1_3genE8ELNS1_11target_archE1030ELNS1_3gpuE2ELNS1_3repE0EEENS1_30default_config_static_selectorELNS0_4arch9wavefront6targetE0EEEvT1_
                                        ; -- End function
	.set _ZN7rocprim17ROCPRIM_400000_NS6detail17trampoline_kernelINS0_14default_configENS1_33run_length_encode_config_selectorIbjNS0_4plusIjEEEEZZNS1_33reduce_by_key_impl_wrapped_configILNS1_25lookback_scan_determinismE0ES3_S7_N6hipcub16HIPCUB_304000_NS22TransformInputIteratorIbN2at6native8internal12_GLOBAL__N_110LoadBoolOpEPKhlEENS0_17constant_iteratorIjlEEPbPlSO_S6_NS0_8equal_toIbEEEE10hipError_tPvRmT2_T3_mT4_T5_T6_T7_T8_P12ihipStream_tbENKUlT_T0_E_clISt17integral_constantIbLb0EES18_EEDaS13_S14_EUlS13_E_NS1_11comp_targetILNS1_3genE8ELNS1_11target_archE1030ELNS1_3gpuE2ELNS1_3repE0EEENS1_30default_config_static_selectorELNS0_4arch9wavefront6targetE0EEEvT1_.num_vgpr, 0
	.set _ZN7rocprim17ROCPRIM_400000_NS6detail17trampoline_kernelINS0_14default_configENS1_33run_length_encode_config_selectorIbjNS0_4plusIjEEEEZZNS1_33reduce_by_key_impl_wrapped_configILNS1_25lookback_scan_determinismE0ES3_S7_N6hipcub16HIPCUB_304000_NS22TransformInputIteratorIbN2at6native8internal12_GLOBAL__N_110LoadBoolOpEPKhlEENS0_17constant_iteratorIjlEEPbPlSO_S6_NS0_8equal_toIbEEEE10hipError_tPvRmT2_T3_mT4_T5_T6_T7_T8_P12ihipStream_tbENKUlT_T0_E_clISt17integral_constantIbLb0EES18_EEDaS13_S14_EUlS13_E_NS1_11comp_targetILNS1_3genE8ELNS1_11target_archE1030ELNS1_3gpuE2ELNS1_3repE0EEENS1_30default_config_static_selectorELNS0_4arch9wavefront6targetE0EEEvT1_.num_agpr, 0
	.set _ZN7rocprim17ROCPRIM_400000_NS6detail17trampoline_kernelINS0_14default_configENS1_33run_length_encode_config_selectorIbjNS0_4plusIjEEEEZZNS1_33reduce_by_key_impl_wrapped_configILNS1_25lookback_scan_determinismE0ES3_S7_N6hipcub16HIPCUB_304000_NS22TransformInputIteratorIbN2at6native8internal12_GLOBAL__N_110LoadBoolOpEPKhlEENS0_17constant_iteratorIjlEEPbPlSO_S6_NS0_8equal_toIbEEEE10hipError_tPvRmT2_T3_mT4_T5_T6_T7_T8_P12ihipStream_tbENKUlT_T0_E_clISt17integral_constantIbLb0EES18_EEDaS13_S14_EUlS13_E_NS1_11comp_targetILNS1_3genE8ELNS1_11target_archE1030ELNS1_3gpuE2ELNS1_3repE0EEENS1_30default_config_static_selectorELNS0_4arch9wavefront6targetE0EEEvT1_.numbered_sgpr, 0
	.set _ZN7rocprim17ROCPRIM_400000_NS6detail17trampoline_kernelINS0_14default_configENS1_33run_length_encode_config_selectorIbjNS0_4plusIjEEEEZZNS1_33reduce_by_key_impl_wrapped_configILNS1_25lookback_scan_determinismE0ES3_S7_N6hipcub16HIPCUB_304000_NS22TransformInputIteratorIbN2at6native8internal12_GLOBAL__N_110LoadBoolOpEPKhlEENS0_17constant_iteratorIjlEEPbPlSO_S6_NS0_8equal_toIbEEEE10hipError_tPvRmT2_T3_mT4_T5_T6_T7_T8_P12ihipStream_tbENKUlT_T0_E_clISt17integral_constantIbLb0EES18_EEDaS13_S14_EUlS13_E_NS1_11comp_targetILNS1_3genE8ELNS1_11target_archE1030ELNS1_3gpuE2ELNS1_3repE0EEENS1_30default_config_static_selectorELNS0_4arch9wavefront6targetE0EEEvT1_.num_named_barrier, 0
	.set _ZN7rocprim17ROCPRIM_400000_NS6detail17trampoline_kernelINS0_14default_configENS1_33run_length_encode_config_selectorIbjNS0_4plusIjEEEEZZNS1_33reduce_by_key_impl_wrapped_configILNS1_25lookback_scan_determinismE0ES3_S7_N6hipcub16HIPCUB_304000_NS22TransformInputIteratorIbN2at6native8internal12_GLOBAL__N_110LoadBoolOpEPKhlEENS0_17constant_iteratorIjlEEPbPlSO_S6_NS0_8equal_toIbEEEE10hipError_tPvRmT2_T3_mT4_T5_T6_T7_T8_P12ihipStream_tbENKUlT_T0_E_clISt17integral_constantIbLb0EES18_EEDaS13_S14_EUlS13_E_NS1_11comp_targetILNS1_3genE8ELNS1_11target_archE1030ELNS1_3gpuE2ELNS1_3repE0EEENS1_30default_config_static_selectorELNS0_4arch9wavefront6targetE0EEEvT1_.private_seg_size, 0
	.set _ZN7rocprim17ROCPRIM_400000_NS6detail17trampoline_kernelINS0_14default_configENS1_33run_length_encode_config_selectorIbjNS0_4plusIjEEEEZZNS1_33reduce_by_key_impl_wrapped_configILNS1_25lookback_scan_determinismE0ES3_S7_N6hipcub16HIPCUB_304000_NS22TransformInputIteratorIbN2at6native8internal12_GLOBAL__N_110LoadBoolOpEPKhlEENS0_17constant_iteratorIjlEEPbPlSO_S6_NS0_8equal_toIbEEEE10hipError_tPvRmT2_T3_mT4_T5_T6_T7_T8_P12ihipStream_tbENKUlT_T0_E_clISt17integral_constantIbLb0EES18_EEDaS13_S14_EUlS13_E_NS1_11comp_targetILNS1_3genE8ELNS1_11target_archE1030ELNS1_3gpuE2ELNS1_3repE0EEENS1_30default_config_static_selectorELNS0_4arch9wavefront6targetE0EEEvT1_.uses_vcc, 0
	.set _ZN7rocprim17ROCPRIM_400000_NS6detail17trampoline_kernelINS0_14default_configENS1_33run_length_encode_config_selectorIbjNS0_4plusIjEEEEZZNS1_33reduce_by_key_impl_wrapped_configILNS1_25lookback_scan_determinismE0ES3_S7_N6hipcub16HIPCUB_304000_NS22TransformInputIteratorIbN2at6native8internal12_GLOBAL__N_110LoadBoolOpEPKhlEENS0_17constant_iteratorIjlEEPbPlSO_S6_NS0_8equal_toIbEEEE10hipError_tPvRmT2_T3_mT4_T5_T6_T7_T8_P12ihipStream_tbENKUlT_T0_E_clISt17integral_constantIbLb0EES18_EEDaS13_S14_EUlS13_E_NS1_11comp_targetILNS1_3genE8ELNS1_11target_archE1030ELNS1_3gpuE2ELNS1_3repE0EEENS1_30default_config_static_selectorELNS0_4arch9wavefront6targetE0EEEvT1_.uses_flat_scratch, 0
	.set _ZN7rocprim17ROCPRIM_400000_NS6detail17trampoline_kernelINS0_14default_configENS1_33run_length_encode_config_selectorIbjNS0_4plusIjEEEEZZNS1_33reduce_by_key_impl_wrapped_configILNS1_25lookback_scan_determinismE0ES3_S7_N6hipcub16HIPCUB_304000_NS22TransformInputIteratorIbN2at6native8internal12_GLOBAL__N_110LoadBoolOpEPKhlEENS0_17constant_iteratorIjlEEPbPlSO_S6_NS0_8equal_toIbEEEE10hipError_tPvRmT2_T3_mT4_T5_T6_T7_T8_P12ihipStream_tbENKUlT_T0_E_clISt17integral_constantIbLb0EES18_EEDaS13_S14_EUlS13_E_NS1_11comp_targetILNS1_3genE8ELNS1_11target_archE1030ELNS1_3gpuE2ELNS1_3repE0EEENS1_30default_config_static_selectorELNS0_4arch9wavefront6targetE0EEEvT1_.has_dyn_sized_stack, 0
	.set _ZN7rocprim17ROCPRIM_400000_NS6detail17trampoline_kernelINS0_14default_configENS1_33run_length_encode_config_selectorIbjNS0_4plusIjEEEEZZNS1_33reduce_by_key_impl_wrapped_configILNS1_25lookback_scan_determinismE0ES3_S7_N6hipcub16HIPCUB_304000_NS22TransformInputIteratorIbN2at6native8internal12_GLOBAL__N_110LoadBoolOpEPKhlEENS0_17constant_iteratorIjlEEPbPlSO_S6_NS0_8equal_toIbEEEE10hipError_tPvRmT2_T3_mT4_T5_T6_T7_T8_P12ihipStream_tbENKUlT_T0_E_clISt17integral_constantIbLb0EES18_EEDaS13_S14_EUlS13_E_NS1_11comp_targetILNS1_3genE8ELNS1_11target_archE1030ELNS1_3gpuE2ELNS1_3repE0EEENS1_30default_config_static_selectorELNS0_4arch9wavefront6targetE0EEEvT1_.has_recursion, 0
	.set _ZN7rocprim17ROCPRIM_400000_NS6detail17trampoline_kernelINS0_14default_configENS1_33run_length_encode_config_selectorIbjNS0_4plusIjEEEEZZNS1_33reduce_by_key_impl_wrapped_configILNS1_25lookback_scan_determinismE0ES3_S7_N6hipcub16HIPCUB_304000_NS22TransformInputIteratorIbN2at6native8internal12_GLOBAL__N_110LoadBoolOpEPKhlEENS0_17constant_iteratorIjlEEPbPlSO_S6_NS0_8equal_toIbEEEE10hipError_tPvRmT2_T3_mT4_T5_T6_T7_T8_P12ihipStream_tbENKUlT_T0_E_clISt17integral_constantIbLb0EES18_EEDaS13_S14_EUlS13_E_NS1_11comp_targetILNS1_3genE8ELNS1_11target_archE1030ELNS1_3gpuE2ELNS1_3repE0EEENS1_30default_config_static_selectorELNS0_4arch9wavefront6targetE0EEEvT1_.has_indirect_call, 0
	.section	.AMDGPU.csdata,"",@progbits
; Kernel info:
; codeLenInByte = 0
; TotalNumSgprs: 0
; NumVgprs: 0
; ScratchSize: 0
; MemoryBound: 0
; FloatMode: 240
; IeeeMode: 1
; LDSByteSize: 0 bytes/workgroup (compile time only)
; SGPRBlocks: 0
; VGPRBlocks: 0
; NumSGPRsForWavesPerEU: 1
; NumVGPRsForWavesPerEU: 1
; NamedBarCnt: 0
; Occupancy: 16
; WaveLimiterHint : 0
; COMPUTE_PGM_RSRC2:SCRATCH_EN: 0
; COMPUTE_PGM_RSRC2:USER_SGPR: 2
; COMPUTE_PGM_RSRC2:TRAP_HANDLER: 0
; COMPUTE_PGM_RSRC2:TGID_X_EN: 1
; COMPUTE_PGM_RSRC2:TGID_Y_EN: 0
; COMPUTE_PGM_RSRC2:TGID_Z_EN: 0
; COMPUTE_PGM_RSRC2:TIDIG_COMP_CNT: 0
	.section	.text._ZN7rocprim17ROCPRIM_400000_NS6detail25reduce_by_key_init_kernelINS1_19lookback_scan_stateINS0_5tupleIJjjEEELb1ELb1EEEjNS1_16block_id_wrapperIjLb1EEEEEvT_jbjPmPT0_T1_,"axG",@progbits,_ZN7rocprim17ROCPRIM_400000_NS6detail25reduce_by_key_init_kernelINS1_19lookback_scan_stateINS0_5tupleIJjjEEELb1ELb1EEEjNS1_16block_id_wrapperIjLb1EEEEEvT_jbjPmPT0_T1_,comdat
	.protected	_ZN7rocprim17ROCPRIM_400000_NS6detail25reduce_by_key_init_kernelINS1_19lookback_scan_stateINS0_5tupleIJjjEEELb1ELb1EEEjNS1_16block_id_wrapperIjLb1EEEEEvT_jbjPmPT0_T1_ ; -- Begin function _ZN7rocprim17ROCPRIM_400000_NS6detail25reduce_by_key_init_kernelINS1_19lookback_scan_stateINS0_5tupleIJjjEEELb1ELb1EEEjNS1_16block_id_wrapperIjLb1EEEEEvT_jbjPmPT0_T1_
	.globl	_ZN7rocprim17ROCPRIM_400000_NS6detail25reduce_by_key_init_kernelINS1_19lookback_scan_stateINS0_5tupleIJjjEEELb1ELb1EEEjNS1_16block_id_wrapperIjLb1EEEEEvT_jbjPmPT0_T1_
	.p2align	8
	.type	_ZN7rocprim17ROCPRIM_400000_NS6detail25reduce_by_key_init_kernelINS1_19lookback_scan_stateINS0_5tupleIJjjEEELb1ELb1EEEjNS1_16block_id_wrapperIjLb1EEEEEvT_jbjPmPT0_T1_,@function
_ZN7rocprim17ROCPRIM_400000_NS6detail25reduce_by_key_init_kernelINS1_19lookback_scan_stateINS0_5tupleIJjjEEELb1ELb1EEEjNS1_16block_id_wrapperIjLb1EEEEEvT_jbjPmPT0_T1_: ; @_ZN7rocprim17ROCPRIM_400000_NS6detail25reduce_by_key_init_kernelINS1_19lookback_scan_stateINS0_5tupleIJjjEEELb1ELb1EEEjNS1_16block_id_wrapperIjLb1EEEEEvT_jbjPmPT0_T1_
; %bb.0:
	s_clause 0x2
	s_load_b96 s[8:10], s[0:1], 0x8
	s_load_b32 s11, s[0:1], 0x3c
	s_load_b64 s[2:3], s[0:1], 0x0
	s_bfe_u32 s4, ttmp6, 0x4000c
	s_and_b32 s14, ttmp6, 15
	s_add_co_i32 s16, s4, 1
	s_clause 0x1
	s_load_b128 s[4:7], s[0:1], 0x18
	s_load_b64 s[12:13], s[0:1], 0x28
	s_wait_xcnt 0x0
	s_mul_i32 s0, ttmp9, s16
	s_getreg_b32 s15, hwreg(HW_REG_IB_STS2, 6, 4)
	s_add_co_i32 s14, s14, s0
	s_wait_kmcnt 0x0
	s_and_b32 s1, s9, 1
	s_and_b32 s9, s11, 0xffff
	s_cmp_eq_u32 s15, 0
	s_cselect_b32 s0, ttmp9, s14
	s_cmp_eq_u32 s1, 0
	v_mad_u32 v8, s0, s9, v0
	s_mov_b32 s1, -1
	s_cbranch_scc0 .LBB67_10
; %bb.1:
	s_cmp_lt_u32 s10, s8
	s_mov_b32 s9, exec_lo
	s_cselect_b32 s0, s10, 0
	s_delay_alu instid0(VALU_DEP_1) | instid1(SALU_CYCLE_1)
	v_cmpx_eq_u32_e64 s0, v8
	s_cbranch_execz .LBB67_9
; %bb.2:
	s_add_co_i32 s0, s10, 32
	s_mov_b32 s1, 0
	v_mov_b32_e32 v5, 0
	s_lshl_b64 s[10:11], s[0:1], 4
	s_mov_b32 s0, exec_lo
	s_add_nc_u64 s[10:11], s[2:3], s[10:11]
	s_delay_alu instid0(SALU_CYCLE_1) | instskip(SKIP_2) | instid1(VALU_DEP_1)
	v_mov_b64_e32 v[0:1], s[10:11]
	;;#ASMSTART
	global_load_b128 v[0:3], v[0:1] off scope:SCOPE_DEV	
s_wait_loadcnt 0x0
	;;#ASMEND
	v_and_b32_e32 v4, 0xff, v2
	v_cmpx_eq_u64_e32 0, v[4:5]
	s_cbranch_execz .LBB67_8
; %bb.3:
	v_mov_b64_e32 v[6:7], s[10:11]
	s_mov_b32 s10, 1
.LBB67_4:                               ; =>This Loop Header: Depth=1
                                        ;     Child Loop BB67_5 Depth 2
	s_delay_alu instid0(SALU_CYCLE_1)
	s_mov_b32 s11, s10
.LBB67_5:                               ;   Parent Loop BB67_4 Depth=1
                                        ; =>  This Inner Loop Header: Depth=2
	s_delay_alu instid0(SALU_CYCLE_1)
	s_add_co_i32 s11, s11, -1
	s_sleep 1
	s_cmp_eq_u32 s11, 0
	s_cbranch_scc0 .LBB67_5
; %bb.6:                                ;   in Loop: Header=BB67_4 Depth=1
	;;#ASMSTART
	global_load_b128 v[0:3], v[6:7] off scope:SCOPE_DEV	
s_wait_loadcnt 0x0
	;;#ASMEND
	v_and_b32_e32 v4, 0xff, v2
	s_cmp_lt_u32 s10, 32
	s_cselect_b32 s11, -1, 0
	s_delay_alu instid0(VALU_DEP_1) | instskip(SKIP_3) | instid1(SALU_CYCLE_1)
	v_cmp_ne_u64_e32 vcc_lo, 0, v[4:5]
	s_cmp_lg_u32 s11, 0
	s_add_co_ci_u32 s10, s10, 0
	s_or_b32 s1, vcc_lo, s1
	s_and_not1_b32 exec_lo, exec_lo, s1
	s_cbranch_execnz .LBB67_4
; %bb.7:
	s_or_b32 exec_lo, exec_lo, s1
.LBB67_8:
	s_delay_alu instid0(SALU_CYCLE_1) | instskip(NEXT) | instid1(VALU_DEP_3)
	s_or_b32 exec_lo, exec_lo, s0
	v_dual_mov_b32 v3, 0 :: v_dual_mov_b32 v2, v0
	global_load_b64 v[4:5], v3, s[4:5]
	s_wait_loadcnt 0x0
	v_add_nc_u64_e32 v[4:5], v[4:5], v[2:3]
	s_clause 0x1
	global_store_b64 v3, v[4:5], s[4:5]
	global_store_b32 v3, v1, s[6:7]
.LBB67_9:
	s_wait_xcnt 0x0
	s_or_b32 exec_lo, exec_lo, s9
	s_mov_b32 s1, 0
.LBB67_10:
	s_delay_alu instid0(VALU_DEP_1)
	v_cmp_eq_u32_e64 s0, 0, v8
	s_and_not1_b32 vcc_lo, exec_lo, s1
	s_cbranch_vccnz .LBB67_14
; %bb.11:
	s_cmp_lg_u64 s[4:5], 0
	s_cselect_b32 s1, -1, 0
	s_delay_alu instid0(SALU_CYCLE_1) | instskip(NEXT) | instid1(SALU_CYCLE_1)
	s_and_b32 s1, s1, s0
	s_and_saveexec_b32 s0, s1
	s_cbranch_execz .LBB67_13
; %bb.12:
	v_mov_b64_e32 v[0:1], 0
	v_mov_b32_e32 v2, 0
	global_store_b64 v2, v[0:1], s[4:5]
.LBB67_13:
	s_wait_xcnt 0x0
	s_or_b32 exec_lo, exec_lo, s0
.LBB67_14:
	s_delay_alu instid0(SALU_CYCLE_1)
	s_mov_b32 s0, exec_lo
	v_cmpx_eq_u32_e32 0, v8
	s_cbranch_execz .LBB67_16
; %bb.15:
	v_mov_b32_e32 v0, 0
	global_store_b32 v0, v0, s[12:13]
.LBB67_16:
	s_wait_xcnt 0x0
	s_or_b32 exec_lo, exec_lo, s0
	s_delay_alu instid0(SALU_CYCLE_1)
	s_mov_b32 s0, exec_lo
	v_cmpx_gt_u32_e64 s8, v8
	s_cbranch_execz .LBB67_18
; %bb.17:
	v_dual_mov_b32 v0, 0 :: v_dual_add_nc_u32 v4, 32, v8
	s_delay_alu instid0(VALU_DEP_1)
	v_dual_mov_b32 v1, v0 :: v_dual_mov_b32 v2, v0
	v_mov_b32_e32 v3, v0
	global_store_b128 v4, v[0:3], s[2:3] scale_offset
.LBB67_18:
	s_wait_xcnt 0x0
	s_or_b32 exec_lo, exec_lo, s0
	s_delay_alu instid0(SALU_CYCLE_1)
	s_mov_b32 s0, exec_lo
	v_cmpx_gt_u32_e32 32, v8
	s_cbranch_execz .LBB67_20
; %bb.19:
	v_mov_b32_e32 v0, 0
	s_delay_alu instid0(VALU_DEP_1)
	v_dual_mov_b32 v2, 0xff :: v_dual_mov_b32 v1, v0
	v_mov_b32_e32 v3, v0
	global_store_b128 v8, v[0:3], s[2:3] scale_offset
.LBB67_20:
	s_endpgm
	.section	.rodata,"a",@progbits
	.p2align	6, 0x0
	.amdhsa_kernel _ZN7rocprim17ROCPRIM_400000_NS6detail25reduce_by_key_init_kernelINS1_19lookback_scan_stateINS0_5tupleIJjjEEELb1ELb1EEEjNS1_16block_id_wrapperIjLb1EEEEEvT_jbjPmPT0_T1_
		.amdhsa_group_segment_fixed_size 0
		.amdhsa_private_segment_fixed_size 0
		.amdhsa_kernarg_size 304
		.amdhsa_user_sgpr_count 2
		.amdhsa_user_sgpr_dispatch_ptr 0
		.amdhsa_user_sgpr_queue_ptr 0
		.amdhsa_user_sgpr_kernarg_segment_ptr 1
		.amdhsa_user_sgpr_dispatch_id 0
		.amdhsa_user_sgpr_kernarg_preload_length 0
		.amdhsa_user_sgpr_kernarg_preload_offset 0
		.amdhsa_user_sgpr_private_segment_size 0
		.amdhsa_wavefront_size32 1
		.amdhsa_uses_dynamic_stack 0
		.amdhsa_enable_private_segment 0
		.amdhsa_system_sgpr_workgroup_id_x 1
		.amdhsa_system_sgpr_workgroup_id_y 0
		.amdhsa_system_sgpr_workgroup_id_z 0
		.amdhsa_system_sgpr_workgroup_info 0
		.amdhsa_system_vgpr_workitem_id 0
		.amdhsa_next_free_vgpr 9
		.amdhsa_next_free_sgpr 17
		.amdhsa_named_barrier_count 0
		.amdhsa_reserve_vcc 1
		.amdhsa_float_round_mode_32 0
		.amdhsa_float_round_mode_16_64 0
		.amdhsa_float_denorm_mode_32 3
		.amdhsa_float_denorm_mode_16_64 3
		.amdhsa_fp16_overflow 0
		.amdhsa_memory_ordered 1
		.amdhsa_forward_progress 1
		.amdhsa_inst_pref_size 5
		.amdhsa_round_robin_scheduling 0
		.amdhsa_exception_fp_ieee_invalid_op 0
		.amdhsa_exception_fp_denorm_src 0
		.amdhsa_exception_fp_ieee_div_zero 0
		.amdhsa_exception_fp_ieee_overflow 0
		.amdhsa_exception_fp_ieee_underflow 0
		.amdhsa_exception_fp_ieee_inexact 0
		.amdhsa_exception_int_div_zero 0
	.end_amdhsa_kernel
	.section	.text._ZN7rocprim17ROCPRIM_400000_NS6detail25reduce_by_key_init_kernelINS1_19lookback_scan_stateINS0_5tupleIJjjEEELb1ELb1EEEjNS1_16block_id_wrapperIjLb1EEEEEvT_jbjPmPT0_T1_,"axG",@progbits,_ZN7rocprim17ROCPRIM_400000_NS6detail25reduce_by_key_init_kernelINS1_19lookback_scan_stateINS0_5tupleIJjjEEELb1ELb1EEEjNS1_16block_id_wrapperIjLb1EEEEEvT_jbjPmPT0_T1_,comdat
.Lfunc_end67:
	.size	_ZN7rocprim17ROCPRIM_400000_NS6detail25reduce_by_key_init_kernelINS1_19lookback_scan_stateINS0_5tupleIJjjEEELb1ELb1EEEjNS1_16block_id_wrapperIjLb1EEEEEvT_jbjPmPT0_T1_, .Lfunc_end67-_ZN7rocprim17ROCPRIM_400000_NS6detail25reduce_by_key_init_kernelINS1_19lookback_scan_stateINS0_5tupleIJjjEEELb1ELb1EEEjNS1_16block_id_wrapperIjLb1EEEEEvT_jbjPmPT0_T1_
                                        ; -- End function
	.set _ZN7rocprim17ROCPRIM_400000_NS6detail25reduce_by_key_init_kernelINS1_19lookback_scan_stateINS0_5tupleIJjjEEELb1ELb1EEEjNS1_16block_id_wrapperIjLb1EEEEEvT_jbjPmPT0_T1_.num_vgpr, 9
	.set _ZN7rocprim17ROCPRIM_400000_NS6detail25reduce_by_key_init_kernelINS1_19lookback_scan_stateINS0_5tupleIJjjEEELb1ELb1EEEjNS1_16block_id_wrapperIjLb1EEEEEvT_jbjPmPT0_T1_.num_agpr, 0
	.set _ZN7rocprim17ROCPRIM_400000_NS6detail25reduce_by_key_init_kernelINS1_19lookback_scan_stateINS0_5tupleIJjjEEELb1ELb1EEEjNS1_16block_id_wrapperIjLb1EEEEEvT_jbjPmPT0_T1_.numbered_sgpr, 17
	.set _ZN7rocprim17ROCPRIM_400000_NS6detail25reduce_by_key_init_kernelINS1_19lookback_scan_stateINS0_5tupleIJjjEEELb1ELb1EEEjNS1_16block_id_wrapperIjLb1EEEEEvT_jbjPmPT0_T1_.num_named_barrier, 0
	.set _ZN7rocprim17ROCPRIM_400000_NS6detail25reduce_by_key_init_kernelINS1_19lookback_scan_stateINS0_5tupleIJjjEEELb1ELb1EEEjNS1_16block_id_wrapperIjLb1EEEEEvT_jbjPmPT0_T1_.private_seg_size, 0
	.set _ZN7rocprim17ROCPRIM_400000_NS6detail25reduce_by_key_init_kernelINS1_19lookback_scan_stateINS0_5tupleIJjjEEELb1ELb1EEEjNS1_16block_id_wrapperIjLb1EEEEEvT_jbjPmPT0_T1_.uses_vcc, 1
	.set _ZN7rocprim17ROCPRIM_400000_NS6detail25reduce_by_key_init_kernelINS1_19lookback_scan_stateINS0_5tupleIJjjEEELb1ELb1EEEjNS1_16block_id_wrapperIjLb1EEEEEvT_jbjPmPT0_T1_.uses_flat_scratch, 0
	.set _ZN7rocprim17ROCPRIM_400000_NS6detail25reduce_by_key_init_kernelINS1_19lookback_scan_stateINS0_5tupleIJjjEEELb1ELb1EEEjNS1_16block_id_wrapperIjLb1EEEEEvT_jbjPmPT0_T1_.has_dyn_sized_stack, 0
	.set _ZN7rocprim17ROCPRIM_400000_NS6detail25reduce_by_key_init_kernelINS1_19lookback_scan_stateINS0_5tupleIJjjEEELb1ELb1EEEjNS1_16block_id_wrapperIjLb1EEEEEvT_jbjPmPT0_T1_.has_recursion, 0
	.set _ZN7rocprim17ROCPRIM_400000_NS6detail25reduce_by_key_init_kernelINS1_19lookback_scan_stateINS0_5tupleIJjjEEELb1ELb1EEEjNS1_16block_id_wrapperIjLb1EEEEEvT_jbjPmPT0_T1_.has_indirect_call, 0
	.section	.AMDGPU.csdata,"",@progbits
; Kernel info:
; codeLenInByte = 596
; TotalNumSgprs: 19
; NumVgprs: 9
; ScratchSize: 0
; MemoryBound: 0
; FloatMode: 240
; IeeeMode: 1
; LDSByteSize: 0 bytes/workgroup (compile time only)
; SGPRBlocks: 0
; VGPRBlocks: 0
; NumSGPRsForWavesPerEU: 19
; NumVGPRsForWavesPerEU: 9
; NamedBarCnt: 0
; Occupancy: 16
; WaveLimiterHint : 0
; COMPUTE_PGM_RSRC2:SCRATCH_EN: 0
; COMPUTE_PGM_RSRC2:USER_SGPR: 2
; COMPUTE_PGM_RSRC2:TRAP_HANDLER: 0
; COMPUTE_PGM_RSRC2:TGID_X_EN: 1
; COMPUTE_PGM_RSRC2:TGID_Y_EN: 0
; COMPUTE_PGM_RSRC2:TGID_Z_EN: 0
; COMPUTE_PGM_RSRC2:TIDIG_COMP_CNT: 0
	.section	.text._ZN7rocprim17ROCPRIM_400000_NS6detail17trampoline_kernelINS0_14default_configENS1_33run_length_encode_config_selectorIbjNS0_4plusIjEEEEZZNS1_33reduce_by_key_impl_wrapped_configILNS1_25lookback_scan_determinismE0ES3_S7_N6hipcub16HIPCUB_304000_NS22TransformInputIteratorIbN2at6native8internal12_GLOBAL__N_110LoadBoolOpEPKhlEENS0_17constant_iteratorIjlEEPbPlSO_S6_NS0_8equal_toIbEEEE10hipError_tPvRmT2_T3_mT4_T5_T6_T7_T8_P12ihipStream_tbENKUlT_T0_E_clISt17integral_constantIbLb1EES18_EEDaS13_S14_EUlS13_E_NS1_11comp_targetILNS1_3genE0ELNS1_11target_archE4294967295ELNS1_3gpuE0ELNS1_3repE0EEENS1_30default_config_static_selectorELNS0_4arch9wavefront6targetE0EEEvT1_,"axG",@progbits,_ZN7rocprim17ROCPRIM_400000_NS6detail17trampoline_kernelINS0_14default_configENS1_33run_length_encode_config_selectorIbjNS0_4plusIjEEEEZZNS1_33reduce_by_key_impl_wrapped_configILNS1_25lookback_scan_determinismE0ES3_S7_N6hipcub16HIPCUB_304000_NS22TransformInputIteratorIbN2at6native8internal12_GLOBAL__N_110LoadBoolOpEPKhlEENS0_17constant_iteratorIjlEEPbPlSO_S6_NS0_8equal_toIbEEEE10hipError_tPvRmT2_T3_mT4_T5_T6_T7_T8_P12ihipStream_tbENKUlT_T0_E_clISt17integral_constantIbLb1EES18_EEDaS13_S14_EUlS13_E_NS1_11comp_targetILNS1_3genE0ELNS1_11target_archE4294967295ELNS1_3gpuE0ELNS1_3repE0EEENS1_30default_config_static_selectorELNS0_4arch9wavefront6targetE0EEEvT1_,comdat
	.globl	_ZN7rocprim17ROCPRIM_400000_NS6detail17trampoline_kernelINS0_14default_configENS1_33run_length_encode_config_selectorIbjNS0_4plusIjEEEEZZNS1_33reduce_by_key_impl_wrapped_configILNS1_25lookback_scan_determinismE0ES3_S7_N6hipcub16HIPCUB_304000_NS22TransformInputIteratorIbN2at6native8internal12_GLOBAL__N_110LoadBoolOpEPKhlEENS0_17constant_iteratorIjlEEPbPlSO_S6_NS0_8equal_toIbEEEE10hipError_tPvRmT2_T3_mT4_T5_T6_T7_T8_P12ihipStream_tbENKUlT_T0_E_clISt17integral_constantIbLb1EES18_EEDaS13_S14_EUlS13_E_NS1_11comp_targetILNS1_3genE0ELNS1_11target_archE4294967295ELNS1_3gpuE0ELNS1_3repE0EEENS1_30default_config_static_selectorELNS0_4arch9wavefront6targetE0EEEvT1_ ; -- Begin function _ZN7rocprim17ROCPRIM_400000_NS6detail17trampoline_kernelINS0_14default_configENS1_33run_length_encode_config_selectorIbjNS0_4plusIjEEEEZZNS1_33reduce_by_key_impl_wrapped_configILNS1_25lookback_scan_determinismE0ES3_S7_N6hipcub16HIPCUB_304000_NS22TransformInputIteratorIbN2at6native8internal12_GLOBAL__N_110LoadBoolOpEPKhlEENS0_17constant_iteratorIjlEEPbPlSO_S6_NS0_8equal_toIbEEEE10hipError_tPvRmT2_T3_mT4_T5_T6_T7_T8_P12ihipStream_tbENKUlT_T0_E_clISt17integral_constantIbLb1EES18_EEDaS13_S14_EUlS13_E_NS1_11comp_targetILNS1_3genE0ELNS1_11target_archE4294967295ELNS1_3gpuE0ELNS1_3repE0EEENS1_30default_config_static_selectorELNS0_4arch9wavefront6targetE0EEEvT1_
	.p2align	8
	.type	_ZN7rocprim17ROCPRIM_400000_NS6detail17trampoline_kernelINS0_14default_configENS1_33run_length_encode_config_selectorIbjNS0_4plusIjEEEEZZNS1_33reduce_by_key_impl_wrapped_configILNS1_25lookback_scan_determinismE0ES3_S7_N6hipcub16HIPCUB_304000_NS22TransformInputIteratorIbN2at6native8internal12_GLOBAL__N_110LoadBoolOpEPKhlEENS0_17constant_iteratorIjlEEPbPlSO_S6_NS0_8equal_toIbEEEE10hipError_tPvRmT2_T3_mT4_T5_T6_T7_T8_P12ihipStream_tbENKUlT_T0_E_clISt17integral_constantIbLb1EES18_EEDaS13_S14_EUlS13_E_NS1_11comp_targetILNS1_3genE0ELNS1_11target_archE4294967295ELNS1_3gpuE0ELNS1_3repE0EEENS1_30default_config_static_selectorELNS0_4arch9wavefront6targetE0EEEvT1_,@function
_ZN7rocprim17ROCPRIM_400000_NS6detail17trampoline_kernelINS0_14default_configENS1_33run_length_encode_config_selectorIbjNS0_4plusIjEEEEZZNS1_33reduce_by_key_impl_wrapped_configILNS1_25lookback_scan_determinismE0ES3_S7_N6hipcub16HIPCUB_304000_NS22TransformInputIteratorIbN2at6native8internal12_GLOBAL__N_110LoadBoolOpEPKhlEENS0_17constant_iteratorIjlEEPbPlSO_S6_NS0_8equal_toIbEEEE10hipError_tPvRmT2_T3_mT4_T5_T6_T7_T8_P12ihipStream_tbENKUlT_T0_E_clISt17integral_constantIbLb1EES18_EEDaS13_S14_EUlS13_E_NS1_11comp_targetILNS1_3genE0ELNS1_11target_archE4294967295ELNS1_3gpuE0ELNS1_3repE0EEENS1_30default_config_static_selectorELNS0_4arch9wavefront6targetE0EEEvT1_: ; @_ZN7rocprim17ROCPRIM_400000_NS6detail17trampoline_kernelINS0_14default_configENS1_33run_length_encode_config_selectorIbjNS0_4plusIjEEEEZZNS1_33reduce_by_key_impl_wrapped_configILNS1_25lookback_scan_determinismE0ES3_S7_N6hipcub16HIPCUB_304000_NS22TransformInputIteratorIbN2at6native8internal12_GLOBAL__N_110LoadBoolOpEPKhlEENS0_17constant_iteratorIjlEEPbPlSO_S6_NS0_8equal_toIbEEEE10hipError_tPvRmT2_T3_mT4_T5_T6_T7_T8_P12ihipStream_tbENKUlT_T0_E_clISt17integral_constantIbLb1EES18_EEDaS13_S14_EUlS13_E_NS1_11comp_targetILNS1_3genE0ELNS1_11target_archE4294967295ELNS1_3gpuE0ELNS1_3repE0EEENS1_30default_config_static_selectorELNS0_4arch9wavefront6targetE0EEEvT1_
; %bb.0:
	s_endpgm
	.section	.rodata,"a",@progbits
	.p2align	6, 0x0
	.amdhsa_kernel _ZN7rocprim17ROCPRIM_400000_NS6detail17trampoline_kernelINS0_14default_configENS1_33run_length_encode_config_selectorIbjNS0_4plusIjEEEEZZNS1_33reduce_by_key_impl_wrapped_configILNS1_25lookback_scan_determinismE0ES3_S7_N6hipcub16HIPCUB_304000_NS22TransformInputIteratorIbN2at6native8internal12_GLOBAL__N_110LoadBoolOpEPKhlEENS0_17constant_iteratorIjlEEPbPlSO_S6_NS0_8equal_toIbEEEE10hipError_tPvRmT2_T3_mT4_T5_T6_T7_T8_P12ihipStream_tbENKUlT_T0_E_clISt17integral_constantIbLb1EES18_EEDaS13_S14_EUlS13_E_NS1_11comp_targetILNS1_3genE0ELNS1_11target_archE4294967295ELNS1_3gpuE0ELNS1_3repE0EEENS1_30default_config_static_selectorELNS0_4arch9wavefront6targetE0EEEvT1_
		.amdhsa_group_segment_fixed_size 0
		.amdhsa_private_segment_fixed_size 0
		.amdhsa_kernarg_size 136
		.amdhsa_user_sgpr_count 2
		.amdhsa_user_sgpr_dispatch_ptr 0
		.amdhsa_user_sgpr_queue_ptr 0
		.amdhsa_user_sgpr_kernarg_segment_ptr 1
		.amdhsa_user_sgpr_dispatch_id 0
		.amdhsa_user_sgpr_kernarg_preload_length 0
		.amdhsa_user_sgpr_kernarg_preload_offset 0
		.amdhsa_user_sgpr_private_segment_size 0
		.amdhsa_wavefront_size32 1
		.amdhsa_uses_dynamic_stack 0
		.amdhsa_enable_private_segment 0
		.amdhsa_system_sgpr_workgroup_id_x 1
		.amdhsa_system_sgpr_workgroup_id_y 0
		.amdhsa_system_sgpr_workgroup_id_z 0
		.amdhsa_system_sgpr_workgroup_info 0
		.amdhsa_system_vgpr_workitem_id 0
		.amdhsa_next_free_vgpr 1
		.amdhsa_next_free_sgpr 1
		.amdhsa_named_barrier_count 0
		.amdhsa_reserve_vcc 0
		.amdhsa_float_round_mode_32 0
		.amdhsa_float_round_mode_16_64 0
		.amdhsa_float_denorm_mode_32 3
		.amdhsa_float_denorm_mode_16_64 3
		.amdhsa_fp16_overflow 0
		.amdhsa_memory_ordered 1
		.amdhsa_forward_progress 1
		.amdhsa_inst_pref_size 1
		.amdhsa_round_robin_scheduling 0
		.amdhsa_exception_fp_ieee_invalid_op 0
		.amdhsa_exception_fp_denorm_src 0
		.amdhsa_exception_fp_ieee_div_zero 0
		.amdhsa_exception_fp_ieee_overflow 0
		.amdhsa_exception_fp_ieee_underflow 0
		.amdhsa_exception_fp_ieee_inexact 0
		.amdhsa_exception_int_div_zero 0
	.end_amdhsa_kernel
	.section	.text._ZN7rocprim17ROCPRIM_400000_NS6detail17trampoline_kernelINS0_14default_configENS1_33run_length_encode_config_selectorIbjNS0_4plusIjEEEEZZNS1_33reduce_by_key_impl_wrapped_configILNS1_25lookback_scan_determinismE0ES3_S7_N6hipcub16HIPCUB_304000_NS22TransformInputIteratorIbN2at6native8internal12_GLOBAL__N_110LoadBoolOpEPKhlEENS0_17constant_iteratorIjlEEPbPlSO_S6_NS0_8equal_toIbEEEE10hipError_tPvRmT2_T3_mT4_T5_T6_T7_T8_P12ihipStream_tbENKUlT_T0_E_clISt17integral_constantIbLb1EES18_EEDaS13_S14_EUlS13_E_NS1_11comp_targetILNS1_3genE0ELNS1_11target_archE4294967295ELNS1_3gpuE0ELNS1_3repE0EEENS1_30default_config_static_selectorELNS0_4arch9wavefront6targetE0EEEvT1_,"axG",@progbits,_ZN7rocprim17ROCPRIM_400000_NS6detail17trampoline_kernelINS0_14default_configENS1_33run_length_encode_config_selectorIbjNS0_4plusIjEEEEZZNS1_33reduce_by_key_impl_wrapped_configILNS1_25lookback_scan_determinismE0ES3_S7_N6hipcub16HIPCUB_304000_NS22TransformInputIteratorIbN2at6native8internal12_GLOBAL__N_110LoadBoolOpEPKhlEENS0_17constant_iteratorIjlEEPbPlSO_S6_NS0_8equal_toIbEEEE10hipError_tPvRmT2_T3_mT4_T5_T6_T7_T8_P12ihipStream_tbENKUlT_T0_E_clISt17integral_constantIbLb1EES18_EEDaS13_S14_EUlS13_E_NS1_11comp_targetILNS1_3genE0ELNS1_11target_archE4294967295ELNS1_3gpuE0ELNS1_3repE0EEENS1_30default_config_static_selectorELNS0_4arch9wavefront6targetE0EEEvT1_,comdat
.Lfunc_end68:
	.size	_ZN7rocprim17ROCPRIM_400000_NS6detail17trampoline_kernelINS0_14default_configENS1_33run_length_encode_config_selectorIbjNS0_4plusIjEEEEZZNS1_33reduce_by_key_impl_wrapped_configILNS1_25lookback_scan_determinismE0ES3_S7_N6hipcub16HIPCUB_304000_NS22TransformInputIteratorIbN2at6native8internal12_GLOBAL__N_110LoadBoolOpEPKhlEENS0_17constant_iteratorIjlEEPbPlSO_S6_NS0_8equal_toIbEEEE10hipError_tPvRmT2_T3_mT4_T5_T6_T7_T8_P12ihipStream_tbENKUlT_T0_E_clISt17integral_constantIbLb1EES18_EEDaS13_S14_EUlS13_E_NS1_11comp_targetILNS1_3genE0ELNS1_11target_archE4294967295ELNS1_3gpuE0ELNS1_3repE0EEENS1_30default_config_static_selectorELNS0_4arch9wavefront6targetE0EEEvT1_, .Lfunc_end68-_ZN7rocprim17ROCPRIM_400000_NS6detail17trampoline_kernelINS0_14default_configENS1_33run_length_encode_config_selectorIbjNS0_4plusIjEEEEZZNS1_33reduce_by_key_impl_wrapped_configILNS1_25lookback_scan_determinismE0ES3_S7_N6hipcub16HIPCUB_304000_NS22TransformInputIteratorIbN2at6native8internal12_GLOBAL__N_110LoadBoolOpEPKhlEENS0_17constant_iteratorIjlEEPbPlSO_S6_NS0_8equal_toIbEEEE10hipError_tPvRmT2_T3_mT4_T5_T6_T7_T8_P12ihipStream_tbENKUlT_T0_E_clISt17integral_constantIbLb1EES18_EEDaS13_S14_EUlS13_E_NS1_11comp_targetILNS1_3genE0ELNS1_11target_archE4294967295ELNS1_3gpuE0ELNS1_3repE0EEENS1_30default_config_static_selectorELNS0_4arch9wavefront6targetE0EEEvT1_
                                        ; -- End function
	.set _ZN7rocprim17ROCPRIM_400000_NS6detail17trampoline_kernelINS0_14default_configENS1_33run_length_encode_config_selectorIbjNS0_4plusIjEEEEZZNS1_33reduce_by_key_impl_wrapped_configILNS1_25lookback_scan_determinismE0ES3_S7_N6hipcub16HIPCUB_304000_NS22TransformInputIteratorIbN2at6native8internal12_GLOBAL__N_110LoadBoolOpEPKhlEENS0_17constant_iteratorIjlEEPbPlSO_S6_NS0_8equal_toIbEEEE10hipError_tPvRmT2_T3_mT4_T5_T6_T7_T8_P12ihipStream_tbENKUlT_T0_E_clISt17integral_constantIbLb1EES18_EEDaS13_S14_EUlS13_E_NS1_11comp_targetILNS1_3genE0ELNS1_11target_archE4294967295ELNS1_3gpuE0ELNS1_3repE0EEENS1_30default_config_static_selectorELNS0_4arch9wavefront6targetE0EEEvT1_.num_vgpr, 0
	.set _ZN7rocprim17ROCPRIM_400000_NS6detail17trampoline_kernelINS0_14default_configENS1_33run_length_encode_config_selectorIbjNS0_4plusIjEEEEZZNS1_33reduce_by_key_impl_wrapped_configILNS1_25lookback_scan_determinismE0ES3_S7_N6hipcub16HIPCUB_304000_NS22TransformInputIteratorIbN2at6native8internal12_GLOBAL__N_110LoadBoolOpEPKhlEENS0_17constant_iteratorIjlEEPbPlSO_S6_NS0_8equal_toIbEEEE10hipError_tPvRmT2_T3_mT4_T5_T6_T7_T8_P12ihipStream_tbENKUlT_T0_E_clISt17integral_constantIbLb1EES18_EEDaS13_S14_EUlS13_E_NS1_11comp_targetILNS1_3genE0ELNS1_11target_archE4294967295ELNS1_3gpuE0ELNS1_3repE0EEENS1_30default_config_static_selectorELNS0_4arch9wavefront6targetE0EEEvT1_.num_agpr, 0
	.set _ZN7rocprim17ROCPRIM_400000_NS6detail17trampoline_kernelINS0_14default_configENS1_33run_length_encode_config_selectorIbjNS0_4plusIjEEEEZZNS1_33reduce_by_key_impl_wrapped_configILNS1_25lookback_scan_determinismE0ES3_S7_N6hipcub16HIPCUB_304000_NS22TransformInputIteratorIbN2at6native8internal12_GLOBAL__N_110LoadBoolOpEPKhlEENS0_17constant_iteratorIjlEEPbPlSO_S6_NS0_8equal_toIbEEEE10hipError_tPvRmT2_T3_mT4_T5_T6_T7_T8_P12ihipStream_tbENKUlT_T0_E_clISt17integral_constantIbLb1EES18_EEDaS13_S14_EUlS13_E_NS1_11comp_targetILNS1_3genE0ELNS1_11target_archE4294967295ELNS1_3gpuE0ELNS1_3repE0EEENS1_30default_config_static_selectorELNS0_4arch9wavefront6targetE0EEEvT1_.numbered_sgpr, 0
	.set _ZN7rocprim17ROCPRIM_400000_NS6detail17trampoline_kernelINS0_14default_configENS1_33run_length_encode_config_selectorIbjNS0_4plusIjEEEEZZNS1_33reduce_by_key_impl_wrapped_configILNS1_25lookback_scan_determinismE0ES3_S7_N6hipcub16HIPCUB_304000_NS22TransformInputIteratorIbN2at6native8internal12_GLOBAL__N_110LoadBoolOpEPKhlEENS0_17constant_iteratorIjlEEPbPlSO_S6_NS0_8equal_toIbEEEE10hipError_tPvRmT2_T3_mT4_T5_T6_T7_T8_P12ihipStream_tbENKUlT_T0_E_clISt17integral_constantIbLb1EES18_EEDaS13_S14_EUlS13_E_NS1_11comp_targetILNS1_3genE0ELNS1_11target_archE4294967295ELNS1_3gpuE0ELNS1_3repE0EEENS1_30default_config_static_selectorELNS0_4arch9wavefront6targetE0EEEvT1_.num_named_barrier, 0
	.set _ZN7rocprim17ROCPRIM_400000_NS6detail17trampoline_kernelINS0_14default_configENS1_33run_length_encode_config_selectorIbjNS0_4plusIjEEEEZZNS1_33reduce_by_key_impl_wrapped_configILNS1_25lookback_scan_determinismE0ES3_S7_N6hipcub16HIPCUB_304000_NS22TransformInputIteratorIbN2at6native8internal12_GLOBAL__N_110LoadBoolOpEPKhlEENS0_17constant_iteratorIjlEEPbPlSO_S6_NS0_8equal_toIbEEEE10hipError_tPvRmT2_T3_mT4_T5_T6_T7_T8_P12ihipStream_tbENKUlT_T0_E_clISt17integral_constantIbLb1EES18_EEDaS13_S14_EUlS13_E_NS1_11comp_targetILNS1_3genE0ELNS1_11target_archE4294967295ELNS1_3gpuE0ELNS1_3repE0EEENS1_30default_config_static_selectorELNS0_4arch9wavefront6targetE0EEEvT1_.private_seg_size, 0
	.set _ZN7rocprim17ROCPRIM_400000_NS6detail17trampoline_kernelINS0_14default_configENS1_33run_length_encode_config_selectorIbjNS0_4plusIjEEEEZZNS1_33reduce_by_key_impl_wrapped_configILNS1_25lookback_scan_determinismE0ES3_S7_N6hipcub16HIPCUB_304000_NS22TransformInputIteratorIbN2at6native8internal12_GLOBAL__N_110LoadBoolOpEPKhlEENS0_17constant_iteratorIjlEEPbPlSO_S6_NS0_8equal_toIbEEEE10hipError_tPvRmT2_T3_mT4_T5_T6_T7_T8_P12ihipStream_tbENKUlT_T0_E_clISt17integral_constantIbLb1EES18_EEDaS13_S14_EUlS13_E_NS1_11comp_targetILNS1_3genE0ELNS1_11target_archE4294967295ELNS1_3gpuE0ELNS1_3repE0EEENS1_30default_config_static_selectorELNS0_4arch9wavefront6targetE0EEEvT1_.uses_vcc, 0
	.set _ZN7rocprim17ROCPRIM_400000_NS6detail17trampoline_kernelINS0_14default_configENS1_33run_length_encode_config_selectorIbjNS0_4plusIjEEEEZZNS1_33reduce_by_key_impl_wrapped_configILNS1_25lookback_scan_determinismE0ES3_S7_N6hipcub16HIPCUB_304000_NS22TransformInputIteratorIbN2at6native8internal12_GLOBAL__N_110LoadBoolOpEPKhlEENS0_17constant_iteratorIjlEEPbPlSO_S6_NS0_8equal_toIbEEEE10hipError_tPvRmT2_T3_mT4_T5_T6_T7_T8_P12ihipStream_tbENKUlT_T0_E_clISt17integral_constantIbLb1EES18_EEDaS13_S14_EUlS13_E_NS1_11comp_targetILNS1_3genE0ELNS1_11target_archE4294967295ELNS1_3gpuE0ELNS1_3repE0EEENS1_30default_config_static_selectorELNS0_4arch9wavefront6targetE0EEEvT1_.uses_flat_scratch, 0
	.set _ZN7rocprim17ROCPRIM_400000_NS6detail17trampoline_kernelINS0_14default_configENS1_33run_length_encode_config_selectorIbjNS0_4plusIjEEEEZZNS1_33reduce_by_key_impl_wrapped_configILNS1_25lookback_scan_determinismE0ES3_S7_N6hipcub16HIPCUB_304000_NS22TransformInputIteratorIbN2at6native8internal12_GLOBAL__N_110LoadBoolOpEPKhlEENS0_17constant_iteratorIjlEEPbPlSO_S6_NS0_8equal_toIbEEEE10hipError_tPvRmT2_T3_mT4_T5_T6_T7_T8_P12ihipStream_tbENKUlT_T0_E_clISt17integral_constantIbLb1EES18_EEDaS13_S14_EUlS13_E_NS1_11comp_targetILNS1_3genE0ELNS1_11target_archE4294967295ELNS1_3gpuE0ELNS1_3repE0EEENS1_30default_config_static_selectorELNS0_4arch9wavefront6targetE0EEEvT1_.has_dyn_sized_stack, 0
	.set _ZN7rocprim17ROCPRIM_400000_NS6detail17trampoline_kernelINS0_14default_configENS1_33run_length_encode_config_selectorIbjNS0_4plusIjEEEEZZNS1_33reduce_by_key_impl_wrapped_configILNS1_25lookback_scan_determinismE0ES3_S7_N6hipcub16HIPCUB_304000_NS22TransformInputIteratorIbN2at6native8internal12_GLOBAL__N_110LoadBoolOpEPKhlEENS0_17constant_iteratorIjlEEPbPlSO_S6_NS0_8equal_toIbEEEE10hipError_tPvRmT2_T3_mT4_T5_T6_T7_T8_P12ihipStream_tbENKUlT_T0_E_clISt17integral_constantIbLb1EES18_EEDaS13_S14_EUlS13_E_NS1_11comp_targetILNS1_3genE0ELNS1_11target_archE4294967295ELNS1_3gpuE0ELNS1_3repE0EEENS1_30default_config_static_selectorELNS0_4arch9wavefront6targetE0EEEvT1_.has_recursion, 0
	.set _ZN7rocprim17ROCPRIM_400000_NS6detail17trampoline_kernelINS0_14default_configENS1_33run_length_encode_config_selectorIbjNS0_4plusIjEEEEZZNS1_33reduce_by_key_impl_wrapped_configILNS1_25lookback_scan_determinismE0ES3_S7_N6hipcub16HIPCUB_304000_NS22TransformInputIteratorIbN2at6native8internal12_GLOBAL__N_110LoadBoolOpEPKhlEENS0_17constant_iteratorIjlEEPbPlSO_S6_NS0_8equal_toIbEEEE10hipError_tPvRmT2_T3_mT4_T5_T6_T7_T8_P12ihipStream_tbENKUlT_T0_E_clISt17integral_constantIbLb1EES18_EEDaS13_S14_EUlS13_E_NS1_11comp_targetILNS1_3genE0ELNS1_11target_archE4294967295ELNS1_3gpuE0ELNS1_3repE0EEENS1_30default_config_static_selectorELNS0_4arch9wavefront6targetE0EEEvT1_.has_indirect_call, 0
	.section	.AMDGPU.csdata,"",@progbits
; Kernel info:
; codeLenInByte = 4
; TotalNumSgprs: 0
; NumVgprs: 0
; ScratchSize: 0
; MemoryBound: 0
; FloatMode: 240
; IeeeMode: 1
; LDSByteSize: 0 bytes/workgroup (compile time only)
; SGPRBlocks: 0
; VGPRBlocks: 0
; NumSGPRsForWavesPerEU: 1
; NumVGPRsForWavesPerEU: 1
; NamedBarCnt: 0
; Occupancy: 16
; WaveLimiterHint : 0
; COMPUTE_PGM_RSRC2:SCRATCH_EN: 0
; COMPUTE_PGM_RSRC2:USER_SGPR: 2
; COMPUTE_PGM_RSRC2:TRAP_HANDLER: 0
; COMPUTE_PGM_RSRC2:TGID_X_EN: 1
; COMPUTE_PGM_RSRC2:TGID_Y_EN: 0
; COMPUTE_PGM_RSRC2:TGID_Z_EN: 0
; COMPUTE_PGM_RSRC2:TIDIG_COMP_CNT: 0
	.section	.text._ZN7rocprim17ROCPRIM_400000_NS6detail17trampoline_kernelINS0_14default_configENS1_33run_length_encode_config_selectorIbjNS0_4plusIjEEEEZZNS1_33reduce_by_key_impl_wrapped_configILNS1_25lookback_scan_determinismE0ES3_S7_N6hipcub16HIPCUB_304000_NS22TransformInputIteratorIbN2at6native8internal12_GLOBAL__N_110LoadBoolOpEPKhlEENS0_17constant_iteratorIjlEEPbPlSO_S6_NS0_8equal_toIbEEEE10hipError_tPvRmT2_T3_mT4_T5_T6_T7_T8_P12ihipStream_tbENKUlT_T0_E_clISt17integral_constantIbLb1EES18_EEDaS13_S14_EUlS13_E_NS1_11comp_targetILNS1_3genE5ELNS1_11target_archE942ELNS1_3gpuE9ELNS1_3repE0EEENS1_30default_config_static_selectorELNS0_4arch9wavefront6targetE0EEEvT1_,"axG",@progbits,_ZN7rocprim17ROCPRIM_400000_NS6detail17trampoline_kernelINS0_14default_configENS1_33run_length_encode_config_selectorIbjNS0_4plusIjEEEEZZNS1_33reduce_by_key_impl_wrapped_configILNS1_25lookback_scan_determinismE0ES3_S7_N6hipcub16HIPCUB_304000_NS22TransformInputIteratorIbN2at6native8internal12_GLOBAL__N_110LoadBoolOpEPKhlEENS0_17constant_iteratorIjlEEPbPlSO_S6_NS0_8equal_toIbEEEE10hipError_tPvRmT2_T3_mT4_T5_T6_T7_T8_P12ihipStream_tbENKUlT_T0_E_clISt17integral_constantIbLb1EES18_EEDaS13_S14_EUlS13_E_NS1_11comp_targetILNS1_3genE5ELNS1_11target_archE942ELNS1_3gpuE9ELNS1_3repE0EEENS1_30default_config_static_selectorELNS0_4arch9wavefront6targetE0EEEvT1_,comdat
	.globl	_ZN7rocprim17ROCPRIM_400000_NS6detail17trampoline_kernelINS0_14default_configENS1_33run_length_encode_config_selectorIbjNS0_4plusIjEEEEZZNS1_33reduce_by_key_impl_wrapped_configILNS1_25lookback_scan_determinismE0ES3_S7_N6hipcub16HIPCUB_304000_NS22TransformInputIteratorIbN2at6native8internal12_GLOBAL__N_110LoadBoolOpEPKhlEENS0_17constant_iteratorIjlEEPbPlSO_S6_NS0_8equal_toIbEEEE10hipError_tPvRmT2_T3_mT4_T5_T6_T7_T8_P12ihipStream_tbENKUlT_T0_E_clISt17integral_constantIbLb1EES18_EEDaS13_S14_EUlS13_E_NS1_11comp_targetILNS1_3genE5ELNS1_11target_archE942ELNS1_3gpuE9ELNS1_3repE0EEENS1_30default_config_static_selectorELNS0_4arch9wavefront6targetE0EEEvT1_ ; -- Begin function _ZN7rocprim17ROCPRIM_400000_NS6detail17trampoline_kernelINS0_14default_configENS1_33run_length_encode_config_selectorIbjNS0_4plusIjEEEEZZNS1_33reduce_by_key_impl_wrapped_configILNS1_25lookback_scan_determinismE0ES3_S7_N6hipcub16HIPCUB_304000_NS22TransformInputIteratorIbN2at6native8internal12_GLOBAL__N_110LoadBoolOpEPKhlEENS0_17constant_iteratorIjlEEPbPlSO_S6_NS0_8equal_toIbEEEE10hipError_tPvRmT2_T3_mT4_T5_T6_T7_T8_P12ihipStream_tbENKUlT_T0_E_clISt17integral_constantIbLb1EES18_EEDaS13_S14_EUlS13_E_NS1_11comp_targetILNS1_3genE5ELNS1_11target_archE942ELNS1_3gpuE9ELNS1_3repE0EEENS1_30default_config_static_selectorELNS0_4arch9wavefront6targetE0EEEvT1_
	.p2align	8
	.type	_ZN7rocprim17ROCPRIM_400000_NS6detail17trampoline_kernelINS0_14default_configENS1_33run_length_encode_config_selectorIbjNS0_4plusIjEEEEZZNS1_33reduce_by_key_impl_wrapped_configILNS1_25lookback_scan_determinismE0ES3_S7_N6hipcub16HIPCUB_304000_NS22TransformInputIteratorIbN2at6native8internal12_GLOBAL__N_110LoadBoolOpEPKhlEENS0_17constant_iteratorIjlEEPbPlSO_S6_NS0_8equal_toIbEEEE10hipError_tPvRmT2_T3_mT4_T5_T6_T7_T8_P12ihipStream_tbENKUlT_T0_E_clISt17integral_constantIbLb1EES18_EEDaS13_S14_EUlS13_E_NS1_11comp_targetILNS1_3genE5ELNS1_11target_archE942ELNS1_3gpuE9ELNS1_3repE0EEENS1_30default_config_static_selectorELNS0_4arch9wavefront6targetE0EEEvT1_,@function
_ZN7rocprim17ROCPRIM_400000_NS6detail17trampoline_kernelINS0_14default_configENS1_33run_length_encode_config_selectorIbjNS0_4plusIjEEEEZZNS1_33reduce_by_key_impl_wrapped_configILNS1_25lookback_scan_determinismE0ES3_S7_N6hipcub16HIPCUB_304000_NS22TransformInputIteratorIbN2at6native8internal12_GLOBAL__N_110LoadBoolOpEPKhlEENS0_17constant_iteratorIjlEEPbPlSO_S6_NS0_8equal_toIbEEEE10hipError_tPvRmT2_T3_mT4_T5_T6_T7_T8_P12ihipStream_tbENKUlT_T0_E_clISt17integral_constantIbLb1EES18_EEDaS13_S14_EUlS13_E_NS1_11comp_targetILNS1_3genE5ELNS1_11target_archE942ELNS1_3gpuE9ELNS1_3repE0EEENS1_30default_config_static_selectorELNS0_4arch9wavefront6targetE0EEEvT1_: ; @_ZN7rocprim17ROCPRIM_400000_NS6detail17trampoline_kernelINS0_14default_configENS1_33run_length_encode_config_selectorIbjNS0_4plusIjEEEEZZNS1_33reduce_by_key_impl_wrapped_configILNS1_25lookback_scan_determinismE0ES3_S7_N6hipcub16HIPCUB_304000_NS22TransformInputIteratorIbN2at6native8internal12_GLOBAL__N_110LoadBoolOpEPKhlEENS0_17constant_iteratorIjlEEPbPlSO_S6_NS0_8equal_toIbEEEE10hipError_tPvRmT2_T3_mT4_T5_T6_T7_T8_P12ihipStream_tbENKUlT_T0_E_clISt17integral_constantIbLb1EES18_EEDaS13_S14_EUlS13_E_NS1_11comp_targetILNS1_3genE5ELNS1_11target_archE942ELNS1_3gpuE9ELNS1_3repE0EEENS1_30default_config_static_selectorELNS0_4arch9wavefront6targetE0EEEvT1_
; %bb.0:
	.section	.rodata,"a",@progbits
	.p2align	6, 0x0
	.amdhsa_kernel _ZN7rocprim17ROCPRIM_400000_NS6detail17trampoline_kernelINS0_14default_configENS1_33run_length_encode_config_selectorIbjNS0_4plusIjEEEEZZNS1_33reduce_by_key_impl_wrapped_configILNS1_25lookback_scan_determinismE0ES3_S7_N6hipcub16HIPCUB_304000_NS22TransformInputIteratorIbN2at6native8internal12_GLOBAL__N_110LoadBoolOpEPKhlEENS0_17constant_iteratorIjlEEPbPlSO_S6_NS0_8equal_toIbEEEE10hipError_tPvRmT2_T3_mT4_T5_T6_T7_T8_P12ihipStream_tbENKUlT_T0_E_clISt17integral_constantIbLb1EES18_EEDaS13_S14_EUlS13_E_NS1_11comp_targetILNS1_3genE5ELNS1_11target_archE942ELNS1_3gpuE9ELNS1_3repE0EEENS1_30default_config_static_selectorELNS0_4arch9wavefront6targetE0EEEvT1_
		.amdhsa_group_segment_fixed_size 0
		.amdhsa_private_segment_fixed_size 0
		.amdhsa_kernarg_size 136
		.amdhsa_user_sgpr_count 2
		.amdhsa_user_sgpr_dispatch_ptr 0
		.amdhsa_user_sgpr_queue_ptr 0
		.amdhsa_user_sgpr_kernarg_segment_ptr 1
		.amdhsa_user_sgpr_dispatch_id 0
		.amdhsa_user_sgpr_kernarg_preload_length 0
		.amdhsa_user_sgpr_kernarg_preload_offset 0
		.amdhsa_user_sgpr_private_segment_size 0
		.amdhsa_wavefront_size32 1
		.amdhsa_uses_dynamic_stack 0
		.amdhsa_enable_private_segment 0
		.amdhsa_system_sgpr_workgroup_id_x 1
		.amdhsa_system_sgpr_workgroup_id_y 0
		.amdhsa_system_sgpr_workgroup_id_z 0
		.amdhsa_system_sgpr_workgroup_info 0
		.amdhsa_system_vgpr_workitem_id 0
		.amdhsa_next_free_vgpr 1
		.amdhsa_next_free_sgpr 1
		.amdhsa_named_barrier_count 0
		.amdhsa_reserve_vcc 0
		.amdhsa_float_round_mode_32 0
		.amdhsa_float_round_mode_16_64 0
		.amdhsa_float_denorm_mode_32 3
		.amdhsa_float_denorm_mode_16_64 3
		.amdhsa_fp16_overflow 0
		.amdhsa_memory_ordered 1
		.amdhsa_forward_progress 1
		.amdhsa_inst_pref_size 0
		.amdhsa_round_robin_scheduling 0
		.amdhsa_exception_fp_ieee_invalid_op 0
		.amdhsa_exception_fp_denorm_src 0
		.amdhsa_exception_fp_ieee_div_zero 0
		.amdhsa_exception_fp_ieee_overflow 0
		.amdhsa_exception_fp_ieee_underflow 0
		.amdhsa_exception_fp_ieee_inexact 0
		.amdhsa_exception_int_div_zero 0
	.end_amdhsa_kernel
	.section	.text._ZN7rocprim17ROCPRIM_400000_NS6detail17trampoline_kernelINS0_14default_configENS1_33run_length_encode_config_selectorIbjNS0_4plusIjEEEEZZNS1_33reduce_by_key_impl_wrapped_configILNS1_25lookback_scan_determinismE0ES3_S7_N6hipcub16HIPCUB_304000_NS22TransformInputIteratorIbN2at6native8internal12_GLOBAL__N_110LoadBoolOpEPKhlEENS0_17constant_iteratorIjlEEPbPlSO_S6_NS0_8equal_toIbEEEE10hipError_tPvRmT2_T3_mT4_T5_T6_T7_T8_P12ihipStream_tbENKUlT_T0_E_clISt17integral_constantIbLb1EES18_EEDaS13_S14_EUlS13_E_NS1_11comp_targetILNS1_3genE5ELNS1_11target_archE942ELNS1_3gpuE9ELNS1_3repE0EEENS1_30default_config_static_selectorELNS0_4arch9wavefront6targetE0EEEvT1_,"axG",@progbits,_ZN7rocprim17ROCPRIM_400000_NS6detail17trampoline_kernelINS0_14default_configENS1_33run_length_encode_config_selectorIbjNS0_4plusIjEEEEZZNS1_33reduce_by_key_impl_wrapped_configILNS1_25lookback_scan_determinismE0ES3_S7_N6hipcub16HIPCUB_304000_NS22TransformInputIteratorIbN2at6native8internal12_GLOBAL__N_110LoadBoolOpEPKhlEENS0_17constant_iteratorIjlEEPbPlSO_S6_NS0_8equal_toIbEEEE10hipError_tPvRmT2_T3_mT4_T5_T6_T7_T8_P12ihipStream_tbENKUlT_T0_E_clISt17integral_constantIbLb1EES18_EEDaS13_S14_EUlS13_E_NS1_11comp_targetILNS1_3genE5ELNS1_11target_archE942ELNS1_3gpuE9ELNS1_3repE0EEENS1_30default_config_static_selectorELNS0_4arch9wavefront6targetE0EEEvT1_,comdat
.Lfunc_end69:
	.size	_ZN7rocprim17ROCPRIM_400000_NS6detail17trampoline_kernelINS0_14default_configENS1_33run_length_encode_config_selectorIbjNS0_4plusIjEEEEZZNS1_33reduce_by_key_impl_wrapped_configILNS1_25lookback_scan_determinismE0ES3_S7_N6hipcub16HIPCUB_304000_NS22TransformInputIteratorIbN2at6native8internal12_GLOBAL__N_110LoadBoolOpEPKhlEENS0_17constant_iteratorIjlEEPbPlSO_S6_NS0_8equal_toIbEEEE10hipError_tPvRmT2_T3_mT4_T5_T6_T7_T8_P12ihipStream_tbENKUlT_T0_E_clISt17integral_constantIbLb1EES18_EEDaS13_S14_EUlS13_E_NS1_11comp_targetILNS1_3genE5ELNS1_11target_archE942ELNS1_3gpuE9ELNS1_3repE0EEENS1_30default_config_static_selectorELNS0_4arch9wavefront6targetE0EEEvT1_, .Lfunc_end69-_ZN7rocprim17ROCPRIM_400000_NS6detail17trampoline_kernelINS0_14default_configENS1_33run_length_encode_config_selectorIbjNS0_4plusIjEEEEZZNS1_33reduce_by_key_impl_wrapped_configILNS1_25lookback_scan_determinismE0ES3_S7_N6hipcub16HIPCUB_304000_NS22TransformInputIteratorIbN2at6native8internal12_GLOBAL__N_110LoadBoolOpEPKhlEENS0_17constant_iteratorIjlEEPbPlSO_S6_NS0_8equal_toIbEEEE10hipError_tPvRmT2_T3_mT4_T5_T6_T7_T8_P12ihipStream_tbENKUlT_T0_E_clISt17integral_constantIbLb1EES18_EEDaS13_S14_EUlS13_E_NS1_11comp_targetILNS1_3genE5ELNS1_11target_archE942ELNS1_3gpuE9ELNS1_3repE0EEENS1_30default_config_static_selectorELNS0_4arch9wavefront6targetE0EEEvT1_
                                        ; -- End function
	.set _ZN7rocprim17ROCPRIM_400000_NS6detail17trampoline_kernelINS0_14default_configENS1_33run_length_encode_config_selectorIbjNS0_4plusIjEEEEZZNS1_33reduce_by_key_impl_wrapped_configILNS1_25lookback_scan_determinismE0ES3_S7_N6hipcub16HIPCUB_304000_NS22TransformInputIteratorIbN2at6native8internal12_GLOBAL__N_110LoadBoolOpEPKhlEENS0_17constant_iteratorIjlEEPbPlSO_S6_NS0_8equal_toIbEEEE10hipError_tPvRmT2_T3_mT4_T5_T6_T7_T8_P12ihipStream_tbENKUlT_T0_E_clISt17integral_constantIbLb1EES18_EEDaS13_S14_EUlS13_E_NS1_11comp_targetILNS1_3genE5ELNS1_11target_archE942ELNS1_3gpuE9ELNS1_3repE0EEENS1_30default_config_static_selectorELNS0_4arch9wavefront6targetE0EEEvT1_.num_vgpr, 0
	.set _ZN7rocprim17ROCPRIM_400000_NS6detail17trampoline_kernelINS0_14default_configENS1_33run_length_encode_config_selectorIbjNS0_4plusIjEEEEZZNS1_33reduce_by_key_impl_wrapped_configILNS1_25lookback_scan_determinismE0ES3_S7_N6hipcub16HIPCUB_304000_NS22TransformInputIteratorIbN2at6native8internal12_GLOBAL__N_110LoadBoolOpEPKhlEENS0_17constant_iteratorIjlEEPbPlSO_S6_NS0_8equal_toIbEEEE10hipError_tPvRmT2_T3_mT4_T5_T6_T7_T8_P12ihipStream_tbENKUlT_T0_E_clISt17integral_constantIbLb1EES18_EEDaS13_S14_EUlS13_E_NS1_11comp_targetILNS1_3genE5ELNS1_11target_archE942ELNS1_3gpuE9ELNS1_3repE0EEENS1_30default_config_static_selectorELNS0_4arch9wavefront6targetE0EEEvT1_.num_agpr, 0
	.set _ZN7rocprim17ROCPRIM_400000_NS6detail17trampoline_kernelINS0_14default_configENS1_33run_length_encode_config_selectorIbjNS0_4plusIjEEEEZZNS1_33reduce_by_key_impl_wrapped_configILNS1_25lookback_scan_determinismE0ES3_S7_N6hipcub16HIPCUB_304000_NS22TransformInputIteratorIbN2at6native8internal12_GLOBAL__N_110LoadBoolOpEPKhlEENS0_17constant_iteratorIjlEEPbPlSO_S6_NS0_8equal_toIbEEEE10hipError_tPvRmT2_T3_mT4_T5_T6_T7_T8_P12ihipStream_tbENKUlT_T0_E_clISt17integral_constantIbLb1EES18_EEDaS13_S14_EUlS13_E_NS1_11comp_targetILNS1_3genE5ELNS1_11target_archE942ELNS1_3gpuE9ELNS1_3repE0EEENS1_30default_config_static_selectorELNS0_4arch9wavefront6targetE0EEEvT1_.numbered_sgpr, 0
	.set _ZN7rocprim17ROCPRIM_400000_NS6detail17trampoline_kernelINS0_14default_configENS1_33run_length_encode_config_selectorIbjNS0_4plusIjEEEEZZNS1_33reduce_by_key_impl_wrapped_configILNS1_25lookback_scan_determinismE0ES3_S7_N6hipcub16HIPCUB_304000_NS22TransformInputIteratorIbN2at6native8internal12_GLOBAL__N_110LoadBoolOpEPKhlEENS0_17constant_iteratorIjlEEPbPlSO_S6_NS0_8equal_toIbEEEE10hipError_tPvRmT2_T3_mT4_T5_T6_T7_T8_P12ihipStream_tbENKUlT_T0_E_clISt17integral_constantIbLb1EES18_EEDaS13_S14_EUlS13_E_NS1_11comp_targetILNS1_3genE5ELNS1_11target_archE942ELNS1_3gpuE9ELNS1_3repE0EEENS1_30default_config_static_selectorELNS0_4arch9wavefront6targetE0EEEvT1_.num_named_barrier, 0
	.set _ZN7rocprim17ROCPRIM_400000_NS6detail17trampoline_kernelINS0_14default_configENS1_33run_length_encode_config_selectorIbjNS0_4plusIjEEEEZZNS1_33reduce_by_key_impl_wrapped_configILNS1_25lookback_scan_determinismE0ES3_S7_N6hipcub16HIPCUB_304000_NS22TransformInputIteratorIbN2at6native8internal12_GLOBAL__N_110LoadBoolOpEPKhlEENS0_17constant_iteratorIjlEEPbPlSO_S6_NS0_8equal_toIbEEEE10hipError_tPvRmT2_T3_mT4_T5_T6_T7_T8_P12ihipStream_tbENKUlT_T0_E_clISt17integral_constantIbLb1EES18_EEDaS13_S14_EUlS13_E_NS1_11comp_targetILNS1_3genE5ELNS1_11target_archE942ELNS1_3gpuE9ELNS1_3repE0EEENS1_30default_config_static_selectorELNS0_4arch9wavefront6targetE0EEEvT1_.private_seg_size, 0
	.set _ZN7rocprim17ROCPRIM_400000_NS6detail17trampoline_kernelINS0_14default_configENS1_33run_length_encode_config_selectorIbjNS0_4plusIjEEEEZZNS1_33reduce_by_key_impl_wrapped_configILNS1_25lookback_scan_determinismE0ES3_S7_N6hipcub16HIPCUB_304000_NS22TransformInputIteratorIbN2at6native8internal12_GLOBAL__N_110LoadBoolOpEPKhlEENS0_17constant_iteratorIjlEEPbPlSO_S6_NS0_8equal_toIbEEEE10hipError_tPvRmT2_T3_mT4_T5_T6_T7_T8_P12ihipStream_tbENKUlT_T0_E_clISt17integral_constantIbLb1EES18_EEDaS13_S14_EUlS13_E_NS1_11comp_targetILNS1_3genE5ELNS1_11target_archE942ELNS1_3gpuE9ELNS1_3repE0EEENS1_30default_config_static_selectorELNS0_4arch9wavefront6targetE0EEEvT1_.uses_vcc, 0
	.set _ZN7rocprim17ROCPRIM_400000_NS6detail17trampoline_kernelINS0_14default_configENS1_33run_length_encode_config_selectorIbjNS0_4plusIjEEEEZZNS1_33reduce_by_key_impl_wrapped_configILNS1_25lookback_scan_determinismE0ES3_S7_N6hipcub16HIPCUB_304000_NS22TransformInputIteratorIbN2at6native8internal12_GLOBAL__N_110LoadBoolOpEPKhlEENS0_17constant_iteratorIjlEEPbPlSO_S6_NS0_8equal_toIbEEEE10hipError_tPvRmT2_T3_mT4_T5_T6_T7_T8_P12ihipStream_tbENKUlT_T0_E_clISt17integral_constantIbLb1EES18_EEDaS13_S14_EUlS13_E_NS1_11comp_targetILNS1_3genE5ELNS1_11target_archE942ELNS1_3gpuE9ELNS1_3repE0EEENS1_30default_config_static_selectorELNS0_4arch9wavefront6targetE0EEEvT1_.uses_flat_scratch, 0
	.set _ZN7rocprim17ROCPRIM_400000_NS6detail17trampoline_kernelINS0_14default_configENS1_33run_length_encode_config_selectorIbjNS0_4plusIjEEEEZZNS1_33reduce_by_key_impl_wrapped_configILNS1_25lookback_scan_determinismE0ES3_S7_N6hipcub16HIPCUB_304000_NS22TransformInputIteratorIbN2at6native8internal12_GLOBAL__N_110LoadBoolOpEPKhlEENS0_17constant_iteratorIjlEEPbPlSO_S6_NS0_8equal_toIbEEEE10hipError_tPvRmT2_T3_mT4_T5_T6_T7_T8_P12ihipStream_tbENKUlT_T0_E_clISt17integral_constantIbLb1EES18_EEDaS13_S14_EUlS13_E_NS1_11comp_targetILNS1_3genE5ELNS1_11target_archE942ELNS1_3gpuE9ELNS1_3repE0EEENS1_30default_config_static_selectorELNS0_4arch9wavefront6targetE0EEEvT1_.has_dyn_sized_stack, 0
	.set _ZN7rocprim17ROCPRIM_400000_NS6detail17trampoline_kernelINS0_14default_configENS1_33run_length_encode_config_selectorIbjNS0_4plusIjEEEEZZNS1_33reduce_by_key_impl_wrapped_configILNS1_25lookback_scan_determinismE0ES3_S7_N6hipcub16HIPCUB_304000_NS22TransformInputIteratorIbN2at6native8internal12_GLOBAL__N_110LoadBoolOpEPKhlEENS0_17constant_iteratorIjlEEPbPlSO_S6_NS0_8equal_toIbEEEE10hipError_tPvRmT2_T3_mT4_T5_T6_T7_T8_P12ihipStream_tbENKUlT_T0_E_clISt17integral_constantIbLb1EES18_EEDaS13_S14_EUlS13_E_NS1_11comp_targetILNS1_3genE5ELNS1_11target_archE942ELNS1_3gpuE9ELNS1_3repE0EEENS1_30default_config_static_selectorELNS0_4arch9wavefront6targetE0EEEvT1_.has_recursion, 0
	.set _ZN7rocprim17ROCPRIM_400000_NS6detail17trampoline_kernelINS0_14default_configENS1_33run_length_encode_config_selectorIbjNS0_4plusIjEEEEZZNS1_33reduce_by_key_impl_wrapped_configILNS1_25lookback_scan_determinismE0ES3_S7_N6hipcub16HIPCUB_304000_NS22TransformInputIteratorIbN2at6native8internal12_GLOBAL__N_110LoadBoolOpEPKhlEENS0_17constant_iteratorIjlEEPbPlSO_S6_NS0_8equal_toIbEEEE10hipError_tPvRmT2_T3_mT4_T5_T6_T7_T8_P12ihipStream_tbENKUlT_T0_E_clISt17integral_constantIbLb1EES18_EEDaS13_S14_EUlS13_E_NS1_11comp_targetILNS1_3genE5ELNS1_11target_archE942ELNS1_3gpuE9ELNS1_3repE0EEENS1_30default_config_static_selectorELNS0_4arch9wavefront6targetE0EEEvT1_.has_indirect_call, 0
	.section	.AMDGPU.csdata,"",@progbits
; Kernel info:
; codeLenInByte = 0
; TotalNumSgprs: 0
; NumVgprs: 0
; ScratchSize: 0
; MemoryBound: 0
; FloatMode: 240
; IeeeMode: 1
; LDSByteSize: 0 bytes/workgroup (compile time only)
; SGPRBlocks: 0
; VGPRBlocks: 0
; NumSGPRsForWavesPerEU: 1
; NumVGPRsForWavesPerEU: 1
; NamedBarCnt: 0
; Occupancy: 16
; WaveLimiterHint : 0
; COMPUTE_PGM_RSRC2:SCRATCH_EN: 0
; COMPUTE_PGM_RSRC2:USER_SGPR: 2
; COMPUTE_PGM_RSRC2:TRAP_HANDLER: 0
; COMPUTE_PGM_RSRC2:TGID_X_EN: 1
; COMPUTE_PGM_RSRC2:TGID_Y_EN: 0
; COMPUTE_PGM_RSRC2:TGID_Z_EN: 0
; COMPUTE_PGM_RSRC2:TIDIG_COMP_CNT: 0
	.section	.text._ZN7rocprim17ROCPRIM_400000_NS6detail17trampoline_kernelINS0_14default_configENS1_33run_length_encode_config_selectorIbjNS0_4plusIjEEEEZZNS1_33reduce_by_key_impl_wrapped_configILNS1_25lookback_scan_determinismE0ES3_S7_N6hipcub16HIPCUB_304000_NS22TransformInputIteratorIbN2at6native8internal12_GLOBAL__N_110LoadBoolOpEPKhlEENS0_17constant_iteratorIjlEEPbPlSO_S6_NS0_8equal_toIbEEEE10hipError_tPvRmT2_T3_mT4_T5_T6_T7_T8_P12ihipStream_tbENKUlT_T0_E_clISt17integral_constantIbLb1EES18_EEDaS13_S14_EUlS13_E_NS1_11comp_targetILNS1_3genE4ELNS1_11target_archE910ELNS1_3gpuE8ELNS1_3repE0EEENS1_30default_config_static_selectorELNS0_4arch9wavefront6targetE0EEEvT1_,"axG",@progbits,_ZN7rocprim17ROCPRIM_400000_NS6detail17trampoline_kernelINS0_14default_configENS1_33run_length_encode_config_selectorIbjNS0_4plusIjEEEEZZNS1_33reduce_by_key_impl_wrapped_configILNS1_25lookback_scan_determinismE0ES3_S7_N6hipcub16HIPCUB_304000_NS22TransformInputIteratorIbN2at6native8internal12_GLOBAL__N_110LoadBoolOpEPKhlEENS0_17constant_iteratorIjlEEPbPlSO_S6_NS0_8equal_toIbEEEE10hipError_tPvRmT2_T3_mT4_T5_T6_T7_T8_P12ihipStream_tbENKUlT_T0_E_clISt17integral_constantIbLb1EES18_EEDaS13_S14_EUlS13_E_NS1_11comp_targetILNS1_3genE4ELNS1_11target_archE910ELNS1_3gpuE8ELNS1_3repE0EEENS1_30default_config_static_selectorELNS0_4arch9wavefront6targetE0EEEvT1_,comdat
	.globl	_ZN7rocprim17ROCPRIM_400000_NS6detail17trampoline_kernelINS0_14default_configENS1_33run_length_encode_config_selectorIbjNS0_4plusIjEEEEZZNS1_33reduce_by_key_impl_wrapped_configILNS1_25lookback_scan_determinismE0ES3_S7_N6hipcub16HIPCUB_304000_NS22TransformInputIteratorIbN2at6native8internal12_GLOBAL__N_110LoadBoolOpEPKhlEENS0_17constant_iteratorIjlEEPbPlSO_S6_NS0_8equal_toIbEEEE10hipError_tPvRmT2_T3_mT4_T5_T6_T7_T8_P12ihipStream_tbENKUlT_T0_E_clISt17integral_constantIbLb1EES18_EEDaS13_S14_EUlS13_E_NS1_11comp_targetILNS1_3genE4ELNS1_11target_archE910ELNS1_3gpuE8ELNS1_3repE0EEENS1_30default_config_static_selectorELNS0_4arch9wavefront6targetE0EEEvT1_ ; -- Begin function _ZN7rocprim17ROCPRIM_400000_NS6detail17trampoline_kernelINS0_14default_configENS1_33run_length_encode_config_selectorIbjNS0_4plusIjEEEEZZNS1_33reduce_by_key_impl_wrapped_configILNS1_25lookback_scan_determinismE0ES3_S7_N6hipcub16HIPCUB_304000_NS22TransformInputIteratorIbN2at6native8internal12_GLOBAL__N_110LoadBoolOpEPKhlEENS0_17constant_iteratorIjlEEPbPlSO_S6_NS0_8equal_toIbEEEE10hipError_tPvRmT2_T3_mT4_T5_T6_T7_T8_P12ihipStream_tbENKUlT_T0_E_clISt17integral_constantIbLb1EES18_EEDaS13_S14_EUlS13_E_NS1_11comp_targetILNS1_3genE4ELNS1_11target_archE910ELNS1_3gpuE8ELNS1_3repE0EEENS1_30default_config_static_selectorELNS0_4arch9wavefront6targetE0EEEvT1_
	.p2align	8
	.type	_ZN7rocprim17ROCPRIM_400000_NS6detail17trampoline_kernelINS0_14default_configENS1_33run_length_encode_config_selectorIbjNS0_4plusIjEEEEZZNS1_33reduce_by_key_impl_wrapped_configILNS1_25lookback_scan_determinismE0ES3_S7_N6hipcub16HIPCUB_304000_NS22TransformInputIteratorIbN2at6native8internal12_GLOBAL__N_110LoadBoolOpEPKhlEENS0_17constant_iteratorIjlEEPbPlSO_S6_NS0_8equal_toIbEEEE10hipError_tPvRmT2_T3_mT4_T5_T6_T7_T8_P12ihipStream_tbENKUlT_T0_E_clISt17integral_constantIbLb1EES18_EEDaS13_S14_EUlS13_E_NS1_11comp_targetILNS1_3genE4ELNS1_11target_archE910ELNS1_3gpuE8ELNS1_3repE0EEENS1_30default_config_static_selectorELNS0_4arch9wavefront6targetE0EEEvT1_,@function
_ZN7rocprim17ROCPRIM_400000_NS6detail17trampoline_kernelINS0_14default_configENS1_33run_length_encode_config_selectorIbjNS0_4plusIjEEEEZZNS1_33reduce_by_key_impl_wrapped_configILNS1_25lookback_scan_determinismE0ES3_S7_N6hipcub16HIPCUB_304000_NS22TransformInputIteratorIbN2at6native8internal12_GLOBAL__N_110LoadBoolOpEPKhlEENS0_17constant_iteratorIjlEEPbPlSO_S6_NS0_8equal_toIbEEEE10hipError_tPvRmT2_T3_mT4_T5_T6_T7_T8_P12ihipStream_tbENKUlT_T0_E_clISt17integral_constantIbLb1EES18_EEDaS13_S14_EUlS13_E_NS1_11comp_targetILNS1_3genE4ELNS1_11target_archE910ELNS1_3gpuE8ELNS1_3repE0EEENS1_30default_config_static_selectorELNS0_4arch9wavefront6targetE0EEEvT1_: ; @_ZN7rocprim17ROCPRIM_400000_NS6detail17trampoline_kernelINS0_14default_configENS1_33run_length_encode_config_selectorIbjNS0_4plusIjEEEEZZNS1_33reduce_by_key_impl_wrapped_configILNS1_25lookback_scan_determinismE0ES3_S7_N6hipcub16HIPCUB_304000_NS22TransformInputIteratorIbN2at6native8internal12_GLOBAL__N_110LoadBoolOpEPKhlEENS0_17constant_iteratorIjlEEPbPlSO_S6_NS0_8equal_toIbEEEE10hipError_tPvRmT2_T3_mT4_T5_T6_T7_T8_P12ihipStream_tbENKUlT_T0_E_clISt17integral_constantIbLb1EES18_EEDaS13_S14_EUlS13_E_NS1_11comp_targetILNS1_3genE4ELNS1_11target_archE910ELNS1_3gpuE8ELNS1_3repE0EEENS1_30default_config_static_selectorELNS0_4arch9wavefront6targetE0EEEvT1_
; %bb.0:
	.section	.rodata,"a",@progbits
	.p2align	6, 0x0
	.amdhsa_kernel _ZN7rocprim17ROCPRIM_400000_NS6detail17trampoline_kernelINS0_14default_configENS1_33run_length_encode_config_selectorIbjNS0_4plusIjEEEEZZNS1_33reduce_by_key_impl_wrapped_configILNS1_25lookback_scan_determinismE0ES3_S7_N6hipcub16HIPCUB_304000_NS22TransformInputIteratorIbN2at6native8internal12_GLOBAL__N_110LoadBoolOpEPKhlEENS0_17constant_iteratorIjlEEPbPlSO_S6_NS0_8equal_toIbEEEE10hipError_tPvRmT2_T3_mT4_T5_T6_T7_T8_P12ihipStream_tbENKUlT_T0_E_clISt17integral_constantIbLb1EES18_EEDaS13_S14_EUlS13_E_NS1_11comp_targetILNS1_3genE4ELNS1_11target_archE910ELNS1_3gpuE8ELNS1_3repE0EEENS1_30default_config_static_selectorELNS0_4arch9wavefront6targetE0EEEvT1_
		.amdhsa_group_segment_fixed_size 0
		.amdhsa_private_segment_fixed_size 0
		.amdhsa_kernarg_size 136
		.amdhsa_user_sgpr_count 2
		.amdhsa_user_sgpr_dispatch_ptr 0
		.amdhsa_user_sgpr_queue_ptr 0
		.amdhsa_user_sgpr_kernarg_segment_ptr 1
		.amdhsa_user_sgpr_dispatch_id 0
		.amdhsa_user_sgpr_kernarg_preload_length 0
		.amdhsa_user_sgpr_kernarg_preload_offset 0
		.amdhsa_user_sgpr_private_segment_size 0
		.amdhsa_wavefront_size32 1
		.amdhsa_uses_dynamic_stack 0
		.amdhsa_enable_private_segment 0
		.amdhsa_system_sgpr_workgroup_id_x 1
		.amdhsa_system_sgpr_workgroup_id_y 0
		.amdhsa_system_sgpr_workgroup_id_z 0
		.amdhsa_system_sgpr_workgroup_info 0
		.amdhsa_system_vgpr_workitem_id 0
		.amdhsa_next_free_vgpr 1
		.amdhsa_next_free_sgpr 1
		.amdhsa_named_barrier_count 0
		.amdhsa_reserve_vcc 0
		.amdhsa_float_round_mode_32 0
		.amdhsa_float_round_mode_16_64 0
		.amdhsa_float_denorm_mode_32 3
		.amdhsa_float_denorm_mode_16_64 3
		.amdhsa_fp16_overflow 0
		.amdhsa_memory_ordered 1
		.amdhsa_forward_progress 1
		.amdhsa_inst_pref_size 0
		.amdhsa_round_robin_scheduling 0
		.amdhsa_exception_fp_ieee_invalid_op 0
		.amdhsa_exception_fp_denorm_src 0
		.amdhsa_exception_fp_ieee_div_zero 0
		.amdhsa_exception_fp_ieee_overflow 0
		.amdhsa_exception_fp_ieee_underflow 0
		.amdhsa_exception_fp_ieee_inexact 0
		.amdhsa_exception_int_div_zero 0
	.end_amdhsa_kernel
	.section	.text._ZN7rocprim17ROCPRIM_400000_NS6detail17trampoline_kernelINS0_14default_configENS1_33run_length_encode_config_selectorIbjNS0_4plusIjEEEEZZNS1_33reduce_by_key_impl_wrapped_configILNS1_25lookback_scan_determinismE0ES3_S7_N6hipcub16HIPCUB_304000_NS22TransformInputIteratorIbN2at6native8internal12_GLOBAL__N_110LoadBoolOpEPKhlEENS0_17constant_iteratorIjlEEPbPlSO_S6_NS0_8equal_toIbEEEE10hipError_tPvRmT2_T3_mT4_T5_T6_T7_T8_P12ihipStream_tbENKUlT_T0_E_clISt17integral_constantIbLb1EES18_EEDaS13_S14_EUlS13_E_NS1_11comp_targetILNS1_3genE4ELNS1_11target_archE910ELNS1_3gpuE8ELNS1_3repE0EEENS1_30default_config_static_selectorELNS0_4arch9wavefront6targetE0EEEvT1_,"axG",@progbits,_ZN7rocprim17ROCPRIM_400000_NS6detail17trampoline_kernelINS0_14default_configENS1_33run_length_encode_config_selectorIbjNS0_4plusIjEEEEZZNS1_33reduce_by_key_impl_wrapped_configILNS1_25lookback_scan_determinismE0ES3_S7_N6hipcub16HIPCUB_304000_NS22TransformInputIteratorIbN2at6native8internal12_GLOBAL__N_110LoadBoolOpEPKhlEENS0_17constant_iteratorIjlEEPbPlSO_S6_NS0_8equal_toIbEEEE10hipError_tPvRmT2_T3_mT4_T5_T6_T7_T8_P12ihipStream_tbENKUlT_T0_E_clISt17integral_constantIbLb1EES18_EEDaS13_S14_EUlS13_E_NS1_11comp_targetILNS1_3genE4ELNS1_11target_archE910ELNS1_3gpuE8ELNS1_3repE0EEENS1_30default_config_static_selectorELNS0_4arch9wavefront6targetE0EEEvT1_,comdat
.Lfunc_end70:
	.size	_ZN7rocprim17ROCPRIM_400000_NS6detail17trampoline_kernelINS0_14default_configENS1_33run_length_encode_config_selectorIbjNS0_4plusIjEEEEZZNS1_33reduce_by_key_impl_wrapped_configILNS1_25lookback_scan_determinismE0ES3_S7_N6hipcub16HIPCUB_304000_NS22TransformInputIteratorIbN2at6native8internal12_GLOBAL__N_110LoadBoolOpEPKhlEENS0_17constant_iteratorIjlEEPbPlSO_S6_NS0_8equal_toIbEEEE10hipError_tPvRmT2_T3_mT4_T5_T6_T7_T8_P12ihipStream_tbENKUlT_T0_E_clISt17integral_constantIbLb1EES18_EEDaS13_S14_EUlS13_E_NS1_11comp_targetILNS1_3genE4ELNS1_11target_archE910ELNS1_3gpuE8ELNS1_3repE0EEENS1_30default_config_static_selectorELNS0_4arch9wavefront6targetE0EEEvT1_, .Lfunc_end70-_ZN7rocprim17ROCPRIM_400000_NS6detail17trampoline_kernelINS0_14default_configENS1_33run_length_encode_config_selectorIbjNS0_4plusIjEEEEZZNS1_33reduce_by_key_impl_wrapped_configILNS1_25lookback_scan_determinismE0ES3_S7_N6hipcub16HIPCUB_304000_NS22TransformInputIteratorIbN2at6native8internal12_GLOBAL__N_110LoadBoolOpEPKhlEENS0_17constant_iteratorIjlEEPbPlSO_S6_NS0_8equal_toIbEEEE10hipError_tPvRmT2_T3_mT4_T5_T6_T7_T8_P12ihipStream_tbENKUlT_T0_E_clISt17integral_constantIbLb1EES18_EEDaS13_S14_EUlS13_E_NS1_11comp_targetILNS1_3genE4ELNS1_11target_archE910ELNS1_3gpuE8ELNS1_3repE0EEENS1_30default_config_static_selectorELNS0_4arch9wavefront6targetE0EEEvT1_
                                        ; -- End function
	.set _ZN7rocprim17ROCPRIM_400000_NS6detail17trampoline_kernelINS0_14default_configENS1_33run_length_encode_config_selectorIbjNS0_4plusIjEEEEZZNS1_33reduce_by_key_impl_wrapped_configILNS1_25lookback_scan_determinismE0ES3_S7_N6hipcub16HIPCUB_304000_NS22TransformInputIteratorIbN2at6native8internal12_GLOBAL__N_110LoadBoolOpEPKhlEENS0_17constant_iteratorIjlEEPbPlSO_S6_NS0_8equal_toIbEEEE10hipError_tPvRmT2_T3_mT4_T5_T6_T7_T8_P12ihipStream_tbENKUlT_T0_E_clISt17integral_constantIbLb1EES18_EEDaS13_S14_EUlS13_E_NS1_11comp_targetILNS1_3genE4ELNS1_11target_archE910ELNS1_3gpuE8ELNS1_3repE0EEENS1_30default_config_static_selectorELNS0_4arch9wavefront6targetE0EEEvT1_.num_vgpr, 0
	.set _ZN7rocprim17ROCPRIM_400000_NS6detail17trampoline_kernelINS0_14default_configENS1_33run_length_encode_config_selectorIbjNS0_4plusIjEEEEZZNS1_33reduce_by_key_impl_wrapped_configILNS1_25lookback_scan_determinismE0ES3_S7_N6hipcub16HIPCUB_304000_NS22TransformInputIteratorIbN2at6native8internal12_GLOBAL__N_110LoadBoolOpEPKhlEENS0_17constant_iteratorIjlEEPbPlSO_S6_NS0_8equal_toIbEEEE10hipError_tPvRmT2_T3_mT4_T5_T6_T7_T8_P12ihipStream_tbENKUlT_T0_E_clISt17integral_constantIbLb1EES18_EEDaS13_S14_EUlS13_E_NS1_11comp_targetILNS1_3genE4ELNS1_11target_archE910ELNS1_3gpuE8ELNS1_3repE0EEENS1_30default_config_static_selectorELNS0_4arch9wavefront6targetE0EEEvT1_.num_agpr, 0
	.set _ZN7rocprim17ROCPRIM_400000_NS6detail17trampoline_kernelINS0_14default_configENS1_33run_length_encode_config_selectorIbjNS0_4plusIjEEEEZZNS1_33reduce_by_key_impl_wrapped_configILNS1_25lookback_scan_determinismE0ES3_S7_N6hipcub16HIPCUB_304000_NS22TransformInputIteratorIbN2at6native8internal12_GLOBAL__N_110LoadBoolOpEPKhlEENS0_17constant_iteratorIjlEEPbPlSO_S6_NS0_8equal_toIbEEEE10hipError_tPvRmT2_T3_mT4_T5_T6_T7_T8_P12ihipStream_tbENKUlT_T0_E_clISt17integral_constantIbLb1EES18_EEDaS13_S14_EUlS13_E_NS1_11comp_targetILNS1_3genE4ELNS1_11target_archE910ELNS1_3gpuE8ELNS1_3repE0EEENS1_30default_config_static_selectorELNS0_4arch9wavefront6targetE0EEEvT1_.numbered_sgpr, 0
	.set _ZN7rocprim17ROCPRIM_400000_NS6detail17trampoline_kernelINS0_14default_configENS1_33run_length_encode_config_selectorIbjNS0_4plusIjEEEEZZNS1_33reduce_by_key_impl_wrapped_configILNS1_25lookback_scan_determinismE0ES3_S7_N6hipcub16HIPCUB_304000_NS22TransformInputIteratorIbN2at6native8internal12_GLOBAL__N_110LoadBoolOpEPKhlEENS0_17constant_iteratorIjlEEPbPlSO_S6_NS0_8equal_toIbEEEE10hipError_tPvRmT2_T3_mT4_T5_T6_T7_T8_P12ihipStream_tbENKUlT_T0_E_clISt17integral_constantIbLb1EES18_EEDaS13_S14_EUlS13_E_NS1_11comp_targetILNS1_3genE4ELNS1_11target_archE910ELNS1_3gpuE8ELNS1_3repE0EEENS1_30default_config_static_selectorELNS0_4arch9wavefront6targetE0EEEvT1_.num_named_barrier, 0
	.set _ZN7rocprim17ROCPRIM_400000_NS6detail17trampoline_kernelINS0_14default_configENS1_33run_length_encode_config_selectorIbjNS0_4plusIjEEEEZZNS1_33reduce_by_key_impl_wrapped_configILNS1_25lookback_scan_determinismE0ES3_S7_N6hipcub16HIPCUB_304000_NS22TransformInputIteratorIbN2at6native8internal12_GLOBAL__N_110LoadBoolOpEPKhlEENS0_17constant_iteratorIjlEEPbPlSO_S6_NS0_8equal_toIbEEEE10hipError_tPvRmT2_T3_mT4_T5_T6_T7_T8_P12ihipStream_tbENKUlT_T0_E_clISt17integral_constantIbLb1EES18_EEDaS13_S14_EUlS13_E_NS1_11comp_targetILNS1_3genE4ELNS1_11target_archE910ELNS1_3gpuE8ELNS1_3repE0EEENS1_30default_config_static_selectorELNS0_4arch9wavefront6targetE0EEEvT1_.private_seg_size, 0
	.set _ZN7rocprim17ROCPRIM_400000_NS6detail17trampoline_kernelINS0_14default_configENS1_33run_length_encode_config_selectorIbjNS0_4plusIjEEEEZZNS1_33reduce_by_key_impl_wrapped_configILNS1_25lookback_scan_determinismE0ES3_S7_N6hipcub16HIPCUB_304000_NS22TransformInputIteratorIbN2at6native8internal12_GLOBAL__N_110LoadBoolOpEPKhlEENS0_17constant_iteratorIjlEEPbPlSO_S6_NS0_8equal_toIbEEEE10hipError_tPvRmT2_T3_mT4_T5_T6_T7_T8_P12ihipStream_tbENKUlT_T0_E_clISt17integral_constantIbLb1EES18_EEDaS13_S14_EUlS13_E_NS1_11comp_targetILNS1_3genE4ELNS1_11target_archE910ELNS1_3gpuE8ELNS1_3repE0EEENS1_30default_config_static_selectorELNS0_4arch9wavefront6targetE0EEEvT1_.uses_vcc, 0
	.set _ZN7rocprim17ROCPRIM_400000_NS6detail17trampoline_kernelINS0_14default_configENS1_33run_length_encode_config_selectorIbjNS0_4plusIjEEEEZZNS1_33reduce_by_key_impl_wrapped_configILNS1_25lookback_scan_determinismE0ES3_S7_N6hipcub16HIPCUB_304000_NS22TransformInputIteratorIbN2at6native8internal12_GLOBAL__N_110LoadBoolOpEPKhlEENS0_17constant_iteratorIjlEEPbPlSO_S6_NS0_8equal_toIbEEEE10hipError_tPvRmT2_T3_mT4_T5_T6_T7_T8_P12ihipStream_tbENKUlT_T0_E_clISt17integral_constantIbLb1EES18_EEDaS13_S14_EUlS13_E_NS1_11comp_targetILNS1_3genE4ELNS1_11target_archE910ELNS1_3gpuE8ELNS1_3repE0EEENS1_30default_config_static_selectorELNS0_4arch9wavefront6targetE0EEEvT1_.uses_flat_scratch, 0
	.set _ZN7rocprim17ROCPRIM_400000_NS6detail17trampoline_kernelINS0_14default_configENS1_33run_length_encode_config_selectorIbjNS0_4plusIjEEEEZZNS1_33reduce_by_key_impl_wrapped_configILNS1_25lookback_scan_determinismE0ES3_S7_N6hipcub16HIPCUB_304000_NS22TransformInputIteratorIbN2at6native8internal12_GLOBAL__N_110LoadBoolOpEPKhlEENS0_17constant_iteratorIjlEEPbPlSO_S6_NS0_8equal_toIbEEEE10hipError_tPvRmT2_T3_mT4_T5_T6_T7_T8_P12ihipStream_tbENKUlT_T0_E_clISt17integral_constantIbLb1EES18_EEDaS13_S14_EUlS13_E_NS1_11comp_targetILNS1_3genE4ELNS1_11target_archE910ELNS1_3gpuE8ELNS1_3repE0EEENS1_30default_config_static_selectorELNS0_4arch9wavefront6targetE0EEEvT1_.has_dyn_sized_stack, 0
	.set _ZN7rocprim17ROCPRIM_400000_NS6detail17trampoline_kernelINS0_14default_configENS1_33run_length_encode_config_selectorIbjNS0_4plusIjEEEEZZNS1_33reduce_by_key_impl_wrapped_configILNS1_25lookback_scan_determinismE0ES3_S7_N6hipcub16HIPCUB_304000_NS22TransformInputIteratorIbN2at6native8internal12_GLOBAL__N_110LoadBoolOpEPKhlEENS0_17constant_iteratorIjlEEPbPlSO_S6_NS0_8equal_toIbEEEE10hipError_tPvRmT2_T3_mT4_T5_T6_T7_T8_P12ihipStream_tbENKUlT_T0_E_clISt17integral_constantIbLb1EES18_EEDaS13_S14_EUlS13_E_NS1_11comp_targetILNS1_3genE4ELNS1_11target_archE910ELNS1_3gpuE8ELNS1_3repE0EEENS1_30default_config_static_selectorELNS0_4arch9wavefront6targetE0EEEvT1_.has_recursion, 0
	.set _ZN7rocprim17ROCPRIM_400000_NS6detail17trampoline_kernelINS0_14default_configENS1_33run_length_encode_config_selectorIbjNS0_4plusIjEEEEZZNS1_33reduce_by_key_impl_wrapped_configILNS1_25lookback_scan_determinismE0ES3_S7_N6hipcub16HIPCUB_304000_NS22TransformInputIteratorIbN2at6native8internal12_GLOBAL__N_110LoadBoolOpEPKhlEENS0_17constant_iteratorIjlEEPbPlSO_S6_NS0_8equal_toIbEEEE10hipError_tPvRmT2_T3_mT4_T5_T6_T7_T8_P12ihipStream_tbENKUlT_T0_E_clISt17integral_constantIbLb1EES18_EEDaS13_S14_EUlS13_E_NS1_11comp_targetILNS1_3genE4ELNS1_11target_archE910ELNS1_3gpuE8ELNS1_3repE0EEENS1_30default_config_static_selectorELNS0_4arch9wavefront6targetE0EEEvT1_.has_indirect_call, 0
	.section	.AMDGPU.csdata,"",@progbits
; Kernel info:
; codeLenInByte = 0
; TotalNumSgprs: 0
; NumVgprs: 0
; ScratchSize: 0
; MemoryBound: 0
; FloatMode: 240
; IeeeMode: 1
; LDSByteSize: 0 bytes/workgroup (compile time only)
; SGPRBlocks: 0
; VGPRBlocks: 0
; NumSGPRsForWavesPerEU: 1
; NumVGPRsForWavesPerEU: 1
; NamedBarCnt: 0
; Occupancy: 16
; WaveLimiterHint : 0
; COMPUTE_PGM_RSRC2:SCRATCH_EN: 0
; COMPUTE_PGM_RSRC2:USER_SGPR: 2
; COMPUTE_PGM_RSRC2:TRAP_HANDLER: 0
; COMPUTE_PGM_RSRC2:TGID_X_EN: 1
; COMPUTE_PGM_RSRC2:TGID_Y_EN: 0
; COMPUTE_PGM_RSRC2:TGID_Z_EN: 0
; COMPUTE_PGM_RSRC2:TIDIG_COMP_CNT: 0
	.section	.text._ZN7rocprim17ROCPRIM_400000_NS6detail17trampoline_kernelINS0_14default_configENS1_33run_length_encode_config_selectorIbjNS0_4plusIjEEEEZZNS1_33reduce_by_key_impl_wrapped_configILNS1_25lookback_scan_determinismE0ES3_S7_N6hipcub16HIPCUB_304000_NS22TransformInputIteratorIbN2at6native8internal12_GLOBAL__N_110LoadBoolOpEPKhlEENS0_17constant_iteratorIjlEEPbPlSO_S6_NS0_8equal_toIbEEEE10hipError_tPvRmT2_T3_mT4_T5_T6_T7_T8_P12ihipStream_tbENKUlT_T0_E_clISt17integral_constantIbLb1EES18_EEDaS13_S14_EUlS13_E_NS1_11comp_targetILNS1_3genE3ELNS1_11target_archE908ELNS1_3gpuE7ELNS1_3repE0EEENS1_30default_config_static_selectorELNS0_4arch9wavefront6targetE0EEEvT1_,"axG",@progbits,_ZN7rocprim17ROCPRIM_400000_NS6detail17trampoline_kernelINS0_14default_configENS1_33run_length_encode_config_selectorIbjNS0_4plusIjEEEEZZNS1_33reduce_by_key_impl_wrapped_configILNS1_25lookback_scan_determinismE0ES3_S7_N6hipcub16HIPCUB_304000_NS22TransformInputIteratorIbN2at6native8internal12_GLOBAL__N_110LoadBoolOpEPKhlEENS0_17constant_iteratorIjlEEPbPlSO_S6_NS0_8equal_toIbEEEE10hipError_tPvRmT2_T3_mT4_T5_T6_T7_T8_P12ihipStream_tbENKUlT_T0_E_clISt17integral_constantIbLb1EES18_EEDaS13_S14_EUlS13_E_NS1_11comp_targetILNS1_3genE3ELNS1_11target_archE908ELNS1_3gpuE7ELNS1_3repE0EEENS1_30default_config_static_selectorELNS0_4arch9wavefront6targetE0EEEvT1_,comdat
	.globl	_ZN7rocprim17ROCPRIM_400000_NS6detail17trampoline_kernelINS0_14default_configENS1_33run_length_encode_config_selectorIbjNS0_4plusIjEEEEZZNS1_33reduce_by_key_impl_wrapped_configILNS1_25lookback_scan_determinismE0ES3_S7_N6hipcub16HIPCUB_304000_NS22TransformInputIteratorIbN2at6native8internal12_GLOBAL__N_110LoadBoolOpEPKhlEENS0_17constant_iteratorIjlEEPbPlSO_S6_NS0_8equal_toIbEEEE10hipError_tPvRmT2_T3_mT4_T5_T6_T7_T8_P12ihipStream_tbENKUlT_T0_E_clISt17integral_constantIbLb1EES18_EEDaS13_S14_EUlS13_E_NS1_11comp_targetILNS1_3genE3ELNS1_11target_archE908ELNS1_3gpuE7ELNS1_3repE0EEENS1_30default_config_static_selectorELNS0_4arch9wavefront6targetE0EEEvT1_ ; -- Begin function _ZN7rocprim17ROCPRIM_400000_NS6detail17trampoline_kernelINS0_14default_configENS1_33run_length_encode_config_selectorIbjNS0_4plusIjEEEEZZNS1_33reduce_by_key_impl_wrapped_configILNS1_25lookback_scan_determinismE0ES3_S7_N6hipcub16HIPCUB_304000_NS22TransformInputIteratorIbN2at6native8internal12_GLOBAL__N_110LoadBoolOpEPKhlEENS0_17constant_iteratorIjlEEPbPlSO_S6_NS0_8equal_toIbEEEE10hipError_tPvRmT2_T3_mT4_T5_T6_T7_T8_P12ihipStream_tbENKUlT_T0_E_clISt17integral_constantIbLb1EES18_EEDaS13_S14_EUlS13_E_NS1_11comp_targetILNS1_3genE3ELNS1_11target_archE908ELNS1_3gpuE7ELNS1_3repE0EEENS1_30default_config_static_selectorELNS0_4arch9wavefront6targetE0EEEvT1_
	.p2align	8
	.type	_ZN7rocprim17ROCPRIM_400000_NS6detail17trampoline_kernelINS0_14default_configENS1_33run_length_encode_config_selectorIbjNS0_4plusIjEEEEZZNS1_33reduce_by_key_impl_wrapped_configILNS1_25lookback_scan_determinismE0ES3_S7_N6hipcub16HIPCUB_304000_NS22TransformInputIteratorIbN2at6native8internal12_GLOBAL__N_110LoadBoolOpEPKhlEENS0_17constant_iteratorIjlEEPbPlSO_S6_NS0_8equal_toIbEEEE10hipError_tPvRmT2_T3_mT4_T5_T6_T7_T8_P12ihipStream_tbENKUlT_T0_E_clISt17integral_constantIbLb1EES18_EEDaS13_S14_EUlS13_E_NS1_11comp_targetILNS1_3genE3ELNS1_11target_archE908ELNS1_3gpuE7ELNS1_3repE0EEENS1_30default_config_static_selectorELNS0_4arch9wavefront6targetE0EEEvT1_,@function
_ZN7rocprim17ROCPRIM_400000_NS6detail17trampoline_kernelINS0_14default_configENS1_33run_length_encode_config_selectorIbjNS0_4plusIjEEEEZZNS1_33reduce_by_key_impl_wrapped_configILNS1_25lookback_scan_determinismE0ES3_S7_N6hipcub16HIPCUB_304000_NS22TransformInputIteratorIbN2at6native8internal12_GLOBAL__N_110LoadBoolOpEPKhlEENS0_17constant_iteratorIjlEEPbPlSO_S6_NS0_8equal_toIbEEEE10hipError_tPvRmT2_T3_mT4_T5_T6_T7_T8_P12ihipStream_tbENKUlT_T0_E_clISt17integral_constantIbLb1EES18_EEDaS13_S14_EUlS13_E_NS1_11comp_targetILNS1_3genE3ELNS1_11target_archE908ELNS1_3gpuE7ELNS1_3repE0EEENS1_30default_config_static_selectorELNS0_4arch9wavefront6targetE0EEEvT1_: ; @_ZN7rocprim17ROCPRIM_400000_NS6detail17trampoline_kernelINS0_14default_configENS1_33run_length_encode_config_selectorIbjNS0_4plusIjEEEEZZNS1_33reduce_by_key_impl_wrapped_configILNS1_25lookback_scan_determinismE0ES3_S7_N6hipcub16HIPCUB_304000_NS22TransformInputIteratorIbN2at6native8internal12_GLOBAL__N_110LoadBoolOpEPKhlEENS0_17constant_iteratorIjlEEPbPlSO_S6_NS0_8equal_toIbEEEE10hipError_tPvRmT2_T3_mT4_T5_T6_T7_T8_P12ihipStream_tbENKUlT_T0_E_clISt17integral_constantIbLb1EES18_EEDaS13_S14_EUlS13_E_NS1_11comp_targetILNS1_3genE3ELNS1_11target_archE908ELNS1_3gpuE7ELNS1_3repE0EEENS1_30default_config_static_selectorELNS0_4arch9wavefront6targetE0EEEvT1_
; %bb.0:
	.section	.rodata,"a",@progbits
	.p2align	6, 0x0
	.amdhsa_kernel _ZN7rocprim17ROCPRIM_400000_NS6detail17trampoline_kernelINS0_14default_configENS1_33run_length_encode_config_selectorIbjNS0_4plusIjEEEEZZNS1_33reduce_by_key_impl_wrapped_configILNS1_25lookback_scan_determinismE0ES3_S7_N6hipcub16HIPCUB_304000_NS22TransformInputIteratorIbN2at6native8internal12_GLOBAL__N_110LoadBoolOpEPKhlEENS0_17constant_iteratorIjlEEPbPlSO_S6_NS0_8equal_toIbEEEE10hipError_tPvRmT2_T3_mT4_T5_T6_T7_T8_P12ihipStream_tbENKUlT_T0_E_clISt17integral_constantIbLb1EES18_EEDaS13_S14_EUlS13_E_NS1_11comp_targetILNS1_3genE3ELNS1_11target_archE908ELNS1_3gpuE7ELNS1_3repE0EEENS1_30default_config_static_selectorELNS0_4arch9wavefront6targetE0EEEvT1_
		.amdhsa_group_segment_fixed_size 0
		.amdhsa_private_segment_fixed_size 0
		.amdhsa_kernarg_size 136
		.amdhsa_user_sgpr_count 2
		.amdhsa_user_sgpr_dispatch_ptr 0
		.amdhsa_user_sgpr_queue_ptr 0
		.amdhsa_user_sgpr_kernarg_segment_ptr 1
		.amdhsa_user_sgpr_dispatch_id 0
		.amdhsa_user_sgpr_kernarg_preload_length 0
		.amdhsa_user_sgpr_kernarg_preload_offset 0
		.amdhsa_user_sgpr_private_segment_size 0
		.amdhsa_wavefront_size32 1
		.amdhsa_uses_dynamic_stack 0
		.amdhsa_enable_private_segment 0
		.amdhsa_system_sgpr_workgroup_id_x 1
		.amdhsa_system_sgpr_workgroup_id_y 0
		.amdhsa_system_sgpr_workgroup_id_z 0
		.amdhsa_system_sgpr_workgroup_info 0
		.amdhsa_system_vgpr_workitem_id 0
		.amdhsa_next_free_vgpr 1
		.amdhsa_next_free_sgpr 1
		.amdhsa_named_barrier_count 0
		.amdhsa_reserve_vcc 0
		.amdhsa_float_round_mode_32 0
		.amdhsa_float_round_mode_16_64 0
		.amdhsa_float_denorm_mode_32 3
		.amdhsa_float_denorm_mode_16_64 3
		.amdhsa_fp16_overflow 0
		.amdhsa_memory_ordered 1
		.amdhsa_forward_progress 1
		.amdhsa_inst_pref_size 0
		.amdhsa_round_robin_scheduling 0
		.amdhsa_exception_fp_ieee_invalid_op 0
		.amdhsa_exception_fp_denorm_src 0
		.amdhsa_exception_fp_ieee_div_zero 0
		.amdhsa_exception_fp_ieee_overflow 0
		.amdhsa_exception_fp_ieee_underflow 0
		.amdhsa_exception_fp_ieee_inexact 0
		.amdhsa_exception_int_div_zero 0
	.end_amdhsa_kernel
	.section	.text._ZN7rocprim17ROCPRIM_400000_NS6detail17trampoline_kernelINS0_14default_configENS1_33run_length_encode_config_selectorIbjNS0_4plusIjEEEEZZNS1_33reduce_by_key_impl_wrapped_configILNS1_25lookback_scan_determinismE0ES3_S7_N6hipcub16HIPCUB_304000_NS22TransformInputIteratorIbN2at6native8internal12_GLOBAL__N_110LoadBoolOpEPKhlEENS0_17constant_iteratorIjlEEPbPlSO_S6_NS0_8equal_toIbEEEE10hipError_tPvRmT2_T3_mT4_T5_T6_T7_T8_P12ihipStream_tbENKUlT_T0_E_clISt17integral_constantIbLb1EES18_EEDaS13_S14_EUlS13_E_NS1_11comp_targetILNS1_3genE3ELNS1_11target_archE908ELNS1_3gpuE7ELNS1_3repE0EEENS1_30default_config_static_selectorELNS0_4arch9wavefront6targetE0EEEvT1_,"axG",@progbits,_ZN7rocprim17ROCPRIM_400000_NS6detail17trampoline_kernelINS0_14default_configENS1_33run_length_encode_config_selectorIbjNS0_4plusIjEEEEZZNS1_33reduce_by_key_impl_wrapped_configILNS1_25lookback_scan_determinismE0ES3_S7_N6hipcub16HIPCUB_304000_NS22TransformInputIteratorIbN2at6native8internal12_GLOBAL__N_110LoadBoolOpEPKhlEENS0_17constant_iteratorIjlEEPbPlSO_S6_NS0_8equal_toIbEEEE10hipError_tPvRmT2_T3_mT4_T5_T6_T7_T8_P12ihipStream_tbENKUlT_T0_E_clISt17integral_constantIbLb1EES18_EEDaS13_S14_EUlS13_E_NS1_11comp_targetILNS1_3genE3ELNS1_11target_archE908ELNS1_3gpuE7ELNS1_3repE0EEENS1_30default_config_static_selectorELNS0_4arch9wavefront6targetE0EEEvT1_,comdat
.Lfunc_end71:
	.size	_ZN7rocprim17ROCPRIM_400000_NS6detail17trampoline_kernelINS0_14default_configENS1_33run_length_encode_config_selectorIbjNS0_4plusIjEEEEZZNS1_33reduce_by_key_impl_wrapped_configILNS1_25lookback_scan_determinismE0ES3_S7_N6hipcub16HIPCUB_304000_NS22TransformInputIteratorIbN2at6native8internal12_GLOBAL__N_110LoadBoolOpEPKhlEENS0_17constant_iteratorIjlEEPbPlSO_S6_NS0_8equal_toIbEEEE10hipError_tPvRmT2_T3_mT4_T5_T6_T7_T8_P12ihipStream_tbENKUlT_T0_E_clISt17integral_constantIbLb1EES18_EEDaS13_S14_EUlS13_E_NS1_11comp_targetILNS1_3genE3ELNS1_11target_archE908ELNS1_3gpuE7ELNS1_3repE0EEENS1_30default_config_static_selectorELNS0_4arch9wavefront6targetE0EEEvT1_, .Lfunc_end71-_ZN7rocprim17ROCPRIM_400000_NS6detail17trampoline_kernelINS0_14default_configENS1_33run_length_encode_config_selectorIbjNS0_4plusIjEEEEZZNS1_33reduce_by_key_impl_wrapped_configILNS1_25lookback_scan_determinismE0ES3_S7_N6hipcub16HIPCUB_304000_NS22TransformInputIteratorIbN2at6native8internal12_GLOBAL__N_110LoadBoolOpEPKhlEENS0_17constant_iteratorIjlEEPbPlSO_S6_NS0_8equal_toIbEEEE10hipError_tPvRmT2_T3_mT4_T5_T6_T7_T8_P12ihipStream_tbENKUlT_T0_E_clISt17integral_constantIbLb1EES18_EEDaS13_S14_EUlS13_E_NS1_11comp_targetILNS1_3genE3ELNS1_11target_archE908ELNS1_3gpuE7ELNS1_3repE0EEENS1_30default_config_static_selectorELNS0_4arch9wavefront6targetE0EEEvT1_
                                        ; -- End function
	.set _ZN7rocprim17ROCPRIM_400000_NS6detail17trampoline_kernelINS0_14default_configENS1_33run_length_encode_config_selectorIbjNS0_4plusIjEEEEZZNS1_33reduce_by_key_impl_wrapped_configILNS1_25lookback_scan_determinismE0ES3_S7_N6hipcub16HIPCUB_304000_NS22TransformInputIteratorIbN2at6native8internal12_GLOBAL__N_110LoadBoolOpEPKhlEENS0_17constant_iteratorIjlEEPbPlSO_S6_NS0_8equal_toIbEEEE10hipError_tPvRmT2_T3_mT4_T5_T6_T7_T8_P12ihipStream_tbENKUlT_T0_E_clISt17integral_constantIbLb1EES18_EEDaS13_S14_EUlS13_E_NS1_11comp_targetILNS1_3genE3ELNS1_11target_archE908ELNS1_3gpuE7ELNS1_3repE0EEENS1_30default_config_static_selectorELNS0_4arch9wavefront6targetE0EEEvT1_.num_vgpr, 0
	.set _ZN7rocprim17ROCPRIM_400000_NS6detail17trampoline_kernelINS0_14default_configENS1_33run_length_encode_config_selectorIbjNS0_4plusIjEEEEZZNS1_33reduce_by_key_impl_wrapped_configILNS1_25lookback_scan_determinismE0ES3_S7_N6hipcub16HIPCUB_304000_NS22TransformInputIteratorIbN2at6native8internal12_GLOBAL__N_110LoadBoolOpEPKhlEENS0_17constant_iteratorIjlEEPbPlSO_S6_NS0_8equal_toIbEEEE10hipError_tPvRmT2_T3_mT4_T5_T6_T7_T8_P12ihipStream_tbENKUlT_T0_E_clISt17integral_constantIbLb1EES18_EEDaS13_S14_EUlS13_E_NS1_11comp_targetILNS1_3genE3ELNS1_11target_archE908ELNS1_3gpuE7ELNS1_3repE0EEENS1_30default_config_static_selectorELNS0_4arch9wavefront6targetE0EEEvT1_.num_agpr, 0
	.set _ZN7rocprim17ROCPRIM_400000_NS6detail17trampoline_kernelINS0_14default_configENS1_33run_length_encode_config_selectorIbjNS0_4plusIjEEEEZZNS1_33reduce_by_key_impl_wrapped_configILNS1_25lookback_scan_determinismE0ES3_S7_N6hipcub16HIPCUB_304000_NS22TransformInputIteratorIbN2at6native8internal12_GLOBAL__N_110LoadBoolOpEPKhlEENS0_17constant_iteratorIjlEEPbPlSO_S6_NS0_8equal_toIbEEEE10hipError_tPvRmT2_T3_mT4_T5_T6_T7_T8_P12ihipStream_tbENKUlT_T0_E_clISt17integral_constantIbLb1EES18_EEDaS13_S14_EUlS13_E_NS1_11comp_targetILNS1_3genE3ELNS1_11target_archE908ELNS1_3gpuE7ELNS1_3repE0EEENS1_30default_config_static_selectorELNS0_4arch9wavefront6targetE0EEEvT1_.numbered_sgpr, 0
	.set _ZN7rocprim17ROCPRIM_400000_NS6detail17trampoline_kernelINS0_14default_configENS1_33run_length_encode_config_selectorIbjNS0_4plusIjEEEEZZNS1_33reduce_by_key_impl_wrapped_configILNS1_25lookback_scan_determinismE0ES3_S7_N6hipcub16HIPCUB_304000_NS22TransformInputIteratorIbN2at6native8internal12_GLOBAL__N_110LoadBoolOpEPKhlEENS0_17constant_iteratorIjlEEPbPlSO_S6_NS0_8equal_toIbEEEE10hipError_tPvRmT2_T3_mT4_T5_T6_T7_T8_P12ihipStream_tbENKUlT_T0_E_clISt17integral_constantIbLb1EES18_EEDaS13_S14_EUlS13_E_NS1_11comp_targetILNS1_3genE3ELNS1_11target_archE908ELNS1_3gpuE7ELNS1_3repE0EEENS1_30default_config_static_selectorELNS0_4arch9wavefront6targetE0EEEvT1_.num_named_barrier, 0
	.set _ZN7rocprim17ROCPRIM_400000_NS6detail17trampoline_kernelINS0_14default_configENS1_33run_length_encode_config_selectorIbjNS0_4plusIjEEEEZZNS1_33reduce_by_key_impl_wrapped_configILNS1_25lookback_scan_determinismE0ES3_S7_N6hipcub16HIPCUB_304000_NS22TransformInputIteratorIbN2at6native8internal12_GLOBAL__N_110LoadBoolOpEPKhlEENS0_17constant_iteratorIjlEEPbPlSO_S6_NS0_8equal_toIbEEEE10hipError_tPvRmT2_T3_mT4_T5_T6_T7_T8_P12ihipStream_tbENKUlT_T0_E_clISt17integral_constantIbLb1EES18_EEDaS13_S14_EUlS13_E_NS1_11comp_targetILNS1_3genE3ELNS1_11target_archE908ELNS1_3gpuE7ELNS1_3repE0EEENS1_30default_config_static_selectorELNS0_4arch9wavefront6targetE0EEEvT1_.private_seg_size, 0
	.set _ZN7rocprim17ROCPRIM_400000_NS6detail17trampoline_kernelINS0_14default_configENS1_33run_length_encode_config_selectorIbjNS0_4plusIjEEEEZZNS1_33reduce_by_key_impl_wrapped_configILNS1_25lookback_scan_determinismE0ES3_S7_N6hipcub16HIPCUB_304000_NS22TransformInputIteratorIbN2at6native8internal12_GLOBAL__N_110LoadBoolOpEPKhlEENS0_17constant_iteratorIjlEEPbPlSO_S6_NS0_8equal_toIbEEEE10hipError_tPvRmT2_T3_mT4_T5_T6_T7_T8_P12ihipStream_tbENKUlT_T0_E_clISt17integral_constantIbLb1EES18_EEDaS13_S14_EUlS13_E_NS1_11comp_targetILNS1_3genE3ELNS1_11target_archE908ELNS1_3gpuE7ELNS1_3repE0EEENS1_30default_config_static_selectorELNS0_4arch9wavefront6targetE0EEEvT1_.uses_vcc, 0
	.set _ZN7rocprim17ROCPRIM_400000_NS6detail17trampoline_kernelINS0_14default_configENS1_33run_length_encode_config_selectorIbjNS0_4plusIjEEEEZZNS1_33reduce_by_key_impl_wrapped_configILNS1_25lookback_scan_determinismE0ES3_S7_N6hipcub16HIPCUB_304000_NS22TransformInputIteratorIbN2at6native8internal12_GLOBAL__N_110LoadBoolOpEPKhlEENS0_17constant_iteratorIjlEEPbPlSO_S6_NS0_8equal_toIbEEEE10hipError_tPvRmT2_T3_mT4_T5_T6_T7_T8_P12ihipStream_tbENKUlT_T0_E_clISt17integral_constantIbLb1EES18_EEDaS13_S14_EUlS13_E_NS1_11comp_targetILNS1_3genE3ELNS1_11target_archE908ELNS1_3gpuE7ELNS1_3repE0EEENS1_30default_config_static_selectorELNS0_4arch9wavefront6targetE0EEEvT1_.uses_flat_scratch, 0
	.set _ZN7rocprim17ROCPRIM_400000_NS6detail17trampoline_kernelINS0_14default_configENS1_33run_length_encode_config_selectorIbjNS0_4plusIjEEEEZZNS1_33reduce_by_key_impl_wrapped_configILNS1_25lookback_scan_determinismE0ES3_S7_N6hipcub16HIPCUB_304000_NS22TransformInputIteratorIbN2at6native8internal12_GLOBAL__N_110LoadBoolOpEPKhlEENS0_17constant_iteratorIjlEEPbPlSO_S6_NS0_8equal_toIbEEEE10hipError_tPvRmT2_T3_mT4_T5_T6_T7_T8_P12ihipStream_tbENKUlT_T0_E_clISt17integral_constantIbLb1EES18_EEDaS13_S14_EUlS13_E_NS1_11comp_targetILNS1_3genE3ELNS1_11target_archE908ELNS1_3gpuE7ELNS1_3repE0EEENS1_30default_config_static_selectorELNS0_4arch9wavefront6targetE0EEEvT1_.has_dyn_sized_stack, 0
	.set _ZN7rocprim17ROCPRIM_400000_NS6detail17trampoline_kernelINS0_14default_configENS1_33run_length_encode_config_selectorIbjNS0_4plusIjEEEEZZNS1_33reduce_by_key_impl_wrapped_configILNS1_25lookback_scan_determinismE0ES3_S7_N6hipcub16HIPCUB_304000_NS22TransformInputIteratorIbN2at6native8internal12_GLOBAL__N_110LoadBoolOpEPKhlEENS0_17constant_iteratorIjlEEPbPlSO_S6_NS0_8equal_toIbEEEE10hipError_tPvRmT2_T3_mT4_T5_T6_T7_T8_P12ihipStream_tbENKUlT_T0_E_clISt17integral_constantIbLb1EES18_EEDaS13_S14_EUlS13_E_NS1_11comp_targetILNS1_3genE3ELNS1_11target_archE908ELNS1_3gpuE7ELNS1_3repE0EEENS1_30default_config_static_selectorELNS0_4arch9wavefront6targetE0EEEvT1_.has_recursion, 0
	.set _ZN7rocprim17ROCPRIM_400000_NS6detail17trampoline_kernelINS0_14default_configENS1_33run_length_encode_config_selectorIbjNS0_4plusIjEEEEZZNS1_33reduce_by_key_impl_wrapped_configILNS1_25lookback_scan_determinismE0ES3_S7_N6hipcub16HIPCUB_304000_NS22TransformInputIteratorIbN2at6native8internal12_GLOBAL__N_110LoadBoolOpEPKhlEENS0_17constant_iteratorIjlEEPbPlSO_S6_NS0_8equal_toIbEEEE10hipError_tPvRmT2_T3_mT4_T5_T6_T7_T8_P12ihipStream_tbENKUlT_T0_E_clISt17integral_constantIbLb1EES18_EEDaS13_S14_EUlS13_E_NS1_11comp_targetILNS1_3genE3ELNS1_11target_archE908ELNS1_3gpuE7ELNS1_3repE0EEENS1_30default_config_static_selectorELNS0_4arch9wavefront6targetE0EEEvT1_.has_indirect_call, 0
	.section	.AMDGPU.csdata,"",@progbits
; Kernel info:
; codeLenInByte = 0
; TotalNumSgprs: 0
; NumVgprs: 0
; ScratchSize: 0
; MemoryBound: 0
; FloatMode: 240
; IeeeMode: 1
; LDSByteSize: 0 bytes/workgroup (compile time only)
; SGPRBlocks: 0
; VGPRBlocks: 0
; NumSGPRsForWavesPerEU: 1
; NumVGPRsForWavesPerEU: 1
; NamedBarCnt: 0
; Occupancy: 16
; WaveLimiterHint : 0
; COMPUTE_PGM_RSRC2:SCRATCH_EN: 0
; COMPUTE_PGM_RSRC2:USER_SGPR: 2
; COMPUTE_PGM_RSRC2:TRAP_HANDLER: 0
; COMPUTE_PGM_RSRC2:TGID_X_EN: 1
; COMPUTE_PGM_RSRC2:TGID_Y_EN: 0
; COMPUTE_PGM_RSRC2:TGID_Z_EN: 0
; COMPUTE_PGM_RSRC2:TIDIG_COMP_CNT: 0
	.section	.text._ZN7rocprim17ROCPRIM_400000_NS6detail17trampoline_kernelINS0_14default_configENS1_33run_length_encode_config_selectorIbjNS0_4plusIjEEEEZZNS1_33reduce_by_key_impl_wrapped_configILNS1_25lookback_scan_determinismE0ES3_S7_N6hipcub16HIPCUB_304000_NS22TransformInputIteratorIbN2at6native8internal12_GLOBAL__N_110LoadBoolOpEPKhlEENS0_17constant_iteratorIjlEEPbPlSO_S6_NS0_8equal_toIbEEEE10hipError_tPvRmT2_T3_mT4_T5_T6_T7_T8_P12ihipStream_tbENKUlT_T0_E_clISt17integral_constantIbLb1EES18_EEDaS13_S14_EUlS13_E_NS1_11comp_targetILNS1_3genE2ELNS1_11target_archE906ELNS1_3gpuE6ELNS1_3repE0EEENS1_30default_config_static_selectorELNS0_4arch9wavefront6targetE0EEEvT1_,"axG",@progbits,_ZN7rocprim17ROCPRIM_400000_NS6detail17trampoline_kernelINS0_14default_configENS1_33run_length_encode_config_selectorIbjNS0_4plusIjEEEEZZNS1_33reduce_by_key_impl_wrapped_configILNS1_25lookback_scan_determinismE0ES3_S7_N6hipcub16HIPCUB_304000_NS22TransformInputIteratorIbN2at6native8internal12_GLOBAL__N_110LoadBoolOpEPKhlEENS0_17constant_iteratorIjlEEPbPlSO_S6_NS0_8equal_toIbEEEE10hipError_tPvRmT2_T3_mT4_T5_T6_T7_T8_P12ihipStream_tbENKUlT_T0_E_clISt17integral_constantIbLb1EES18_EEDaS13_S14_EUlS13_E_NS1_11comp_targetILNS1_3genE2ELNS1_11target_archE906ELNS1_3gpuE6ELNS1_3repE0EEENS1_30default_config_static_selectorELNS0_4arch9wavefront6targetE0EEEvT1_,comdat
	.globl	_ZN7rocprim17ROCPRIM_400000_NS6detail17trampoline_kernelINS0_14default_configENS1_33run_length_encode_config_selectorIbjNS0_4plusIjEEEEZZNS1_33reduce_by_key_impl_wrapped_configILNS1_25lookback_scan_determinismE0ES3_S7_N6hipcub16HIPCUB_304000_NS22TransformInputIteratorIbN2at6native8internal12_GLOBAL__N_110LoadBoolOpEPKhlEENS0_17constant_iteratorIjlEEPbPlSO_S6_NS0_8equal_toIbEEEE10hipError_tPvRmT2_T3_mT4_T5_T6_T7_T8_P12ihipStream_tbENKUlT_T0_E_clISt17integral_constantIbLb1EES18_EEDaS13_S14_EUlS13_E_NS1_11comp_targetILNS1_3genE2ELNS1_11target_archE906ELNS1_3gpuE6ELNS1_3repE0EEENS1_30default_config_static_selectorELNS0_4arch9wavefront6targetE0EEEvT1_ ; -- Begin function _ZN7rocprim17ROCPRIM_400000_NS6detail17trampoline_kernelINS0_14default_configENS1_33run_length_encode_config_selectorIbjNS0_4plusIjEEEEZZNS1_33reduce_by_key_impl_wrapped_configILNS1_25lookback_scan_determinismE0ES3_S7_N6hipcub16HIPCUB_304000_NS22TransformInputIteratorIbN2at6native8internal12_GLOBAL__N_110LoadBoolOpEPKhlEENS0_17constant_iteratorIjlEEPbPlSO_S6_NS0_8equal_toIbEEEE10hipError_tPvRmT2_T3_mT4_T5_T6_T7_T8_P12ihipStream_tbENKUlT_T0_E_clISt17integral_constantIbLb1EES18_EEDaS13_S14_EUlS13_E_NS1_11comp_targetILNS1_3genE2ELNS1_11target_archE906ELNS1_3gpuE6ELNS1_3repE0EEENS1_30default_config_static_selectorELNS0_4arch9wavefront6targetE0EEEvT1_
	.p2align	8
	.type	_ZN7rocprim17ROCPRIM_400000_NS6detail17trampoline_kernelINS0_14default_configENS1_33run_length_encode_config_selectorIbjNS0_4plusIjEEEEZZNS1_33reduce_by_key_impl_wrapped_configILNS1_25lookback_scan_determinismE0ES3_S7_N6hipcub16HIPCUB_304000_NS22TransformInputIteratorIbN2at6native8internal12_GLOBAL__N_110LoadBoolOpEPKhlEENS0_17constant_iteratorIjlEEPbPlSO_S6_NS0_8equal_toIbEEEE10hipError_tPvRmT2_T3_mT4_T5_T6_T7_T8_P12ihipStream_tbENKUlT_T0_E_clISt17integral_constantIbLb1EES18_EEDaS13_S14_EUlS13_E_NS1_11comp_targetILNS1_3genE2ELNS1_11target_archE906ELNS1_3gpuE6ELNS1_3repE0EEENS1_30default_config_static_selectorELNS0_4arch9wavefront6targetE0EEEvT1_,@function
_ZN7rocprim17ROCPRIM_400000_NS6detail17trampoline_kernelINS0_14default_configENS1_33run_length_encode_config_selectorIbjNS0_4plusIjEEEEZZNS1_33reduce_by_key_impl_wrapped_configILNS1_25lookback_scan_determinismE0ES3_S7_N6hipcub16HIPCUB_304000_NS22TransformInputIteratorIbN2at6native8internal12_GLOBAL__N_110LoadBoolOpEPKhlEENS0_17constant_iteratorIjlEEPbPlSO_S6_NS0_8equal_toIbEEEE10hipError_tPvRmT2_T3_mT4_T5_T6_T7_T8_P12ihipStream_tbENKUlT_T0_E_clISt17integral_constantIbLb1EES18_EEDaS13_S14_EUlS13_E_NS1_11comp_targetILNS1_3genE2ELNS1_11target_archE906ELNS1_3gpuE6ELNS1_3repE0EEENS1_30default_config_static_selectorELNS0_4arch9wavefront6targetE0EEEvT1_: ; @_ZN7rocprim17ROCPRIM_400000_NS6detail17trampoline_kernelINS0_14default_configENS1_33run_length_encode_config_selectorIbjNS0_4plusIjEEEEZZNS1_33reduce_by_key_impl_wrapped_configILNS1_25lookback_scan_determinismE0ES3_S7_N6hipcub16HIPCUB_304000_NS22TransformInputIteratorIbN2at6native8internal12_GLOBAL__N_110LoadBoolOpEPKhlEENS0_17constant_iteratorIjlEEPbPlSO_S6_NS0_8equal_toIbEEEE10hipError_tPvRmT2_T3_mT4_T5_T6_T7_T8_P12ihipStream_tbENKUlT_T0_E_clISt17integral_constantIbLb1EES18_EEDaS13_S14_EUlS13_E_NS1_11comp_targetILNS1_3genE2ELNS1_11target_archE906ELNS1_3gpuE6ELNS1_3repE0EEENS1_30default_config_static_selectorELNS0_4arch9wavefront6targetE0EEEvT1_
; %bb.0:
	.section	.rodata,"a",@progbits
	.p2align	6, 0x0
	.amdhsa_kernel _ZN7rocprim17ROCPRIM_400000_NS6detail17trampoline_kernelINS0_14default_configENS1_33run_length_encode_config_selectorIbjNS0_4plusIjEEEEZZNS1_33reduce_by_key_impl_wrapped_configILNS1_25lookback_scan_determinismE0ES3_S7_N6hipcub16HIPCUB_304000_NS22TransformInputIteratorIbN2at6native8internal12_GLOBAL__N_110LoadBoolOpEPKhlEENS0_17constant_iteratorIjlEEPbPlSO_S6_NS0_8equal_toIbEEEE10hipError_tPvRmT2_T3_mT4_T5_T6_T7_T8_P12ihipStream_tbENKUlT_T0_E_clISt17integral_constantIbLb1EES18_EEDaS13_S14_EUlS13_E_NS1_11comp_targetILNS1_3genE2ELNS1_11target_archE906ELNS1_3gpuE6ELNS1_3repE0EEENS1_30default_config_static_selectorELNS0_4arch9wavefront6targetE0EEEvT1_
		.amdhsa_group_segment_fixed_size 0
		.amdhsa_private_segment_fixed_size 0
		.amdhsa_kernarg_size 136
		.amdhsa_user_sgpr_count 2
		.amdhsa_user_sgpr_dispatch_ptr 0
		.amdhsa_user_sgpr_queue_ptr 0
		.amdhsa_user_sgpr_kernarg_segment_ptr 1
		.amdhsa_user_sgpr_dispatch_id 0
		.amdhsa_user_sgpr_kernarg_preload_length 0
		.amdhsa_user_sgpr_kernarg_preload_offset 0
		.amdhsa_user_sgpr_private_segment_size 0
		.amdhsa_wavefront_size32 1
		.amdhsa_uses_dynamic_stack 0
		.amdhsa_enable_private_segment 0
		.amdhsa_system_sgpr_workgroup_id_x 1
		.amdhsa_system_sgpr_workgroup_id_y 0
		.amdhsa_system_sgpr_workgroup_id_z 0
		.amdhsa_system_sgpr_workgroup_info 0
		.amdhsa_system_vgpr_workitem_id 0
		.amdhsa_next_free_vgpr 1
		.amdhsa_next_free_sgpr 1
		.amdhsa_named_barrier_count 0
		.amdhsa_reserve_vcc 0
		.amdhsa_float_round_mode_32 0
		.amdhsa_float_round_mode_16_64 0
		.amdhsa_float_denorm_mode_32 3
		.amdhsa_float_denorm_mode_16_64 3
		.amdhsa_fp16_overflow 0
		.amdhsa_memory_ordered 1
		.amdhsa_forward_progress 1
		.amdhsa_inst_pref_size 0
		.amdhsa_round_robin_scheduling 0
		.amdhsa_exception_fp_ieee_invalid_op 0
		.amdhsa_exception_fp_denorm_src 0
		.amdhsa_exception_fp_ieee_div_zero 0
		.amdhsa_exception_fp_ieee_overflow 0
		.amdhsa_exception_fp_ieee_underflow 0
		.amdhsa_exception_fp_ieee_inexact 0
		.amdhsa_exception_int_div_zero 0
	.end_amdhsa_kernel
	.section	.text._ZN7rocprim17ROCPRIM_400000_NS6detail17trampoline_kernelINS0_14default_configENS1_33run_length_encode_config_selectorIbjNS0_4plusIjEEEEZZNS1_33reduce_by_key_impl_wrapped_configILNS1_25lookback_scan_determinismE0ES3_S7_N6hipcub16HIPCUB_304000_NS22TransformInputIteratorIbN2at6native8internal12_GLOBAL__N_110LoadBoolOpEPKhlEENS0_17constant_iteratorIjlEEPbPlSO_S6_NS0_8equal_toIbEEEE10hipError_tPvRmT2_T3_mT4_T5_T6_T7_T8_P12ihipStream_tbENKUlT_T0_E_clISt17integral_constantIbLb1EES18_EEDaS13_S14_EUlS13_E_NS1_11comp_targetILNS1_3genE2ELNS1_11target_archE906ELNS1_3gpuE6ELNS1_3repE0EEENS1_30default_config_static_selectorELNS0_4arch9wavefront6targetE0EEEvT1_,"axG",@progbits,_ZN7rocprim17ROCPRIM_400000_NS6detail17trampoline_kernelINS0_14default_configENS1_33run_length_encode_config_selectorIbjNS0_4plusIjEEEEZZNS1_33reduce_by_key_impl_wrapped_configILNS1_25lookback_scan_determinismE0ES3_S7_N6hipcub16HIPCUB_304000_NS22TransformInputIteratorIbN2at6native8internal12_GLOBAL__N_110LoadBoolOpEPKhlEENS0_17constant_iteratorIjlEEPbPlSO_S6_NS0_8equal_toIbEEEE10hipError_tPvRmT2_T3_mT4_T5_T6_T7_T8_P12ihipStream_tbENKUlT_T0_E_clISt17integral_constantIbLb1EES18_EEDaS13_S14_EUlS13_E_NS1_11comp_targetILNS1_3genE2ELNS1_11target_archE906ELNS1_3gpuE6ELNS1_3repE0EEENS1_30default_config_static_selectorELNS0_4arch9wavefront6targetE0EEEvT1_,comdat
.Lfunc_end72:
	.size	_ZN7rocprim17ROCPRIM_400000_NS6detail17trampoline_kernelINS0_14default_configENS1_33run_length_encode_config_selectorIbjNS0_4plusIjEEEEZZNS1_33reduce_by_key_impl_wrapped_configILNS1_25lookback_scan_determinismE0ES3_S7_N6hipcub16HIPCUB_304000_NS22TransformInputIteratorIbN2at6native8internal12_GLOBAL__N_110LoadBoolOpEPKhlEENS0_17constant_iteratorIjlEEPbPlSO_S6_NS0_8equal_toIbEEEE10hipError_tPvRmT2_T3_mT4_T5_T6_T7_T8_P12ihipStream_tbENKUlT_T0_E_clISt17integral_constantIbLb1EES18_EEDaS13_S14_EUlS13_E_NS1_11comp_targetILNS1_3genE2ELNS1_11target_archE906ELNS1_3gpuE6ELNS1_3repE0EEENS1_30default_config_static_selectorELNS0_4arch9wavefront6targetE0EEEvT1_, .Lfunc_end72-_ZN7rocprim17ROCPRIM_400000_NS6detail17trampoline_kernelINS0_14default_configENS1_33run_length_encode_config_selectorIbjNS0_4plusIjEEEEZZNS1_33reduce_by_key_impl_wrapped_configILNS1_25lookback_scan_determinismE0ES3_S7_N6hipcub16HIPCUB_304000_NS22TransformInputIteratorIbN2at6native8internal12_GLOBAL__N_110LoadBoolOpEPKhlEENS0_17constant_iteratorIjlEEPbPlSO_S6_NS0_8equal_toIbEEEE10hipError_tPvRmT2_T3_mT4_T5_T6_T7_T8_P12ihipStream_tbENKUlT_T0_E_clISt17integral_constantIbLb1EES18_EEDaS13_S14_EUlS13_E_NS1_11comp_targetILNS1_3genE2ELNS1_11target_archE906ELNS1_3gpuE6ELNS1_3repE0EEENS1_30default_config_static_selectorELNS0_4arch9wavefront6targetE0EEEvT1_
                                        ; -- End function
	.set _ZN7rocprim17ROCPRIM_400000_NS6detail17trampoline_kernelINS0_14default_configENS1_33run_length_encode_config_selectorIbjNS0_4plusIjEEEEZZNS1_33reduce_by_key_impl_wrapped_configILNS1_25lookback_scan_determinismE0ES3_S7_N6hipcub16HIPCUB_304000_NS22TransformInputIteratorIbN2at6native8internal12_GLOBAL__N_110LoadBoolOpEPKhlEENS0_17constant_iteratorIjlEEPbPlSO_S6_NS0_8equal_toIbEEEE10hipError_tPvRmT2_T3_mT4_T5_T6_T7_T8_P12ihipStream_tbENKUlT_T0_E_clISt17integral_constantIbLb1EES18_EEDaS13_S14_EUlS13_E_NS1_11comp_targetILNS1_3genE2ELNS1_11target_archE906ELNS1_3gpuE6ELNS1_3repE0EEENS1_30default_config_static_selectorELNS0_4arch9wavefront6targetE0EEEvT1_.num_vgpr, 0
	.set _ZN7rocprim17ROCPRIM_400000_NS6detail17trampoline_kernelINS0_14default_configENS1_33run_length_encode_config_selectorIbjNS0_4plusIjEEEEZZNS1_33reduce_by_key_impl_wrapped_configILNS1_25lookback_scan_determinismE0ES3_S7_N6hipcub16HIPCUB_304000_NS22TransformInputIteratorIbN2at6native8internal12_GLOBAL__N_110LoadBoolOpEPKhlEENS0_17constant_iteratorIjlEEPbPlSO_S6_NS0_8equal_toIbEEEE10hipError_tPvRmT2_T3_mT4_T5_T6_T7_T8_P12ihipStream_tbENKUlT_T0_E_clISt17integral_constantIbLb1EES18_EEDaS13_S14_EUlS13_E_NS1_11comp_targetILNS1_3genE2ELNS1_11target_archE906ELNS1_3gpuE6ELNS1_3repE0EEENS1_30default_config_static_selectorELNS0_4arch9wavefront6targetE0EEEvT1_.num_agpr, 0
	.set _ZN7rocprim17ROCPRIM_400000_NS6detail17trampoline_kernelINS0_14default_configENS1_33run_length_encode_config_selectorIbjNS0_4plusIjEEEEZZNS1_33reduce_by_key_impl_wrapped_configILNS1_25lookback_scan_determinismE0ES3_S7_N6hipcub16HIPCUB_304000_NS22TransformInputIteratorIbN2at6native8internal12_GLOBAL__N_110LoadBoolOpEPKhlEENS0_17constant_iteratorIjlEEPbPlSO_S6_NS0_8equal_toIbEEEE10hipError_tPvRmT2_T3_mT4_T5_T6_T7_T8_P12ihipStream_tbENKUlT_T0_E_clISt17integral_constantIbLb1EES18_EEDaS13_S14_EUlS13_E_NS1_11comp_targetILNS1_3genE2ELNS1_11target_archE906ELNS1_3gpuE6ELNS1_3repE0EEENS1_30default_config_static_selectorELNS0_4arch9wavefront6targetE0EEEvT1_.numbered_sgpr, 0
	.set _ZN7rocprim17ROCPRIM_400000_NS6detail17trampoline_kernelINS0_14default_configENS1_33run_length_encode_config_selectorIbjNS0_4plusIjEEEEZZNS1_33reduce_by_key_impl_wrapped_configILNS1_25lookback_scan_determinismE0ES3_S7_N6hipcub16HIPCUB_304000_NS22TransformInputIteratorIbN2at6native8internal12_GLOBAL__N_110LoadBoolOpEPKhlEENS0_17constant_iteratorIjlEEPbPlSO_S6_NS0_8equal_toIbEEEE10hipError_tPvRmT2_T3_mT4_T5_T6_T7_T8_P12ihipStream_tbENKUlT_T0_E_clISt17integral_constantIbLb1EES18_EEDaS13_S14_EUlS13_E_NS1_11comp_targetILNS1_3genE2ELNS1_11target_archE906ELNS1_3gpuE6ELNS1_3repE0EEENS1_30default_config_static_selectorELNS0_4arch9wavefront6targetE0EEEvT1_.num_named_barrier, 0
	.set _ZN7rocprim17ROCPRIM_400000_NS6detail17trampoline_kernelINS0_14default_configENS1_33run_length_encode_config_selectorIbjNS0_4plusIjEEEEZZNS1_33reduce_by_key_impl_wrapped_configILNS1_25lookback_scan_determinismE0ES3_S7_N6hipcub16HIPCUB_304000_NS22TransformInputIteratorIbN2at6native8internal12_GLOBAL__N_110LoadBoolOpEPKhlEENS0_17constant_iteratorIjlEEPbPlSO_S6_NS0_8equal_toIbEEEE10hipError_tPvRmT2_T3_mT4_T5_T6_T7_T8_P12ihipStream_tbENKUlT_T0_E_clISt17integral_constantIbLb1EES18_EEDaS13_S14_EUlS13_E_NS1_11comp_targetILNS1_3genE2ELNS1_11target_archE906ELNS1_3gpuE6ELNS1_3repE0EEENS1_30default_config_static_selectorELNS0_4arch9wavefront6targetE0EEEvT1_.private_seg_size, 0
	.set _ZN7rocprim17ROCPRIM_400000_NS6detail17trampoline_kernelINS0_14default_configENS1_33run_length_encode_config_selectorIbjNS0_4plusIjEEEEZZNS1_33reduce_by_key_impl_wrapped_configILNS1_25lookback_scan_determinismE0ES3_S7_N6hipcub16HIPCUB_304000_NS22TransformInputIteratorIbN2at6native8internal12_GLOBAL__N_110LoadBoolOpEPKhlEENS0_17constant_iteratorIjlEEPbPlSO_S6_NS0_8equal_toIbEEEE10hipError_tPvRmT2_T3_mT4_T5_T6_T7_T8_P12ihipStream_tbENKUlT_T0_E_clISt17integral_constantIbLb1EES18_EEDaS13_S14_EUlS13_E_NS1_11comp_targetILNS1_3genE2ELNS1_11target_archE906ELNS1_3gpuE6ELNS1_3repE0EEENS1_30default_config_static_selectorELNS0_4arch9wavefront6targetE0EEEvT1_.uses_vcc, 0
	.set _ZN7rocprim17ROCPRIM_400000_NS6detail17trampoline_kernelINS0_14default_configENS1_33run_length_encode_config_selectorIbjNS0_4plusIjEEEEZZNS1_33reduce_by_key_impl_wrapped_configILNS1_25lookback_scan_determinismE0ES3_S7_N6hipcub16HIPCUB_304000_NS22TransformInputIteratorIbN2at6native8internal12_GLOBAL__N_110LoadBoolOpEPKhlEENS0_17constant_iteratorIjlEEPbPlSO_S6_NS0_8equal_toIbEEEE10hipError_tPvRmT2_T3_mT4_T5_T6_T7_T8_P12ihipStream_tbENKUlT_T0_E_clISt17integral_constantIbLb1EES18_EEDaS13_S14_EUlS13_E_NS1_11comp_targetILNS1_3genE2ELNS1_11target_archE906ELNS1_3gpuE6ELNS1_3repE0EEENS1_30default_config_static_selectorELNS0_4arch9wavefront6targetE0EEEvT1_.uses_flat_scratch, 0
	.set _ZN7rocprim17ROCPRIM_400000_NS6detail17trampoline_kernelINS0_14default_configENS1_33run_length_encode_config_selectorIbjNS0_4plusIjEEEEZZNS1_33reduce_by_key_impl_wrapped_configILNS1_25lookback_scan_determinismE0ES3_S7_N6hipcub16HIPCUB_304000_NS22TransformInputIteratorIbN2at6native8internal12_GLOBAL__N_110LoadBoolOpEPKhlEENS0_17constant_iteratorIjlEEPbPlSO_S6_NS0_8equal_toIbEEEE10hipError_tPvRmT2_T3_mT4_T5_T6_T7_T8_P12ihipStream_tbENKUlT_T0_E_clISt17integral_constantIbLb1EES18_EEDaS13_S14_EUlS13_E_NS1_11comp_targetILNS1_3genE2ELNS1_11target_archE906ELNS1_3gpuE6ELNS1_3repE0EEENS1_30default_config_static_selectorELNS0_4arch9wavefront6targetE0EEEvT1_.has_dyn_sized_stack, 0
	.set _ZN7rocprim17ROCPRIM_400000_NS6detail17trampoline_kernelINS0_14default_configENS1_33run_length_encode_config_selectorIbjNS0_4plusIjEEEEZZNS1_33reduce_by_key_impl_wrapped_configILNS1_25lookback_scan_determinismE0ES3_S7_N6hipcub16HIPCUB_304000_NS22TransformInputIteratorIbN2at6native8internal12_GLOBAL__N_110LoadBoolOpEPKhlEENS0_17constant_iteratorIjlEEPbPlSO_S6_NS0_8equal_toIbEEEE10hipError_tPvRmT2_T3_mT4_T5_T6_T7_T8_P12ihipStream_tbENKUlT_T0_E_clISt17integral_constantIbLb1EES18_EEDaS13_S14_EUlS13_E_NS1_11comp_targetILNS1_3genE2ELNS1_11target_archE906ELNS1_3gpuE6ELNS1_3repE0EEENS1_30default_config_static_selectorELNS0_4arch9wavefront6targetE0EEEvT1_.has_recursion, 0
	.set _ZN7rocprim17ROCPRIM_400000_NS6detail17trampoline_kernelINS0_14default_configENS1_33run_length_encode_config_selectorIbjNS0_4plusIjEEEEZZNS1_33reduce_by_key_impl_wrapped_configILNS1_25lookback_scan_determinismE0ES3_S7_N6hipcub16HIPCUB_304000_NS22TransformInputIteratorIbN2at6native8internal12_GLOBAL__N_110LoadBoolOpEPKhlEENS0_17constant_iteratorIjlEEPbPlSO_S6_NS0_8equal_toIbEEEE10hipError_tPvRmT2_T3_mT4_T5_T6_T7_T8_P12ihipStream_tbENKUlT_T0_E_clISt17integral_constantIbLb1EES18_EEDaS13_S14_EUlS13_E_NS1_11comp_targetILNS1_3genE2ELNS1_11target_archE906ELNS1_3gpuE6ELNS1_3repE0EEENS1_30default_config_static_selectorELNS0_4arch9wavefront6targetE0EEEvT1_.has_indirect_call, 0
	.section	.AMDGPU.csdata,"",@progbits
; Kernel info:
; codeLenInByte = 0
; TotalNumSgprs: 0
; NumVgprs: 0
; ScratchSize: 0
; MemoryBound: 0
; FloatMode: 240
; IeeeMode: 1
; LDSByteSize: 0 bytes/workgroup (compile time only)
; SGPRBlocks: 0
; VGPRBlocks: 0
; NumSGPRsForWavesPerEU: 1
; NumVGPRsForWavesPerEU: 1
; NamedBarCnt: 0
; Occupancy: 16
; WaveLimiterHint : 0
; COMPUTE_PGM_RSRC2:SCRATCH_EN: 0
; COMPUTE_PGM_RSRC2:USER_SGPR: 2
; COMPUTE_PGM_RSRC2:TRAP_HANDLER: 0
; COMPUTE_PGM_RSRC2:TGID_X_EN: 1
; COMPUTE_PGM_RSRC2:TGID_Y_EN: 0
; COMPUTE_PGM_RSRC2:TGID_Z_EN: 0
; COMPUTE_PGM_RSRC2:TIDIG_COMP_CNT: 0
	.section	.text._ZN7rocprim17ROCPRIM_400000_NS6detail17trampoline_kernelINS0_14default_configENS1_33run_length_encode_config_selectorIbjNS0_4plusIjEEEEZZNS1_33reduce_by_key_impl_wrapped_configILNS1_25lookback_scan_determinismE0ES3_S7_N6hipcub16HIPCUB_304000_NS22TransformInputIteratorIbN2at6native8internal12_GLOBAL__N_110LoadBoolOpEPKhlEENS0_17constant_iteratorIjlEEPbPlSO_S6_NS0_8equal_toIbEEEE10hipError_tPvRmT2_T3_mT4_T5_T6_T7_T8_P12ihipStream_tbENKUlT_T0_E_clISt17integral_constantIbLb1EES18_EEDaS13_S14_EUlS13_E_NS1_11comp_targetILNS1_3genE10ELNS1_11target_archE1201ELNS1_3gpuE5ELNS1_3repE0EEENS1_30default_config_static_selectorELNS0_4arch9wavefront6targetE0EEEvT1_,"axG",@progbits,_ZN7rocprim17ROCPRIM_400000_NS6detail17trampoline_kernelINS0_14default_configENS1_33run_length_encode_config_selectorIbjNS0_4plusIjEEEEZZNS1_33reduce_by_key_impl_wrapped_configILNS1_25lookback_scan_determinismE0ES3_S7_N6hipcub16HIPCUB_304000_NS22TransformInputIteratorIbN2at6native8internal12_GLOBAL__N_110LoadBoolOpEPKhlEENS0_17constant_iteratorIjlEEPbPlSO_S6_NS0_8equal_toIbEEEE10hipError_tPvRmT2_T3_mT4_T5_T6_T7_T8_P12ihipStream_tbENKUlT_T0_E_clISt17integral_constantIbLb1EES18_EEDaS13_S14_EUlS13_E_NS1_11comp_targetILNS1_3genE10ELNS1_11target_archE1201ELNS1_3gpuE5ELNS1_3repE0EEENS1_30default_config_static_selectorELNS0_4arch9wavefront6targetE0EEEvT1_,comdat
	.globl	_ZN7rocprim17ROCPRIM_400000_NS6detail17trampoline_kernelINS0_14default_configENS1_33run_length_encode_config_selectorIbjNS0_4plusIjEEEEZZNS1_33reduce_by_key_impl_wrapped_configILNS1_25lookback_scan_determinismE0ES3_S7_N6hipcub16HIPCUB_304000_NS22TransformInputIteratorIbN2at6native8internal12_GLOBAL__N_110LoadBoolOpEPKhlEENS0_17constant_iteratorIjlEEPbPlSO_S6_NS0_8equal_toIbEEEE10hipError_tPvRmT2_T3_mT4_T5_T6_T7_T8_P12ihipStream_tbENKUlT_T0_E_clISt17integral_constantIbLb1EES18_EEDaS13_S14_EUlS13_E_NS1_11comp_targetILNS1_3genE10ELNS1_11target_archE1201ELNS1_3gpuE5ELNS1_3repE0EEENS1_30default_config_static_selectorELNS0_4arch9wavefront6targetE0EEEvT1_ ; -- Begin function _ZN7rocprim17ROCPRIM_400000_NS6detail17trampoline_kernelINS0_14default_configENS1_33run_length_encode_config_selectorIbjNS0_4plusIjEEEEZZNS1_33reduce_by_key_impl_wrapped_configILNS1_25lookback_scan_determinismE0ES3_S7_N6hipcub16HIPCUB_304000_NS22TransformInputIteratorIbN2at6native8internal12_GLOBAL__N_110LoadBoolOpEPKhlEENS0_17constant_iteratorIjlEEPbPlSO_S6_NS0_8equal_toIbEEEE10hipError_tPvRmT2_T3_mT4_T5_T6_T7_T8_P12ihipStream_tbENKUlT_T0_E_clISt17integral_constantIbLb1EES18_EEDaS13_S14_EUlS13_E_NS1_11comp_targetILNS1_3genE10ELNS1_11target_archE1201ELNS1_3gpuE5ELNS1_3repE0EEENS1_30default_config_static_selectorELNS0_4arch9wavefront6targetE0EEEvT1_
	.p2align	8
	.type	_ZN7rocprim17ROCPRIM_400000_NS6detail17trampoline_kernelINS0_14default_configENS1_33run_length_encode_config_selectorIbjNS0_4plusIjEEEEZZNS1_33reduce_by_key_impl_wrapped_configILNS1_25lookback_scan_determinismE0ES3_S7_N6hipcub16HIPCUB_304000_NS22TransformInputIteratorIbN2at6native8internal12_GLOBAL__N_110LoadBoolOpEPKhlEENS0_17constant_iteratorIjlEEPbPlSO_S6_NS0_8equal_toIbEEEE10hipError_tPvRmT2_T3_mT4_T5_T6_T7_T8_P12ihipStream_tbENKUlT_T0_E_clISt17integral_constantIbLb1EES18_EEDaS13_S14_EUlS13_E_NS1_11comp_targetILNS1_3genE10ELNS1_11target_archE1201ELNS1_3gpuE5ELNS1_3repE0EEENS1_30default_config_static_selectorELNS0_4arch9wavefront6targetE0EEEvT1_,@function
_ZN7rocprim17ROCPRIM_400000_NS6detail17trampoline_kernelINS0_14default_configENS1_33run_length_encode_config_selectorIbjNS0_4plusIjEEEEZZNS1_33reduce_by_key_impl_wrapped_configILNS1_25lookback_scan_determinismE0ES3_S7_N6hipcub16HIPCUB_304000_NS22TransformInputIteratorIbN2at6native8internal12_GLOBAL__N_110LoadBoolOpEPKhlEENS0_17constant_iteratorIjlEEPbPlSO_S6_NS0_8equal_toIbEEEE10hipError_tPvRmT2_T3_mT4_T5_T6_T7_T8_P12ihipStream_tbENKUlT_T0_E_clISt17integral_constantIbLb1EES18_EEDaS13_S14_EUlS13_E_NS1_11comp_targetILNS1_3genE10ELNS1_11target_archE1201ELNS1_3gpuE5ELNS1_3repE0EEENS1_30default_config_static_selectorELNS0_4arch9wavefront6targetE0EEEvT1_: ; @_ZN7rocprim17ROCPRIM_400000_NS6detail17trampoline_kernelINS0_14default_configENS1_33run_length_encode_config_selectorIbjNS0_4plusIjEEEEZZNS1_33reduce_by_key_impl_wrapped_configILNS1_25lookback_scan_determinismE0ES3_S7_N6hipcub16HIPCUB_304000_NS22TransformInputIteratorIbN2at6native8internal12_GLOBAL__N_110LoadBoolOpEPKhlEENS0_17constant_iteratorIjlEEPbPlSO_S6_NS0_8equal_toIbEEEE10hipError_tPvRmT2_T3_mT4_T5_T6_T7_T8_P12ihipStream_tbENKUlT_T0_E_clISt17integral_constantIbLb1EES18_EEDaS13_S14_EUlS13_E_NS1_11comp_targetILNS1_3genE10ELNS1_11target_archE1201ELNS1_3gpuE5ELNS1_3repE0EEENS1_30default_config_static_selectorELNS0_4arch9wavefront6targetE0EEEvT1_
; %bb.0:
	.section	.rodata,"a",@progbits
	.p2align	6, 0x0
	.amdhsa_kernel _ZN7rocprim17ROCPRIM_400000_NS6detail17trampoline_kernelINS0_14default_configENS1_33run_length_encode_config_selectorIbjNS0_4plusIjEEEEZZNS1_33reduce_by_key_impl_wrapped_configILNS1_25lookback_scan_determinismE0ES3_S7_N6hipcub16HIPCUB_304000_NS22TransformInputIteratorIbN2at6native8internal12_GLOBAL__N_110LoadBoolOpEPKhlEENS0_17constant_iteratorIjlEEPbPlSO_S6_NS0_8equal_toIbEEEE10hipError_tPvRmT2_T3_mT4_T5_T6_T7_T8_P12ihipStream_tbENKUlT_T0_E_clISt17integral_constantIbLb1EES18_EEDaS13_S14_EUlS13_E_NS1_11comp_targetILNS1_3genE10ELNS1_11target_archE1201ELNS1_3gpuE5ELNS1_3repE0EEENS1_30default_config_static_selectorELNS0_4arch9wavefront6targetE0EEEvT1_
		.amdhsa_group_segment_fixed_size 0
		.amdhsa_private_segment_fixed_size 0
		.amdhsa_kernarg_size 136
		.amdhsa_user_sgpr_count 2
		.amdhsa_user_sgpr_dispatch_ptr 0
		.amdhsa_user_sgpr_queue_ptr 0
		.amdhsa_user_sgpr_kernarg_segment_ptr 1
		.amdhsa_user_sgpr_dispatch_id 0
		.amdhsa_user_sgpr_kernarg_preload_length 0
		.amdhsa_user_sgpr_kernarg_preload_offset 0
		.amdhsa_user_sgpr_private_segment_size 0
		.amdhsa_wavefront_size32 1
		.amdhsa_uses_dynamic_stack 0
		.amdhsa_enable_private_segment 0
		.amdhsa_system_sgpr_workgroup_id_x 1
		.amdhsa_system_sgpr_workgroup_id_y 0
		.amdhsa_system_sgpr_workgroup_id_z 0
		.amdhsa_system_sgpr_workgroup_info 0
		.amdhsa_system_vgpr_workitem_id 0
		.amdhsa_next_free_vgpr 1
		.amdhsa_next_free_sgpr 1
		.amdhsa_named_barrier_count 0
		.amdhsa_reserve_vcc 0
		.amdhsa_float_round_mode_32 0
		.amdhsa_float_round_mode_16_64 0
		.amdhsa_float_denorm_mode_32 3
		.amdhsa_float_denorm_mode_16_64 3
		.amdhsa_fp16_overflow 0
		.amdhsa_memory_ordered 1
		.amdhsa_forward_progress 1
		.amdhsa_inst_pref_size 0
		.amdhsa_round_robin_scheduling 0
		.amdhsa_exception_fp_ieee_invalid_op 0
		.amdhsa_exception_fp_denorm_src 0
		.amdhsa_exception_fp_ieee_div_zero 0
		.amdhsa_exception_fp_ieee_overflow 0
		.amdhsa_exception_fp_ieee_underflow 0
		.amdhsa_exception_fp_ieee_inexact 0
		.amdhsa_exception_int_div_zero 0
	.end_amdhsa_kernel
	.section	.text._ZN7rocprim17ROCPRIM_400000_NS6detail17trampoline_kernelINS0_14default_configENS1_33run_length_encode_config_selectorIbjNS0_4plusIjEEEEZZNS1_33reduce_by_key_impl_wrapped_configILNS1_25lookback_scan_determinismE0ES3_S7_N6hipcub16HIPCUB_304000_NS22TransformInputIteratorIbN2at6native8internal12_GLOBAL__N_110LoadBoolOpEPKhlEENS0_17constant_iteratorIjlEEPbPlSO_S6_NS0_8equal_toIbEEEE10hipError_tPvRmT2_T3_mT4_T5_T6_T7_T8_P12ihipStream_tbENKUlT_T0_E_clISt17integral_constantIbLb1EES18_EEDaS13_S14_EUlS13_E_NS1_11comp_targetILNS1_3genE10ELNS1_11target_archE1201ELNS1_3gpuE5ELNS1_3repE0EEENS1_30default_config_static_selectorELNS0_4arch9wavefront6targetE0EEEvT1_,"axG",@progbits,_ZN7rocprim17ROCPRIM_400000_NS6detail17trampoline_kernelINS0_14default_configENS1_33run_length_encode_config_selectorIbjNS0_4plusIjEEEEZZNS1_33reduce_by_key_impl_wrapped_configILNS1_25lookback_scan_determinismE0ES3_S7_N6hipcub16HIPCUB_304000_NS22TransformInputIteratorIbN2at6native8internal12_GLOBAL__N_110LoadBoolOpEPKhlEENS0_17constant_iteratorIjlEEPbPlSO_S6_NS0_8equal_toIbEEEE10hipError_tPvRmT2_T3_mT4_T5_T6_T7_T8_P12ihipStream_tbENKUlT_T0_E_clISt17integral_constantIbLb1EES18_EEDaS13_S14_EUlS13_E_NS1_11comp_targetILNS1_3genE10ELNS1_11target_archE1201ELNS1_3gpuE5ELNS1_3repE0EEENS1_30default_config_static_selectorELNS0_4arch9wavefront6targetE0EEEvT1_,comdat
.Lfunc_end73:
	.size	_ZN7rocprim17ROCPRIM_400000_NS6detail17trampoline_kernelINS0_14default_configENS1_33run_length_encode_config_selectorIbjNS0_4plusIjEEEEZZNS1_33reduce_by_key_impl_wrapped_configILNS1_25lookback_scan_determinismE0ES3_S7_N6hipcub16HIPCUB_304000_NS22TransformInputIteratorIbN2at6native8internal12_GLOBAL__N_110LoadBoolOpEPKhlEENS0_17constant_iteratorIjlEEPbPlSO_S6_NS0_8equal_toIbEEEE10hipError_tPvRmT2_T3_mT4_T5_T6_T7_T8_P12ihipStream_tbENKUlT_T0_E_clISt17integral_constantIbLb1EES18_EEDaS13_S14_EUlS13_E_NS1_11comp_targetILNS1_3genE10ELNS1_11target_archE1201ELNS1_3gpuE5ELNS1_3repE0EEENS1_30default_config_static_selectorELNS0_4arch9wavefront6targetE0EEEvT1_, .Lfunc_end73-_ZN7rocprim17ROCPRIM_400000_NS6detail17trampoline_kernelINS0_14default_configENS1_33run_length_encode_config_selectorIbjNS0_4plusIjEEEEZZNS1_33reduce_by_key_impl_wrapped_configILNS1_25lookback_scan_determinismE0ES3_S7_N6hipcub16HIPCUB_304000_NS22TransformInputIteratorIbN2at6native8internal12_GLOBAL__N_110LoadBoolOpEPKhlEENS0_17constant_iteratorIjlEEPbPlSO_S6_NS0_8equal_toIbEEEE10hipError_tPvRmT2_T3_mT4_T5_T6_T7_T8_P12ihipStream_tbENKUlT_T0_E_clISt17integral_constantIbLb1EES18_EEDaS13_S14_EUlS13_E_NS1_11comp_targetILNS1_3genE10ELNS1_11target_archE1201ELNS1_3gpuE5ELNS1_3repE0EEENS1_30default_config_static_selectorELNS0_4arch9wavefront6targetE0EEEvT1_
                                        ; -- End function
	.set _ZN7rocprim17ROCPRIM_400000_NS6detail17trampoline_kernelINS0_14default_configENS1_33run_length_encode_config_selectorIbjNS0_4plusIjEEEEZZNS1_33reduce_by_key_impl_wrapped_configILNS1_25lookback_scan_determinismE0ES3_S7_N6hipcub16HIPCUB_304000_NS22TransformInputIteratorIbN2at6native8internal12_GLOBAL__N_110LoadBoolOpEPKhlEENS0_17constant_iteratorIjlEEPbPlSO_S6_NS0_8equal_toIbEEEE10hipError_tPvRmT2_T3_mT4_T5_T6_T7_T8_P12ihipStream_tbENKUlT_T0_E_clISt17integral_constantIbLb1EES18_EEDaS13_S14_EUlS13_E_NS1_11comp_targetILNS1_3genE10ELNS1_11target_archE1201ELNS1_3gpuE5ELNS1_3repE0EEENS1_30default_config_static_selectorELNS0_4arch9wavefront6targetE0EEEvT1_.num_vgpr, 0
	.set _ZN7rocprim17ROCPRIM_400000_NS6detail17trampoline_kernelINS0_14default_configENS1_33run_length_encode_config_selectorIbjNS0_4plusIjEEEEZZNS1_33reduce_by_key_impl_wrapped_configILNS1_25lookback_scan_determinismE0ES3_S7_N6hipcub16HIPCUB_304000_NS22TransformInputIteratorIbN2at6native8internal12_GLOBAL__N_110LoadBoolOpEPKhlEENS0_17constant_iteratorIjlEEPbPlSO_S6_NS0_8equal_toIbEEEE10hipError_tPvRmT2_T3_mT4_T5_T6_T7_T8_P12ihipStream_tbENKUlT_T0_E_clISt17integral_constantIbLb1EES18_EEDaS13_S14_EUlS13_E_NS1_11comp_targetILNS1_3genE10ELNS1_11target_archE1201ELNS1_3gpuE5ELNS1_3repE0EEENS1_30default_config_static_selectorELNS0_4arch9wavefront6targetE0EEEvT1_.num_agpr, 0
	.set _ZN7rocprim17ROCPRIM_400000_NS6detail17trampoline_kernelINS0_14default_configENS1_33run_length_encode_config_selectorIbjNS0_4plusIjEEEEZZNS1_33reduce_by_key_impl_wrapped_configILNS1_25lookback_scan_determinismE0ES3_S7_N6hipcub16HIPCUB_304000_NS22TransformInputIteratorIbN2at6native8internal12_GLOBAL__N_110LoadBoolOpEPKhlEENS0_17constant_iteratorIjlEEPbPlSO_S6_NS0_8equal_toIbEEEE10hipError_tPvRmT2_T3_mT4_T5_T6_T7_T8_P12ihipStream_tbENKUlT_T0_E_clISt17integral_constantIbLb1EES18_EEDaS13_S14_EUlS13_E_NS1_11comp_targetILNS1_3genE10ELNS1_11target_archE1201ELNS1_3gpuE5ELNS1_3repE0EEENS1_30default_config_static_selectorELNS0_4arch9wavefront6targetE0EEEvT1_.numbered_sgpr, 0
	.set _ZN7rocprim17ROCPRIM_400000_NS6detail17trampoline_kernelINS0_14default_configENS1_33run_length_encode_config_selectorIbjNS0_4plusIjEEEEZZNS1_33reduce_by_key_impl_wrapped_configILNS1_25lookback_scan_determinismE0ES3_S7_N6hipcub16HIPCUB_304000_NS22TransformInputIteratorIbN2at6native8internal12_GLOBAL__N_110LoadBoolOpEPKhlEENS0_17constant_iteratorIjlEEPbPlSO_S6_NS0_8equal_toIbEEEE10hipError_tPvRmT2_T3_mT4_T5_T6_T7_T8_P12ihipStream_tbENKUlT_T0_E_clISt17integral_constantIbLb1EES18_EEDaS13_S14_EUlS13_E_NS1_11comp_targetILNS1_3genE10ELNS1_11target_archE1201ELNS1_3gpuE5ELNS1_3repE0EEENS1_30default_config_static_selectorELNS0_4arch9wavefront6targetE0EEEvT1_.num_named_barrier, 0
	.set _ZN7rocprim17ROCPRIM_400000_NS6detail17trampoline_kernelINS0_14default_configENS1_33run_length_encode_config_selectorIbjNS0_4plusIjEEEEZZNS1_33reduce_by_key_impl_wrapped_configILNS1_25lookback_scan_determinismE0ES3_S7_N6hipcub16HIPCUB_304000_NS22TransformInputIteratorIbN2at6native8internal12_GLOBAL__N_110LoadBoolOpEPKhlEENS0_17constant_iteratorIjlEEPbPlSO_S6_NS0_8equal_toIbEEEE10hipError_tPvRmT2_T3_mT4_T5_T6_T7_T8_P12ihipStream_tbENKUlT_T0_E_clISt17integral_constantIbLb1EES18_EEDaS13_S14_EUlS13_E_NS1_11comp_targetILNS1_3genE10ELNS1_11target_archE1201ELNS1_3gpuE5ELNS1_3repE0EEENS1_30default_config_static_selectorELNS0_4arch9wavefront6targetE0EEEvT1_.private_seg_size, 0
	.set _ZN7rocprim17ROCPRIM_400000_NS6detail17trampoline_kernelINS0_14default_configENS1_33run_length_encode_config_selectorIbjNS0_4plusIjEEEEZZNS1_33reduce_by_key_impl_wrapped_configILNS1_25lookback_scan_determinismE0ES3_S7_N6hipcub16HIPCUB_304000_NS22TransformInputIteratorIbN2at6native8internal12_GLOBAL__N_110LoadBoolOpEPKhlEENS0_17constant_iteratorIjlEEPbPlSO_S6_NS0_8equal_toIbEEEE10hipError_tPvRmT2_T3_mT4_T5_T6_T7_T8_P12ihipStream_tbENKUlT_T0_E_clISt17integral_constantIbLb1EES18_EEDaS13_S14_EUlS13_E_NS1_11comp_targetILNS1_3genE10ELNS1_11target_archE1201ELNS1_3gpuE5ELNS1_3repE0EEENS1_30default_config_static_selectorELNS0_4arch9wavefront6targetE0EEEvT1_.uses_vcc, 0
	.set _ZN7rocprim17ROCPRIM_400000_NS6detail17trampoline_kernelINS0_14default_configENS1_33run_length_encode_config_selectorIbjNS0_4plusIjEEEEZZNS1_33reduce_by_key_impl_wrapped_configILNS1_25lookback_scan_determinismE0ES3_S7_N6hipcub16HIPCUB_304000_NS22TransformInputIteratorIbN2at6native8internal12_GLOBAL__N_110LoadBoolOpEPKhlEENS0_17constant_iteratorIjlEEPbPlSO_S6_NS0_8equal_toIbEEEE10hipError_tPvRmT2_T3_mT4_T5_T6_T7_T8_P12ihipStream_tbENKUlT_T0_E_clISt17integral_constantIbLb1EES18_EEDaS13_S14_EUlS13_E_NS1_11comp_targetILNS1_3genE10ELNS1_11target_archE1201ELNS1_3gpuE5ELNS1_3repE0EEENS1_30default_config_static_selectorELNS0_4arch9wavefront6targetE0EEEvT1_.uses_flat_scratch, 0
	.set _ZN7rocprim17ROCPRIM_400000_NS6detail17trampoline_kernelINS0_14default_configENS1_33run_length_encode_config_selectorIbjNS0_4plusIjEEEEZZNS1_33reduce_by_key_impl_wrapped_configILNS1_25lookback_scan_determinismE0ES3_S7_N6hipcub16HIPCUB_304000_NS22TransformInputIteratorIbN2at6native8internal12_GLOBAL__N_110LoadBoolOpEPKhlEENS0_17constant_iteratorIjlEEPbPlSO_S6_NS0_8equal_toIbEEEE10hipError_tPvRmT2_T3_mT4_T5_T6_T7_T8_P12ihipStream_tbENKUlT_T0_E_clISt17integral_constantIbLb1EES18_EEDaS13_S14_EUlS13_E_NS1_11comp_targetILNS1_3genE10ELNS1_11target_archE1201ELNS1_3gpuE5ELNS1_3repE0EEENS1_30default_config_static_selectorELNS0_4arch9wavefront6targetE0EEEvT1_.has_dyn_sized_stack, 0
	.set _ZN7rocprim17ROCPRIM_400000_NS6detail17trampoline_kernelINS0_14default_configENS1_33run_length_encode_config_selectorIbjNS0_4plusIjEEEEZZNS1_33reduce_by_key_impl_wrapped_configILNS1_25lookback_scan_determinismE0ES3_S7_N6hipcub16HIPCUB_304000_NS22TransformInputIteratorIbN2at6native8internal12_GLOBAL__N_110LoadBoolOpEPKhlEENS0_17constant_iteratorIjlEEPbPlSO_S6_NS0_8equal_toIbEEEE10hipError_tPvRmT2_T3_mT4_T5_T6_T7_T8_P12ihipStream_tbENKUlT_T0_E_clISt17integral_constantIbLb1EES18_EEDaS13_S14_EUlS13_E_NS1_11comp_targetILNS1_3genE10ELNS1_11target_archE1201ELNS1_3gpuE5ELNS1_3repE0EEENS1_30default_config_static_selectorELNS0_4arch9wavefront6targetE0EEEvT1_.has_recursion, 0
	.set _ZN7rocprim17ROCPRIM_400000_NS6detail17trampoline_kernelINS0_14default_configENS1_33run_length_encode_config_selectorIbjNS0_4plusIjEEEEZZNS1_33reduce_by_key_impl_wrapped_configILNS1_25lookback_scan_determinismE0ES3_S7_N6hipcub16HIPCUB_304000_NS22TransformInputIteratorIbN2at6native8internal12_GLOBAL__N_110LoadBoolOpEPKhlEENS0_17constant_iteratorIjlEEPbPlSO_S6_NS0_8equal_toIbEEEE10hipError_tPvRmT2_T3_mT4_T5_T6_T7_T8_P12ihipStream_tbENKUlT_T0_E_clISt17integral_constantIbLb1EES18_EEDaS13_S14_EUlS13_E_NS1_11comp_targetILNS1_3genE10ELNS1_11target_archE1201ELNS1_3gpuE5ELNS1_3repE0EEENS1_30default_config_static_selectorELNS0_4arch9wavefront6targetE0EEEvT1_.has_indirect_call, 0
	.section	.AMDGPU.csdata,"",@progbits
; Kernel info:
; codeLenInByte = 0
; TotalNumSgprs: 0
; NumVgprs: 0
; ScratchSize: 0
; MemoryBound: 0
; FloatMode: 240
; IeeeMode: 1
; LDSByteSize: 0 bytes/workgroup (compile time only)
; SGPRBlocks: 0
; VGPRBlocks: 0
; NumSGPRsForWavesPerEU: 1
; NumVGPRsForWavesPerEU: 1
; NamedBarCnt: 0
; Occupancy: 16
; WaveLimiterHint : 0
; COMPUTE_PGM_RSRC2:SCRATCH_EN: 0
; COMPUTE_PGM_RSRC2:USER_SGPR: 2
; COMPUTE_PGM_RSRC2:TRAP_HANDLER: 0
; COMPUTE_PGM_RSRC2:TGID_X_EN: 1
; COMPUTE_PGM_RSRC2:TGID_Y_EN: 0
; COMPUTE_PGM_RSRC2:TGID_Z_EN: 0
; COMPUTE_PGM_RSRC2:TIDIG_COMP_CNT: 0
	.section	.text._ZN7rocprim17ROCPRIM_400000_NS6detail17trampoline_kernelINS0_14default_configENS1_33run_length_encode_config_selectorIbjNS0_4plusIjEEEEZZNS1_33reduce_by_key_impl_wrapped_configILNS1_25lookback_scan_determinismE0ES3_S7_N6hipcub16HIPCUB_304000_NS22TransformInputIteratorIbN2at6native8internal12_GLOBAL__N_110LoadBoolOpEPKhlEENS0_17constant_iteratorIjlEEPbPlSO_S6_NS0_8equal_toIbEEEE10hipError_tPvRmT2_T3_mT4_T5_T6_T7_T8_P12ihipStream_tbENKUlT_T0_E_clISt17integral_constantIbLb1EES18_EEDaS13_S14_EUlS13_E_NS1_11comp_targetILNS1_3genE10ELNS1_11target_archE1200ELNS1_3gpuE4ELNS1_3repE0EEENS1_30default_config_static_selectorELNS0_4arch9wavefront6targetE0EEEvT1_,"axG",@progbits,_ZN7rocprim17ROCPRIM_400000_NS6detail17trampoline_kernelINS0_14default_configENS1_33run_length_encode_config_selectorIbjNS0_4plusIjEEEEZZNS1_33reduce_by_key_impl_wrapped_configILNS1_25lookback_scan_determinismE0ES3_S7_N6hipcub16HIPCUB_304000_NS22TransformInputIteratorIbN2at6native8internal12_GLOBAL__N_110LoadBoolOpEPKhlEENS0_17constant_iteratorIjlEEPbPlSO_S6_NS0_8equal_toIbEEEE10hipError_tPvRmT2_T3_mT4_T5_T6_T7_T8_P12ihipStream_tbENKUlT_T0_E_clISt17integral_constantIbLb1EES18_EEDaS13_S14_EUlS13_E_NS1_11comp_targetILNS1_3genE10ELNS1_11target_archE1200ELNS1_3gpuE4ELNS1_3repE0EEENS1_30default_config_static_selectorELNS0_4arch9wavefront6targetE0EEEvT1_,comdat
	.globl	_ZN7rocprim17ROCPRIM_400000_NS6detail17trampoline_kernelINS0_14default_configENS1_33run_length_encode_config_selectorIbjNS0_4plusIjEEEEZZNS1_33reduce_by_key_impl_wrapped_configILNS1_25lookback_scan_determinismE0ES3_S7_N6hipcub16HIPCUB_304000_NS22TransformInputIteratorIbN2at6native8internal12_GLOBAL__N_110LoadBoolOpEPKhlEENS0_17constant_iteratorIjlEEPbPlSO_S6_NS0_8equal_toIbEEEE10hipError_tPvRmT2_T3_mT4_T5_T6_T7_T8_P12ihipStream_tbENKUlT_T0_E_clISt17integral_constantIbLb1EES18_EEDaS13_S14_EUlS13_E_NS1_11comp_targetILNS1_3genE10ELNS1_11target_archE1200ELNS1_3gpuE4ELNS1_3repE0EEENS1_30default_config_static_selectorELNS0_4arch9wavefront6targetE0EEEvT1_ ; -- Begin function _ZN7rocprim17ROCPRIM_400000_NS6detail17trampoline_kernelINS0_14default_configENS1_33run_length_encode_config_selectorIbjNS0_4plusIjEEEEZZNS1_33reduce_by_key_impl_wrapped_configILNS1_25lookback_scan_determinismE0ES3_S7_N6hipcub16HIPCUB_304000_NS22TransformInputIteratorIbN2at6native8internal12_GLOBAL__N_110LoadBoolOpEPKhlEENS0_17constant_iteratorIjlEEPbPlSO_S6_NS0_8equal_toIbEEEE10hipError_tPvRmT2_T3_mT4_T5_T6_T7_T8_P12ihipStream_tbENKUlT_T0_E_clISt17integral_constantIbLb1EES18_EEDaS13_S14_EUlS13_E_NS1_11comp_targetILNS1_3genE10ELNS1_11target_archE1200ELNS1_3gpuE4ELNS1_3repE0EEENS1_30default_config_static_selectorELNS0_4arch9wavefront6targetE0EEEvT1_
	.p2align	8
	.type	_ZN7rocprim17ROCPRIM_400000_NS6detail17trampoline_kernelINS0_14default_configENS1_33run_length_encode_config_selectorIbjNS0_4plusIjEEEEZZNS1_33reduce_by_key_impl_wrapped_configILNS1_25lookback_scan_determinismE0ES3_S7_N6hipcub16HIPCUB_304000_NS22TransformInputIteratorIbN2at6native8internal12_GLOBAL__N_110LoadBoolOpEPKhlEENS0_17constant_iteratorIjlEEPbPlSO_S6_NS0_8equal_toIbEEEE10hipError_tPvRmT2_T3_mT4_T5_T6_T7_T8_P12ihipStream_tbENKUlT_T0_E_clISt17integral_constantIbLb1EES18_EEDaS13_S14_EUlS13_E_NS1_11comp_targetILNS1_3genE10ELNS1_11target_archE1200ELNS1_3gpuE4ELNS1_3repE0EEENS1_30default_config_static_selectorELNS0_4arch9wavefront6targetE0EEEvT1_,@function
_ZN7rocprim17ROCPRIM_400000_NS6detail17trampoline_kernelINS0_14default_configENS1_33run_length_encode_config_selectorIbjNS0_4plusIjEEEEZZNS1_33reduce_by_key_impl_wrapped_configILNS1_25lookback_scan_determinismE0ES3_S7_N6hipcub16HIPCUB_304000_NS22TransformInputIteratorIbN2at6native8internal12_GLOBAL__N_110LoadBoolOpEPKhlEENS0_17constant_iteratorIjlEEPbPlSO_S6_NS0_8equal_toIbEEEE10hipError_tPvRmT2_T3_mT4_T5_T6_T7_T8_P12ihipStream_tbENKUlT_T0_E_clISt17integral_constantIbLb1EES18_EEDaS13_S14_EUlS13_E_NS1_11comp_targetILNS1_3genE10ELNS1_11target_archE1200ELNS1_3gpuE4ELNS1_3repE0EEENS1_30default_config_static_selectorELNS0_4arch9wavefront6targetE0EEEvT1_: ; @_ZN7rocprim17ROCPRIM_400000_NS6detail17trampoline_kernelINS0_14default_configENS1_33run_length_encode_config_selectorIbjNS0_4plusIjEEEEZZNS1_33reduce_by_key_impl_wrapped_configILNS1_25lookback_scan_determinismE0ES3_S7_N6hipcub16HIPCUB_304000_NS22TransformInputIteratorIbN2at6native8internal12_GLOBAL__N_110LoadBoolOpEPKhlEENS0_17constant_iteratorIjlEEPbPlSO_S6_NS0_8equal_toIbEEEE10hipError_tPvRmT2_T3_mT4_T5_T6_T7_T8_P12ihipStream_tbENKUlT_T0_E_clISt17integral_constantIbLb1EES18_EEDaS13_S14_EUlS13_E_NS1_11comp_targetILNS1_3genE10ELNS1_11target_archE1200ELNS1_3gpuE4ELNS1_3repE0EEENS1_30default_config_static_selectorELNS0_4arch9wavefront6targetE0EEEvT1_
; %bb.0:
	.section	.rodata,"a",@progbits
	.p2align	6, 0x0
	.amdhsa_kernel _ZN7rocprim17ROCPRIM_400000_NS6detail17trampoline_kernelINS0_14default_configENS1_33run_length_encode_config_selectorIbjNS0_4plusIjEEEEZZNS1_33reduce_by_key_impl_wrapped_configILNS1_25lookback_scan_determinismE0ES3_S7_N6hipcub16HIPCUB_304000_NS22TransformInputIteratorIbN2at6native8internal12_GLOBAL__N_110LoadBoolOpEPKhlEENS0_17constant_iteratorIjlEEPbPlSO_S6_NS0_8equal_toIbEEEE10hipError_tPvRmT2_T3_mT4_T5_T6_T7_T8_P12ihipStream_tbENKUlT_T0_E_clISt17integral_constantIbLb1EES18_EEDaS13_S14_EUlS13_E_NS1_11comp_targetILNS1_3genE10ELNS1_11target_archE1200ELNS1_3gpuE4ELNS1_3repE0EEENS1_30default_config_static_selectorELNS0_4arch9wavefront6targetE0EEEvT1_
		.amdhsa_group_segment_fixed_size 0
		.amdhsa_private_segment_fixed_size 0
		.amdhsa_kernarg_size 136
		.amdhsa_user_sgpr_count 2
		.amdhsa_user_sgpr_dispatch_ptr 0
		.amdhsa_user_sgpr_queue_ptr 0
		.amdhsa_user_sgpr_kernarg_segment_ptr 1
		.amdhsa_user_sgpr_dispatch_id 0
		.amdhsa_user_sgpr_kernarg_preload_length 0
		.amdhsa_user_sgpr_kernarg_preload_offset 0
		.amdhsa_user_sgpr_private_segment_size 0
		.amdhsa_wavefront_size32 1
		.amdhsa_uses_dynamic_stack 0
		.amdhsa_enable_private_segment 0
		.amdhsa_system_sgpr_workgroup_id_x 1
		.amdhsa_system_sgpr_workgroup_id_y 0
		.amdhsa_system_sgpr_workgroup_id_z 0
		.amdhsa_system_sgpr_workgroup_info 0
		.amdhsa_system_vgpr_workitem_id 0
		.amdhsa_next_free_vgpr 1
		.amdhsa_next_free_sgpr 1
		.amdhsa_named_barrier_count 0
		.amdhsa_reserve_vcc 0
		.amdhsa_float_round_mode_32 0
		.amdhsa_float_round_mode_16_64 0
		.amdhsa_float_denorm_mode_32 3
		.amdhsa_float_denorm_mode_16_64 3
		.amdhsa_fp16_overflow 0
		.amdhsa_memory_ordered 1
		.amdhsa_forward_progress 1
		.amdhsa_inst_pref_size 0
		.amdhsa_round_robin_scheduling 0
		.amdhsa_exception_fp_ieee_invalid_op 0
		.amdhsa_exception_fp_denorm_src 0
		.amdhsa_exception_fp_ieee_div_zero 0
		.amdhsa_exception_fp_ieee_overflow 0
		.amdhsa_exception_fp_ieee_underflow 0
		.amdhsa_exception_fp_ieee_inexact 0
		.amdhsa_exception_int_div_zero 0
	.end_amdhsa_kernel
	.section	.text._ZN7rocprim17ROCPRIM_400000_NS6detail17trampoline_kernelINS0_14default_configENS1_33run_length_encode_config_selectorIbjNS0_4plusIjEEEEZZNS1_33reduce_by_key_impl_wrapped_configILNS1_25lookback_scan_determinismE0ES3_S7_N6hipcub16HIPCUB_304000_NS22TransformInputIteratorIbN2at6native8internal12_GLOBAL__N_110LoadBoolOpEPKhlEENS0_17constant_iteratorIjlEEPbPlSO_S6_NS0_8equal_toIbEEEE10hipError_tPvRmT2_T3_mT4_T5_T6_T7_T8_P12ihipStream_tbENKUlT_T0_E_clISt17integral_constantIbLb1EES18_EEDaS13_S14_EUlS13_E_NS1_11comp_targetILNS1_3genE10ELNS1_11target_archE1200ELNS1_3gpuE4ELNS1_3repE0EEENS1_30default_config_static_selectorELNS0_4arch9wavefront6targetE0EEEvT1_,"axG",@progbits,_ZN7rocprim17ROCPRIM_400000_NS6detail17trampoline_kernelINS0_14default_configENS1_33run_length_encode_config_selectorIbjNS0_4plusIjEEEEZZNS1_33reduce_by_key_impl_wrapped_configILNS1_25lookback_scan_determinismE0ES3_S7_N6hipcub16HIPCUB_304000_NS22TransformInputIteratorIbN2at6native8internal12_GLOBAL__N_110LoadBoolOpEPKhlEENS0_17constant_iteratorIjlEEPbPlSO_S6_NS0_8equal_toIbEEEE10hipError_tPvRmT2_T3_mT4_T5_T6_T7_T8_P12ihipStream_tbENKUlT_T0_E_clISt17integral_constantIbLb1EES18_EEDaS13_S14_EUlS13_E_NS1_11comp_targetILNS1_3genE10ELNS1_11target_archE1200ELNS1_3gpuE4ELNS1_3repE0EEENS1_30default_config_static_selectorELNS0_4arch9wavefront6targetE0EEEvT1_,comdat
.Lfunc_end74:
	.size	_ZN7rocprim17ROCPRIM_400000_NS6detail17trampoline_kernelINS0_14default_configENS1_33run_length_encode_config_selectorIbjNS0_4plusIjEEEEZZNS1_33reduce_by_key_impl_wrapped_configILNS1_25lookback_scan_determinismE0ES3_S7_N6hipcub16HIPCUB_304000_NS22TransformInputIteratorIbN2at6native8internal12_GLOBAL__N_110LoadBoolOpEPKhlEENS0_17constant_iteratorIjlEEPbPlSO_S6_NS0_8equal_toIbEEEE10hipError_tPvRmT2_T3_mT4_T5_T6_T7_T8_P12ihipStream_tbENKUlT_T0_E_clISt17integral_constantIbLb1EES18_EEDaS13_S14_EUlS13_E_NS1_11comp_targetILNS1_3genE10ELNS1_11target_archE1200ELNS1_3gpuE4ELNS1_3repE0EEENS1_30default_config_static_selectorELNS0_4arch9wavefront6targetE0EEEvT1_, .Lfunc_end74-_ZN7rocprim17ROCPRIM_400000_NS6detail17trampoline_kernelINS0_14default_configENS1_33run_length_encode_config_selectorIbjNS0_4plusIjEEEEZZNS1_33reduce_by_key_impl_wrapped_configILNS1_25lookback_scan_determinismE0ES3_S7_N6hipcub16HIPCUB_304000_NS22TransformInputIteratorIbN2at6native8internal12_GLOBAL__N_110LoadBoolOpEPKhlEENS0_17constant_iteratorIjlEEPbPlSO_S6_NS0_8equal_toIbEEEE10hipError_tPvRmT2_T3_mT4_T5_T6_T7_T8_P12ihipStream_tbENKUlT_T0_E_clISt17integral_constantIbLb1EES18_EEDaS13_S14_EUlS13_E_NS1_11comp_targetILNS1_3genE10ELNS1_11target_archE1200ELNS1_3gpuE4ELNS1_3repE0EEENS1_30default_config_static_selectorELNS0_4arch9wavefront6targetE0EEEvT1_
                                        ; -- End function
	.set _ZN7rocprim17ROCPRIM_400000_NS6detail17trampoline_kernelINS0_14default_configENS1_33run_length_encode_config_selectorIbjNS0_4plusIjEEEEZZNS1_33reduce_by_key_impl_wrapped_configILNS1_25lookback_scan_determinismE0ES3_S7_N6hipcub16HIPCUB_304000_NS22TransformInputIteratorIbN2at6native8internal12_GLOBAL__N_110LoadBoolOpEPKhlEENS0_17constant_iteratorIjlEEPbPlSO_S6_NS0_8equal_toIbEEEE10hipError_tPvRmT2_T3_mT4_T5_T6_T7_T8_P12ihipStream_tbENKUlT_T0_E_clISt17integral_constantIbLb1EES18_EEDaS13_S14_EUlS13_E_NS1_11comp_targetILNS1_3genE10ELNS1_11target_archE1200ELNS1_3gpuE4ELNS1_3repE0EEENS1_30default_config_static_selectorELNS0_4arch9wavefront6targetE0EEEvT1_.num_vgpr, 0
	.set _ZN7rocprim17ROCPRIM_400000_NS6detail17trampoline_kernelINS0_14default_configENS1_33run_length_encode_config_selectorIbjNS0_4plusIjEEEEZZNS1_33reduce_by_key_impl_wrapped_configILNS1_25lookback_scan_determinismE0ES3_S7_N6hipcub16HIPCUB_304000_NS22TransformInputIteratorIbN2at6native8internal12_GLOBAL__N_110LoadBoolOpEPKhlEENS0_17constant_iteratorIjlEEPbPlSO_S6_NS0_8equal_toIbEEEE10hipError_tPvRmT2_T3_mT4_T5_T6_T7_T8_P12ihipStream_tbENKUlT_T0_E_clISt17integral_constantIbLb1EES18_EEDaS13_S14_EUlS13_E_NS1_11comp_targetILNS1_3genE10ELNS1_11target_archE1200ELNS1_3gpuE4ELNS1_3repE0EEENS1_30default_config_static_selectorELNS0_4arch9wavefront6targetE0EEEvT1_.num_agpr, 0
	.set _ZN7rocprim17ROCPRIM_400000_NS6detail17trampoline_kernelINS0_14default_configENS1_33run_length_encode_config_selectorIbjNS0_4plusIjEEEEZZNS1_33reduce_by_key_impl_wrapped_configILNS1_25lookback_scan_determinismE0ES3_S7_N6hipcub16HIPCUB_304000_NS22TransformInputIteratorIbN2at6native8internal12_GLOBAL__N_110LoadBoolOpEPKhlEENS0_17constant_iteratorIjlEEPbPlSO_S6_NS0_8equal_toIbEEEE10hipError_tPvRmT2_T3_mT4_T5_T6_T7_T8_P12ihipStream_tbENKUlT_T0_E_clISt17integral_constantIbLb1EES18_EEDaS13_S14_EUlS13_E_NS1_11comp_targetILNS1_3genE10ELNS1_11target_archE1200ELNS1_3gpuE4ELNS1_3repE0EEENS1_30default_config_static_selectorELNS0_4arch9wavefront6targetE0EEEvT1_.numbered_sgpr, 0
	.set _ZN7rocprim17ROCPRIM_400000_NS6detail17trampoline_kernelINS0_14default_configENS1_33run_length_encode_config_selectorIbjNS0_4plusIjEEEEZZNS1_33reduce_by_key_impl_wrapped_configILNS1_25lookback_scan_determinismE0ES3_S7_N6hipcub16HIPCUB_304000_NS22TransformInputIteratorIbN2at6native8internal12_GLOBAL__N_110LoadBoolOpEPKhlEENS0_17constant_iteratorIjlEEPbPlSO_S6_NS0_8equal_toIbEEEE10hipError_tPvRmT2_T3_mT4_T5_T6_T7_T8_P12ihipStream_tbENKUlT_T0_E_clISt17integral_constantIbLb1EES18_EEDaS13_S14_EUlS13_E_NS1_11comp_targetILNS1_3genE10ELNS1_11target_archE1200ELNS1_3gpuE4ELNS1_3repE0EEENS1_30default_config_static_selectorELNS0_4arch9wavefront6targetE0EEEvT1_.num_named_barrier, 0
	.set _ZN7rocprim17ROCPRIM_400000_NS6detail17trampoline_kernelINS0_14default_configENS1_33run_length_encode_config_selectorIbjNS0_4plusIjEEEEZZNS1_33reduce_by_key_impl_wrapped_configILNS1_25lookback_scan_determinismE0ES3_S7_N6hipcub16HIPCUB_304000_NS22TransformInputIteratorIbN2at6native8internal12_GLOBAL__N_110LoadBoolOpEPKhlEENS0_17constant_iteratorIjlEEPbPlSO_S6_NS0_8equal_toIbEEEE10hipError_tPvRmT2_T3_mT4_T5_T6_T7_T8_P12ihipStream_tbENKUlT_T0_E_clISt17integral_constantIbLb1EES18_EEDaS13_S14_EUlS13_E_NS1_11comp_targetILNS1_3genE10ELNS1_11target_archE1200ELNS1_3gpuE4ELNS1_3repE0EEENS1_30default_config_static_selectorELNS0_4arch9wavefront6targetE0EEEvT1_.private_seg_size, 0
	.set _ZN7rocprim17ROCPRIM_400000_NS6detail17trampoline_kernelINS0_14default_configENS1_33run_length_encode_config_selectorIbjNS0_4plusIjEEEEZZNS1_33reduce_by_key_impl_wrapped_configILNS1_25lookback_scan_determinismE0ES3_S7_N6hipcub16HIPCUB_304000_NS22TransformInputIteratorIbN2at6native8internal12_GLOBAL__N_110LoadBoolOpEPKhlEENS0_17constant_iteratorIjlEEPbPlSO_S6_NS0_8equal_toIbEEEE10hipError_tPvRmT2_T3_mT4_T5_T6_T7_T8_P12ihipStream_tbENKUlT_T0_E_clISt17integral_constantIbLb1EES18_EEDaS13_S14_EUlS13_E_NS1_11comp_targetILNS1_3genE10ELNS1_11target_archE1200ELNS1_3gpuE4ELNS1_3repE0EEENS1_30default_config_static_selectorELNS0_4arch9wavefront6targetE0EEEvT1_.uses_vcc, 0
	.set _ZN7rocprim17ROCPRIM_400000_NS6detail17trampoline_kernelINS0_14default_configENS1_33run_length_encode_config_selectorIbjNS0_4plusIjEEEEZZNS1_33reduce_by_key_impl_wrapped_configILNS1_25lookback_scan_determinismE0ES3_S7_N6hipcub16HIPCUB_304000_NS22TransformInputIteratorIbN2at6native8internal12_GLOBAL__N_110LoadBoolOpEPKhlEENS0_17constant_iteratorIjlEEPbPlSO_S6_NS0_8equal_toIbEEEE10hipError_tPvRmT2_T3_mT4_T5_T6_T7_T8_P12ihipStream_tbENKUlT_T0_E_clISt17integral_constantIbLb1EES18_EEDaS13_S14_EUlS13_E_NS1_11comp_targetILNS1_3genE10ELNS1_11target_archE1200ELNS1_3gpuE4ELNS1_3repE0EEENS1_30default_config_static_selectorELNS0_4arch9wavefront6targetE0EEEvT1_.uses_flat_scratch, 0
	.set _ZN7rocprim17ROCPRIM_400000_NS6detail17trampoline_kernelINS0_14default_configENS1_33run_length_encode_config_selectorIbjNS0_4plusIjEEEEZZNS1_33reduce_by_key_impl_wrapped_configILNS1_25lookback_scan_determinismE0ES3_S7_N6hipcub16HIPCUB_304000_NS22TransformInputIteratorIbN2at6native8internal12_GLOBAL__N_110LoadBoolOpEPKhlEENS0_17constant_iteratorIjlEEPbPlSO_S6_NS0_8equal_toIbEEEE10hipError_tPvRmT2_T3_mT4_T5_T6_T7_T8_P12ihipStream_tbENKUlT_T0_E_clISt17integral_constantIbLb1EES18_EEDaS13_S14_EUlS13_E_NS1_11comp_targetILNS1_3genE10ELNS1_11target_archE1200ELNS1_3gpuE4ELNS1_3repE0EEENS1_30default_config_static_selectorELNS0_4arch9wavefront6targetE0EEEvT1_.has_dyn_sized_stack, 0
	.set _ZN7rocprim17ROCPRIM_400000_NS6detail17trampoline_kernelINS0_14default_configENS1_33run_length_encode_config_selectorIbjNS0_4plusIjEEEEZZNS1_33reduce_by_key_impl_wrapped_configILNS1_25lookback_scan_determinismE0ES3_S7_N6hipcub16HIPCUB_304000_NS22TransformInputIteratorIbN2at6native8internal12_GLOBAL__N_110LoadBoolOpEPKhlEENS0_17constant_iteratorIjlEEPbPlSO_S6_NS0_8equal_toIbEEEE10hipError_tPvRmT2_T3_mT4_T5_T6_T7_T8_P12ihipStream_tbENKUlT_T0_E_clISt17integral_constantIbLb1EES18_EEDaS13_S14_EUlS13_E_NS1_11comp_targetILNS1_3genE10ELNS1_11target_archE1200ELNS1_3gpuE4ELNS1_3repE0EEENS1_30default_config_static_selectorELNS0_4arch9wavefront6targetE0EEEvT1_.has_recursion, 0
	.set _ZN7rocprim17ROCPRIM_400000_NS6detail17trampoline_kernelINS0_14default_configENS1_33run_length_encode_config_selectorIbjNS0_4plusIjEEEEZZNS1_33reduce_by_key_impl_wrapped_configILNS1_25lookback_scan_determinismE0ES3_S7_N6hipcub16HIPCUB_304000_NS22TransformInputIteratorIbN2at6native8internal12_GLOBAL__N_110LoadBoolOpEPKhlEENS0_17constant_iteratorIjlEEPbPlSO_S6_NS0_8equal_toIbEEEE10hipError_tPvRmT2_T3_mT4_T5_T6_T7_T8_P12ihipStream_tbENKUlT_T0_E_clISt17integral_constantIbLb1EES18_EEDaS13_S14_EUlS13_E_NS1_11comp_targetILNS1_3genE10ELNS1_11target_archE1200ELNS1_3gpuE4ELNS1_3repE0EEENS1_30default_config_static_selectorELNS0_4arch9wavefront6targetE0EEEvT1_.has_indirect_call, 0
	.section	.AMDGPU.csdata,"",@progbits
; Kernel info:
; codeLenInByte = 0
; TotalNumSgprs: 0
; NumVgprs: 0
; ScratchSize: 0
; MemoryBound: 0
; FloatMode: 240
; IeeeMode: 1
; LDSByteSize: 0 bytes/workgroup (compile time only)
; SGPRBlocks: 0
; VGPRBlocks: 0
; NumSGPRsForWavesPerEU: 1
; NumVGPRsForWavesPerEU: 1
; NamedBarCnt: 0
; Occupancy: 16
; WaveLimiterHint : 0
; COMPUTE_PGM_RSRC2:SCRATCH_EN: 0
; COMPUTE_PGM_RSRC2:USER_SGPR: 2
; COMPUTE_PGM_RSRC2:TRAP_HANDLER: 0
; COMPUTE_PGM_RSRC2:TGID_X_EN: 1
; COMPUTE_PGM_RSRC2:TGID_Y_EN: 0
; COMPUTE_PGM_RSRC2:TGID_Z_EN: 0
; COMPUTE_PGM_RSRC2:TIDIG_COMP_CNT: 0
	.section	.text._ZN7rocprim17ROCPRIM_400000_NS6detail17trampoline_kernelINS0_14default_configENS1_33run_length_encode_config_selectorIbjNS0_4plusIjEEEEZZNS1_33reduce_by_key_impl_wrapped_configILNS1_25lookback_scan_determinismE0ES3_S7_N6hipcub16HIPCUB_304000_NS22TransformInputIteratorIbN2at6native8internal12_GLOBAL__N_110LoadBoolOpEPKhlEENS0_17constant_iteratorIjlEEPbPlSO_S6_NS0_8equal_toIbEEEE10hipError_tPvRmT2_T3_mT4_T5_T6_T7_T8_P12ihipStream_tbENKUlT_T0_E_clISt17integral_constantIbLb1EES18_EEDaS13_S14_EUlS13_E_NS1_11comp_targetILNS1_3genE9ELNS1_11target_archE1100ELNS1_3gpuE3ELNS1_3repE0EEENS1_30default_config_static_selectorELNS0_4arch9wavefront6targetE0EEEvT1_,"axG",@progbits,_ZN7rocprim17ROCPRIM_400000_NS6detail17trampoline_kernelINS0_14default_configENS1_33run_length_encode_config_selectorIbjNS0_4plusIjEEEEZZNS1_33reduce_by_key_impl_wrapped_configILNS1_25lookback_scan_determinismE0ES3_S7_N6hipcub16HIPCUB_304000_NS22TransformInputIteratorIbN2at6native8internal12_GLOBAL__N_110LoadBoolOpEPKhlEENS0_17constant_iteratorIjlEEPbPlSO_S6_NS0_8equal_toIbEEEE10hipError_tPvRmT2_T3_mT4_T5_T6_T7_T8_P12ihipStream_tbENKUlT_T0_E_clISt17integral_constantIbLb1EES18_EEDaS13_S14_EUlS13_E_NS1_11comp_targetILNS1_3genE9ELNS1_11target_archE1100ELNS1_3gpuE3ELNS1_3repE0EEENS1_30default_config_static_selectorELNS0_4arch9wavefront6targetE0EEEvT1_,comdat
	.globl	_ZN7rocprim17ROCPRIM_400000_NS6detail17trampoline_kernelINS0_14default_configENS1_33run_length_encode_config_selectorIbjNS0_4plusIjEEEEZZNS1_33reduce_by_key_impl_wrapped_configILNS1_25lookback_scan_determinismE0ES3_S7_N6hipcub16HIPCUB_304000_NS22TransformInputIteratorIbN2at6native8internal12_GLOBAL__N_110LoadBoolOpEPKhlEENS0_17constant_iteratorIjlEEPbPlSO_S6_NS0_8equal_toIbEEEE10hipError_tPvRmT2_T3_mT4_T5_T6_T7_T8_P12ihipStream_tbENKUlT_T0_E_clISt17integral_constantIbLb1EES18_EEDaS13_S14_EUlS13_E_NS1_11comp_targetILNS1_3genE9ELNS1_11target_archE1100ELNS1_3gpuE3ELNS1_3repE0EEENS1_30default_config_static_selectorELNS0_4arch9wavefront6targetE0EEEvT1_ ; -- Begin function _ZN7rocprim17ROCPRIM_400000_NS6detail17trampoline_kernelINS0_14default_configENS1_33run_length_encode_config_selectorIbjNS0_4plusIjEEEEZZNS1_33reduce_by_key_impl_wrapped_configILNS1_25lookback_scan_determinismE0ES3_S7_N6hipcub16HIPCUB_304000_NS22TransformInputIteratorIbN2at6native8internal12_GLOBAL__N_110LoadBoolOpEPKhlEENS0_17constant_iteratorIjlEEPbPlSO_S6_NS0_8equal_toIbEEEE10hipError_tPvRmT2_T3_mT4_T5_T6_T7_T8_P12ihipStream_tbENKUlT_T0_E_clISt17integral_constantIbLb1EES18_EEDaS13_S14_EUlS13_E_NS1_11comp_targetILNS1_3genE9ELNS1_11target_archE1100ELNS1_3gpuE3ELNS1_3repE0EEENS1_30default_config_static_selectorELNS0_4arch9wavefront6targetE0EEEvT1_
	.p2align	8
	.type	_ZN7rocprim17ROCPRIM_400000_NS6detail17trampoline_kernelINS0_14default_configENS1_33run_length_encode_config_selectorIbjNS0_4plusIjEEEEZZNS1_33reduce_by_key_impl_wrapped_configILNS1_25lookback_scan_determinismE0ES3_S7_N6hipcub16HIPCUB_304000_NS22TransformInputIteratorIbN2at6native8internal12_GLOBAL__N_110LoadBoolOpEPKhlEENS0_17constant_iteratorIjlEEPbPlSO_S6_NS0_8equal_toIbEEEE10hipError_tPvRmT2_T3_mT4_T5_T6_T7_T8_P12ihipStream_tbENKUlT_T0_E_clISt17integral_constantIbLb1EES18_EEDaS13_S14_EUlS13_E_NS1_11comp_targetILNS1_3genE9ELNS1_11target_archE1100ELNS1_3gpuE3ELNS1_3repE0EEENS1_30default_config_static_selectorELNS0_4arch9wavefront6targetE0EEEvT1_,@function
_ZN7rocprim17ROCPRIM_400000_NS6detail17trampoline_kernelINS0_14default_configENS1_33run_length_encode_config_selectorIbjNS0_4plusIjEEEEZZNS1_33reduce_by_key_impl_wrapped_configILNS1_25lookback_scan_determinismE0ES3_S7_N6hipcub16HIPCUB_304000_NS22TransformInputIteratorIbN2at6native8internal12_GLOBAL__N_110LoadBoolOpEPKhlEENS0_17constant_iteratorIjlEEPbPlSO_S6_NS0_8equal_toIbEEEE10hipError_tPvRmT2_T3_mT4_T5_T6_T7_T8_P12ihipStream_tbENKUlT_T0_E_clISt17integral_constantIbLb1EES18_EEDaS13_S14_EUlS13_E_NS1_11comp_targetILNS1_3genE9ELNS1_11target_archE1100ELNS1_3gpuE3ELNS1_3repE0EEENS1_30default_config_static_selectorELNS0_4arch9wavefront6targetE0EEEvT1_: ; @_ZN7rocprim17ROCPRIM_400000_NS6detail17trampoline_kernelINS0_14default_configENS1_33run_length_encode_config_selectorIbjNS0_4plusIjEEEEZZNS1_33reduce_by_key_impl_wrapped_configILNS1_25lookback_scan_determinismE0ES3_S7_N6hipcub16HIPCUB_304000_NS22TransformInputIteratorIbN2at6native8internal12_GLOBAL__N_110LoadBoolOpEPKhlEENS0_17constant_iteratorIjlEEPbPlSO_S6_NS0_8equal_toIbEEEE10hipError_tPvRmT2_T3_mT4_T5_T6_T7_T8_P12ihipStream_tbENKUlT_T0_E_clISt17integral_constantIbLb1EES18_EEDaS13_S14_EUlS13_E_NS1_11comp_targetILNS1_3genE9ELNS1_11target_archE1100ELNS1_3gpuE3ELNS1_3repE0EEENS1_30default_config_static_selectorELNS0_4arch9wavefront6targetE0EEEvT1_
; %bb.0:
	.section	.rodata,"a",@progbits
	.p2align	6, 0x0
	.amdhsa_kernel _ZN7rocprim17ROCPRIM_400000_NS6detail17trampoline_kernelINS0_14default_configENS1_33run_length_encode_config_selectorIbjNS0_4plusIjEEEEZZNS1_33reduce_by_key_impl_wrapped_configILNS1_25lookback_scan_determinismE0ES3_S7_N6hipcub16HIPCUB_304000_NS22TransformInputIteratorIbN2at6native8internal12_GLOBAL__N_110LoadBoolOpEPKhlEENS0_17constant_iteratorIjlEEPbPlSO_S6_NS0_8equal_toIbEEEE10hipError_tPvRmT2_T3_mT4_T5_T6_T7_T8_P12ihipStream_tbENKUlT_T0_E_clISt17integral_constantIbLb1EES18_EEDaS13_S14_EUlS13_E_NS1_11comp_targetILNS1_3genE9ELNS1_11target_archE1100ELNS1_3gpuE3ELNS1_3repE0EEENS1_30default_config_static_selectorELNS0_4arch9wavefront6targetE0EEEvT1_
		.amdhsa_group_segment_fixed_size 0
		.amdhsa_private_segment_fixed_size 0
		.amdhsa_kernarg_size 136
		.amdhsa_user_sgpr_count 2
		.amdhsa_user_sgpr_dispatch_ptr 0
		.amdhsa_user_sgpr_queue_ptr 0
		.amdhsa_user_sgpr_kernarg_segment_ptr 1
		.amdhsa_user_sgpr_dispatch_id 0
		.amdhsa_user_sgpr_kernarg_preload_length 0
		.amdhsa_user_sgpr_kernarg_preload_offset 0
		.amdhsa_user_sgpr_private_segment_size 0
		.amdhsa_wavefront_size32 1
		.amdhsa_uses_dynamic_stack 0
		.amdhsa_enable_private_segment 0
		.amdhsa_system_sgpr_workgroup_id_x 1
		.amdhsa_system_sgpr_workgroup_id_y 0
		.amdhsa_system_sgpr_workgroup_id_z 0
		.amdhsa_system_sgpr_workgroup_info 0
		.amdhsa_system_vgpr_workitem_id 0
		.amdhsa_next_free_vgpr 1
		.amdhsa_next_free_sgpr 1
		.amdhsa_named_barrier_count 0
		.amdhsa_reserve_vcc 0
		.amdhsa_float_round_mode_32 0
		.amdhsa_float_round_mode_16_64 0
		.amdhsa_float_denorm_mode_32 3
		.amdhsa_float_denorm_mode_16_64 3
		.amdhsa_fp16_overflow 0
		.amdhsa_memory_ordered 1
		.amdhsa_forward_progress 1
		.amdhsa_inst_pref_size 0
		.amdhsa_round_robin_scheduling 0
		.amdhsa_exception_fp_ieee_invalid_op 0
		.amdhsa_exception_fp_denorm_src 0
		.amdhsa_exception_fp_ieee_div_zero 0
		.amdhsa_exception_fp_ieee_overflow 0
		.amdhsa_exception_fp_ieee_underflow 0
		.amdhsa_exception_fp_ieee_inexact 0
		.amdhsa_exception_int_div_zero 0
	.end_amdhsa_kernel
	.section	.text._ZN7rocprim17ROCPRIM_400000_NS6detail17trampoline_kernelINS0_14default_configENS1_33run_length_encode_config_selectorIbjNS0_4plusIjEEEEZZNS1_33reduce_by_key_impl_wrapped_configILNS1_25lookback_scan_determinismE0ES3_S7_N6hipcub16HIPCUB_304000_NS22TransformInputIteratorIbN2at6native8internal12_GLOBAL__N_110LoadBoolOpEPKhlEENS0_17constant_iteratorIjlEEPbPlSO_S6_NS0_8equal_toIbEEEE10hipError_tPvRmT2_T3_mT4_T5_T6_T7_T8_P12ihipStream_tbENKUlT_T0_E_clISt17integral_constantIbLb1EES18_EEDaS13_S14_EUlS13_E_NS1_11comp_targetILNS1_3genE9ELNS1_11target_archE1100ELNS1_3gpuE3ELNS1_3repE0EEENS1_30default_config_static_selectorELNS0_4arch9wavefront6targetE0EEEvT1_,"axG",@progbits,_ZN7rocprim17ROCPRIM_400000_NS6detail17trampoline_kernelINS0_14default_configENS1_33run_length_encode_config_selectorIbjNS0_4plusIjEEEEZZNS1_33reduce_by_key_impl_wrapped_configILNS1_25lookback_scan_determinismE0ES3_S7_N6hipcub16HIPCUB_304000_NS22TransformInputIteratorIbN2at6native8internal12_GLOBAL__N_110LoadBoolOpEPKhlEENS0_17constant_iteratorIjlEEPbPlSO_S6_NS0_8equal_toIbEEEE10hipError_tPvRmT2_T3_mT4_T5_T6_T7_T8_P12ihipStream_tbENKUlT_T0_E_clISt17integral_constantIbLb1EES18_EEDaS13_S14_EUlS13_E_NS1_11comp_targetILNS1_3genE9ELNS1_11target_archE1100ELNS1_3gpuE3ELNS1_3repE0EEENS1_30default_config_static_selectorELNS0_4arch9wavefront6targetE0EEEvT1_,comdat
.Lfunc_end75:
	.size	_ZN7rocprim17ROCPRIM_400000_NS6detail17trampoline_kernelINS0_14default_configENS1_33run_length_encode_config_selectorIbjNS0_4plusIjEEEEZZNS1_33reduce_by_key_impl_wrapped_configILNS1_25lookback_scan_determinismE0ES3_S7_N6hipcub16HIPCUB_304000_NS22TransformInputIteratorIbN2at6native8internal12_GLOBAL__N_110LoadBoolOpEPKhlEENS0_17constant_iteratorIjlEEPbPlSO_S6_NS0_8equal_toIbEEEE10hipError_tPvRmT2_T3_mT4_T5_T6_T7_T8_P12ihipStream_tbENKUlT_T0_E_clISt17integral_constantIbLb1EES18_EEDaS13_S14_EUlS13_E_NS1_11comp_targetILNS1_3genE9ELNS1_11target_archE1100ELNS1_3gpuE3ELNS1_3repE0EEENS1_30default_config_static_selectorELNS0_4arch9wavefront6targetE0EEEvT1_, .Lfunc_end75-_ZN7rocprim17ROCPRIM_400000_NS6detail17trampoline_kernelINS0_14default_configENS1_33run_length_encode_config_selectorIbjNS0_4plusIjEEEEZZNS1_33reduce_by_key_impl_wrapped_configILNS1_25lookback_scan_determinismE0ES3_S7_N6hipcub16HIPCUB_304000_NS22TransformInputIteratorIbN2at6native8internal12_GLOBAL__N_110LoadBoolOpEPKhlEENS0_17constant_iteratorIjlEEPbPlSO_S6_NS0_8equal_toIbEEEE10hipError_tPvRmT2_T3_mT4_T5_T6_T7_T8_P12ihipStream_tbENKUlT_T0_E_clISt17integral_constantIbLb1EES18_EEDaS13_S14_EUlS13_E_NS1_11comp_targetILNS1_3genE9ELNS1_11target_archE1100ELNS1_3gpuE3ELNS1_3repE0EEENS1_30default_config_static_selectorELNS0_4arch9wavefront6targetE0EEEvT1_
                                        ; -- End function
	.set _ZN7rocprim17ROCPRIM_400000_NS6detail17trampoline_kernelINS0_14default_configENS1_33run_length_encode_config_selectorIbjNS0_4plusIjEEEEZZNS1_33reduce_by_key_impl_wrapped_configILNS1_25lookback_scan_determinismE0ES3_S7_N6hipcub16HIPCUB_304000_NS22TransformInputIteratorIbN2at6native8internal12_GLOBAL__N_110LoadBoolOpEPKhlEENS0_17constant_iteratorIjlEEPbPlSO_S6_NS0_8equal_toIbEEEE10hipError_tPvRmT2_T3_mT4_T5_T6_T7_T8_P12ihipStream_tbENKUlT_T0_E_clISt17integral_constantIbLb1EES18_EEDaS13_S14_EUlS13_E_NS1_11comp_targetILNS1_3genE9ELNS1_11target_archE1100ELNS1_3gpuE3ELNS1_3repE0EEENS1_30default_config_static_selectorELNS0_4arch9wavefront6targetE0EEEvT1_.num_vgpr, 0
	.set _ZN7rocprim17ROCPRIM_400000_NS6detail17trampoline_kernelINS0_14default_configENS1_33run_length_encode_config_selectorIbjNS0_4plusIjEEEEZZNS1_33reduce_by_key_impl_wrapped_configILNS1_25lookback_scan_determinismE0ES3_S7_N6hipcub16HIPCUB_304000_NS22TransformInputIteratorIbN2at6native8internal12_GLOBAL__N_110LoadBoolOpEPKhlEENS0_17constant_iteratorIjlEEPbPlSO_S6_NS0_8equal_toIbEEEE10hipError_tPvRmT2_T3_mT4_T5_T6_T7_T8_P12ihipStream_tbENKUlT_T0_E_clISt17integral_constantIbLb1EES18_EEDaS13_S14_EUlS13_E_NS1_11comp_targetILNS1_3genE9ELNS1_11target_archE1100ELNS1_3gpuE3ELNS1_3repE0EEENS1_30default_config_static_selectorELNS0_4arch9wavefront6targetE0EEEvT1_.num_agpr, 0
	.set _ZN7rocprim17ROCPRIM_400000_NS6detail17trampoline_kernelINS0_14default_configENS1_33run_length_encode_config_selectorIbjNS0_4plusIjEEEEZZNS1_33reduce_by_key_impl_wrapped_configILNS1_25lookback_scan_determinismE0ES3_S7_N6hipcub16HIPCUB_304000_NS22TransformInputIteratorIbN2at6native8internal12_GLOBAL__N_110LoadBoolOpEPKhlEENS0_17constant_iteratorIjlEEPbPlSO_S6_NS0_8equal_toIbEEEE10hipError_tPvRmT2_T3_mT4_T5_T6_T7_T8_P12ihipStream_tbENKUlT_T0_E_clISt17integral_constantIbLb1EES18_EEDaS13_S14_EUlS13_E_NS1_11comp_targetILNS1_3genE9ELNS1_11target_archE1100ELNS1_3gpuE3ELNS1_3repE0EEENS1_30default_config_static_selectorELNS0_4arch9wavefront6targetE0EEEvT1_.numbered_sgpr, 0
	.set _ZN7rocprim17ROCPRIM_400000_NS6detail17trampoline_kernelINS0_14default_configENS1_33run_length_encode_config_selectorIbjNS0_4plusIjEEEEZZNS1_33reduce_by_key_impl_wrapped_configILNS1_25lookback_scan_determinismE0ES3_S7_N6hipcub16HIPCUB_304000_NS22TransformInputIteratorIbN2at6native8internal12_GLOBAL__N_110LoadBoolOpEPKhlEENS0_17constant_iteratorIjlEEPbPlSO_S6_NS0_8equal_toIbEEEE10hipError_tPvRmT2_T3_mT4_T5_T6_T7_T8_P12ihipStream_tbENKUlT_T0_E_clISt17integral_constantIbLb1EES18_EEDaS13_S14_EUlS13_E_NS1_11comp_targetILNS1_3genE9ELNS1_11target_archE1100ELNS1_3gpuE3ELNS1_3repE0EEENS1_30default_config_static_selectorELNS0_4arch9wavefront6targetE0EEEvT1_.num_named_barrier, 0
	.set _ZN7rocprim17ROCPRIM_400000_NS6detail17trampoline_kernelINS0_14default_configENS1_33run_length_encode_config_selectorIbjNS0_4plusIjEEEEZZNS1_33reduce_by_key_impl_wrapped_configILNS1_25lookback_scan_determinismE0ES3_S7_N6hipcub16HIPCUB_304000_NS22TransformInputIteratorIbN2at6native8internal12_GLOBAL__N_110LoadBoolOpEPKhlEENS0_17constant_iteratorIjlEEPbPlSO_S6_NS0_8equal_toIbEEEE10hipError_tPvRmT2_T3_mT4_T5_T6_T7_T8_P12ihipStream_tbENKUlT_T0_E_clISt17integral_constantIbLb1EES18_EEDaS13_S14_EUlS13_E_NS1_11comp_targetILNS1_3genE9ELNS1_11target_archE1100ELNS1_3gpuE3ELNS1_3repE0EEENS1_30default_config_static_selectorELNS0_4arch9wavefront6targetE0EEEvT1_.private_seg_size, 0
	.set _ZN7rocprim17ROCPRIM_400000_NS6detail17trampoline_kernelINS0_14default_configENS1_33run_length_encode_config_selectorIbjNS0_4plusIjEEEEZZNS1_33reduce_by_key_impl_wrapped_configILNS1_25lookback_scan_determinismE0ES3_S7_N6hipcub16HIPCUB_304000_NS22TransformInputIteratorIbN2at6native8internal12_GLOBAL__N_110LoadBoolOpEPKhlEENS0_17constant_iteratorIjlEEPbPlSO_S6_NS0_8equal_toIbEEEE10hipError_tPvRmT2_T3_mT4_T5_T6_T7_T8_P12ihipStream_tbENKUlT_T0_E_clISt17integral_constantIbLb1EES18_EEDaS13_S14_EUlS13_E_NS1_11comp_targetILNS1_3genE9ELNS1_11target_archE1100ELNS1_3gpuE3ELNS1_3repE0EEENS1_30default_config_static_selectorELNS0_4arch9wavefront6targetE0EEEvT1_.uses_vcc, 0
	.set _ZN7rocprim17ROCPRIM_400000_NS6detail17trampoline_kernelINS0_14default_configENS1_33run_length_encode_config_selectorIbjNS0_4plusIjEEEEZZNS1_33reduce_by_key_impl_wrapped_configILNS1_25lookback_scan_determinismE0ES3_S7_N6hipcub16HIPCUB_304000_NS22TransformInputIteratorIbN2at6native8internal12_GLOBAL__N_110LoadBoolOpEPKhlEENS0_17constant_iteratorIjlEEPbPlSO_S6_NS0_8equal_toIbEEEE10hipError_tPvRmT2_T3_mT4_T5_T6_T7_T8_P12ihipStream_tbENKUlT_T0_E_clISt17integral_constantIbLb1EES18_EEDaS13_S14_EUlS13_E_NS1_11comp_targetILNS1_3genE9ELNS1_11target_archE1100ELNS1_3gpuE3ELNS1_3repE0EEENS1_30default_config_static_selectorELNS0_4arch9wavefront6targetE0EEEvT1_.uses_flat_scratch, 0
	.set _ZN7rocprim17ROCPRIM_400000_NS6detail17trampoline_kernelINS0_14default_configENS1_33run_length_encode_config_selectorIbjNS0_4plusIjEEEEZZNS1_33reduce_by_key_impl_wrapped_configILNS1_25lookback_scan_determinismE0ES3_S7_N6hipcub16HIPCUB_304000_NS22TransformInputIteratorIbN2at6native8internal12_GLOBAL__N_110LoadBoolOpEPKhlEENS0_17constant_iteratorIjlEEPbPlSO_S6_NS0_8equal_toIbEEEE10hipError_tPvRmT2_T3_mT4_T5_T6_T7_T8_P12ihipStream_tbENKUlT_T0_E_clISt17integral_constantIbLb1EES18_EEDaS13_S14_EUlS13_E_NS1_11comp_targetILNS1_3genE9ELNS1_11target_archE1100ELNS1_3gpuE3ELNS1_3repE0EEENS1_30default_config_static_selectorELNS0_4arch9wavefront6targetE0EEEvT1_.has_dyn_sized_stack, 0
	.set _ZN7rocprim17ROCPRIM_400000_NS6detail17trampoline_kernelINS0_14default_configENS1_33run_length_encode_config_selectorIbjNS0_4plusIjEEEEZZNS1_33reduce_by_key_impl_wrapped_configILNS1_25lookback_scan_determinismE0ES3_S7_N6hipcub16HIPCUB_304000_NS22TransformInputIteratorIbN2at6native8internal12_GLOBAL__N_110LoadBoolOpEPKhlEENS0_17constant_iteratorIjlEEPbPlSO_S6_NS0_8equal_toIbEEEE10hipError_tPvRmT2_T3_mT4_T5_T6_T7_T8_P12ihipStream_tbENKUlT_T0_E_clISt17integral_constantIbLb1EES18_EEDaS13_S14_EUlS13_E_NS1_11comp_targetILNS1_3genE9ELNS1_11target_archE1100ELNS1_3gpuE3ELNS1_3repE0EEENS1_30default_config_static_selectorELNS0_4arch9wavefront6targetE0EEEvT1_.has_recursion, 0
	.set _ZN7rocprim17ROCPRIM_400000_NS6detail17trampoline_kernelINS0_14default_configENS1_33run_length_encode_config_selectorIbjNS0_4plusIjEEEEZZNS1_33reduce_by_key_impl_wrapped_configILNS1_25lookback_scan_determinismE0ES3_S7_N6hipcub16HIPCUB_304000_NS22TransformInputIteratorIbN2at6native8internal12_GLOBAL__N_110LoadBoolOpEPKhlEENS0_17constant_iteratorIjlEEPbPlSO_S6_NS0_8equal_toIbEEEE10hipError_tPvRmT2_T3_mT4_T5_T6_T7_T8_P12ihipStream_tbENKUlT_T0_E_clISt17integral_constantIbLb1EES18_EEDaS13_S14_EUlS13_E_NS1_11comp_targetILNS1_3genE9ELNS1_11target_archE1100ELNS1_3gpuE3ELNS1_3repE0EEENS1_30default_config_static_selectorELNS0_4arch9wavefront6targetE0EEEvT1_.has_indirect_call, 0
	.section	.AMDGPU.csdata,"",@progbits
; Kernel info:
; codeLenInByte = 0
; TotalNumSgprs: 0
; NumVgprs: 0
; ScratchSize: 0
; MemoryBound: 0
; FloatMode: 240
; IeeeMode: 1
; LDSByteSize: 0 bytes/workgroup (compile time only)
; SGPRBlocks: 0
; VGPRBlocks: 0
; NumSGPRsForWavesPerEU: 1
; NumVGPRsForWavesPerEU: 1
; NamedBarCnt: 0
; Occupancy: 16
; WaveLimiterHint : 0
; COMPUTE_PGM_RSRC2:SCRATCH_EN: 0
; COMPUTE_PGM_RSRC2:USER_SGPR: 2
; COMPUTE_PGM_RSRC2:TRAP_HANDLER: 0
; COMPUTE_PGM_RSRC2:TGID_X_EN: 1
; COMPUTE_PGM_RSRC2:TGID_Y_EN: 0
; COMPUTE_PGM_RSRC2:TGID_Z_EN: 0
; COMPUTE_PGM_RSRC2:TIDIG_COMP_CNT: 0
	.section	.text._ZN7rocprim17ROCPRIM_400000_NS6detail17trampoline_kernelINS0_14default_configENS1_33run_length_encode_config_selectorIbjNS0_4plusIjEEEEZZNS1_33reduce_by_key_impl_wrapped_configILNS1_25lookback_scan_determinismE0ES3_S7_N6hipcub16HIPCUB_304000_NS22TransformInputIteratorIbN2at6native8internal12_GLOBAL__N_110LoadBoolOpEPKhlEENS0_17constant_iteratorIjlEEPbPlSO_S6_NS0_8equal_toIbEEEE10hipError_tPvRmT2_T3_mT4_T5_T6_T7_T8_P12ihipStream_tbENKUlT_T0_E_clISt17integral_constantIbLb1EES18_EEDaS13_S14_EUlS13_E_NS1_11comp_targetILNS1_3genE8ELNS1_11target_archE1030ELNS1_3gpuE2ELNS1_3repE0EEENS1_30default_config_static_selectorELNS0_4arch9wavefront6targetE0EEEvT1_,"axG",@progbits,_ZN7rocprim17ROCPRIM_400000_NS6detail17trampoline_kernelINS0_14default_configENS1_33run_length_encode_config_selectorIbjNS0_4plusIjEEEEZZNS1_33reduce_by_key_impl_wrapped_configILNS1_25lookback_scan_determinismE0ES3_S7_N6hipcub16HIPCUB_304000_NS22TransformInputIteratorIbN2at6native8internal12_GLOBAL__N_110LoadBoolOpEPKhlEENS0_17constant_iteratorIjlEEPbPlSO_S6_NS0_8equal_toIbEEEE10hipError_tPvRmT2_T3_mT4_T5_T6_T7_T8_P12ihipStream_tbENKUlT_T0_E_clISt17integral_constantIbLb1EES18_EEDaS13_S14_EUlS13_E_NS1_11comp_targetILNS1_3genE8ELNS1_11target_archE1030ELNS1_3gpuE2ELNS1_3repE0EEENS1_30default_config_static_selectorELNS0_4arch9wavefront6targetE0EEEvT1_,comdat
	.globl	_ZN7rocprim17ROCPRIM_400000_NS6detail17trampoline_kernelINS0_14default_configENS1_33run_length_encode_config_selectorIbjNS0_4plusIjEEEEZZNS1_33reduce_by_key_impl_wrapped_configILNS1_25lookback_scan_determinismE0ES3_S7_N6hipcub16HIPCUB_304000_NS22TransformInputIteratorIbN2at6native8internal12_GLOBAL__N_110LoadBoolOpEPKhlEENS0_17constant_iteratorIjlEEPbPlSO_S6_NS0_8equal_toIbEEEE10hipError_tPvRmT2_T3_mT4_T5_T6_T7_T8_P12ihipStream_tbENKUlT_T0_E_clISt17integral_constantIbLb1EES18_EEDaS13_S14_EUlS13_E_NS1_11comp_targetILNS1_3genE8ELNS1_11target_archE1030ELNS1_3gpuE2ELNS1_3repE0EEENS1_30default_config_static_selectorELNS0_4arch9wavefront6targetE0EEEvT1_ ; -- Begin function _ZN7rocprim17ROCPRIM_400000_NS6detail17trampoline_kernelINS0_14default_configENS1_33run_length_encode_config_selectorIbjNS0_4plusIjEEEEZZNS1_33reduce_by_key_impl_wrapped_configILNS1_25lookback_scan_determinismE0ES3_S7_N6hipcub16HIPCUB_304000_NS22TransformInputIteratorIbN2at6native8internal12_GLOBAL__N_110LoadBoolOpEPKhlEENS0_17constant_iteratorIjlEEPbPlSO_S6_NS0_8equal_toIbEEEE10hipError_tPvRmT2_T3_mT4_T5_T6_T7_T8_P12ihipStream_tbENKUlT_T0_E_clISt17integral_constantIbLb1EES18_EEDaS13_S14_EUlS13_E_NS1_11comp_targetILNS1_3genE8ELNS1_11target_archE1030ELNS1_3gpuE2ELNS1_3repE0EEENS1_30default_config_static_selectorELNS0_4arch9wavefront6targetE0EEEvT1_
	.p2align	8
	.type	_ZN7rocprim17ROCPRIM_400000_NS6detail17trampoline_kernelINS0_14default_configENS1_33run_length_encode_config_selectorIbjNS0_4plusIjEEEEZZNS1_33reduce_by_key_impl_wrapped_configILNS1_25lookback_scan_determinismE0ES3_S7_N6hipcub16HIPCUB_304000_NS22TransformInputIteratorIbN2at6native8internal12_GLOBAL__N_110LoadBoolOpEPKhlEENS0_17constant_iteratorIjlEEPbPlSO_S6_NS0_8equal_toIbEEEE10hipError_tPvRmT2_T3_mT4_T5_T6_T7_T8_P12ihipStream_tbENKUlT_T0_E_clISt17integral_constantIbLb1EES18_EEDaS13_S14_EUlS13_E_NS1_11comp_targetILNS1_3genE8ELNS1_11target_archE1030ELNS1_3gpuE2ELNS1_3repE0EEENS1_30default_config_static_selectorELNS0_4arch9wavefront6targetE0EEEvT1_,@function
_ZN7rocprim17ROCPRIM_400000_NS6detail17trampoline_kernelINS0_14default_configENS1_33run_length_encode_config_selectorIbjNS0_4plusIjEEEEZZNS1_33reduce_by_key_impl_wrapped_configILNS1_25lookback_scan_determinismE0ES3_S7_N6hipcub16HIPCUB_304000_NS22TransformInputIteratorIbN2at6native8internal12_GLOBAL__N_110LoadBoolOpEPKhlEENS0_17constant_iteratorIjlEEPbPlSO_S6_NS0_8equal_toIbEEEE10hipError_tPvRmT2_T3_mT4_T5_T6_T7_T8_P12ihipStream_tbENKUlT_T0_E_clISt17integral_constantIbLb1EES18_EEDaS13_S14_EUlS13_E_NS1_11comp_targetILNS1_3genE8ELNS1_11target_archE1030ELNS1_3gpuE2ELNS1_3repE0EEENS1_30default_config_static_selectorELNS0_4arch9wavefront6targetE0EEEvT1_: ; @_ZN7rocprim17ROCPRIM_400000_NS6detail17trampoline_kernelINS0_14default_configENS1_33run_length_encode_config_selectorIbjNS0_4plusIjEEEEZZNS1_33reduce_by_key_impl_wrapped_configILNS1_25lookback_scan_determinismE0ES3_S7_N6hipcub16HIPCUB_304000_NS22TransformInputIteratorIbN2at6native8internal12_GLOBAL__N_110LoadBoolOpEPKhlEENS0_17constant_iteratorIjlEEPbPlSO_S6_NS0_8equal_toIbEEEE10hipError_tPvRmT2_T3_mT4_T5_T6_T7_T8_P12ihipStream_tbENKUlT_T0_E_clISt17integral_constantIbLb1EES18_EEDaS13_S14_EUlS13_E_NS1_11comp_targetILNS1_3genE8ELNS1_11target_archE1030ELNS1_3gpuE2ELNS1_3repE0EEENS1_30default_config_static_selectorELNS0_4arch9wavefront6targetE0EEEvT1_
; %bb.0:
	.section	.rodata,"a",@progbits
	.p2align	6, 0x0
	.amdhsa_kernel _ZN7rocprim17ROCPRIM_400000_NS6detail17trampoline_kernelINS0_14default_configENS1_33run_length_encode_config_selectorIbjNS0_4plusIjEEEEZZNS1_33reduce_by_key_impl_wrapped_configILNS1_25lookback_scan_determinismE0ES3_S7_N6hipcub16HIPCUB_304000_NS22TransformInputIteratorIbN2at6native8internal12_GLOBAL__N_110LoadBoolOpEPKhlEENS0_17constant_iteratorIjlEEPbPlSO_S6_NS0_8equal_toIbEEEE10hipError_tPvRmT2_T3_mT4_T5_T6_T7_T8_P12ihipStream_tbENKUlT_T0_E_clISt17integral_constantIbLb1EES18_EEDaS13_S14_EUlS13_E_NS1_11comp_targetILNS1_3genE8ELNS1_11target_archE1030ELNS1_3gpuE2ELNS1_3repE0EEENS1_30default_config_static_selectorELNS0_4arch9wavefront6targetE0EEEvT1_
		.amdhsa_group_segment_fixed_size 0
		.amdhsa_private_segment_fixed_size 0
		.amdhsa_kernarg_size 136
		.amdhsa_user_sgpr_count 2
		.amdhsa_user_sgpr_dispatch_ptr 0
		.amdhsa_user_sgpr_queue_ptr 0
		.amdhsa_user_sgpr_kernarg_segment_ptr 1
		.amdhsa_user_sgpr_dispatch_id 0
		.amdhsa_user_sgpr_kernarg_preload_length 0
		.amdhsa_user_sgpr_kernarg_preload_offset 0
		.amdhsa_user_sgpr_private_segment_size 0
		.amdhsa_wavefront_size32 1
		.amdhsa_uses_dynamic_stack 0
		.amdhsa_enable_private_segment 0
		.amdhsa_system_sgpr_workgroup_id_x 1
		.amdhsa_system_sgpr_workgroup_id_y 0
		.amdhsa_system_sgpr_workgroup_id_z 0
		.amdhsa_system_sgpr_workgroup_info 0
		.amdhsa_system_vgpr_workitem_id 0
		.amdhsa_next_free_vgpr 1
		.amdhsa_next_free_sgpr 1
		.amdhsa_named_barrier_count 0
		.amdhsa_reserve_vcc 0
		.amdhsa_float_round_mode_32 0
		.amdhsa_float_round_mode_16_64 0
		.amdhsa_float_denorm_mode_32 3
		.amdhsa_float_denorm_mode_16_64 3
		.amdhsa_fp16_overflow 0
		.amdhsa_memory_ordered 1
		.amdhsa_forward_progress 1
		.amdhsa_inst_pref_size 0
		.amdhsa_round_robin_scheduling 0
		.amdhsa_exception_fp_ieee_invalid_op 0
		.amdhsa_exception_fp_denorm_src 0
		.amdhsa_exception_fp_ieee_div_zero 0
		.amdhsa_exception_fp_ieee_overflow 0
		.amdhsa_exception_fp_ieee_underflow 0
		.amdhsa_exception_fp_ieee_inexact 0
		.amdhsa_exception_int_div_zero 0
	.end_amdhsa_kernel
	.section	.text._ZN7rocprim17ROCPRIM_400000_NS6detail17trampoline_kernelINS0_14default_configENS1_33run_length_encode_config_selectorIbjNS0_4plusIjEEEEZZNS1_33reduce_by_key_impl_wrapped_configILNS1_25lookback_scan_determinismE0ES3_S7_N6hipcub16HIPCUB_304000_NS22TransformInputIteratorIbN2at6native8internal12_GLOBAL__N_110LoadBoolOpEPKhlEENS0_17constant_iteratorIjlEEPbPlSO_S6_NS0_8equal_toIbEEEE10hipError_tPvRmT2_T3_mT4_T5_T6_T7_T8_P12ihipStream_tbENKUlT_T0_E_clISt17integral_constantIbLb1EES18_EEDaS13_S14_EUlS13_E_NS1_11comp_targetILNS1_3genE8ELNS1_11target_archE1030ELNS1_3gpuE2ELNS1_3repE0EEENS1_30default_config_static_selectorELNS0_4arch9wavefront6targetE0EEEvT1_,"axG",@progbits,_ZN7rocprim17ROCPRIM_400000_NS6detail17trampoline_kernelINS0_14default_configENS1_33run_length_encode_config_selectorIbjNS0_4plusIjEEEEZZNS1_33reduce_by_key_impl_wrapped_configILNS1_25lookback_scan_determinismE0ES3_S7_N6hipcub16HIPCUB_304000_NS22TransformInputIteratorIbN2at6native8internal12_GLOBAL__N_110LoadBoolOpEPKhlEENS0_17constant_iteratorIjlEEPbPlSO_S6_NS0_8equal_toIbEEEE10hipError_tPvRmT2_T3_mT4_T5_T6_T7_T8_P12ihipStream_tbENKUlT_T0_E_clISt17integral_constantIbLb1EES18_EEDaS13_S14_EUlS13_E_NS1_11comp_targetILNS1_3genE8ELNS1_11target_archE1030ELNS1_3gpuE2ELNS1_3repE0EEENS1_30default_config_static_selectorELNS0_4arch9wavefront6targetE0EEEvT1_,comdat
.Lfunc_end76:
	.size	_ZN7rocprim17ROCPRIM_400000_NS6detail17trampoline_kernelINS0_14default_configENS1_33run_length_encode_config_selectorIbjNS0_4plusIjEEEEZZNS1_33reduce_by_key_impl_wrapped_configILNS1_25lookback_scan_determinismE0ES3_S7_N6hipcub16HIPCUB_304000_NS22TransformInputIteratorIbN2at6native8internal12_GLOBAL__N_110LoadBoolOpEPKhlEENS0_17constant_iteratorIjlEEPbPlSO_S6_NS0_8equal_toIbEEEE10hipError_tPvRmT2_T3_mT4_T5_T6_T7_T8_P12ihipStream_tbENKUlT_T0_E_clISt17integral_constantIbLb1EES18_EEDaS13_S14_EUlS13_E_NS1_11comp_targetILNS1_3genE8ELNS1_11target_archE1030ELNS1_3gpuE2ELNS1_3repE0EEENS1_30default_config_static_selectorELNS0_4arch9wavefront6targetE0EEEvT1_, .Lfunc_end76-_ZN7rocprim17ROCPRIM_400000_NS6detail17trampoline_kernelINS0_14default_configENS1_33run_length_encode_config_selectorIbjNS0_4plusIjEEEEZZNS1_33reduce_by_key_impl_wrapped_configILNS1_25lookback_scan_determinismE0ES3_S7_N6hipcub16HIPCUB_304000_NS22TransformInputIteratorIbN2at6native8internal12_GLOBAL__N_110LoadBoolOpEPKhlEENS0_17constant_iteratorIjlEEPbPlSO_S6_NS0_8equal_toIbEEEE10hipError_tPvRmT2_T3_mT4_T5_T6_T7_T8_P12ihipStream_tbENKUlT_T0_E_clISt17integral_constantIbLb1EES18_EEDaS13_S14_EUlS13_E_NS1_11comp_targetILNS1_3genE8ELNS1_11target_archE1030ELNS1_3gpuE2ELNS1_3repE0EEENS1_30default_config_static_selectorELNS0_4arch9wavefront6targetE0EEEvT1_
                                        ; -- End function
	.set _ZN7rocprim17ROCPRIM_400000_NS6detail17trampoline_kernelINS0_14default_configENS1_33run_length_encode_config_selectorIbjNS0_4plusIjEEEEZZNS1_33reduce_by_key_impl_wrapped_configILNS1_25lookback_scan_determinismE0ES3_S7_N6hipcub16HIPCUB_304000_NS22TransformInputIteratorIbN2at6native8internal12_GLOBAL__N_110LoadBoolOpEPKhlEENS0_17constant_iteratorIjlEEPbPlSO_S6_NS0_8equal_toIbEEEE10hipError_tPvRmT2_T3_mT4_T5_T6_T7_T8_P12ihipStream_tbENKUlT_T0_E_clISt17integral_constantIbLb1EES18_EEDaS13_S14_EUlS13_E_NS1_11comp_targetILNS1_3genE8ELNS1_11target_archE1030ELNS1_3gpuE2ELNS1_3repE0EEENS1_30default_config_static_selectorELNS0_4arch9wavefront6targetE0EEEvT1_.num_vgpr, 0
	.set _ZN7rocprim17ROCPRIM_400000_NS6detail17trampoline_kernelINS0_14default_configENS1_33run_length_encode_config_selectorIbjNS0_4plusIjEEEEZZNS1_33reduce_by_key_impl_wrapped_configILNS1_25lookback_scan_determinismE0ES3_S7_N6hipcub16HIPCUB_304000_NS22TransformInputIteratorIbN2at6native8internal12_GLOBAL__N_110LoadBoolOpEPKhlEENS0_17constant_iteratorIjlEEPbPlSO_S6_NS0_8equal_toIbEEEE10hipError_tPvRmT2_T3_mT4_T5_T6_T7_T8_P12ihipStream_tbENKUlT_T0_E_clISt17integral_constantIbLb1EES18_EEDaS13_S14_EUlS13_E_NS1_11comp_targetILNS1_3genE8ELNS1_11target_archE1030ELNS1_3gpuE2ELNS1_3repE0EEENS1_30default_config_static_selectorELNS0_4arch9wavefront6targetE0EEEvT1_.num_agpr, 0
	.set _ZN7rocprim17ROCPRIM_400000_NS6detail17trampoline_kernelINS0_14default_configENS1_33run_length_encode_config_selectorIbjNS0_4plusIjEEEEZZNS1_33reduce_by_key_impl_wrapped_configILNS1_25lookback_scan_determinismE0ES3_S7_N6hipcub16HIPCUB_304000_NS22TransformInputIteratorIbN2at6native8internal12_GLOBAL__N_110LoadBoolOpEPKhlEENS0_17constant_iteratorIjlEEPbPlSO_S6_NS0_8equal_toIbEEEE10hipError_tPvRmT2_T3_mT4_T5_T6_T7_T8_P12ihipStream_tbENKUlT_T0_E_clISt17integral_constantIbLb1EES18_EEDaS13_S14_EUlS13_E_NS1_11comp_targetILNS1_3genE8ELNS1_11target_archE1030ELNS1_3gpuE2ELNS1_3repE0EEENS1_30default_config_static_selectorELNS0_4arch9wavefront6targetE0EEEvT1_.numbered_sgpr, 0
	.set _ZN7rocprim17ROCPRIM_400000_NS6detail17trampoline_kernelINS0_14default_configENS1_33run_length_encode_config_selectorIbjNS0_4plusIjEEEEZZNS1_33reduce_by_key_impl_wrapped_configILNS1_25lookback_scan_determinismE0ES3_S7_N6hipcub16HIPCUB_304000_NS22TransformInputIteratorIbN2at6native8internal12_GLOBAL__N_110LoadBoolOpEPKhlEENS0_17constant_iteratorIjlEEPbPlSO_S6_NS0_8equal_toIbEEEE10hipError_tPvRmT2_T3_mT4_T5_T6_T7_T8_P12ihipStream_tbENKUlT_T0_E_clISt17integral_constantIbLb1EES18_EEDaS13_S14_EUlS13_E_NS1_11comp_targetILNS1_3genE8ELNS1_11target_archE1030ELNS1_3gpuE2ELNS1_3repE0EEENS1_30default_config_static_selectorELNS0_4arch9wavefront6targetE0EEEvT1_.num_named_barrier, 0
	.set _ZN7rocprim17ROCPRIM_400000_NS6detail17trampoline_kernelINS0_14default_configENS1_33run_length_encode_config_selectorIbjNS0_4plusIjEEEEZZNS1_33reduce_by_key_impl_wrapped_configILNS1_25lookback_scan_determinismE0ES3_S7_N6hipcub16HIPCUB_304000_NS22TransformInputIteratorIbN2at6native8internal12_GLOBAL__N_110LoadBoolOpEPKhlEENS0_17constant_iteratorIjlEEPbPlSO_S6_NS0_8equal_toIbEEEE10hipError_tPvRmT2_T3_mT4_T5_T6_T7_T8_P12ihipStream_tbENKUlT_T0_E_clISt17integral_constantIbLb1EES18_EEDaS13_S14_EUlS13_E_NS1_11comp_targetILNS1_3genE8ELNS1_11target_archE1030ELNS1_3gpuE2ELNS1_3repE0EEENS1_30default_config_static_selectorELNS0_4arch9wavefront6targetE0EEEvT1_.private_seg_size, 0
	.set _ZN7rocprim17ROCPRIM_400000_NS6detail17trampoline_kernelINS0_14default_configENS1_33run_length_encode_config_selectorIbjNS0_4plusIjEEEEZZNS1_33reduce_by_key_impl_wrapped_configILNS1_25lookback_scan_determinismE0ES3_S7_N6hipcub16HIPCUB_304000_NS22TransformInputIteratorIbN2at6native8internal12_GLOBAL__N_110LoadBoolOpEPKhlEENS0_17constant_iteratorIjlEEPbPlSO_S6_NS0_8equal_toIbEEEE10hipError_tPvRmT2_T3_mT4_T5_T6_T7_T8_P12ihipStream_tbENKUlT_T0_E_clISt17integral_constantIbLb1EES18_EEDaS13_S14_EUlS13_E_NS1_11comp_targetILNS1_3genE8ELNS1_11target_archE1030ELNS1_3gpuE2ELNS1_3repE0EEENS1_30default_config_static_selectorELNS0_4arch9wavefront6targetE0EEEvT1_.uses_vcc, 0
	.set _ZN7rocprim17ROCPRIM_400000_NS6detail17trampoline_kernelINS0_14default_configENS1_33run_length_encode_config_selectorIbjNS0_4plusIjEEEEZZNS1_33reduce_by_key_impl_wrapped_configILNS1_25lookback_scan_determinismE0ES3_S7_N6hipcub16HIPCUB_304000_NS22TransformInputIteratorIbN2at6native8internal12_GLOBAL__N_110LoadBoolOpEPKhlEENS0_17constant_iteratorIjlEEPbPlSO_S6_NS0_8equal_toIbEEEE10hipError_tPvRmT2_T3_mT4_T5_T6_T7_T8_P12ihipStream_tbENKUlT_T0_E_clISt17integral_constantIbLb1EES18_EEDaS13_S14_EUlS13_E_NS1_11comp_targetILNS1_3genE8ELNS1_11target_archE1030ELNS1_3gpuE2ELNS1_3repE0EEENS1_30default_config_static_selectorELNS0_4arch9wavefront6targetE0EEEvT1_.uses_flat_scratch, 0
	.set _ZN7rocprim17ROCPRIM_400000_NS6detail17trampoline_kernelINS0_14default_configENS1_33run_length_encode_config_selectorIbjNS0_4plusIjEEEEZZNS1_33reduce_by_key_impl_wrapped_configILNS1_25lookback_scan_determinismE0ES3_S7_N6hipcub16HIPCUB_304000_NS22TransformInputIteratorIbN2at6native8internal12_GLOBAL__N_110LoadBoolOpEPKhlEENS0_17constant_iteratorIjlEEPbPlSO_S6_NS0_8equal_toIbEEEE10hipError_tPvRmT2_T3_mT4_T5_T6_T7_T8_P12ihipStream_tbENKUlT_T0_E_clISt17integral_constantIbLb1EES18_EEDaS13_S14_EUlS13_E_NS1_11comp_targetILNS1_3genE8ELNS1_11target_archE1030ELNS1_3gpuE2ELNS1_3repE0EEENS1_30default_config_static_selectorELNS0_4arch9wavefront6targetE0EEEvT1_.has_dyn_sized_stack, 0
	.set _ZN7rocprim17ROCPRIM_400000_NS6detail17trampoline_kernelINS0_14default_configENS1_33run_length_encode_config_selectorIbjNS0_4plusIjEEEEZZNS1_33reduce_by_key_impl_wrapped_configILNS1_25lookback_scan_determinismE0ES3_S7_N6hipcub16HIPCUB_304000_NS22TransformInputIteratorIbN2at6native8internal12_GLOBAL__N_110LoadBoolOpEPKhlEENS0_17constant_iteratorIjlEEPbPlSO_S6_NS0_8equal_toIbEEEE10hipError_tPvRmT2_T3_mT4_T5_T6_T7_T8_P12ihipStream_tbENKUlT_T0_E_clISt17integral_constantIbLb1EES18_EEDaS13_S14_EUlS13_E_NS1_11comp_targetILNS1_3genE8ELNS1_11target_archE1030ELNS1_3gpuE2ELNS1_3repE0EEENS1_30default_config_static_selectorELNS0_4arch9wavefront6targetE0EEEvT1_.has_recursion, 0
	.set _ZN7rocprim17ROCPRIM_400000_NS6detail17trampoline_kernelINS0_14default_configENS1_33run_length_encode_config_selectorIbjNS0_4plusIjEEEEZZNS1_33reduce_by_key_impl_wrapped_configILNS1_25lookback_scan_determinismE0ES3_S7_N6hipcub16HIPCUB_304000_NS22TransformInputIteratorIbN2at6native8internal12_GLOBAL__N_110LoadBoolOpEPKhlEENS0_17constant_iteratorIjlEEPbPlSO_S6_NS0_8equal_toIbEEEE10hipError_tPvRmT2_T3_mT4_T5_T6_T7_T8_P12ihipStream_tbENKUlT_T0_E_clISt17integral_constantIbLb1EES18_EEDaS13_S14_EUlS13_E_NS1_11comp_targetILNS1_3genE8ELNS1_11target_archE1030ELNS1_3gpuE2ELNS1_3repE0EEENS1_30default_config_static_selectorELNS0_4arch9wavefront6targetE0EEEvT1_.has_indirect_call, 0
	.section	.AMDGPU.csdata,"",@progbits
; Kernel info:
; codeLenInByte = 0
; TotalNumSgprs: 0
; NumVgprs: 0
; ScratchSize: 0
; MemoryBound: 0
; FloatMode: 240
; IeeeMode: 1
; LDSByteSize: 0 bytes/workgroup (compile time only)
; SGPRBlocks: 0
; VGPRBlocks: 0
; NumSGPRsForWavesPerEU: 1
; NumVGPRsForWavesPerEU: 1
; NamedBarCnt: 0
; Occupancy: 16
; WaveLimiterHint : 0
; COMPUTE_PGM_RSRC2:SCRATCH_EN: 0
; COMPUTE_PGM_RSRC2:USER_SGPR: 2
; COMPUTE_PGM_RSRC2:TRAP_HANDLER: 0
; COMPUTE_PGM_RSRC2:TGID_X_EN: 1
; COMPUTE_PGM_RSRC2:TGID_Y_EN: 0
; COMPUTE_PGM_RSRC2:TGID_Z_EN: 0
; COMPUTE_PGM_RSRC2:TIDIG_COMP_CNT: 0
	.section	.text._ZN7rocprim17ROCPRIM_400000_NS6detail25reduce_by_key_init_kernelINS1_19lookback_scan_stateINS0_5tupleIJjjEEELb1ELb1EEEjNS1_16block_id_wrapperIjLb0EEEEEvT_jbjPmPT0_T1_,"axG",@progbits,_ZN7rocprim17ROCPRIM_400000_NS6detail25reduce_by_key_init_kernelINS1_19lookback_scan_stateINS0_5tupleIJjjEEELb1ELb1EEEjNS1_16block_id_wrapperIjLb0EEEEEvT_jbjPmPT0_T1_,comdat
	.protected	_ZN7rocprim17ROCPRIM_400000_NS6detail25reduce_by_key_init_kernelINS1_19lookback_scan_stateINS0_5tupleIJjjEEELb1ELb1EEEjNS1_16block_id_wrapperIjLb0EEEEEvT_jbjPmPT0_T1_ ; -- Begin function _ZN7rocprim17ROCPRIM_400000_NS6detail25reduce_by_key_init_kernelINS1_19lookback_scan_stateINS0_5tupleIJjjEEELb1ELb1EEEjNS1_16block_id_wrapperIjLb0EEEEEvT_jbjPmPT0_T1_
	.globl	_ZN7rocprim17ROCPRIM_400000_NS6detail25reduce_by_key_init_kernelINS1_19lookback_scan_stateINS0_5tupleIJjjEEELb1ELb1EEEjNS1_16block_id_wrapperIjLb0EEEEEvT_jbjPmPT0_T1_
	.p2align	8
	.type	_ZN7rocprim17ROCPRIM_400000_NS6detail25reduce_by_key_init_kernelINS1_19lookback_scan_stateINS0_5tupleIJjjEEELb1ELb1EEEjNS1_16block_id_wrapperIjLb0EEEEEvT_jbjPmPT0_T1_,@function
_ZN7rocprim17ROCPRIM_400000_NS6detail25reduce_by_key_init_kernelINS1_19lookback_scan_stateINS0_5tupleIJjjEEELb1ELb1EEEjNS1_16block_id_wrapperIjLb0EEEEEvT_jbjPmPT0_T1_: ; @_ZN7rocprim17ROCPRIM_400000_NS6detail25reduce_by_key_init_kernelINS1_19lookback_scan_stateINS0_5tupleIJjjEEELb1ELb1EEEjNS1_16block_id_wrapperIjLb0EEEEEvT_jbjPmPT0_T1_
; %bb.0:
	s_clause 0x3
	s_load_b96 s[8:10], s[0:1], 0x8
	s_load_b32 s11, s[0:1], 0x3c
	s_load_b64 s[2:3], s[0:1], 0x0
	s_load_b128 s[4:7], s[0:1], 0x18
	s_wait_xcnt 0x0
	s_bfe_u32 s0, ttmp6, 0x4000c
	s_and_b32 s1, ttmp6, 15
	s_add_co_i32 s0, s0, 1
	s_getreg_b32 s12, hwreg(HW_REG_IB_STS2, 6, 4)
	s_mul_i32 s0, ttmp9, s0
	s_delay_alu instid0(SALU_CYCLE_1)
	s_add_co_i32 s1, s1, s0
	s_wait_kmcnt 0x0
	s_and_b32 s9, s9, 1
	s_and_b32 s11, s11, 0xffff
	s_cmp_eq_u32 s12, 0
	s_cselect_b32 s0, ttmp9, s1
	s_cmp_eq_u32 s9, 0
	v_mad_u32 v8, s0, s11, v0
	s_mov_b32 s0, -1
	s_cbranch_scc1 .LBB77_7
; %bb.1:
	s_and_not1_b32 vcc_lo, exec_lo, s0
	s_cbranch_vccz .LBB77_16
.LBB77_2:
	s_mov_b32 s0, exec_lo
	s_delay_alu instid0(VALU_DEP_1)
	v_cmpx_gt_u32_e64 s8, v8
	s_cbranch_execz .LBB77_4
.LBB77_3:
	v_dual_mov_b32 v0, 0 :: v_dual_add_nc_u32 v4, 32, v8
	s_delay_alu instid0(VALU_DEP_1)
	v_dual_mov_b32 v1, v0 :: v_dual_mov_b32 v2, v0
	v_mov_b32_e32 v3, v0
	global_store_b128 v4, v[0:3], s[2:3] scale_offset
.LBB77_4:
	s_wait_xcnt 0x0
	s_or_b32 exec_lo, exec_lo, s0
	s_delay_alu instid0(SALU_CYCLE_1)
	s_mov_b32 s0, exec_lo
	v_cmpx_gt_u32_e32 32, v8
	s_cbranch_execz .LBB77_6
; %bb.5:
	v_mov_b32_e32 v0, 0
	s_delay_alu instid0(VALU_DEP_1)
	v_dual_mov_b32 v2, 0xff :: v_dual_mov_b32 v1, v0
	v_mov_b32_e32 v3, v0
	global_store_b128 v8, v[0:3], s[2:3] scale_offset
.LBB77_6:
	s_endpgm
.LBB77_7:
	s_cmp_lt_u32 s10, s8
	s_mov_b32 s9, exec_lo
	s_cselect_b32 s0, s10, 0
	s_delay_alu instid0(VALU_DEP_1) | instid1(SALU_CYCLE_1)
	v_cmpx_eq_u32_e64 s0, v8
	s_cbranch_execz .LBB77_15
; %bb.8:
	s_add_co_i32 s0, s10, 32
	s_mov_b32 s1, 0
	v_mov_b32_e32 v5, 0
	s_lshl_b64 s[10:11], s[0:1], 4
	s_mov_b32 s0, exec_lo
	s_add_nc_u64 s[10:11], s[2:3], s[10:11]
	s_delay_alu instid0(SALU_CYCLE_1) | instskip(SKIP_2) | instid1(VALU_DEP_1)
	v_mov_b64_e32 v[0:1], s[10:11]
	;;#ASMSTART
	global_load_b128 v[0:3], v[0:1] off scope:SCOPE_DEV	
s_wait_loadcnt 0x0
	;;#ASMEND
	v_and_b32_e32 v4, 0xff, v2
	v_cmpx_eq_u64_e32 0, v[4:5]
	s_cbranch_execz .LBB77_14
; %bb.9:
	v_mov_b64_e32 v[6:7], s[10:11]
	s_mov_b32 s10, 1
.LBB77_10:                              ; =>This Loop Header: Depth=1
                                        ;     Child Loop BB77_11 Depth 2
	s_delay_alu instid0(SALU_CYCLE_1)
	s_mov_b32 s11, s10
.LBB77_11:                              ;   Parent Loop BB77_10 Depth=1
                                        ; =>  This Inner Loop Header: Depth=2
	s_delay_alu instid0(SALU_CYCLE_1)
	s_add_co_i32 s11, s11, -1
	s_sleep 1
	s_cmp_eq_u32 s11, 0
	s_cbranch_scc0 .LBB77_11
; %bb.12:                               ;   in Loop: Header=BB77_10 Depth=1
	;;#ASMSTART
	global_load_b128 v[0:3], v[6:7] off scope:SCOPE_DEV	
s_wait_loadcnt 0x0
	;;#ASMEND
	v_and_b32_e32 v4, 0xff, v2
	s_cmp_lt_u32 s10, 32
	s_cselect_b32 s11, -1, 0
	s_delay_alu instid0(VALU_DEP_1) | instskip(SKIP_3) | instid1(SALU_CYCLE_1)
	v_cmp_ne_u64_e32 vcc_lo, 0, v[4:5]
	s_cmp_lg_u32 s11, 0
	s_add_co_ci_u32 s10, s10, 0
	s_or_b32 s1, vcc_lo, s1
	s_and_not1_b32 exec_lo, exec_lo, s1
	s_cbranch_execnz .LBB77_10
; %bb.13:
	s_or_b32 exec_lo, exec_lo, s1
.LBB77_14:
	s_delay_alu instid0(SALU_CYCLE_1) | instskip(NEXT) | instid1(VALU_DEP_3)
	s_or_b32 exec_lo, exec_lo, s0
	v_dual_mov_b32 v3, 0 :: v_dual_mov_b32 v2, v0
	global_load_b64 v[4:5], v3, s[4:5]
	s_wait_loadcnt 0x0
	v_add_nc_u64_e32 v[4:5], v[4:5], v[2:3]
	s_clause 0x1
	global_store_b64 v3, v[4:5], s[4:5]
	global_store_b32 v3, v1, s[6:7]
.LBB77_15:
	s_wait_xcnt 0x0
	s_or_b32 exec_lo, exec_lo, s9
	s_cbranch_execnz .LBB77_2
.LBB77_16:
	s_delay_alu instid0(VALU_DEP_1) | instskip(SKIP_2) | instid1(SALU_CYCLE_1)
	v_cmp_eq_u32_e32 vcc_lo, 0, v8
	s_cmp_lg_u64 s[4:5], 0
	s_cselect_b32 s0, -1, 0
	s_and_b32 s1, s0, vcc_lo
	s_delay_alu instid0(SALU_CYCLE_1)
	s_and_saveexec_b32 s0, s1
	s_cbranch_execz .LBB77_18
; %bb.17:
	v_mov_b64_e32 v[0:1], 0
	v_mov_b32_e32 v2, 0
	global_store_b64 v2, v[0:1], s[4:5]
.LBB77_18:
	s_wait_xcnt 0x0
	s_or_b32 exec_lo, exec_lo, s0
	s_delay_alu instid0(SALU_CYCLE_1)
	s_mov_b32 s0, exec_lo
	v_cmpx_gt_u32_e64 s8, v8
	s_cbranch_execnz .LBB77_3
	s_branch .LBB77_4
	.section	.rodata,"a",@progbits
	.p2align	6, 0x0
	.amdhsa_kernel _ZN7rocprim17ROCPRIM_400000_NS6detail25reduce_by_key_init_kernelINS1_19lookback_scan_stateINS0_5tupleIJjjEEELb1ELb1EEEjNS1_16block_id_wrapperIjLb0EEEEEvT_jbjPmPT0_T1_
		.amdhsa_group_segment_fixed_size 0
		.amdhsa_private_segment_fixed_size 0
		.amdhsa_kernarg_size 304
		.amdhsa_user_sgpr_count 2
		.amdhsa_user_sgpr_dispatch_ptr 0
		.amdhsa_user_sgpr_queue_ptr 0
		.amdhsa_user_sgpr_kernarg_segment_ptr 1
		.amdhsa_user_sgpr_dispatch_id 0
		.amdhsa_user_sgpr_kernarg_preload_length 0
		.amdhsa_user_sgpr_kernarg_preload_offset 0
		.amdhsa_user_sgpr_private_segment_size 0
		.amdhsa_wavefront_size32 1
		.amdhsa_uses_dynamic_stack 0
		.amdhsa_enable_private_segment 0
		.amdhsa_system_sgpr_workgroup_id_x 1
		.amdhsa_system_sgpr_workgroup_id_y 0
		.amdhsa_system_sgpr_workgroup_id_z 0
		.amdhsa_system_sgpr_workgroup_info 0
		.amdhsa_system_vgpr_workitem_id 0
		.amdhsa_next_free_vgpr 9
		.amdhsa_next_free_sgpr 13
		.amdhsa_named_barrier_count 0
		.amdhsa_reserve_vcc 1
		.amdhsa_float_round_mode_32 0
		.amdhsa_float_round_mode_16_64 0
		.amdhsa_float_denorm_mode_32 3
		.amdhsa_float_denorm_mode_16_64 3
		.amdhsa_fp16_overflow 0
		.amdhsa_memory_ordered 1
		.amdhsa_forward_progress 1
		.amdhsa_inst_pref_size 5
		.amdhsa_round_robin_scheduling 0
		.amdhsa_exception_fp_ieee_invalid_op 0
		.amdhsa_exception_fp_denorm_src 0
		.amdhsa_exception_fp_ieee_div_zero 0
		.amdhsa_exception_fp_ieee_overflow 0
		.amdhsa_exception_fp_ieee_underflow 0
		.amdhsa_exception_fp_ieee_inexact 0
		.amdhsa_exception_int_div_zero 0
	.end_amdhsa_kernel
	.section	.text._ZN7rocprim17ROCPRIM_400000_NS6detail25reduce_by_key_init_kernelINS1_19lookback_scan_stateINS0_5tupleIJjjEEELb1ELb1EEEjNS1_16block_id_wrapperIjLb0EEEEEvT_jbjPmPT0_T1_,"axG",@progbits,_ZN7rocprim17ROCPRIM_400000_NS6detail25reduce_by_key_init_kernelINS1_19lookback_scan_stateINS0_5tupleIJjjEEELb1ELb1EEEjNS1_16block_id_wrapperIjLb0EEEEEvT_jbjPmPT0_T1_,comdat
.Lfunc_end77:
	.size	_ZN7rocprim17ROCPRIM_400000_NS6detail25reduce_by_key_init_kernelINS1_19lookback_scan_stateINS0_5tupleIJjjEEELb1ELb1EEEjNS1_16block_id_wrapperIjLb0EEEEEvT_jbjPmPT0_T1_, .Lfunc_end77-_ZN7rocprim17ROCPRIM_400000_NS6detail25reduce_by_key_init_kernelINS1_19lookback_scan_stateINS0_5tupleIJjjEEELb1ELb1EEEjNS1_16block_id_wrapperIjLb0EEEEEvT_jbjPmPT0_T1_
                                        ; -- End function
	.set _ZN7rocprim17ROCPRIM_400000_NS6detail25reduce_by_key_init_kernelINS1_19lookback_scan_stateINS0_5tupleIJjjEEELb1ELb1EEEjNS1_16block_id_wrapperIjLb0EEEEEvT_jbjPmPT0_T1_.num_vgpr, 9
	.set _ZN7rocprim17ROCPRIM_400000_NS6detail25reduce_by_key_init_kernelINS1_19lookback_scan_stateINS0_5tupleIJjjEEELb1ELb1EEEjNS1_16block_id_wrapperIjLb0EEEEEvT_jbjPmPT0_T1_.num_agpr, 0
	.set _ZN7rocprim17ROCPRIM_400000_NS6detail25reduce_by_key_init_kernelINS1_19lookback_scan_stateINS0_5tupleIJjjEEELb1ELb1EEEjNS1_16block_id_wrapperIjLb0EEEEEvT_jbjPmPT0_T1_.numbered_sgpr, 13
	.set _ZN7rocprim17ROCPRIM_400000_NS6detail25reduce_by_key_init_kernelINS1_19lookback_scan_stateINS0_5tupleIJjjEEELb1ELb1EEEjNS1_16block_id_wrapperIjLb0EEEEEvT_jbjPmPT0_T1_.num_named_barrier, 0
	.set _ZN7rocprim17ROCPRIM_400000_NS6detail25reduce_by_key_init_kernelINS1_19lookback_scan_stateINS0_5tupleIJjjEEELb1ELb1EEEjNS1_16block_id_wrapperIjLb0EEEEEvT_jbjPmPT0_T1_.private_seg_size, 0
	.set _ZN7rocprim17ROCPRIM_400000_NS6detail25reduce_by_key_init_kernelINS1_19lookback_scan_stateINS0_5tupleIJjjEEELb1ELb1EEEjNS1_16block_id_wrapperIjLb0EEEEEvT_jbjPmPT0_T1_.uses_vcc, 1
	.set _ZN7rocprim17ROCPRIM_400000_NS6detail25reduce_by_key_init_kernelINS1_19lookback_scan_stateINS0_5tupleIJjjEEELb1ELb1EEEjNS1_16block_id_wrapperIjLb0EEEEEvT_jbjPmPT0_T1_.uses_flat_scratch, 0
	.set _ZN7rocprim17ROCPRIM_400000_NS6detail25reduce_by_key_init_kernelINS1_19lookback_scan_stateINS0_5tupleIJjjEEELb1ELb1EEEjNS1_16block_id_wrapperIjLb0EEEEEvT_jbjPmPT0_T1_.has_dyn_sized_stack, 0
	.set _ZN7rocprim17ROCPRIM_400000_NS6detail25reduce_by_key_init_kernelINS1_19lookback_scan_stateINS0_5tupleIJjjEEELb1ELb1EEEjNS1_16block_id_wrapperIjLb0EEEEEvT_jbjPmPT0_T1_.has_recursion, 0
	.set _ZN7rocprim17ROCPRIM_400000_NS6detail25reduce_by_key_init_kernelINS1_19lookback_scan_stateINS0_5tupleIJjjEEELb1ELb1EEEjNS1_16block_id_wrapperIjLb0EEEEEvT_jbjPmPT0_T1_.has_indirect_call, 0
	.section	.AMDGPU.csdata,"",@progbits
; Kernel info:
; codeLenInByte = 568
; TotalNumSgprs: 15
; NumVgprs: 9
; ScratchSize: 0
; MemoryBound: 0
; FloatMode: 240
; IeeeMode: 1
; LDSByteSize: 0 bytes/workgroup (compile time only)
; SGPRBlocks: 0
; VGPRBlocks: 0
; NumSGPRsForWavesPerEU: 15
; NumVGPRsForWavesPerEU: 9
; NamedBarCnt: 0
; Occupancy: 16
; WaveLimiterHint : 0
; COMPUTE_PGM_RSRC2:SCRATCH_EN: 0
; COMPUTE_PGM_RSRC2:USER_SGPR: 2
; COMPUTE_PGM_RSRC2:TRAP_HANDLER: 0
; COMPUTE_PGM_RSRC2:TGID_X_EN: 1
; COMPUTE_PGM_RSRC2:TGID_Y_EN: 0
; COMPUTE_PGM_RSRC2:TGID_Z_EN: 0
; COMPUTE_PGM_RSRC2:TIDIG_COMP_CNT: 0
	.section	.text._ZN7rocprim17ROCPRIM_400000_NS6detail17trampoline_kernelINS0_14default_configENS1_33run_length_encode_config_selectorIbjNS0_4plusIjEEEEZZNS1_33reduce_by_key_impl_wrapped_configILNS1_25lookback_scan_determinismE0ES3_S7_N6hipcub16HIPCUB_304000_NS22TransformInputIteratorIbN2at6native8internal12_GLOBAL__N_110LoadBoolOpEPKhlEENS0_17constant_iteratorIjlEEPbPlSO_S6_NS0_8equal_toIbEEEE10hipError_tPvRmT2_T3_mT4_T5_T6_T7_T8_P12ihipStream_tbENKUlT_T0_E_clISt17integral_constantIbLb1EES17_IbLb0EEEEDaS13_S14_EUlS13_E_NS1_11comp_targetILNS1_3genE0ELNS1_11target_archE4294967295ELNS1_3gpuE0ELNS1_3repE0EEENS1_30default_config_static_selectorELNS0_4arch9wavefront6targetE0EEEvT1_,"axG",@progbits,_ZN7rocprim17ROCPRIM_400000_NS6detail17trampoline_kernelINS0_14default_configENS1_33run_length_encode_config_selectorIbjNS0_4plusIjEEEEZZNS1_33reduce_by_key_impl_wrapped_configILNS1_25lookback_scan_determinismE0ES3_S7_N6hipcub16HIPCUB_304000_NS22TransformInputIteratorIbN2at6native8internal12_GLOBAL__N_110LoadBoolOpEPKhlEENS0_17constant_iteratorIjlEEPbPlSO_S6_NS0_8equal_toIbEEEE10hipError_tPvRmT2_T3_mT4_T5_T6_T7_T8_P12ihipStream_tbENKUlT_T0_E_clISt17integral_constantIbLb1EES17_IbLb0EEEEDaS13_S14_EUlS13_E_NS1_11comp_targetILNS1_3genE0ELNS1_11target_archE4294967295ELNS1_3gpuE0ELNS1_3repE0EEENS1_30default_config_static_selectorELNS0_4arch9wavefront6targetE0EEEvT1_,comdat
	.globl	_ZN7rocprim17ROCPRIM_400000_NS6detail17trampoline_kernelINS0_14default_configENS1_33run_length_encode_config_selectorIbjNS0_4plusIjEEEEZZNS1_33reduce_by_key_impl_wrapped_configILNS1_25lookback_scan_determinismE0ES3_S7_N6hipcub16HIPCUB_304000_NS22TransformInputIteratorIbN2at6native8internal12_GLOBAL__N_110LoadBoolOpEPKhlEENS0_17constant_iteratorIjlEEPbPlSO_S6_NS0_8equal_toIbEEEE10hipError_tPvRmT2_T3_mT4_T5_T6_T7_T8_P12ihipStream_tbENKUlT_T0_E_clISt17integral_constantIbLb1EES17_IbLb0EEEEDaS13_S14_EUlS13_E_NS1_11comp_targetILNS1_3genE0ELNS1_11target_archE4294967295ELNS1_3gpuE0ELNS1_3repE0EEENS1_30default_config_static_selectorELNS0_4arch9wavefront6targetE0EEEvT1_ ; -- Begin function _ZN7rocprim17ROCPRIM_400000_NS6detail17trampoline_kernelINS0_14default_configENS1_33run_length_encode_config_selectorIbjNS0_4plusIjEEEEZZNS1_33reduce_by_key_impl_wrapped_configILNS1_25lookback_scan_determinismE0ES3_S7_N6hipcub16HIPCUB_304000_NS22TransformInputIteratorIbN2at6native8internal12_GLOBAL__N_110LoadBoolOpEPKhlEENS0_17constant_iteratorIjlEEPbPlSO_S6_NS0_8equal_toIbEEEE10hipError_tPvRmT2_T3_mT4_T5_T6_T7_T8_P12ihipStream_tbENKUlT_T0_E_clISt17integral_constantIbLb1EES17_IbLb0EEEEDaS13_S14_EUlS13_E_NS1_11comp_targetILNS1_3genE0ELNS1_11target_archE4294967295ELNS1_3gpuE0ELNS1_3repE0EEENS1_30default_config_static_selectorELNS0_4arch9wavefront6targetE0EEEvT1_
	.p2align	8
	.type	_ZN7rocprim17ROCPRIM_400000_NS6detail17trampoline_kernelINS0_14default_configENS1_33run_length_encode_config_selectorIbjNS0_4plusIjEEEEZZNS1_33reduce_by_key_impl_wrapped_configILNS1_25lookback_scan_determinismE0ES3_S7_N6hipcub16HIPCUB_304000_NS22TransformInputIteratorIbN2at6native8internal12_GLOBAL__N_110LoadBoolOpEPKhlEENS0_17constant_iteratorIjlEEPbPlSO_S6_NS0_8equal_toIbEEEE10hipError_tPvRmT2_T3_mT4_T5_T6_T7_T8_P12ihipStream_tbENKUlT_T0_E_clISt17integral_constantIbLb1EES17_IbLb0EEEEDaS13_S14_EUlS13_E_NS1_11comp_targetILNS1_3genE0ELNS1_11target_archE4294967295ELNS1_3gpuE0ELNS1_3repE0EEENS1_30default_config_static_selectorELNS0_4arch9wavefront6targetE0EEEvT1_,@function
_ZN7rocprim17ROCPRIM_400000_NS6detail17trampoline_kernelINS0_14default_configENS1_33run_length_encode_config_selectorIbjNS0_4plusIjEEEEZZNS1_33reduce_by_key_impl_wrapped_configILNS1_25lookback_scan_determinismE0ES3_S7_N6hipcub16HIPCUB_304000_NS22TransformInputIteratorIbN2at6native8internal12_GLOBAL__N_110LoadBoolOpEPKhlEENS0_17constant_iteratorIjlEEPbPlSO_S6_NS0_8equal_toIbEEEE10hipError_tPvRmT2_T3_mT4_T5_T6_T7_T8_P12ihipStream_tbENKUlT_T0_E_clISt17integral_constantIbLb1EES17_IbLb0EEEEDaS13_S14_EUlS13_E_NS1_11comp_targetILNS1_3genE0ELNS1_11target_archE4294967295ELNS1_3gpuE0ELNS1_3repE0EEENS1_30default_config_static_selectorELNS0_4arch9wavefront6targetE0EEEvT1_: ; @_ZN7rocprim17ROCPRIM_400000_NS6detail17trampoline_kernelINS0_14default_configENS1_33run_length_encode_config_selectorIbjNS0_4plusIjEEEEZZNS1_33reduce_by_key_impl_wrapped_configILNS1_25lookback_scan_determinismE0ES3_S7_N6hipcub16HIPCUB_304000_NS22TransformInputIteratorIbN2at6native8internal12_GLOBAL__N_110LoadBoolOpEPKhlEENS0_17constant_iteratorIjlEEPbPlSO_S6_NS0_8equal_toIbEEEE10hipError_tPvRmT2_T3_mT4_T5_T6_T7_T8_P12ihipStream_tbENKUlT_T0_E_clISt17integral_constantIbLb1EES17_IbLb0EEEEDaS13_S14_EUlS13_E_NS1_11comp_targetILNS1_3genE0ELNS1_11target_archE4294967295ELNS1_3gpuE0ELNS1_3repE0EEENS1_30default_config_static_selectorELNS0_4arch9wavefront6targetE0EEEvT1_
; %bb.0:
	s_endpgm
	.section	.rodata,"a",@progbits
	.p2align	6, 0x0
	.amdhsa_kernel _ZN7rocprim17ROCPRIM_400000_NS6detail17trampoline_kernelINS0_14default_configENS1_33run_length_encode_config_selectorIbjNS0_4plusIjEEEEZZNS1_33reduce_by_key_impl_wrapped_configILNS1_25lookback_scan_determinismE0ES3_S7_N6hipcub16HIPCUB_304000_NS22TransformInputIteratorIbN2at6native8internal12_GLOBAL__N_110LoadBoolOpEPKhlEENS0_17constant_iteratorIjlEEPbPlSO_S6_NS0_8equal_toIbEEEE10hipError_tPvRmT2_T3_mT4_T5_T6_T7_T8_P12ihipStream_tbENKUlT_T0_E_clISt17integral_constantIbLb1EES17_IbLb0EEEEDaS13_S14_EUlS13_E_NS1_11comp_targetILNS1_3genE0ELNS1_11target_archE4294967295ELNS1_3gpuE0ELNS1_3repE0EEENS1_30default_config_static_selectorELNS0_4arch9wavefront6targetE0EEEvT1_
		.amdhsa_group_segment_fixed_size 0
		.amdhsa_private_segment_fixed_size 0
		.amdhsa_kernarg_size 136
		.amdhsa_user_sgpr_count 2
		.amdhsa_user_sgpr_dispatch_ptr 0
		.amdhsa_user_sgpr_queue_ptr 0
		.amdhsa_user_sgpr_kernarg_segment_ptr 1
		.amdhsa_user_sgpr_dispatch_id 0
		.amdhsa_user_sgpr_kernarg_preload_length 0
		.amdhsa_user_sgpr_kernarg_preload_offset 0
		.amdhsa_user_sgpr_private_segment_size 0
		.amdhsa_wavefront_size32 1
		.amdhsa_uses_dynamic_stack 0
		.amdhsa_enable_private_segment 0
		.amdhsa_system_sgpr_workgroup_id_x 1
		.amdhsa_system_sgpr_workgroup_id_y 0
		.amdhsa_system_sgpr_workgroup_id_z 0
		.amdhsa_system_sgpr_workgroup_info 0
		.amdhsa_system_vgpr_workitem_id 0
		.amdhsa_next_free_vgpr 1
		.amdhsa_next_free_sgpr 1
		.amdhsa_named_barrier_count 0
		.amdhsa_reserve_vcc 0
		.amdhsa_float_round_mode_32 0
		.amdhsa_float_round_mode_16_64 0
		.amdhsa_float_denorm_mode_32 3
		.amdhsa_float_denorm_mode_16_64 3
		.amdhsa_fp16_overflow 0
		.amdhsa_memory_ordered 1
		.amdhsa_forward_progress 1
		.amdhsa_inst_pref_size 1
		.amdhsa_round_robin_scheduling 0
		.amdhsa_exception_fp_ieee_invalid_op 0
		.amdhsa_exception_fp_denorm_src 0
		.amdhsa_exception_fp_ieee_div_zero 0
		.amdhsa_exception_fp_ieee_overflow 0
		.amdhsa_exception_fp_ieee_underflow 0
		.amdhsa_exception_fp_ieee_inexact 0
		.amdhsa_exception_int_div_zero 0
	.end_amdhsa_kernel
	.section	.text._ZN7rocprim17ROCPRIM_400000_NS6detail17trampoline_kernelINS0_14default_configENS1_33run_length_encode_config_selectorIbjNS0_4plusIjEEEEZZNS1_33reduce_by_key_impl_wrapped_configILNS1_25lookback_scan_determinismE0ES3_S7_N6hipcub16HIPCUB_304000_NS22TransformInputIteratorIbN2at6native8internal12_GLOBAL__N_110LoadBoolOpEPKhlEENS0_17constant_iteratorIjlEEPbPlSO_S6_NS0_8equal_toIbEEEE10hipError_tPvRmT2_T3_mT4_T5_T6_T7_T8_P12ihipStream_tbENKUlT_T0_E_clISt17integral_constantIbLb1EES17_IbLb0EEEEDaS13_S14_EUlS13_E_NS1_11comp_targetILNS1_3genE0ELNS1_11target_archE4294967295ELNS1_3gpuE0ELNS1_3repE0EEENS1_30default_config_static_selectorELNS0_4arch9wavefront6targetE0EEEvT1_,"axG",@progbits,_ZN7rocprim17ROCPRIM_400000_NS6detail17trampoline_kernelINS0_14default_configENS1_33run_length_encode_config_selectorIbjNS0_4plusIjEEEEZZNS1_33reduce_by_key_impl_wrapped_configILNS1_25lookback_scan_determinismE0ES3_S7_N6hipcub16HIPCUB_304000_NS22TransformInputIteratorIbN2at6native8internal12_GLOBAL__N_110LoadBoolOpEPKhlEENS0_17constant_iteratorIjlEEPbPlSO_S6_NS0_8equal_toIbEEEE10hipError_tPvRmT2_T3_mT4_T5_T6_T7_T8_P12ihipStream_tbENKUlT_T0_E_clISt17integral_constantIbLb1EES17_IbLb0EEEEDaS13_S14_EUlS13_E_NS1_11comp_targetILNS1_3genE0ELNS1_11target_archE4294967295ELNS1_3gpuE0ELNS1_3repE0EEENS1_30default_config_static_selectorELNS0_4arch9wavefront6targetE0EEEvT1_,comdat
.Lfunc_end78:
	.size	_ZN7rocprim17ROCPRIM_400000_NS6detail17trampoline_kernelINS0_14default_configENS1_33run_length_encode_config_selectorIbjNS0_4plusIjEEEEZZNS1_33reduce_by_key_impl_wrapped_configILNS1_25lookback_scan_determinismE0ES3_S7_N6hipcub16HIPCUB_304000_NS22TransformInputIteratorIbN2at6native8internal12_GLOBAL__N_110LoadBoolOpEPKhlEENS0_17constant_iteratorIjlEEPbPlSO_S6_NS0_8equal_toIbEEEE10hipError_tPvRmT2_T3_mT4_T5_T6_T7_T8_P12ihipStream_tbENKUlT_T0_E_clISt17integral_constantIbLb1EES17_IbLb0EEEEDaS13_S14_EUlS13_E_NS1_11comp_targetILNS1_3genE0ELNS1_11target_archE4294967295ELNS1_3gpuE0ELNS1_3repE0EEENS1_30default_config_static_selectorELNS0_4arch9wavefront6targetE0EEEvT1_, .Lfunc_end78-_ZN7rocprim17ROCPRIM_400000_NS6detail17trampoline_kernelINS0_14default_configENS1_33run_length_encode_config_selectorIbjNS0_4plusIjEEEEZZNS1_33reduce_by_key_impl_wrapped_configILNS1_25lookback_scan_determinismE0ES3_S7_N6hipcub16HIPCUB_304000_NS22TransformInputIteratorIbN2at6native8internal12_GLOBAL__N_110LoadBoolOpEPKhlEENS0_17constant_iteratorIjlEEPbPlSO_S6_NS0_8equal_toIbEEEE10hipError_tPvRmT2_T3_mT4_T5_T6_T7_T8_P12ihipStream_tbENKUlT_T0_E_clISt17integral_constantIbLb1EES17_IbLb0EEEEDaS13_S14_EUlS13_E_NS1_11comp_targetILNS1_3genE0ELNS1_11target_archE4294967295ELNS1_3gpuE0ELNS1_3repE0EEENS1_30default_config_static_selectorELNS0_4arch9wavefront6targetE0EEEvT1_
                                        ; -- End function
	.set _ZN7rocprim17ROCPRIM_400000_NS6detail17trampoline_kernelINS0_14default_configENS1_33run_length_encode_config_selectorIbjNS0_4plusIjEEEEZZNS1_33reduce_by_key_impl_wrapped_configILNS1_25lookback_scan_determinismE0ES3_S7_N6hipcub16HIPCUB_304000_NS22TransformInputIteratorIbN2at6native8internal12_GLOBAL__N_110LoadBoolOpEPKhlEENS0_17constant_iteratorIjlEEPbPlSO_S6_NS0_8equal_toIbEEEE10hipError_tPvRmT2_T3_mT4_T5_T6_T7_T8_P12ihipStream_tbENKUlT_T0_E_clISt17integral_constantIbLb1EES17_IbLb0EEEEDaS13_S14_EUlS13_E_NS1_11comp_targetILNS1_3genE0ELNS1_11target_archE4294967295ELNS1_3gpuE0ELNS1_3repE0EEENS1_30default_config_static_selectorELNS0_4arch9wavefront6targetE0EEEvT1_.num_vgpr, 0
	.set _ZN7rocprim17ROCPRIM_400000_NS6detail17trampoline_kernelINS0_14default_configENS1_33run_length_encode_config_selectorIbjNS0_4plusIjEEEEZZNS1_33reduce_by_key_impl_wrapped_configILNS1_25lookback_scan_determinismE0ES3_S7_N6hipcub16HIPCUB_304000_NS22TransformInputIteratorIbN2at6native8internal12_GLOBAL__N_110LoadBoolOpEPKhlEENS0_17constant_iteratorIjlEEPbPlSO_S6_NS0_8equal_toIbEEEE10hipError_tPvRmT2_T3_mT4_T5_T6_T7_T8_P12ihipStream_tbENKUlT_T0_E_clISt17integral_constantIbLb1EES17_IbLb0EEEEDaS13_S14_EUlS13_E_NS1_11comp_targetILNS1_3genE0ELNS1_11target_archE4294967295ELNS1_3gpuE0ELNS1_3repE0EEENS1_30default_config_static_selectorELNS0_4arch9wavefront6targetE0EEEvT1_.num_agpr, 0
	.set _ZN7rocprim17ROCPRIM_400000_NS6detail17trampoline_kernelINS0_14default_configENS1_33run_length_encode_config_selectorIbjNS0_4plusIjEEEEZZNS1_33reduce_by_key_impl_wrapped_configILNS1_25lookback_scan_determinismE0ES3_S7_N6hipcub16HIPCUB_304000_NS22TransformInputIteratorIbN2at6native8internal12_GLOBAL__N_110LoadBoolOpEPKhlEENS0_17constant_iteratorIjlEEPbPlSO_S6_NS0_8equal_toIbEEEE10hipError_tPvRmT2_T3_mT4_T5_T6_T7_T8_P12ihipStream_tbENKUlT_T0_E_clISt17integral_constantIbLb1EES17_IbLb0EEEEDaS13_S14_EUlS13_E_NS1_11comp_targetILNS1_3genE0ELNS1_11target_archE4294967295ELNS1_3gpuE0ELNS1_3repE0EEENS1_30default_config_static_selectorELNS0_4arch9wavefront6targetE0EEEvT1_.numbered_sgpr, 0
	.set _ZN7rocprim17ROCPRIM_400000_NS6detail17trampoline_kernelINS0_14default_configENS1_33run_length_encode_config_selectorIbjNS0_4plusIjEEEEZZNS1_33reduce_by_key_impl_wrapped_configILNS1_25lookback_scan_determinismE0ES3_S7_N6hipcub16HIPCUB_304000_NS22TransformInputIteratorIbN2at6native8internal12_GLOBAL__N_110LoadBoolOpEPKhlEENS0_17constant_iteratorIjlEEPbPlSO_S6_NS0_8equal_toIbEEEE10hipError_tPvRmT2_T3_mT4_T5_T6_T7_T8_P12ihipStream_tbENKUlT_T0_E_clISt17integral_constantIbLb1EES17_IbLb0EEEEDaS13_S14_EUlS13_E_NS1_11comp_targetILNS1_3genE0ELNS1_11target_archE4294967295ELNS1_3gpuE0ELNS1_3repE0EEENS1_30default_config_static_selectorELNS0_4arch9wavefront6targetE0EEEvT1_.num_named_barrier, 0
	.set _ZN7rocprim17ROCPRIM_400000_NS6detail17trampoline_kernelINS0_14default_configENS1_33run_length_encode_config_selectorIbjNS0_4plusIjEEEEZZNS1_33reduce_by_key_impl_wrapped_configILNS1_25lookback_scan_determinismE0ES3_S7_N6hipcub16HIPCUB_304000_NS22TransformInputIteratorIbN2at6native8internal12_GLOBAL__N_110LoadBoolOpEPKhlEENS0_17constant_iteratorIjlEEPbPlSO_S6_NS0_8equal_toIbEEEE10hipError_tPvRmT2_T3_mT4_T5_T6_T7_T8_P12ihipStream_tbENKUlT_T0_E_clISt17integral_constantIbLb1EES17_IbLb0EEEEDaS13_S14_EUlS13_E_NS1_11comp_targetILNS1_3genE0ELNS1_11target_archE4294967295ELNS1_3gpuE0ELNS1_3repE0EEENS1_30default_config_static_selectorELNS0_4arch9wavefront6targetE0EEEvT1_.private_seg_size, 0
	.set _ZN7rocprim17ROCPRIM_400000_NS6detail17trampoline_kernelINS0_14default_configENS1_33run_length_encode_config_selectorIbjNS0_4plusIjEEEEZZNS1_33reduce_by_key_impl_wrapped_configILNS1_25lookback_scan_determinismE0ES3_S7_N6hipcub16HIPCUB_304000_NS22TransformInputIteratorIbN2at6native8internal12_GLOBAL__N_110LoadBoolOpEPKhlEENS0_17constant_iteratorIjlEEPbPlSO_S6_NS0_8equal_toIbEEEE10hipError_tPvRmT2_T3_mT4_T5_T6_T7_T8_P12ihipStream_tbENKUlT_T0_E_clISt17integral_constantIbLb1EES17_IbLb0EEEEDaS13_S14_EUlS13_E_NS1_11comp_targetILNS1_3genE0ELNS1_11target_archE4294967295ELNS1_3gpuE0ELNS1_3repE0EEENS1_30default_config_static_selectorELNS0_4arch9wavefront6targetE0EEEvT1_.uses_vcc, 0
	.set _ZN7rocprim17ROCPRIM_400000_NS6detail17trampoline_kernelINS0_14default_configENS1_33run_length_encode_config_selectorIbjNS0_4plusIjEEEEZZNS1_33reduce_by_key_impl_wrapped_configILNS1_25lookback_scan_determinismE0ES3_S7_N6hipcub16HIPCUB_304000_NS22TransformInputIteratorIbN2at6native8internal12_GLOBAL__N_110LoadBoolOpEPKhlEENS0_17constant_iteratorIjlEEPbPlSO_S6_NS0_8equal_toIbEEEE10hipError_tPvRmT2_T3_mT4_T5_T6_T7_T8_P12ihipStream_tbENKUlT_T0_E_clISt17integral_constantIbLb1EES17_IbLb0EEEEDaS13_S14_EUlS13_E_NS1_11comp_targetILNS1_3genE0ELNS1_11target_archE4294967295ELNS1_3gpuE0ELNS1_3repE0EEENS1_30default_config_static_selectorELNS0_4arch9wavefront6targetE0EEEvT1_.uses_flat_scratch, 0
	.set _ZN7rocprim17ROCPRIM_400000_NS6detail17trampoline_kernelINS0_14default_configENS1_33run_length_encode_config_selectorIbjNS0_4plusIjEEEEZZNS1_33reduce_by_key_impl_wrapped_configILNS1_25lookback_scan_determinismE0ES3_S7_N6hipcub16HIPCUB_304000_NS22TransformInputIteratorIbN2at6native8internal12_GLOBAL__N_110LoadBoolOpEPKhlEENS0_17constant_iteratorIjlEEPbPlSO_S6_NS0_8equal_toIbEEEE10hipError_tPvRmT2_T3_mT4_T5_T6_T7_T8_P12ihipStream_tbENKUlT_T0_E_clISt17integral_constantIbLb1EES17_IbLb0EEEEDaS13_S14_EUlS13_E_NS1_11comp_targetILNS1_3genE0ELNS1_11target_archE4294967295ELNS1_3gpuE0ELNS1_3repE0EEENS1_30default_config_static_selectorELNS0_4arch9wavefront6targetE0EEEvT1_.has_dyn_sized_stack, 0
	.set _ZN7rocprim17ROCPRIM_400000_NS6detail17trampoline_kernelINS0_14default_configENS1_33run_length_encode_config_selectorIbjNS0_4plusIjEEEEZZNS1_33reduce_by_key_impl_wrapped_configILNS1_25lookback_scan_determinismE0ES3_S7_N6hipcub16HIPCUB_304000_NS22TransformInputIteratorIbN2at6native8internal12_GLOBAL__N_110LoadBoolOpEPKhlEENS0_17constant_iteratorIjlEEPbPlSO_S6_NS0_8equal_toIbEEEE10hipError_tPvRmT2_T3_mT4_T5_T6_T7_T8_P12ihipStream_tbENKUlT_T0_E_clISt17integral_constantIbLb1EES17_IbLb0EEEEDaS13_S14_EUlS13_E_NS1_11comp_targetILNS1_3genE0ELNS1_11target_archE4294967295ELNS1_3gpuE0ELNS1_3repE0EEENS1_30default_config_static_selectorELNS0_4arch9wavefront6targetE0EEEvT1_.has_recursion, 0
	.set _ZN7rocprim17ROCPRIM_400000_NS6detail17trampoline_kernelINS0_14default_configENS1_33run_length_encode_config_selectorIbjNS0_4plusIjEEEEZZNS1_33reduce_by_key_impl_wrapped_configILNS1_25lookback_scan_determinismE0ES3_S7_N6hipcub16HIPCUB_304000_NS22TransformInputIteratorIbN2at6native8internal12_GLOBAL__N_110LoadBoolOpEPKhlEENS0_17constant_iteratorIjlEEPbPlSO_S6_NS0_8equal_toIbEEEE10hipError_tPvRmT2_T3_mT4_T5_T6_T7_T8_P12ihipStream_tbENKUlT_T0_E_clISt17integral_constantIbLb1EES17_IbLb0EEEEDaS13_S14_EUlS13_E_NS1_11comp_targetILNS1_3genE0ELNS1_11target_archE4294967295ELNS1_3gpuE0ELNS1_3repE0EEENS1_30default_config_static_selectorELNS0_4arch9wavefront6targetE0EEEvT1_.has_indirect_call, 0
	.section	.AMDGPU.csdata,"",@progbits
; Kernel info:
; codeLenInByte = 4
; TotalNumSgprs: 0
; NumVgprs: 0
; ScratchSize: 0
; MemoryBound: 0
; FloatMode: 240
; IeeeMode: 1
; LDSByteSize: 0 bytes/workgroup (compile time only)
; SGPRBlocks: 0
; VGPRBlocks: 0
; NumSGPRsForWavesPerEU: 1
; NumVGPRsForWavesPerEU: 1
; NamedBarCnt: 0
; Occupancy: 16
; WaveLimiterHint : 0
; COMPUTE_PGM_RSRC2:SCRATCH_EN: 0
; COMPUTE_PGM_RSRC2:USER_SGPR: 2
; COMPUTE_PGM_RSRC2:TRAP_HANDLER: 0
; COMPUTE_PGM_RSRC2:TGID_X_EN: 1
; COMPUTE_PGM_RSRC2:TGID_Y_EN: 0
; COMPUTE_PGM_RSRC2:TGID_Z_EN: 0
; COMPUTE_PGM_RSRC2:TIDIG_COMP_CNT: 0
	.section	.text._ZN7rocprim17ROCPRIM_400000_NS6detail17trampoline_kernelINS0_14default_configENS1_33run_length_encode_config_selectorIbjNS0_4plusIjEEEEZZNS1_33reduce_by_key_impl_wrapped_configILNS1_25lookback_scan_determinismE0ES3_S7_N6hipcub16HIPCUB_304000_NS22TransformInputIteratorIbN2at6native8internal12_GLOBAL__N_110LoadBoolOpEPKhlEENS0_17constant_iteratorIjlEEPbPlSO_S6_NS0_8equal_toIbEEEE10hipError_tPvRmT2_T3_mT4_T5_T6_T7_T8_P12ihipStream_tbENKUlT_T0_E_clISt17integral_constantIbLb1EES17_IbLb0EEEEDaS13_S14_EUlS13_E_NS1_11comp_targetILNS1_3genE5ELNS1_11target_archE942ELNS1_3gpuE9ELNS1_3repE0EEENS1_30default_config_static_selectorELNS0_4arch9wavefront6targetE0EEEvT1_,"axG",@progbits,_ZN7rocprim17ROCPRIM_400000_NS6detail17trampoline_kernelINS0_14default_configENS1_33run_length_encode_config_selectorIbjNS0_4plusIjEEEEZZNS1_33reduce_by_key_impl_wrapped_configILNS1_25lookback_scan_determinismE0ES3_S7_N6hipcub16HIPCUB_304000_NS22TransformInputIteratorIbN2at6native8internal12_GLOBAL__N_110LoadBoolOpEPKhlEENS0_17constant_iteratorIjlEEPbPlSO_S6_NS0_8equal_toIbEEEE10hipError_tPvRmT2_T3_mT4_T5_T6_T7_T8_P12ihipStream_tbENKUlT_T0_E_clISt17integral_constantIbLb1EES17_IbLb0EEEEDaS13_S14_EUlS13_E_NS1_11comp_targetILNS1_3genE5ELNS1_11target_archE942ELNS1_3gpuE9ELNS1_3repE0EEENS1_30default_config_static_selectorELNS0_4arch9wavefront6targetE0EEEvT1_,comdat
	.globl	_ZN7rocprim17ROCPRIM_400000_NS6detail17trampoline_kernelINS0_14default_configENS1_33run_length_encode_config_selectorIbjNS0_4plusIjEEEEZZNS1_33reduce_by_key_impl_wrapped_configILNS1_25lookback_scan_determinismE0ES3_S7_N6hipcub16HIPCUB_304000_NS22TransformInputIteratorIbN2at6native8internal12_GLOBAL__N_110LoadBoolOpEPKhlEENS0_17constant_iteratorIjlEEPbPlSO_S6_NS0_8equal_toIbEEEE10hipError_tPvRmT2_T3_mT4_T5_T6_T7_T8_P12ihipStream_tbENKUlT_T0_E_clISt17integral_constantIbLb1EES17_IbLb0EEEEDaS13_S14_EUlS13_E_NS1_11comp_targetILNS1_3genE5ELNS1_11target_archE942ELNS1_3gpuE9ELNS1_3repE0EEENS1_30default_config_static_selectorELNS0_4arch9wavefront6targetE0EEEvT1_ ; -- Begin function _ZN7rocprim17ROCPRIM_400000_NS6detail17trampoline_kernelINS0_14default_configENS1_33run_length_encode_config_selectorIbjNS0_4plusIjEEEEZZNS1_33reduce_by_key_impl_wrapped_configILNS1_25lookback_scan_determinismE0ES3_S7_N6hipcub16HIPCUB_304000_NS22TransformInputIteratorIbN2at6native8internal12_GLOBAL__N_110LoadBoolOpEPKhlEENS0_17constant_iteratorIjlEEPbPlSO_S6_NS0_8equal_toIbEEEE10hipError_tPvRmT2_T3_mT4_T5_T6_T7_T8_P12ihipStream_tbENKUlT_T0_E_clISt17integral_constantIbLb1EES17_IbLb0EEEEDaS13_S14_EUlS13_E_NS1_11comp_targetILNS1_3genE5ELNS1_11target_archE942ELNS1_3gpuE9ELNS1_3repE0EEENS1_30default_config_static_selectorELNS0_4arch9wavefront6targetE0EEEvT1_
	.p2align	8
	.type	_ZN7rocprim17ROCPRIM_400000_NS6detail17trampoline_kernelINS0_14default_configENS1_33run_length_encode_config_selectorIbjNS0_4plusIjEEEEZZNS1_33reduce_by_key_impl_wrapped_configILNS1_25lookback_scan_determinismE0ES3_S7_N6hipcub16HIPCUB_304000_NS22TransformInputIteratorIbN2at6native8internal12_GLOBAL__N_110LoadBoolOpEPKhlEENS0_17constant_iteratorIjlEEPbPlSO_S6_NS0_8equal_toIbEEEE10hipError_tPvRmT2_T3_mT4_T5_T6_T7_T8_P12ihipStream_tbENKUlT_T0_E_clISt17integral_constantIbLb1EES17_IbLb0EEEEDaS13_S14_EUlS13_E_NS1_11comp_targetILNS1_3genE5ELNS1_11target_archE942ELNS1_3gpuE9ELNS1_3repE0EEENS1_30default_config_static_selectorELNS0_4arch9wavefront6targetE0EEEvT1_,@function
_ZN7rocprim17ROCPRIM_400000_NS6detail17trampoline_kernelINS0_14default_configENS1_33run_length_encode_config_selectorIbjNS0_4plusIjEEEEZZNS1_33reduce_by_key_impl_wrapped_configILNS1_25lookback_scan_determinismE0ES3_S7_N6hipcub16HIPCUB_304000_NS22TransformInputIteratorIbN2at6native8internal12_GLOBAL__N_110LoadBoolOpEPKhlEENS0_17constant_iteratorIjlEEPbPlSO_S6_NS0_8equal_toIbEEEE10hipError_tPvRmT2_T3_mT4_T5_T6_T7_T8_P12ihipStream_tbENKUlT_T0_E_clISt17integral_constantIbLb1EES17_IbLb0EEEEDaS13_S14_EUlS13_E_NS1_11comp_targetILNS1_3genE5ELNS1_11target_archE942ELNS1_3gpuE9ELNS1_3repE0EEENS1_30default_config_static_selectorELNS0_4arch9wavefront6targetE0EEEvT1_: ; @_ZN7rocprim17ROCPRIM_400000_NS6detail17trampoline_kernelINS0_14default_configENS1_33run_length_encode_config_selectorIbjNS0_4plusIjEEEEZZNS1_33reduce_by_key_impl_wrapped_configILNS1_25lookback_scan_determinismE0ES3_S7_N6hipcub16HIPCUB_304000_NS22TransformInputIteratorIbN2at6native8internal12_GLOBAL__N_110LoadBoolOpEPKhlEENS0_17constant_iteratorIjlEEPbPlSO_S6_NS0_8equal_toIbEEEE10hipError_tPvRmT2_T3_mT4_T5_T6_T7_T8_P12ihipStream_tbENKUlT_T0_E_clISt17integral_constantIbLb1EES17_IbLb0EEEEDaS13_S14_EUlS13_E_NS1_11comp_targetILNS1_3genE5ELNS1_11target_archE942ELNS1_3gpuE9ELNS1_3repE0EEENS1_30default_config_static_selectorELNS0_4arch9wavefront6targetE0EEEvT1_
; %bb.0:
	.section	.rodata,"a",@progbits
	.p2align	6, 0x0
	.amdhsa_kernel _ZN7rocprim17ROCPRIM_400000_NS6detail17trampoline_kernelINS0_14default_configENS1_33run_length_encode_config_selectorIbjNS0_4plusIjEEEEZZNS1_33reduce_by_key_impl_wrapped_configILNS1_25lookback_scan_determinismE0ES3_S7_N6hipcub16HIPCUB_304000_NS22TransformInputIteratorIbN2at6native8internal12_GLOBAL__N_110LoadBoolOpEPKhlEENS0_17constant_iteratorIjlEEPbPlSO_S6_NS0_8equal_toIbEEEE10hipError_tPvRmT2_T3_mT4_T5_T6_T7_T8_P12ihipStream_tbENKUlT_T0_E_clISt17integral_constantIbLb1EES17_IbLb0EEEEDaS13_S14_EUlS13_E_NS1_11comp_targetILNS1_3genE5ELNS1_11target_archE942ELNS1_3gpuE9ELNS1_3repE0EEENS1_30default_config_static_selectorELNS0_4arch9wavefront6targetE0EEEvT1_
		.amdhsa_group_segment_fixed_size 0
		.amdhsa_private_segment_fixed_size 0
		.amdhsa_kernarg_size 136
		.amdhsa_user_sgpr_count 2
		.amdhsa_user_sgpr_dispatch_ptr 0
		.amdhsa_user_sgpr_queue_ptr 0
		.amdhsa_user_sgpr_kernarg_segment_ptr 1
		.amdhsa_user_sgpr_dispatch_id 0
		.amdhsa_user_sgpr_kernarg_preload_length 0
		.amdhsa_user_sgpr_kernarg_preload_offset 0
		.amdhsa_user_sgpr_private_segment_size 0
		.amdhsa_wavefront_size32 1
		.amdhsa_uses_dynamic_stack 0
		.amdhsa_enable_private_segment 0
		.amdhsa_system_sgpr_workgroup_id_x 1
		.amdhsa_system_sgpr_workgroup_id_y 0
		.amdhsa_system_sgpr_workgroup_id_z 0
		.amdhsa_system_sgpr_workgroup_info 0
		.amdhsa_system_vgpr_workitem_id 0
		.amdhsa_next_free_vgpr 1
		.amdhsa_next_free_sgpr 1
		.amdhsa_named_barrier_count 0
		.amdhsa_reserve_vcc 0
		.amdhsa_float_round_mode_32 0
		.amdhsa_float_round_mode_16_64 0
		.amdhsa_float_denorm_mode_32 3
		.amdhsa_float_denorm_mode_16_64 3
		.amdhsa_fp16_overflow 0
		.amdhsa_memory_ordered 1
		.amdhsa_forward_progress 1
		.amdhsa_inst_pref_size 0
		.amdhsa_round_robin_scheduling 0
		.amdhsa_exception_fp_ieee_invalid_op 0
		.amdhsa_exception_fp_denorm_src 0
		.amdhsa_exception_fp_ieee_div_zero 0
		.amdhsa_exception_fp_ieee_overflow 0
		.amdhsa_exception_fp_ieee_underflow 0
		.amdhsa_exception_fp_ieee_inexact 0
		.amdhsa_exception_int_div_zero 0
	.end_amdhsa_kernel
	.section	.text._ZN7rocprim17ROCPRIM_400000_NS6detail17trampoline_kernelINS0_14default_configENS1_33run_length_encode_config_selectorIbjNS0_4plusIjEEEEZZNS1_33reduce_by_key_impl_wrapped_configILNS1_25lookback_scan_determinismE0ES3_S7_N6hipcub16HIPCUB_304000_NS22TransformInputIteratorIbN2at6native8internal12_GLOBAL__N_110LoadBoolOpEPKhlEENS0_17constant_iteratorIjlEEPbPlSO_S6_NS0_8equal_toIbEEEE10hipError_tPvRmT2_T3_mT4_T5_T6_T7_T8_P12ihipStream_tbENKUlT_T0_E_clISt17integral_constantIbLb1EES17_IbLb0EEEEDaS13_S14_EUlS13_E_NS1_11comp_targetILNS1_3genE5ELNS1_11target_archE942ELNS1_3gpuE9ELNS1_3repE0EEENS1_30default_config_static_selectorELNS0_4arch9wavefront6targetE0EEEvT1_,"axG",@progbits,_ZN7rocprim17ROCPRIM_400000_NS6detail17trampoline_kernelINS0_14default_configENS1_33run_length_encode_config_selectorIbjNS0_4plusIjEEEEZZNS1_33reduce_by_key_impl_wrapped_configILNS1_25lookback_scan_determinismE0ES3_S7_N6hipcub16HIPCUB_304000_NS22TransformInputIteratorIbN2at6native8internal12_GLOBAL__N_110LoadBoolOpEPKhlEENS0_17constant_iteratorIjlEEPbPlSO_S6_NS0_8equal_toIbEEEE10hipError_tPvRmT2_T3_mT4_T5_T6_T7_T8_P12ihipStream_tbENKUlT_T0_E_clISt17integral_constantIbLb1EES17_IbLb0EEEEDaS13_S14_EUlS13_E_NS1_11comp_targetILNS1_3genE5ELNS1_11target_archE942ELNS1_3gpuE9ELNS1_3repE0EEENS1_30default_config_static_selectorELNS0_4arch9wavefront6targetE0EEEvT1_,comdat
.Lfunc_end79:
	.size	_ZN7rocprim17ROCPRIM_400000_NS6detail17trampoline_kernelINS0_14default_configENS1_33run_length_encode_config_selectorIbjNS0_4plusIjEEEEZZNS1_33reduce_by_key_impl_wrapped_configILNS1_25lookback_scan_determinismE0ES3_S7_N6hipcub16HIPCUB_304000_NS22TransformInputIteratorIbN2at6native8internal12_GLOBAL__N_110LoadBoolOpEPKhlEENS0_17constant_iteratorIjlEEPbPlSO_S6_NS0_8equal_toIbEEEE10hipError_tPvRmT2_T3_mT4_T5_T6_T7_T8_P12ihipStream_tbENKUlT_T0_E_clISt17integral_constantIbLb1EES17_IbLb0EEEEDaS13_S14_EUlS13_E_NS1_11comp_targetILNS1_3genE5ELNS1_11target_archE942ELNS1_3gpuE9ELNS1_3repE0EEENS1_30default_config_static_selectorELNS0_4arch9wavefront6targetE0EEEvT1_, .Lfunc_end79-_ZN7rocprim17ROCPRIM_400000_NS6detail17trampoline_kernelINS0_14default_configENS1_33run_length_encode_config_selectorIbjNS0_4plusIjEEEEZZNS1_33reduce_by_key_impl_wrapped_configILNS1_25lookback_scan_determinismE0ES3_S7_N6hipcub16HIPCUB_304000_NS22TransformInputIteratorIbN2at6native8internal12_GLOBAL__N_110LoadBoolOpEPKhlEENS0_17constant_iteratorIjlEEPbPlSO_S6_NS0_8equal_toIbEEEE10hipError_tPvRmT2_T3_mT4_T5_T6_T7_T8_P12ihipStream_tbENKUlT_T0_E_clISt17integral_constantIbLb1EES17_IbLb0EEEEDaS13_S14_EUlS13_E_NS1_11comp_targetILNS1_3genE5ELNS1_11target_archE942ELNS1_3gpuE9ELNS1_3repE0EEENS1_30default_config_static_selectorELNS0_4arch9wavefront6targetE0EEEvT1_
                                        ; -- End function
	.set _ZN7rocprim17ROCPRIM_400000_NS6detail17trampoline_kernelINS0_14default_configENS1_33run_length_encode_config_selectorIbjNS0_4plusIjEEEEZZNS1_33reduce_by_key_impl_wrapped_configILNS1_25lookback_scan_determinismE0ES3_S7_N6hipcub16HIPCUB_304000_NS22TransformInputIteratorIbN2at6native8internal12_GLOBAL__N_110LoadBoolOpEPKhlEENS0_17constant_iteratorIjlEEPbPlSO_S6_NS0_8equal_toIbEEEE10hipError_tPvRmT2_T3_mT4_T5_T6_T7_T8_P12ihipStream_tbENKUlT_T0_E_clISt17integral_constantIbLb1EES17_IbLb0EEEEDaS13_S14_EUlS13_E_NS1_11comp_targetILNS1_3genE5ELNS1_11target_archE942ELNS1_3gpuE9ELNS1_3repE0EEENS1_30default_config_static_selectorELNS0_4arch9wavefront6targetE0EEEvT1_.num_vgpr, 0
	.set _ZN7rocprim17ROCPRIM_400000_NS6detail17trampoline_kernelINS0_14default_configENS1_33run_length_encode_config_selectorIbjNS0_4plusIjEEEEZZNS1_33reduce_by_key_impl_wrapped_configILNS1_25lookback_scan_determinismE0ES3_S7_N6hipcub16HIPCUB_304000_NS22TransformInputIteratorIbN2at6native8internal12_GLOBAL__N_110LoadBoolOpEPKhlEENS0_17constant_iteratorIjlEEPbPlSO_S6_NS0_8equal_toIbEEEE10hipError_tPvRmT2_T3_mT4_T5_T6_T7_T8_P12ihipStream_tbENKUlT_T0_E_clISt17integral_constantIbLb1EES17_IbLb0EEEEDaS13_S14_EUlS13_E_NS1_11comp_targetILNS1_3genE5ELNS1_11target_archE942ELNS1_3gpuE9ELNS1_3repE0EEENS1_30default_config_static_selectorELNS0_4arch9wavefront6targetE0EEEvT1_.num_agpr, 0
	.set _ZN7rocprim17ROCPRIM_400000_NS6detail17trampoline_kernelINS0_14default_configENS1_33run_length_encode_config_selectorIbjNS0_4plusIjEEEEZZNS1_33reduce_by_key_impl_wrapped_configILNS1_25lookback_scan_determinismE0ES3_S7_N6hipcub16HIPCUB_304000_NS22TransformInputIteratorIbN2at6native8internal12_GLOBAL__N_110LoadBoolOpEPKhlEENS0_17constant_iteratorIjlEEPbPlSO_S6_NS0_8equal_toIbEEEE10hipError_tPvRmT2_T3_mT4_T5_T6_T7_T8_P12ihipStream_tbENKUlT_T0_E_clISt17integral_constantIbLb1EES17_IbLb0EEEEDaS13_S14_EUlS13_E_NS1_11comp_targetILNS1_3genE5ELNS1_11target_archE942ELNS1_3gpuE9ELNS1_3repE0EEENS1_30default_config_static_selectorELNS0_4arch9wavefront6targetE0EEEvT1_.numbered_sgpr, 0
	.set _ZN7rocprim17ROCPRIM_400000_NS6detail17trampoline_kernelINS0_14default_configENS1_33run_length_encode_config_selectorIbjNS0_4plusIjEEEEZZNS1_33reduce_by_key_impl_wrapped_configILNS1_25lookback_scan_determinismE0ES3_S7_N6hipcub16HIPCUB_304000_NS22TransformInputIteratorIbN2at6native8internal12_GLOBAL__N_110LoadBoolOpEPKhlEENS0_17constant_iteratorIjlEEPbPlSO_S6_NS0_8equal_toIbEEEE10hipError_tPvRmT2_T3_mT4_T5_T6_T7_T8_P12ihipStream_tbENKUlT_T0_E_clISt17integral_constantIbLb1EES17_IbLb0EEEEDaS13_S14_EUlS13_E_NS1_11comp_targetILNS1_3genE5ELNS1_11target_archE942ELNS1_3gpuE9ELNS1_3repE0EEENS1_30default_config_static_selectorELNS0_4arch9wavefront6targetE0EEEvT1_.num_named_barrier, 0
	.set _ZN7rocprim17ROCPRIM_400000_NS6detail17trampoline_kernelINS0_14default_configENS1_33run_length_encode_config_selectorIbjNS0_4plusIjEEEEZZNS1_33reduce_by_key_impl_wrapped_configILNS1_25lookback_scan_determinismE0ES3_S7_N6hipcub16HIPCUB_304000_NS22TransformInputIteratorIbN2at6native8internal12_GLOBAL__N_110LoadBoolOpEPKhlEENS0_17constant_iteratorIjlEEPbPlSO_S6_NS0_8equal_toIbEEEE10hipError_tPvRmT2_T3_mT4_T5_T6_T7_T8_P12ihipStream_tbENKUlT_T0_E_clISt17integral_constantIbLb1EES17_IbLb0EEEEDaS13_S14_EUlS13_E_NS1_11comp_targetILNS1_3genE5ELNS1_11target_archE942ELNS1_3gpuE9ELNS1_3repE0EEENS1_30default_config_static_selectorELNS0_4arch9wavefront6targetE0EEEvT1_.private_seg_size, 0
	.set _ZN7rocprim17ROCPRIM_400000_NS6detail17trampoline_kernelINS0_14default_configENS1_33run_length_encode_config_selectorIbjNS0_4plusIjEEEEZZNS1_33reduce_by_key_impl_wrapped_configILNS1_25lookback_scan_determinismE0ES3_S7_N6hipcub16HIPCUB_304000_NS22TransformInputIteratorIbN2at6native8internal12_GLOBAL__N_110LoadBoolOpEPKhlEENS0_17constant_iteratorIjlEEPbPlSO_S6_NS0_8equal_toIbEEEE10hipError_tPvRmT2_T3_mT4_T5_T6_T7_T8_P12ihipStream_tbENKUlT_T0_E_clISt17integral_constantIbLb1EES17_IbLb0EEEEDaS13_S14_EUlS13_E_NS1_11comp_targetILNS1_3genE5ELNS1_11target_archE942ELNS1_3gpuE9ELNS1_3repE0EEENS1_30default_config_static_selectorELNS0_4arch9wavefront6targetE0EEEvT1_.uses_vcc, 0
	.set _ZN7rocprim17ROCPRIM_400000_NS6detail17trampoline_kernelINS0_14default_configENS1_33run_length_encode_config_selectorIbjNS0_4plusIjEEEEZZNS1_33reduce_by_key_impl_wrapped_configILNS1_25lookback_scan_determinismE0ES3_S7_N6hipcub16HIPCUB_304000_NS22TransformInputIteratorIbN2at6native8internal12_GLOBAL__N_110LoadBoolOpEPKhlEENS0_17constant_iteratorIjlEEPbPlSO_S6_NS0_8equal_toIbEEEE10hipError_tPvRmT2_T3_mT4_T5_T6_T7_T8_P12ihipStream_tbENKUlT_T0_E_clISt17integral_constantIbLb1EES17_IbLb0EEEEDaS13_S14_EUlS13_E_NS1_11comp_targetILNS1_3genE5ELNS1_11target_archE942ELNS1_3gpuE9ELNS1_3repE0EEENS1_30default_config_static_selectorELNS0_4arch9wavefront6targetE0EEEvT1_.uses_flat_scratch, 0
	.set _ZN7rocprim17ROCPRIM_400000_NS6detail17trampoline_kernelINS0_14default_configENS1_33run_length_encode_config_selectorIbjNS0_4plusIjEEEEZZNS1_33reduce_by_key_impl_wrapped_configILNS1_25lookback_scan_determinismE0ES3_S7_N6hipcub16HIPCUB_304000_NS22TransformInputIteratorIbN2at6native8internal12_GLOBAL__N_110LoadBoolOpEPKhlEENS0_17constant_iteratorIjlEEPbPlSO_S6_NS0_8equal_toIbEEEE10hipError_tPvRmT2_T3_mT4_T5_T6_T7_T8_P12ihipStream_tbENKUlT_T0_E_clISt17integral_constantIbLb1EES17_IbLb0EEEEDaS13_S14_EUlS13_E_NS1_11comp_targetILNS1_3genE5ELNS1_11target_archE942ELNS1_3gpuE9ELNS1_3repE0EEENS1_30default_config_static_selectorELNS0_4arch9wavefront6targetE0EEEvT1_.has_dyn_sized_stack, 0
	.set _ZN7rocprim17ROCPRIM_400000_NS6detail17trampoline_kernelINS0_14default_configENS1_33run_length_encode_config_selectorIbjNS0_4plusIjEEEEZZNS1_33reduce_by_key_impl_wrapped_configILNS1_25lookback_scan_determinismE0ES3_S7_N6hipcub16HIPCUB_304000_NS22TransformInputIteratorIbN2at6native8internal12_GLOBAL__N_110LoadBoolOpEPKhlEENS0_17constant_iteratorIjlEEPbPlSO_S6_NS0_8equal_toIbEEEE10hipError_tPvRmT2_T3_mT4_T5_T6_T7_T8_P12ihipStream_tbENKUlT_T0_E_clISt17integral_constantIbLb1EES17_IbLb0EEEEDaS13_S14_EUlS13_E_NS1_11comp_targetILNS1_3genE5ELNS1_11target_archE942ELNS1_3gpuE9ELNS1_3repE0EEENS1_30default_config_static_selectorELNS0_4arch9wavefront6targetE0EEEvT1_.has_recursion, 0
	.set _ZN7rocprim17ROCPRIM_400000_NS6detail17trampoline_kernelINS0_14default_configENS1_33run_length_encode_config_selectorIbjNS0_4plusIjEEEEZZNS1_33reduce_by_key_impl_wrapped_configILNS1_25lookback_scan_determinismE0ES3_S7_N6hipcub16HIPCUB_304000_NS22TransformInputIteratorIbN2at6native8internal12_GLOBAL__N_110LoadBoolOpEPKhlEENS0_17constant_iteratorIjlEEPbPlSO_S6_NS0_8equal_toIbEEEE10hipError_tPvRmT2_T3_mT4_T5_T6_T7_T8_P12ihipStream_tbENKUlT_T0_E_clISt17integral_constantIbLb1EES17_IbLb0EEEEDaS13_S14_EUlS13_E_NS1_11comp_targetILNS1_3genE5ELNS1_11target_archE942ELNS1_3gpuE9ELNS1_3repE0EEENS1_30default_config_static_selectorELNS0_4arch9wavefront6targetE0EEEvT1_.has_indirect_call, 0
	.section	.AMDGPU.csdata,"",@progbits
; Kernel info:
; codeLenInByte = 0
; TotalNumSgprs: 0
; NumVgprs: 0
; ScratchSize: 0
; MemoryBound: 0
; FloatMode: 240
; IeeeMode: 1
; LDSByteSize: 0 bytes/workgroup (compile time only)
; SGPRBlocks: 0
; VGPRBlocks: 0
; NumSGPRsForWavesPerEU: 1
; NumVGPRsForWavesPerEU: 1
; NamedBarCnt: 0
; Occupancy: 16
; WaveLimiterHint : 0
; COMPUTE_PGM_RSRC2:SCRATCH_EN: 0
; COMPUTE_PGM_RSRC2:USER_SGPR: 2
; COMPUTE_PGM_RSRC2:TRAP_HANDLER: 0
; COMPUTE_PGM_RSRC2:TGID_X_EN: 1
; COMPUTE_PGM_RSRC2:TGID_Y_EN: 0
; COMPUTE_PGM_RSRC2:TGID_Z_EN: 0
; COMPUTE_PGM_RSRC2:TIDIG_COMP_CNT: 0
	.section	.text._ZN7rocprim17ROCPRIM_400000_NS6detail17trampoline_kernelINS0_14default_configENS1_33run_length_encode_config_selectorIbjNS0_4plusIjEEEEZZNS1_33reduce_by_key_impl_wrapped_configILNS1_25lookback_scan_determinismE0ES3_S7_N6hipcub16HIPCUB_304000_NS22TransformInputIteratorIbN2at6native8internal12_GLOBAL__N_110LoadBoolOpEPKhlEENS0_17constant_iteratorIjlEEPbPlSO_S6_NS0_8equal_toIbEEEE10hipError_tPvRmT2_T3_mT4_T5_T6_T7_T8_P12ihipStream_tbENKUlT_T0_E_clISt17integral_constantIbLb1EES17_IbLb0EEEEDaS13_S14_EUlS13_E_NS1_11comp_targetILNS1_3genE4ELNS1_11target_archE910ELNS1_3gpuE8ELNS1_3repE0EEENS1_30default_config_static_selectorELNS0_4arch9wavefront6targetE0EEEvT1_,"axG",@progbits,_ZN7rocprim17ROCPRIM_400000_NS6detail17trampoline_kernelINS0_14default_configENS1_33run_length_encode_config_selectorIbjNS0_4plusIjEEEEZZNS1_33reduce_by_key_impl_wrapped_configILNS1_25lookback_scan_determinismE0ES3_S7_N6hipcub16HIPCUB_304000_NS22TransformInputIteratorIbN2at6native8internal12_GLOBAL__N_110LoadBoolOpEPKhlEENS0_17constant_iteratorIjlEEPbPlSO_S6_NS0_8equal_toIbEEEE10hipError_tPvRmT2_T3_mT4_T5_T6_T7_T8_P12ihipStream_tbENKUlT_T0_E_clISt17integral_constantIbLb1EES17_IbLb0EEEEDaS13_S14_EUlS13_E_NS1_11comp_targetILNS1_3genE4ELNS1_11target_archE910ELNS1_3gpuE8ELNS1_3repE0EEENS1_30default_config_static_selectorELNS0_4arch9wavefront6targetE0EEEvT1_,comdat
	.globl	_ZN7rocprim17ROCPRIM_400000_NS6detail17trampoline_kernelINS0_14default_configENS1_33run_length_encode_config_selectorIbjNS0_4plusIjEEEEZZNS1_33reduce_by_key_impl_wrapped_configILNS1_25lookback_scan_determinismE0ES3_S7_N6hipcub16HIPCUB_304000_NS22TransformInputIteratorIbN2at6native8internal12_GLOBAL__N_110LoadBoolOpEPKhlEENS0_17constant_iteratorIjlEEPbPlSO_S6_NS0_8equal_toIbEEEE10hipError_tPvRmT2_T3_mT4_T5_T6_T7_T8_P12ihipStream_tbENKUlT_T0_E_clISt17integral_constantIbLb1EES17_IbLb0EEEEDaS13_S14_EUlS13_E_NS1_11comp_targetILNS1_3genE4ELNS1_11target_archE910ELNS1_3gpuE8ELNS1_3repE0EEENS1_30default_config_static_selectorELNS0_4arch9wavefront6targetE0EEEvT1_ ; -- Begin function _ZN7rocprim17ROCPRIM_400000_NS6detail17trampoline_kernelINS0_14default_configENS1_33run_length_encode_config_selectorIbjNS0_4plusIjEEEEZZNS1_33reduce_by_key_impl_wrapped_configILNS1_25lookback_scan_determinismE0ES3_S7_N6hipcub16HIPCUB_304000_NS22TransformInputIteratorIbN2at6native8internal12_GLOBAL__N_110LoadBoolOpEPKhlEENS0_17constant_iteratorIjlEEPbPlSO_S6_NS0_8equal_toIbEEEE10hipError_tPvRmT2_T3_mT4_T5_T6_T7_T8_P12ihipStream_tbENKUlT_T0_E_clISt17integral_constantIbLb1EES17_IbLb0EEEEDaS13_S14_EUlS13_E_NS1_11comp_targetILNS1_3genE4ELNS1_11target_archE910ELNS1_3gpuE8ELNS1_3repE0EEENS1_30default_config_static_selectorELNS0_4arch9wavefront6targetE0EEEvT1_
	.p2align	8
	.type	_ZN7rocprim17ROCPRIM_400000_NS6detail17trampoline_kernelINS0_14default_configENS1_33run_length_encode_config_selectorIbjNS0_4plusIjEEEEZZNS1_33reduce_by_key_impl_wrapped_configILNS1_25lookback_scan_determinismE0ES3_S7_N6hipcub16HIPCUB_304000_NS22TransformInputIteratorIbN2at6native8internal12_GLOBAL__N_110LoadBoolOpEPKhlEENS0_17constant_iteratorIjlEEPbPlSO_S6_NS0_8equal_toIbEEEE10hipError_tPvRmT2_T3_mT4_T5_T6_T7_T8_P12ihipStream_tbENKUlT_T0_E_clISt17integral_constantIbLb1EES17_IbLb0EEEEDaS13_S14_EUlS13_E_NS1_11comp_targetILNS1_3genE4ELNS1_11target_archE910ELNS1_3gpuE8ELNS1_3repE0EEENS1_30default_config_static_selectorELNS0_4arch9wavefront6targetE0EEEvT1_,@function
_ZN7rocprim17ROCPRIM_400000_NS6detail17trampoline_kernelINS0_14default_configENS1_33run_length_encode_config_selectorIbjNS0_4plusIjEEEEZZNS1_33reduce_by_key_impl_wrapped_configILNS1_25lookback_scan_determinismE0ES3_S7_N6hipcub16HIPCUB_304000_NS22TransformInputIteratorIbN2at6native8internal12_GLOBAL__N_110LoadBoolOpEPKhlEENS0_17constant_iteratorIjlEEPbPlSO_S6_NS0_8equal_toIbEEEE10hipError_tPvRmT2_T3_mT4_T5_T6_T7_T8_P12ihipStream_tbENKUlT_T0_E_clISt17integral_constantIbLb1EES17_IbLb0EEEEDaS13_S14_EUlS13_E_NS1_11comp_targetILNS1_3genE4ELNS1_11target_archE910ELNS1_3gpuE8ELNS1_3repE0EEENS1_30default_config_static_selectorELNS0_4arch9wavefront6targetE0EEEvT1_: ; @_ZN7rocprim17ROCPRIM_400000_NS6detail17trampoline_kernelINS0_14default_configENS1_33run_length_encode_config_selectorIbjNS0_4plusIjEEEEZZNS1_33reduce_by_key_impl_wrapped_configILNS1_25lookback_scan_determinismE0ES3_S7_N6hipcub16HIPCUB_304000_NS22TransformInputIteratorIbN2at6native8internal12_GLOBAL__N_110LoadBoolOpEPKhlEENS0_17constant_iteratorIjlEEPbPlSO_S6_NS0_8equal_toIbEEEE10hipError_tPvRmT2_T3_mT4_T5_T6_T7_T8_P12ihipStream_tbENKUlT_T0_E_clISt17integral_constantIbLb1EES17_IbLb0EEEEDaS13_S14_EUlS13_E_NS1_11comp_targetILNS1_3genE4ELNS1_11target_archE910ELNS1_3gpuE8ELNS1_3repE0EEENS1_30default_config_static_selectorELNS0_4arch9wavefront6targetE0EEEvT1_
; %bb.0:
	.section	.rodata,"a",@progbits
	.p2align	6, 0x0
	.amdhsa_kernel _ZN7rocprim17ROCPRIM_400000_NS6detail17trampoline_kernelINS0_14default_configENS1_33run_length_encode_config_selectorIbjNS0_4plusIjEEEEZZNS1_33reduce_by_key_impl_wrapped_configILNS1_25lookback_scan_determinismE0ES3_S7_N6hipcub16HIPCUB_304000_NS22TransformInputIteratorIbN2at6native8internal12_GLOBAL__N_110LoadBoolOpEPKhlEENS0_17constant_iteratorIjlEEPbPlSO_S6_NS0_8equal_toIbEEEE10hipError_tPvRmT2_T3_mT4_T5_T6_T7_T8_P12ihipStream_tbENKUlT_T0_E_clISt17integral_constantIbLb1EES17_IbLb0EEEEDaS13_S14_EUlS13_E_NS1_11comp_targetILNS1_3genE4ELNS1_11target_archE910ELNS1_3gpuE8ELNS1_3repE0EEENS1_30default_config_static_selectorELNS0_4arch9wavefront6targetE0EEEvT1_
		.amdhsa_group_segment_fixed_size 0
		.amdhsa_private_segment_fixed_size 0
		.amdhsa_kernarg_size 136
		.amdhsa_user_sgpr_count 2
		.amdhsa_user_sgpr_dispatch_ptr 0
		.amdhsa_user_sgpr_queue_ptr 0
		.amdhsa_user_sgpr_kernarg_segment_ptr 1
		.amdhsa_user_sgpr_dispatch_id 0
		.amdhsa_user_sgpr_kernarg_preload_length 0
		.amdhsa_user_sgpr_kernarg_preload_offset 0
		.amdhsa_user_sgpr_private_segment_size 0
		.amdhsa_wavefront_size32 1
		.amdhsa_uses_dynamic_stack 0
		.amdhsa_enable_private_segment 0
		.amdhsa_system_sgpr_workgroup_id_x 1
		.amdhsa_system_sgpr_workgroup_id_y 0
		.amdhsa_system_sgpr_workgroup_id_z 0
		.amdhsa_system_sgpr_workgroup_info 0
		.amdhsa_system_vgpr_workitem_id 0
		.amdhsa_next_free_vgpr 1
		.amdhsa_next_free_sgpr 1
		.amdhsa_named_barrier_count 0
		.amdhsa_reserve_vcc 0
		.amdhsa_float_round_mode_32 0
		.amdhsa_float_round_mode_16_64 0
		.amdhsa_float_denorm_mode_32 3
		.amdhsa_float_denorm_mode_16_64 3
		.amdhsa_fp16_overflow 0
		.amdhsa_memory_ordered 1
		.amdhsa_forward_progress 1
		.amdhsa_inst_pref_size 0
		.amdhsa_round_robin_scheduling 0
		.amdhsa_exception_fp_ieee_invalid_op 0
		.amdhsa_exception_fp_denorm_src 0
		.amdhsa_exception_fp_ieee_div_zero 0
		.amdhsa_exception_fp_ieee_overflow 0
		.amdhsa_exception_fp_ieee_underflow 0
		.amdhsa_exception_fp_ieee_inexact 0
		.amdhsa_exception_int_div_zero 0
	.end_amdhsa_kernel
	.section	.text._ZN7rocprim17ROCPRIM_400000_NS6detail17trampoline_kernelINS0_14default_configENS1_33run_length_encode_config_selectorIbjNS0_4plusIjEEEEZZNS1_33reduce_by_key_impl_wrapped_configILNS1_25lookback_scan_determinismE0ES3_S7_N6hipcub16HIPCUB_304000_NS22TransformInputIteratorIbN2at6native8internal12_GLOBAL__N_110LoadBoolOpEPKhlEENS0_17constant_iteratorIjlEEPbPlSO_S6_NS0_8equal_toIbEEEE10hipError_tPvRmT2_T3_mT4_T5_T6_T7_T8_P12ihipStream_tbENKUlT_T0_E_clISt17integral_constantIbLb1EES17_IbLb0EEEEDaS13_S14_EUlS13_E_NS1_11comp_targetILNS1_3genE4ELNS1_11target_archE910ELNS1_3gpuE8ELNS1_3repE0EEENS1_30default_config_static_selectorELNS0_4arch9wavefront6targetE0EEEvT1_,"axG",@progbits,_ZN7rocprim17ROCPRIM_400000_NS6detail17trampoline_kernelINS0_14default_configENS1_33run_length_encode_config_selectorIbjNS0_4plusIjEEEEZZNS1_33reduce_by_key_impl_wrapped_configILNS1_25lookback_scan_determinismE0ES3_S7_N6hipcub16HIPCUB_304000_NS22TransformInputIteratorIbN2at6native8internal12_GLOBAL__N_110LoadBoolOpEPKhlEENS0_17constant_iteratorIjlEEPbPlSO_S6_NS0_8equal_toIbEEEE10hipError_tPvRmT2_T3_mT4_T5_T6_T7_T8_P12ihipStream_tbENKUlT_T0_E_clISt17integral_constantIbLb1EES17_IbLb0EEEEDaS13_S14_EUlS13_E_NS1_11comp_targetILNS1_3genE4ELNS1_11target_archE910ELNS1_3gpuE8ELNS1_3repE0EEENS1_30default_config_static_selectorELNS0_4arch9wavefront6targetE0EEEvT1_,comdat
.Lfunc_end80:
	.size	_ZN7rocprim17ROCPRIM_400000_NS6detail17trampoline_kernelINS0_14default_configENS1_33run_length_encode_config_selectorIbjNS0_4plusIjEEEEZZNS1_33reduce_by_key_impl_wrapped_configILNS1_25lookback_scan_determinismE0ES3_S7_N6hipcub16HIPCUB_304000_NS22TransformInputIteratorIbN2at6native8internal12_GLOBAL__N_110LoadBoolOpEPKhlEENS0_17constant_iteratorIjlEEPbPlSO_S6_NS0_8equal_toIbEEEE10hipError_tPvRmT2_T3_mT4_T5_T6_T7_T8_P12ihipStream_tbENKUlT_T0_E_clISt17integral_constantIbLb1EES17_IbLb0EEEEDaS13_S14_EUlS13_E_NS1_11comp_targetILNS1_3genE4ELNS1_11target_archE910ELNS1_3gpuE8ELNS1_3repE0EEENS1_30default_config_static_selectorELNS0_4arch9wavefront6targetE0EEEvT1_, .Lfunc_end80-_ZN7rocprim17ROCPRIM_400000_NS6detail17trampoline_kernelINS0_14default_configENS1_33run_length_encode_config_selectorIbjNS0_4plusIjEEEEZZNS1_33reduce_by_key_impl_wrapped_configILNS1_25lookback_scan_determinismE0ES3_S7_N6hipcub16HIPCUB_304000_NS22TransformInputIteratorIbN2at6native8internal12_GLOBAL__N_110LoadBoolOpEPKhlEENS0_17constant_iteratorIjlEEPbPlSO_S6_NS0_8equal_toIbEEEE10hipError_tPvRmT2_T3_mT4_T5_T6_T7_T8_P12ihipStream_tbENKUlT_T0_E_clISt17integral_constantIbLb1EES17_IbLb0EEEEDaS13_S14_EUlS13_E_NS1_11comp_targetILNS1_3genE4ELNS1_11target_archE910ELNS1_3gpuE8ELNS1_3repE0EEENS1_30default_config_static_selectorELNS0_4arch9wavefront6targetE0EEEvT1_
                                        ; -- End function
	.set _ZN7rocprim17ROCPRIM_400000_NS6detail17trampoline_kernelINS0_14default_configENS1_33run_length_encode_config_selectorIbjNS0_4plusIjEEEEZZNS1_33reduce_by_key_impl_wrapped_configILNS1_25lookback_scan_determinismE0ES3_S7_N6hipcub16HIPCUB_304000_NS22TransformInputIteratorIbN2at6native8internal12_GLOBAL__N_110LoadBoolOpEPKhlEENS0_17constant_iteratorIjlEEPbPlSO_S6_NS0_8equal_toIbEEEE10hipError_tPvRmT2_T3_mT4_T5_T6_T7_T8_P12ihipStream_tbENKUlT_T0_E_clISt17integral_constantIbLb1EES17_IbLb0EEEEDaS13_S14_EUlS13_E_NS1_11comp_targetILNS1_3genE4ELNS1_11target_archE910ELNS1_3gpuE8ELNS1_3repE0EEENS1_30default_config_static_selectorELNS0_4arch9wavefront6targetE0EEEvT1_.num_vgpr, 0
	.set _ZN7rocprim17ROCPRIM_400000_NS6detail17trampoline_kernelINS0_14default_configENS1_33run_length_encode_config_selectorIbjNS0_4plusIjEEEEZZNS1_33reduce_by_key_impl_wrapped_configILNS1_25lookback_scan_determinismE0ES3_S7_N6hipcub16HIPCUB_304000_NS22TransformInputIteratorIbN2at6native8internal12_GLOBAL__N_110LoadBoolOpEPKhlEENS0_17constant_iteratorIjlEEPbPlSO_S6_NS0_8equal_toIbEEEE10hipError_tPvRmT2_T3_mT4_T5_T6_T7_T8_P12ihipStream_tbENKUlT_T0_E_clISt17integral_constantIbLb1EES17_IbLb0EEEEDaS13_S14_EUlS13_E_NS1_11comp_targetILNS1_3genE4ELNS1_11target_archE910ELNS1_3gpuE8ELNS1_3repE0EEENS1_30default_config_static_selectorELNS0_4arch9wavefront6targetE0EEEvT1_.num_agpr, 0
	.set _ZN7rocprim17ROCPRIM_400000_NS6detail17trampoline_kernelINS0_14default_configENS1_33run_length_encode_config_selectorIbjNS0_4plusIjEEEEZZNS1_33reduce_by_key_impl_wrapped_configILNS1_25lookback_scan_determinismE0ES3_S7_N6hipcub16HIPCUB_304000_NS22TransformInputIteratorIbN2at6native8internal12_GLOBAL__N_110LoadBoolOpEPKhlEENS0_17constant_iteratorIjlEEPbPlSO_S6_NS0_8equal_toIbEEEE10hipError_tPvRmT2_T3_mT4_T5_T6_T7_T8_P12ihipStream_tbENKUlT_T0_E_clISt17integral_constantIbLb1EES17_IbLb0EEEEDaS13_S14_EUlS13_E_NS1_11comp_targetILNS1_3genE4ELNS1_11target_archE910ELNS1_3gpuE8ELNS1_3repE0EEENS1_30default_config_static_selectorELNS0_4arch9wavefront6targetE0EEEvT1_.numbered_sgpr, 0
	.set _ZN7rocprim17ROCPRIM_400000_NS6detail17trampoline_kernelINS0_14default_configENS1_33run_length_encode_config_selectorIbjNS0_4plusIjEEEEZZNS1_33reduce_by_key_impl_wrapped_configILNS1_25lookback_scan_determinismE0ES3_S7_N6hipcub16HIPCUB_304000_NS22TransformInputIteratorIbN2at6native8internal12_GLOBAL__N_110LoadBoolOpEPKhlEENS0_17constant_iteratorIjlEEPbPlSO_S6_NS0_8equal_toIbEEEE10hipError_tPvRmT2_T3_mT4_T5_T6_T7_T8_P12ihipStream_tbENKUlT_T0_E_clISt17integral_constantIbLb1EES17_IbLb0EEEEDaS13_S14_EUlS13_E_NS1_11comp_targetILNS1_3genE4ELNS1_11target_archE910ELNS1_3gpuE8ELNS1_3repE0EEENS1_30default_config_static_selectorELNS0_4arch9wavefront6targetE0EEEvT1_.num_named_barrier, 0
	.set _ZN7rocprim17ROCPRIM_400000_NS6detail17trampoline_kernelINS0_14default_configENS1_33run_length_encode_config_selectorIbjNS0_4plusIjEEEEZZNS1_33reduce_by_key_impl_wrapped_configILNS1_25lookback_scan_determinismE0ES3_S7_N6hipcub16HIPCUB_304000_NS22TransformInputIteratorIbN2at6native8internal12_GLOBAL__N_110LoadBoolOpEPKhlEENS0_17constant_iteratorIjlEEPbPlSO_S6_NS0_8equal_toIbEEEE10hipError_tPvRmT2_T3_mT4_T5_T6_T7_T8_P12ihipStream_tbENKUlT_T0_E_clISt17integral_constantIbLb1EES17_IbLb0EEEEDaS13_S14_EUlS13_E_NS1_11comp_targetILNS1_3genE4ELNS1_11target_archE910ELNS1_3gpuE8ELNS1_3repE0EEENS1_30default_config_static_selectorELNS0_4arch9wavefront6targetE0EEEvT1_.private_seg_size, 0
	.set _ZN7rocprim17ROCPRIM_400000_NS6detail17trampoline_kernelINS0_14default_configENS1_33run_length_encode_config_selectorIbjNS0_4plusIjEEEEZZNS1_33reduce_by_key_impl_wrapped_configILNS1_25lookback_scan_determinismE0ES3_S7_N6hipcub16HIPCUB_304000_NS22TransformInputIteratorIbN2at6native8internal12_GLOBAL__N_110LoadBoolOpEPKhlEENS0_17constant_iteratorIjlEEPbPlSO_S6_NS0_8equal_toIbEEEE10hipError_tPvRmT2_T3_mT4_T5_T6_T7_T8_P12ihipStream_tbENKUlT_T0_E_clISt17integral_constantIbLb1EES17_IbLb0EEEEDaS13_S14_EUlS13_E_NS1_11comp_targetILNS1_3genE4ELNS1_11target_archE910ELNS1_3gpuE8ELNS1_3repE0EEENS1_30default_config_static_selectorELNS0_4arch9wavefront6targetE0EEEvT1_.uses_vcc, 0
	.set _ZN7rocprim17ROCPRIM_400000_NS6detail17trampoline_kernelINS0_14default_configENS1_33run_length_encode_config_selectorIbjNS0_4plusIjEEEEZZNS1_33reduce_by_key_impl_wrapped_configILNS1_25lookback_scan_determinismE0ES3_S7_N6hipcub16HIPCUB_304000_NS22TransformInputIteratorIbN2at6native8internal12_GLOBAL__N_110LoadBoolOpEPKhlEENS0_17constant_iteratorIjlEEPbPlSO_S6_NS0_8equal_toIbEEEE10hipError_tPvRmT2_T3_mT4_T5_T6_T7_T8_P12ihipStream_tbENKUlT_T0_E_clISt17integral_constantIbLb1EES17_IbLb0EEEEDaS13_S14_EUlS13_E_NS1_11comp_targetILNS1_3genE4ELNS1_11target_archE910ELNS1_3gpuE8ELNS1_3repE0EEENS1_30default_config_static_selectorELNS0_4arch9wavefront6targetE0EEEvT1_.uses_flat_scratch, 0
	.set _ZN7rocprim17ROCPRIM_400000_NS6detail17trampoline_kernelINS0_14default_configENS1_33run_length_encode_config_selectorIbjNS0_4plusIjEEEEZZNS1_33reduce_by_key_impl_wrapped_configILNS1_25lookback_scan_determinismE0ES3_S7_N6hipcub16HIPCUB_304000_NS22TransformInputIteratorIbN2at6native8internal12_GLOBAL__N_110LoadBoolOpEPKhlEENS0_17constant_iteratorIjlEEPbPlSO_S6_NS0_8equal_toIbEEEE10hipError_tPvRmT2_T3_mT4_T5_T6_T7_T8_P12ihipStream_tbENKUlT_T0_E_clISt17integral_constantIbLb1EES17_IbLb0EEEEDaS13_S14_EUlS13_E_NS1_11comp_targetILNS1_3genE4ELNS1_11target_archE910ELNS1_3gpuE8ELNS1_3repE0EEENS1_30default_config_static_selectorELNS0_4arch9wavefront6targetE0EEEvT1_.has_dyn_sized_stack, 0
	.set _ZN7rocprim17ROCPRIM_400000_NS6detail17trampoline_kernelINS0_14default_configENS1_33run_length_encode_config_selectorIbjNS0_4plusIjEEEEZZNS1_33reduce_by_key_impl_wrapped_configILNS1_25lookback_scan_determinismE0ES3_S7_N6hipcub16HIPCUB_304000_NS22TransformInputIteratorIbN2at6native8internal12_GLOBAL__N_110LoadBoolOpEPKhlEENS0_17constant_iteratorIjlEEPbPlSO_S6_NS0_8equal_toIbEEEE10hipError_tPvRmT2_T3_mT4_T5_T6_T7_T8_P12ihipStream_tbENKUlT_T0_E_clISt17integral_constantIbLb1EES17_IbLb0EEEEDaS13_S14_EUlS13_E_NS1_11comp_targetILNS1_3genE4ELNS1_11target_archE910ELNS1_3gpuE8ELNS1_3repE0EEENS1_30default_config_static_selectorELNS0_4arch9wavefront6targetE0EEEvT1_.has_recursion, 0
	.set _ZN7rocprim17ROCPRIM_400000_NS6detail17trampoline_kernelINS0_14default_configENS1_33run_length_encode_config_selectorIbjNS0_4plusIjEEEEZZNS1_33reduce_by_key_impl_wrapped_configILNS1_25lookback_scan_determinismE0ES3_S7_N6hipcub16HIPCUB_304000_NS22TransformInputIteratorIbN2at6native8internal12_GLOBAL__N_110LoadBoolOpEPKhlEENS0_17constant_iteratorIjlEEPbPlSO_S6_NS0_8equal_toIbEEEE10hipError_tPvRmT2_T3_mT4_T5_T6_T7_T8_P12ihipStream_tbENKUlT_T0_E_clISt17integral_constantIbLb1EES17_IbLb0EEEEDaS13_S14_EUlS13_E_NS1_11comp_targetILNS1_3genE4ELNS1_11target_archE910ELNS1_3gpuE8ELNS1_3repE0EEENS1_30default_config_static_selectorELNS0_4arch9wavefront6targetE0EEEvT1_.has_indirect_call, 0
	.section	.AMDGPU.csdata,"",@progbits
; Kernel info:
; codeLenInByte = 0
; TotalNumSgprs: 0
; NumVgprs: 0
; ScratchSize: 0
; MemoryBound: 0
; FloatMode: 240
; IeeeMode: 1
; LDSByteSize: 0 bytes/workgroup (compile time only)
; SGPRBlocks: 0
; VGPRBlocks: 0
; NumSGPRsForWavesPerEU: 1
; NumVGPRsForWavesPerEU: 1
; NamedBarCnt: 0
; Occupancy: 16
; WaveLimiterHint : 0
; COMPUTE_PGM_RSRC2:SCRATCH_EN: 0
; COMPUTE_PGM_RSRC2:USER_SGPR: 2
; COMPUTE_PGM_RSRC2:TRAP_HANDLER: 0
; COMPUTE_PGM_RSRC2:TGID_X_EN: 1
; COMPUTE_PGM_RSRC2:TGID_Y_EN: 0
; COMPUTE_PGM_RSRC2:TGID_Z_EN: 0
; COMPUTE_PGM_RSRC2:TIDIG_COMP_CNT: 0
	.section	.text._ZN7rocprim17ROCPRIM_400000_NS6detail17trampoline_kernelINS0_14default_configENS1_33run_length_encode_config_selectorIbjNS0_4plusIjEEEEZZNS1_33reduce_by_key_impl_wrapped_configILNS1_25lookback_scan_determinismE0ES3_S7_N6hipcub16HIPCUB_304000_NS22TransformInputIteratorIbN2at6native8internal12_GLOBAL__N_110LoadBoolOpEPKhlEENS0_17constant_iteratorIjlEEPbPlSO_S6_NS0_8equal_toIbEEEE10hipError_tPvRmT2_T3_mT4_T5_T6_T7_T8_P12ihipStream_tbENKUlT_T0_E_clISt17integral_constantIbLb1EES17_IbLb0EEEEDaS13_S14_EUlS13_E_NS1_11comp_targetILNS1_3genE3ELNS1_11target_archE908ELNS1_3gpuE7ELNS1_3repE0EEENS1_30default_config_static_selectorELNS0_4arch9wavefront6targetE0EEEvT1_,"axG",@progbits,_ZN7rocprim17ROCPRIM_400000_NS6detail17trampoline_kernelINS0_14default_configENS1_33run_length_encode_config_selectorIbjNS0_4plusIjEEEEZZNS1_33reduce_by_key_impl_wrapped_configILNS1_25lookback_scan_determinismE0ES3_S7_N6hipcub16HIPCUB_304000_NS22TransformInputIteratorIbN2at6native8internal12_GLOBAL__N_110LoadBoolOpEPKhlEENS0_17constant_iteratorIjlEEPbPlSO_S6_NS0_8equal_toIbEEEE10hipError_tPvRmT2_T3_mT4_T5_T6_T7_T8_P12ihipStream_tbENKUlT_T0_E_clISt17integral_constantIbLb1EES17_IbLb0EEEEDaS13_S14_EUlS13_E_NS1_11comp_targetILNS1_3genE3ELNS1_11target_archE908ELNS1_3gpuE7ELNS1_3repE0EEENS1_30default_config_static_selectorELNS0_4arch9wavefront6targetE0EEEvT1_,comdat
	.globl	_ZN7rocprim17ROCPRIM_400000_NS6detail17trampoline_kernelINS0_14default_configENS1_33run_length_encode_config_selectorIbjNS0_4plusIjEEEEZZNS1_33reduce_by_key_impl_wrapped_configILNS1_25lookback_scan_determinismE0ES3_S7_N6hipcub16HIPCUB_304000_NS22TransformInputIteratorIbN2at6native8internal12_GLOBAL__N_110LoadBoolOpEPKhlEENS0_17constant_iteratorIjlEEPbPlSO_S6_NS0_8equal_toIbEEEE10hipError_tPvRmT2_T3_mT4_T5_T6_T7_T8_P12ihipStream_tbENKUlT_T0_E_clISt17integral_constantIbLb1EES17_IbLb0EEEEDaS13_S14_EUlS13_E_NS1_11comp_targetILNS1_3genE3ELNS1_11target_archE908ELNS1_3gpuE7ELNS1_3repE0EEENS1_30default_config_static_selectorELNS0_4arch9wavefront6targetE0EEEvT1_ ; -- Begin function _ZN7rocprim17ROCPRIM_400000_NS6detail17trampoline_kernelINS0_14default_configENS1_33run_length_encode_config_selectorIbjNS0_4plusIjEEEEZZNS1_33reduce_by_key_impl_wrapped_configILNS1_25lookback_scan_determinismE0ES3_S7_N6hipcub16HIPCUB_304000_NS22TransformInputIteratorIbN2at6native8internal12_GLOBAL__N_110LoadBoolOpEPKhlEENS0_17constant_iteratorIjlEEPbPlSO_S6_NS0_8equal_toIbEEEE10hipError_tPvRmT2_T3_mT4_T5_T6_T7_T8_P12ihipStream_tbENKUlT_T0_E_clISt17integral_constantIbLb1EES17_IbLb0EEEEDaS13_S14_EUlS13_E_NS1_11comp_targetILNS1_3genE3ELNS1_11target_archE908ELNS1_3gpuE7ELNS1_3repE0EEENS1_30default_config_static_selectorELNS0_4arch9wavefront6targetE0EEEvT1_
	.p2align	8
	.type	_ZN7rocprim17ROCPRIM_400000_NS6detail17trampoline_kernelINS0_14default_configENS1_33run_length_encode_config_selectorIbjNS0_4plusIjEEEEZZNS1_33reduce_by_key_impl_wrapped_configILNS1_25lookback_scan_determinismE0ES3_S7_N6hipcub16HIPCUB_304000_NS22TransformInputIteratorIbN2at6native8internal12_GLOBAL__N_110LoadBoolOpEPKhlEENS0_17constant_iteratorIjlEEPbPlSO_S6_NS0_8equal_toIbEEEE10hipError_tPvRmT2_T3_mT4_T5_T6_T7_T8_P12ihipStream_tbENKUlT_T0_E_clISt17integral_constantIbLb1EES17_IbLb0EEEEDaS13_S14_EUlS13_E_NS1_11comp_targetILNS1_3genE3ELNS1_11target_archE908ELNS1_3gpuE7ELNS1_3repE0EEENS1_30default_config_static_selectorELNS0_4arch9wavefront6targetE0EEEvT1_,@function
_ZN7rocprim17ROCPRIM_400000_NS6detail17trampoline_kernelINS0_14default_configENS1_33run_length_encode_config_selectorIbjNS0_4plusIjEEEEZZNS1_33reduce_by_key_impl_wrapped_configILNS1_25lookback_scan_determinismE0ES3_S7_N6hipcub16HIPCUB_304000_NS22TransformInputIteratorIbN2at6native8internal12_GLOBAL__N_110LoadBoolOpEPKhlEENS0_17constant_iteratorIjlEEPbPlSO_S6_NS0_8equal_toIbEEEE10hipError_tPvRmT2_T3_mT4_T5_T6_T7_T8_P12ihipStream_tbENKUlT_T0_E_clISt17integral_constantIbLb1EES17_IbLb0EEEEDaS13_S14_EUlS13_E_NS1_11comp_targetILNS1_3genE3ELNS1_11target_archE908ELNS1_3gpuE7ELNS1_3repE0EEENS1_30default_config_static_selectorELNS0_4arch9wavefront6targetE0EEEvT1_: ; @_ZN7rocprim17ROCPRIM_400000_NS6detail17trampoline_kernelINS0_14default_configENS1_33run_length_encode_config_selectorIbjNS0_4plusIjEEEEZZNS1_33reduce_by_key_impl_wrapped_configILNS1_25lookback_scan_determinismE0ES3_S7_N6hipcub16HIPCUB_304000_NS22TransformInputIteratorIbN2at6native8internal12_GLOBAL__N_110LoadBoolOpEPKhlEENS0_17constant_iteratorIjlEEPbPlSO_S6_NS0_8equal_toIbEEEE10hipError_tPvRmT2_T3_mT4_T5_T6_T7_T8_P12ihipStream_tbENKUlT_T0_E_clISt17integral_constantIbLb1EES17_IbLb0EEEEDaS13_S14_EUlS13_E_NS1_11comp_targetILNS1_3genE3ELNS1_11target_archE908ELNS1_3gpuE7ELNS1_3repE0EEENS1_30default_config_static_selectorELNS0_4arch9wavefront6targetE0EEEvT1_
; %bb.0:
	.section	.rodata,"a",@progbits
	.p2align	6, 0x0
	.amdhsa_kernel _ZN7rocprim17ROCPRIM_400000_NS6detail17trampoline_kernelINS0_14default_configENS1_33run_length_encode_config_selectorIbjNS0_4plusIjEEEEZZNS1_33reduce_by_key_impl_wrapped_configILNS1_25lookback_scan_determinismE0ES3_S7_N6hipcub16HIPCUB_304000_NS22TransformInputIteratorIbN2at6native8internal12_GLOBAL__N_110LoadBoolOpEPKhlEENS0_17constant_iteratorIjlEEPbPlSO_S6_NS0_8equal_toIbEEEE10hipError_tPvRmT2_T3_mT4_T5_T6_T7_T8_P12ihipStream_tbENKUlT_T0_E_clISt17integral_constantIbLb1EES17_IbLb0EEEEDaS13_S14_EUlS13_E_NS1_11comp_targetILNS1_3genE3ELNS1_11target_archE908ELNS1_3gpuE7ELNS1_3repE0EEENS1_30default_config_static_selectorELNS0_4arch9wavefront6targetE0EEEvT1_
		.amdhsa_group_segment_fixed_size 0
		.amdhsa_private_segment_fixed_size 0
		.amdhsa_kernarg_size 136
		.amdhsa_user_sgpr_count 2
		.amdhsa_user_sgpr_dispatch_ptr 0
		.amdhsa_user_sgpr_queue_ptr 0
		.amdhsa_user_sgpr_kernarg_segment_ptr 1
		.amdhsa_user_sgpr_dispatch_id 0
		.amdhsa_user_sgpr_kernarg_preload_length 0
		.amdhsa_user_sgpr_kernarg_preload_offset 0
		.amdhsa_user_sgpr_private_segment_size 0
		.amdhsa_wavefront_size32 1
		.amdhsa_uses_dynamic_stack 0
		.amdhsa_enable_private_segment 0
		.amdhsa_system_sgpr_workgroup_id_x 1
		.amdhsa_system_sgpr_workgroup_id_y 0
		.amdhsa_system_sgpr_workgroup_id_z 0
		.amdhsa_system_sgpr_workgroup_info 0
		.amdhsa_system_vgpr_workitem_id 0
		.amdhsa_next_free_vgpr 1
		.amdhsa_next_free_sgpr 1
		.amdhsa_named_barrier_count 0
		.amdhsa_reserve_vcc 0
		.amdhsa_float_round_mode_32 0
		.amdhsa_float_round_mode_16_64 0
		.amdhsa_float_denorm_mode_32 3
		.amdhsa_float_denorm_mode_16_64 3
		.amdhsa_fp16_overflow 0
		.amdhsa_memory_ordered 1
		.amdhsa_forward_progress 1
		.amdhsa_inst_pref_size 0
		.amdhsa_round_robin_scheduling 0
		.amdhsa_exception_fp_ieee_invalid_op 0
		.amdhsa_exception_fp_denorm_src 0
		.amdhsa_exception_fp_ieee_div_zero 0
		.amdhsa_exception_fp_ieee_overflow 0
		.amdhsa_exception_fp_ieee_underflow 0
		.amdhsa_exception_fp_ieee_inexact 0
		.amdhsa_exception_int_div_zero 0
	.end_amdhsa_kernel
	.section	.text._ZN7rocprim17ROCPRIM_400000_NS6detail17trampoline_kernelINS0_14default_configENS1_33run_length_encode_config_selectorIbjNS0_4plusIjEEEEZZNS1_33reduce_by_key_impl_wrapped_configILNS1_25lookback_scan_determinismE0ES3_S7_N6hipcub16HIPCUB_304000_NS22TransformInputIteratorIbN2at6native8internal12_GLOBAL__N_110LoadBoolOpEPKhlEENS0_17constant_iteratorIjlEEPbPlSO_S6_NS0_8equal_toIbEEEE10hipError_tPvRmT2_T3_mT4_T5_T6_T7_T8_P12ihipStream_tbENKUlT_T0_E_clISt17integral_constantIbLb1EES17_IbLb0EEEEDaS13_S14_EUlS13_E_NS1_11comp_targetILNS1_3genE3ELNS1_11target_archE908ELNS1_3gpuE7ELNS1_3repE0EEENS1_30default_config_static_selectorELNS0_4arch9wavefront6targetE0EEEvT1_,"axG",@progbits,_ZN7rocprim17ROCPRIM_400000_NS6detail17trampoline_kernelINS0_14default_configENS1_33run_length_encode_config_selectorIbjNS0_4plusIjEEEEZZNS1_33reduce_by_key_impl_wrapped_configILNS1_25lookback_scan_determinismE0ES3_S7_N6hipcub16HIPCUB_304000_NS22TransformInputIteratorIbN2at6native8internal12_GLOBAL__N_110LoadBoolOpEPKhlEENS0_17constant_iteratorIjlEEPbPlSO_S6_NS0_8equal_toIbEEEE10hipError_tPvRmT2_T3_mT4_T5_T6_T7_T8_P12ihipStream_tbENKUlT_T0_E_clISt17integral_constantIbLb1EES17_IbLb0EEEEDaS13_S14_EUlS13_E_NS1_11comp_targetILNS1_3genE3ELNS1_11target_archE908ELNS1_3gpuE7ELNS1_3repE0EEENS1_30default_config_static_selectorELNS0_4arch9wavefront6targetE0EEEvT1_,comdat
.Lfunc_end81:
	.size	_ZN7rocprim17ROCPRIM_400000_NS6detail17trampoline_kernelINS0_14default_configENS1_33run_length_encode_config_selectorIbjNS0_4plusIjEEEEZZNS1_33reduce_by_key_impl_wrapped_configILNS1_25lookback_scan_determinismE0ES3_S7_N6hipcub16HIPCUB_304000_NS22TransformInputIteratorIbN2at6native8internal12_GLOBAL__N_110LoadBoolOpEPKhlEENS0_17constant_iteratorIjlEEPbPlSO_S6_NS0_8equal_toIbEEEE10hipError_tPvRmT2_T3_mT4_T5_T6_T7_T8_P12ihipStream_tbENKUlT_T0_E_clISt17integral_constantIbLb1EES17_IbLb0EEEEDaS13_S14_EUlS13_E_NS1_11comp_targetILNS1_3genE3ELNS1_11target_archE908ELNS1_3gpuE7ELNS1_3repE0EEENS1_30default_config_static_selectorELNS0_4arch9wavefront6targetE0EEEvT1_, .Lfunc_end81-_ZN7rocprim17ROCPRIM_400000_NS6detail17trampoline_kernelINS0_14default_configENS1_33run_length_encode_config_selectorIbjNS0_4plusIjEEEEZZNS1_33reduce_by_key_impl_wrapped_configILNS1_25lookback_scan_determinismE0ES3_S7_N6hipcub16HIPCUB_304000_NS22TransformInputIteratorIbN2at6native8internal12_GLOBAL__N_110LoadBoolOpEPKhlEENS0_17constant_iteratorIjlEEPbPlSO_S6_NS0_8equal_toIbEEEE10hipError_tPvRmT2_T3_mT4_T5_T6_T7_T8_P12ihipStream_tbENKUlT_T0_E_clISt17integral_constantIbLb1EES17_IbLb0EEEEDaS13_S14_EUlS13_E_NS1_11comp_targetILNS1_3genE3ELNS1_11target_archE908ELNS1_3gpuE7ELNS1_3repE0EEENS1_30default_config_static_selectorELNS0_4arch9wavefront6targetE0EEEvT1_
                                        ; -- End function
	.set _ZN7rocprim17ROCPRIM_400000_NS6detail17trampoline_kernelINS0_14default_configENS1_33run_length_encode_config_selectorIbjNS0_4plusIjEEEEZZNS1_33reduce_by_key_impl_wrapped_configILNS1_25lookback_scan_determinismE0ES3_S7_N6hipcub16HIPCUB_304000_NS22TransformInputIteratorIbN2at6native8internal12_GLOBAL__N_110LoadBoolOpEPKhlEENS0_17constant_iteratorIjlEEPbPlSO_S6_NS0_8equal_toIbEEEE10hipError_tPvRmT2_T3_mT4_T5_T6_T7_T8_P12ihipStream_tbENKUlT_T0_E_clISt17integral_constantIbLb1EES17_IbLb0EEEEDaS13_S14_EUlS13_E_NS1_11comp_targetILNS1_3genE3ELNS1_11target_archE908ELNS1_3gpuE7ELNS1_3repE0EEENS1_30default_config_static_selectorELNS0_4arch9wavefront6targetE0EEEvT1_.num_vgpr, 0
	.set _ZN7rocprim17ROCPRIM_400000_NS6detail17trampoline_kernelINS0_14default_configENS1_33run_length_encode_config_selectorIbjNS0_4plusIjEEEEZZNS1_33reduce_by_key_impl_wrapped_configILNS1_25lookback_scan_determinismE0ES3_S7_N6hipcub16HIPCUB_304000_NS22TransformInputIteratorIbN2at6native8internal12_GLOBAL__N_110LoadBoolOpEPKhlEENS0_17constant_iteratorIjlEEPbPlSO_S6_NS0_8equal_toIbEEEE10hipError_tPvRmT2_T3_mT4_T5_T6_T7_T8_P12ihipStream_tbENKUlT_T0_E_clISt17integral_constantIbLb1EES17_IbLb0EEEEDaS13_S14_EUlS13_E_NS1_11comp_targetILNS1_3genE3ELNS1_11target_archE908ELNS1_3gpuE7ELNS1_3repE0EEENS1_30default_config_static_selectorELNS0_4arch9wavefront6targetE0EEEvT1_.num_agpr, 0
	.set _ZN7rocprim17ROCPRIM_400000_NS6detail17trampoline_kernelINS0_14default_configENS1_33run_length_encode_config_selectorIbjNS0_4plusIjEEEEZZNS1_33reduce_by_key_impl_wrapped_configILNS1_25lookback_scan_determinismE0ES3_S7_N6hipcub16HIPCUB_304000_NS22TransformInputIteratorIbN2at6native8internal12_GLOBAL__N_110LoadBoolOpEPKhlEENS0_17constant_iteratorIjlEEPbPlSO_S6_NS0_8equal_toIbEEEE10hipError_tPvRmT2_T3_mT4_T5_T6_T7_T8_P12ihipStream_tbENKUlT_T0_E_clISt17integral_constantIbLb1EES17_IbLb0EEEEDaS13_S14_EUlS13_E_NS1_11comp_targetILNS1_3genE3ELNS1_11target_archE908ELNS1_3gpuE7ELNS1_3repE0EEENS1_30default_config_static_selectorELNS0_4arch9wavefront6targetE0EEEvT1_.numbered_sgpr, 0
	.set _ZN7rocprim17ROCPRIM_400000_NS6detail17trampoline_kernelINS0_14default_configENS1_33run_length_encode_config_selectorIbjNS0_4plusIjEEEEZZNS1_33reduce_by_key_impl_wrapped_configILNS1_25lookback_scan_determinismE0ES3_S7_N6hipcub16HIPCUB_304000_NS22TransformInputIteratorIbN2at6native8internal12_GLOBAL__N_110LoadBoolOpEPKhlEENS0_17constant_iteratorIjlEEPbPlSO_S6_NS0_8equal_toIbEEEE10hipError_tPvRmT2_T3_mT4_T5_T6_T7_T8_P12ihipStream_tbENKUlT_T0_E_clISt17integral_constantIbLb1EES17_IbLb0EEEEDaS13_S14_EUlS13_E_NS1_11comp_targetILNS1_3genE3ELNS1_11target_archE908ELNS1_3gpuE7ELNS1_3repE0EEENS1_30default_config_static_selectorELNS0_4arch9wavefront6targetE0EEEvT1_.num_named_barrier, 0
	.set _ZN7rocprim17ROCPRIM_400000_NS6detail17trampoline_kernelINS0_14default_configENS1_33run_length_encode_config_selectorIbjNS0_4plusIjEEEEZZNS1_33reduce_by_key_impl_wrapped_configILNS1_25lookback_scan_determinismE0ES3_S7_N6hipcub16HIPCUB_304000_NS22TransformInputIteratorIbN2at6native8internal12_GLOBAL__N_110LoadBoolOpEPKhlEENS0_17constant_iteratorIjlEEPbPlSO_S6_NS0_8equal_toIbEEEE10hipError_tPvRmT2_T3_mT4_T5_T6_T7_T8_P12ihipStream_tbENKUlT_T0_E_clISt17integral_constantIbLb1EES17_IbLb0EEEEDaS13_S14_EUlS13_E_NS1_11comp_targetILNS1_3genE3ELNS1_11target_archE908ELNS1_3gpuE7ELNS1_3repE0EEENS1_30default_config_static_selectorELNS0_4arch9wavefront6targetE0EEEvT1_.private_seg_size, 0
	.set _ZN7rocprim17ROCPRIM_400000_NS6detail17trampoline_kernelINS0_14default_configENS1_33run_length_encode_config_selectorIbjNS0_4plusIjEEEEZZNS1_33reduce_by_key_impl_wrapped_configILNS1_25lookback_scan_determinismE0ES3_S7_N6hipcub16HIPCUB_304000_NS22TransformInputIteratorIbN2at6native8internal12_GLOBAL__N_110LoadBoolOpEPKhlEENS0_17constant_iteratorIjlEEPbPlSO_S6_NS0_8equal_toIbEEEE10hipError_tPvRmT2_T3_mT4_T5_T6_T7_T8_P12ihipStream_tbENKUlT_T0_E_clISt17integral_constantIbLb1EES17_IbLb0EEEEDaS13_S14_EUlS13_E_NS1_11comp_targetILNS1_3genE3ELNS1_11target_archE908ELNS1_3gpuE7ELNS1_3repE0EEENS1_30default_config_static_selectorELNS0_4arch9wavefront6targetE0EEEvT1_.uses_vcc, 0
	.set _ZN7rocprim17ROCPRIM_400000_NS6detail17trampoline_kernelINS0_14default_configENS1_33run_length_encode_config_selectorIbjNS0_4plusIjEEEEZZNS1_33reduce_by_key_impl_wrapped_configILNS1_25lookback_scan_determinismE0ES3_S7_N6hipcub16HIPCUB_304000_NS22TransformInputIteratorIbN2at6native8internal12_GLOBAL__N_110LoadBoolOpEPKhlEENS0_17constant_iteratorIjlEEPbPlSO_S6_NS0_8equal_toIbEEEE10hipError_tPvRmT2_T3_mT4_T5_T6_T7_T8_P12ihipStream_tbENKUlT_T0_E_clISt17integral_constantIbLb1EES17_IbLb0EEEEDaS13_S14_EUlS13_E_NS1_11comp_targetILNS1_3genE3ELNS1_11target_archE908ELNS1_3gpuE7ELNS1_3repE0EEENS1_30default_config_static_selectorELNS0_4arch9wavefront6targetE0EEEvT1_.uses_flat_scratch, 0
	.set _ZN7rocprim17ROCPRIM_400000_NS6detail17trampoline_kernelINS0_14default_configENS1_33run_length_encode_config_selectorIbjNS0_4plusIjEEEEZZNS1_33reduce_by_key_impl_wrapped_configILNS1_25lookback_scan_determinismE0ES3_S7_N6hipcub16HIPCUB_304000_NS22TransformInputIteratorIbN2at6native8internal12_GLOBAL__N_110LoadBoolOpEPKhlEENS0_17constant_iteratorIjlEEPbPlSO_S6_NS0_8equal_toIbEEEE10hipError_tPvRmT2_T3_mT4_T5_T6_T7_T8_P12ihipStream_tbENKUlT_T0_E_clISt17integral_constantIbLb1EES17_IbLb0EEEEDaS13_S14_EUlS13_E_NS1_11comp_targetILNS1_3genE3ELNS1_11target_archE908ELNS1_3gpuE7ELNS1_3repE0EEENS1_30default_config_static_selectorELNS0_4arch9wavefront6targetE0EEEvT1_.has_dyn_sized_stack, 0
	.set _ZN7rocprim17ROCPRIM_400000_NS6detail17trampoline_kernelINS0_14default_configENS1_33run_length_encode_config_selectorIbjNS0_4plusIjEEEEZZNS1_33reduce_by_key_impl_wrapped_configILNS1_25lookback_scan_determinismE0ES3_S7_N6hipcub16HIPCUB_304000_NS22TransformInputIteratorIbN2at6native8internal12_GLOBAL__N_110LoadBoolOpEPKhlEENS0_17constant_iteratorIjlEEPbPlSO_S6_NS0_8equal_toIbEEEE10hipError_tPvRmT2_T3_mT4_T5_T6_T7_T8_P12ihipStream_tbENKUlT_T0_E_clISt17integral_constantIbLb1EES17_IbLb0EEEEDaS13_S14_EUlS13_E_NS1_11comp_targetILNS1_3genE3ELNS1_11target_archE908ELNS1_3gpuE7ELNS1_3repE0EEENS1_30default_config_static_selectorELNS0_4arch9wavefront6targetE0EEEvT1_.has_recursion, 0
	.set _ZN7rocprim17ROCPRIM_400000_NS6detail17trampoline_kernelINS0_14default_configENS1_33run_length_encode_config_selectorIbjNS0_4plusIjEEEEZZNS1_33reduce_by_key_impl_wrapped_configILNS1_25lookback_scan_determinismE0ES3_S7_N6hipcub16HIPCUB_304000_NS22TransformInputIteratorIbN2at6native8internal12_GLOBAL__N_110LoadBoolOpEPKhlEENS0_17constant_iteratorIjlEEPbPlSO_S6_NS0_8equal_toIbEEEE10hipError_tPvRmT2_T3_mT4_T5_T6_T7_T8_P12ihipStream_tbENKUlT_T0_E_clISt17integral_constantIbLb1EES17_IbLb0EEEEDaS13_S14_EUlS13_E_NS1_11comp_targetILNS1_3genE3ELNS1_11target_archE908ELNS1_3gpuE7ELNS1_3repE0EEENS1_30default_config_static_selectorELNS0_4arch9wavefront6targetE0EEEvT1_.has_indirect_call, 0
	.section	.AMDGPU.csdata,"",@progbits
; Kernel info:
; codeLenInByte = 0
; TotalNumSgprs: 0
; NumVgprs: 0
; ScratchSize: 0
; MemoryBound: 0
; FloatMode: 240
; IeeeMode: 1
; LDSByteSize: 0 bytes/workgroup (compile time only)
; SGPRBlocks: 0
; VGPRBlocks: 0
; NumSGPRsForWavesPerEU: 1
; NumVGPRsForWavesPerEU: 1
; NamedBarCnt: 0
; Occupancy: 16
; WaveLimiterHint : 0
; COMPUTE_PGM_RSRC2:SCRATCH_EN: 0
; COMPUTE_PGM_RSRC2:USER_SGPR: 2
; COMPUTE_PGM_RSRC2:TRAP_HANDLER: 0
; COMPUTE_PGM_RSRC2:TGID_X_EN: 1
; COMPUTE_PGM_RSRC2:TGID_Y_EN: 0
; COMPUTE_PGM_RSRC2:TGID_Z_EN: 0
; COMPUTE_PGM_RSRC2:TIDIG_COMP_CNT: 0
	.section	.text._ZN7rocprim17ROCPRIM_400000_NS6detail17trampoline_kernelINS0_14default_configENS1_33run_length_encode_config_selectorIbjNS0_4plusIjEEEEZZNS1_33reduce_by_key_impl_wrapped_configILNS1_25lookback_scan_determinismE0ES3_S7_N6hipcub16HIPCUB_304000_NS22TransformInputIteratorIbN2at6native8internal12_GLOBAL__N_110LoadBoolOpEPKhlEENS0_17constant_iteratorIjlEEPbPlSO_S6_NS0_8equal_toIbEEEE10hipError_tPvRmT2_T3_mT4_T5_T6_T7_T8_P12ihipStream_tbENKUlT_T0_E_clISt17integral_constantIbLb1EES17_IbLb0EEEEDaS13_S14_EUlS13_E_NS1_11comp_targetILNS1_3genE2ELNS1_11target_archE906ELNS1_3gpuE6ELNS1_3repE0EEENS1_30default_config_static_selectorELNS0_4arch9wavefront6targetE0EEEvT1_,"axG",@progbits,_ZN7rocprim17ROCPRIM_400000_NS6detail17trampoline_kernelINS0_14default_configENS1_33run_length_encode_config_selectorIbjNS0_4plusIjEEEEZZNS1_33reduce_by_key_impl_wrapped_configILNS1_25lookback_scan_determinismE0ES3_S7_N6hipcub16HIPCUB_304000_NS22TransformInputIteratorIbN2at6native8internal12_GLOBAL__N_110LoadBoolOpEPKhlEENS0_17constant_iteratorIjlEEPbPlSO_S6_NS0_8equal_toIbEEEE10hipError_tPvRmT2_T3_mT4_T5_T6_T7_T8_P12ihipStream_tbENKUlT_T0_E_clISt17integral_constantIbLb1EES17_IbLb0EEEEDaS13_S14_EUlS13_E_NS1_11comp_targetILNS1_3genE2ELNS1_11target_archE906ELNS1_3gpuE6ELNS1_3repE0EEENS1_30default_config_static_selectorELNS0_4arch9wavefront6targetE0EEEvT1_,comdat
	.globl	_ZN7rocprim17ROCPRIM_400000_NS6detail17trampoline_kernelINS0_14default_configENS1_33run_length_encode_config_selectorIbjNS0_4plusIjEEEEZZNS1_33reduce_by_key_impl_wrapped_configILNS1_25lookback_scan_determinismE0ES3_S7_N6hipcub16HIPCUB_304000_NS22TransformInputIteratorIbN2at6native8internal12_GLOBAL__N_110LoadBoolOpEPKhlEENS0_17constant_iteratorIjlEEPbPlSO_S6_NS0_8equal_toIbEEEE10hipError_tPvRmT2_T3_mT4_T5_T6_T7_T8_P12ihipStream_tbENKUlT_T0_E_clISt17integral_constantIbLb1EES17_IbLb0EEEEDaS13_S14_EUlS13_E_NS1_11comp_targetILNS1_3genE2ELNS1_11target_archE906ELNS1_3gpuE6ELNS1_3repE0EEENS1_30default_config_static_selectorELNS0_4arch9wavefront6targetE0EEEvT1_ ; -- Begin function _ZN7rocprim17ROCPRIM_400000_NS6detail17trampoline_kernelINS0_14default_configENS1_33run_length_encode_config_selectorIbjNS0_4plusIjEEEEZZNS1_33reduce_by_key_impl_wrapped_configILNS1_25lookback_scan_determinismE0ES3_S7_N6hipcub16HIPCUB_304000_NS22TransformInputIteratorIbN2at6native8internal12_GLOBAL__N_110LoadBoolOpEPKhlEENS0_17constant_iteratorIjlEEPbPlSO_S6_NS0_8equal_toIbEEEE10hipError_tPvRmT2_T3_mT4_T5_T6_T7_T8_P12ihipStream_tbENKUlT_T0_E_clISt17integral_constantIbLb1EES17_IbLb0EEEEDaS13_S14_EUlS13_E_NS1_11comp_targetILNS1_3genE2ELNS1_11target_archE906ELNS1_3gpuE6ELNS1_3repE0EEENS1_30default_config_static_selectorELNS0_4arch9wavefront6targetE0EEEvT1_
	.p2align	8
	.type	_ZN7rocprim17ROCPRIM_400000_NS6detail17trampoline_kernelINS0_14default_configENS1_33run_length_encode_config_selectorIbjNS0_4plusIjEEEEZZNS1_33reduce_by_key_impl_wrapped_configILNS1_25lookback_scan_determinismE0ES3_S7_N6hipcub16HIPCUB_304000_NS22TransformInputIteratorIbN2at6native8internal12_GLOBAL__N_110LoadBoolOpEPKhlEENS0_17constant_iteratorIjlEEPbPlSO_S6_NS0_8equal_toIbEEEE10hipError_tPvRmT2_T3_mT4_T5_T6_T7_T8_P12ihipStream_tbENKUlT_T0_E_clISt17integral_constantIbLb1EES17_IbLb0EEEEDaS13_S14_EUlS13_E_NS1_11comp_targetILNS1_3genE2ELNS1_11target_archE906ELNS1_3gpuE6ELNS1_3repE0EEENS1_30default_config_static_selectorELNS0_4arch9wavefront6targetE0EEEvT1_,@function
_ZN7rocprim17ROCPRIM_400000_NS6detail17trampoline_kernelINS0_14default_configENS1_33run_length_encode_config_selectorIbjNS0_4plusIjEEEEZZNS1_33reduce_by_key_impl_wrapped_configILNS1_25lookback_scan_determinismE0ES3_S7_N6hipcub16HIPCUB_304000_NS22TransformInputIteratorIbN2at6native8internal12_GLOBAL__N_110LoadBoolOpEPKhlEENS0_17constant_iteratorIjlEEPbPlSO_S6_NS0_8equal_toIbEEEE10hipError_tPvRmT2_T3_mT4_T5_T6_T7_T8_P12ihipStream_tbENKUlT_T0_E_clISt17integral_constantIbLb1EES17_IbLb0EEEEDaS13_S14_EUlS13_E_NS1_11comp_targetILNS1_3genE2ELNS1_11target_archE906ELNS1_3gpuE6ELNS1_3repE0EEENS1_30default_config_static_selectorELNS0_4arch9wavefront6targetE0EEEvT1_: ; @_ZN7rocprim17ROCPRIM_400000_NS6detail17trampoline_kernelINS0_14default_configENS1_33run_length_encode_config_selectorIbjNS0_4plusIjEEEEZZNS1_33reduce_by_key_impl_wrapped_configILNS1_25lookback_scan_determinismE0ES3_S7_N6hipcub16HIPCUB_304000_NS22TransformInputIteratorIbN2at6native8internal12_GLOBAL__N_110LoadBoolOpEPKhlEENS0_17constant_iteratorIjlEEPbPlSO_S6_NS0_8equal_toIbEEEE10hipError_tPvRmT2_T3_mT4_T5_T6_T7_T8_P12ihipStream_tbENKUlT_T0_E_clISt17integral_constantIbLb1EES17_IbLb0EEEEDaS13_S14_EUlS13_E_NS1_11comp_targetILNS1_3genE2ELNS1_11target_archE906ELNS1_3gpuE6ELNS1_3repE0EEENS1_30default_config_static_selectorELNS0_4arch9wavefront6targetE0EEEvT1_
; %bb.0:
	.section	.rodata,"a",@progbits
	.p2align	6, 0x0
	.amdhsa_kernel _ZN7rocprim17ROCPRIM_400000_NS6detail17trampoline_kernelINS0_14default_configENS1_33run_length_encode_config_selectorIbjNS0_4plusIjEEEEZZNS1_33reduce_by_key_impl_wrapped_configILNS1_25lookback_scan_determinismE0ES3_S7_N6hipcub16HIPCUB_304000_NS22TransformInputIteratorIbN2at6native8internal12_GLOBAL__N_110LoadBoolOpEPKhlEENS0_17constant_iteratorIjlEEPbPlSO_S6_NS0_8equal_toIbEEEE10hipError_tPvRmT2_T3_mT4_T5_T6_T7_T8_P12ihipStream_tbENKUlT_T0_E_clISt17integral_constantIbLb1EES17_IbLb0EEEEDaS13_S14_EUlS13_E_NS1_11comp_targetILNS1_3genE2ELNS1_11target_archE906ELNS1_3gpuE6ELNS1_3repE0EEENS1_30default_config_static_selectorELNS0_4arch9wavefront6targetE0EEEvT1_
		.amdhsa_group_segment_fixed_size 0
		.amdhsa_private_segment_fixed_size 0
		.amdhsa_kernarg_size 136
		.amdhsa_user_sgpr_count 2
		.amdhsa_user_sgpr_dispatch_ptr 0
		.amdhsa_user_sgpr_queue_ptr 0
		.amdhsa_user_sgpr_kernarg_segment_ptr 1
		.amdhsa_user_sgpr_dispatch_id 0
		.amdhsa_user_sgpr_kernarg_preload_length 0
		.amdhsa_user_sgpr_kernarg_preload_offset 0
		.amdhsa_user_sgpr_private_segment_size 0
		.amdhsa_wavefront_size32 1
		.amdhsa_uses_dynamic_stack 0
		.amdhsa_enable_private_segment 0
		.amdhsa_system_sgpr_workgroup_id_x 1
		.amdhsa_system_sgpr_workgroup_id_y 0
		.amdhsa_system_sgpr_workgroup_id_z 0
		.amdhsa_system_sgpr_workgroup_info 0
		.amdhsa_system_vgpr_workitem_id 0
		.amdhsa_next_free_vgpr 1
		.amdhsa_next_free_sgpr 1
		.amdhsa_named_barrier_count 0
		.amdhsa_reserve_vcc 0
		.amdhsa_float_round_mode_32 0
		.amdhsa_float_round_mode_16_64 0
		.amdhsa_float_denorm_mode_32 3
		.amdhsa_float_denorm_mode_16_64 3
		.amdhsa_fp16_overflow 0
		.amdhsa_memory_ordered 1
		.amdhsa_forward_progress 1
		.amdhsa_inst_pref_size 0
		.amdhsa_round_robin_scheduling 0
		.amdhsa_exception_fp_ieee_invalid_op 0
		.amdhsa_exception_fp_denorm_src 0
		.amdhsa_exception_fp_ieee_div_zero 0
		.amdhsa_exception_fp_ieee_overflow 0
		.amdhsa_exception_fp_ieee_underflow 0
		.amdhsa_exception_fp_ieee_inexact 0
		.amdhsa_exception_int_div_zero 0
	.end_amdhsa_kernel
	.section	.text._ZN7rocprim17ROCPRIM_400000_NS6detail17trampoline_kernelINS0_14default_configENS1_33run_length_encode_config_selectorIbjNS0_4plusIjEEEEZZNS1_33reduce_by_key_impl_wrapped_configILNS1_25lookback_scan_determinismE0ES3_S7_N6hipcub16HIPCUB_304000_NS22TransformInputIteratorIbN2at6native8internal12_GLOBAL__N_110LoadBoolOpEPKhlEENS0_17constant_iteratorIjlEEPbPlSO_S6_NS0_8equal_toIbEEEE10hipError_tPvRmT2_T3_mT4_T5_T6_T7_T8_P12ihipStream_tbENKUlT_T0_E_clISt17integral_constantIbLb1EES17_IbLb0EEEEDaS13_S14_EUlS13_E_NS1_11comp_targetILNS1_3genE2ELNS1_11target_archE906ELNS1_3gpuE6ELNS1_3repE0EEENS1_30default_config_static_selectorELNS0_4arch9wavefront6targetE0EEEvT1_,"axG",@progbits,_ZN7rocprim17ROCPRIM_400000_NS6detail17trampoline_kernelINS0_14default_configENS1_33run_length_encode_config_selectorIbjNS0_4plusIjEEEEZZNS1_33reduce_by_key_impl_wrapped_configILNS1_25lookback_scan_determinismE0ES3_S7_N6hipcub16HIPCUB_304000_NS22TransformInputIteratorIbN2at6native8internal12_GLOBAL__N_110LoadBoolOpEPKhlEENS0_17constant_iteratorIjlEEPbPlSO_S6_NS0_8equal_toIbEEEE10hipError_tPvRmT2_T3_mT4_T5_T6_T7_T8_P12ihipStream_tbENKUlT_T0_E_clISt17integral_constantIbLb1EES17_IbLb0EEEEDaS13_S14_EUlS13_E_NS1_11comp_targetILNS1_3genE2ELNS1_11target_archE906ELNS1_3gpuE6ELNS1_3repE0EEENS1_30default_config_static_selectorELNS0_4arch9wavefront6targetE0EEEvT1_,comdat
.Lfunc_end82:
	.size	_ZN7rocprim17ROCPRIM_400000_NS6detail17trampoline_kernelINS0_14default_configENS1_33run_length_encode_config_selectorIbjNS0_4plusIjEEEEZZNS1_33reduce_by_key_impl_wrapped_configILNS1_25lookback_scan_determinismE0ES3_S7_N6hipcub16HIPCUB_304000_NS22TransformInputIteratorIbN2at6native8internal12_GLOBAL__N_110LoadBoolOpEPKhlEENS0_17constant_iteratorIjlEEPbPlSO_S6_NS0_8equal_toIbEEEE10hipError_tPvRmT2_T3_mT4_T5_T6_T7_T8_P12ihipStream_tbENKUlT_T0_E_clISt17integral_constantIbLb1EES17_IbLb0EEEEDaS13_S14_EUlS13_E_NS1_11comp_targetILNS1_3genE2ELNS1_11target_archE906ELNS1_3gpuE6ELNS1_3repE0EEENS1_30default_config_static_selectorELNS0_4arch9wavefront6targetE0EEEvT1_, .Lfunc_end82-_ZN7rocprim17ROCPRIM_400000_NS6detail17trampoline_kernelINS0_14default_configENS1_33run_length_encode_config_selectorIbjNS0_4plusIjEEEEZZNS1_33reduce_by_key_impl_wrapped_configILNS1_25lookback_scan_determinismE0ES3_S7_N6hipcub16HIPCUB_304000_NS22TransformInputIteratorIbN2at6native8internal12_GLOBAL__N_110LoadBoolOpEPKhlEENS0_17constant_iteratorIjlEEPbPlSO_S6_NS0_8equal_toIbEEEE10hipError_tPvRmT2_T3_mT4_T5_T6_T7_T8_P12ihipStream_tbENKUlT_T0_E_clISt17integral_constantIbLb1EES17_IbLb0EEEEDaS13_S14_EUlS13_E_NS1_11comp_targetILNS1_3genE2ELNS1_11target_archE906ELNS1_3gpuE6ELNS1_3repE0EEENS1_30default_config_static_selectorELNS0_4arch9wavefront6targetE0EEEvT1_
                                        ; -- End function
	.set _ZN7rocprim17ROCPRIM_400000_NS6detail17trampoline_kernelINS0_14default_configENS1_33run_length_encode_config_selectorIbjNS0_4plusIjEEEEZZNS1_33reduce_by_key_impl_wrapped_configILNS1_25lookback_scan_determinismE0ES3_S7_N6hipcub16HIPCUB_304000_NS22TransformInputIteratorIbN2at6native8internal12_GLOBAL__N_110LoadBoolOpEPKhlEENS0_17constant_iteratorIjlEEPbPlSO_S6_NS0_8equal_toIbEEEE10hipError_tPvRmT2_T3_mT4_T5_T6_T7_T8_P12ihipStream_tbENKUlT_T0_E_clISt17integral_constantIbLb1EES17_IbLb0EEEEDaS13_S14_EUlS13_E_NS1_11comp_targetILNS1_3genE2ELNS1_11target_archE906ELNS1_3gpuE6ELNS1_3repE0EEENS1_30default_config_static_selectorELNS0_4arch9wavefront6targetE0EEEvT1_.num_vgpr, 0
	.set _ZN7rocprim17ROCPRIM_400000_NS6detail17trampoline_kernelINS0_14default_configENS1_33run_length_encode_config_selectorIbjNS0_4plusIjEEEEZZNS1_33reduce_by_key_impl_wrapped_configILNS1_25lookback_scan_determinismE0ES3_S7_N6hipcub16HIPCUB_304000_NS22TransformInputIteratorIbN2at6native8internal12_GLOBAL__N_110LoadBoolOpEPKhlEENS0_17constant_iteratorIjlEEPbPlSO_S6_NS0_8equal_toIbEEEE10hipError_tPvRmT2_T3_mT4_T5_T6_T7_T8_P12ihipStream_tbENKUlT_T0_E_clISt17integral_constantIbLb1EES17_IbLb0EEEEDaS13_S14_EUlS13_E_NS1_11comp_targetILNS1_3genE2ELNS1_11target_archE906ELNS1_3gpuE6ELNS1_3repE0EEENS1_30default_config_static_selectorELNS0_4arch9wavefront6targetE0EEEvT1_.num_agpr, 0
	.set _ZN7rocprim17ROCPRIM_400000_NS6detail17trampoline_kernelINS0_14default_configENS1_33run_length_encode_config_selectorIbjNS0_4plusIjEEEEZZNS1_33reduce_by_key_impl_wrapped_configILNS1_25lookback_scan_determinismE0ES3_S7_N6hipcub16HIPCUB_304000_NS22TransformInputIteratorIbN2at6native8internal12_GLOBAL__N_110LoadBoolOpEPKhlEENS0_17constant_iteratorIjlEEPbPlSO_S6_NS0_8equal_toIbEEEE10hipError_tPvRmT2_T3_mT4_T5_T6_T7_T8_P12ihipStream_tbENKUlT_T0_E_clISt17integral_constantIbLb1EES17_IbLb0EEEEDaS13_S14_EUlS13_E_NS1_11comp_targetILNS1_3genE2ELNS1_11target_archE906ELNS1_3gpuE6ELNS1_3repE0EEENS1_30default_config_static_selectorELNS0_4arch9wavefront6targetE0EEEvT1_.numbered_sgpr, 0
	.set _ZN7rocprim17ROCPRIM_400000_NS6detail17trampoline_kernelINS0_14default_configENS1_33run_length_encode_config_selectorIbjNS0_4plusIjEEEEZZNS1_33reduce_by_key_impl_wrapped_configILNS1_25lookback_scan_determinismE0ES3_S7_N6hipcub16HIPCUB_304000_NS22TransformInputIteratorIbN2at6native8internal12_GLOBAL__N_110LoadBoolOpEPKhlEENS0_17constant_iteratorIjlEEPbPlSO_S6_NS0_8equal_toIbEEEE10hipError_tPvRmT2_T3_mT4_T5_T6_T7_T8_P12ihipStream_tbENKUlT_T0_E_clISt17integral_constantIbLb1EES17_IbLb0EEEEDaS13_S14_EUlS13_E_NS1_11comp_targetILNS1_3genE2ELNS1_11target_archE906ELNS1_3gpuE6ELNS1_3repE0EEENS1_30default_config_static_selectorELNS0_4arch9wavefront6targetE0EEEvT1_.num_named_barrier, 0
	.set _ZN7rocprim17ROCPRIM_400000_NS6detail17trampoline_kernelINS0_14default_configENS1_33run_length_encode_config_selectorIbjNS0_4plusIjEEEEZZNS1_33reduce_by_key_impl_wrapped_configILNS1_25lookback_scan_determinismE0ES3_S7_N6hipcub16HIPCUB_304000_NS22TransformInputIteratorIbN2at6native8internal12_GLOBAL__N_110LoadBoolOpEPKhlEENS0_17constant_iteratorIjlEEPbPlSO_S6_NS0_8equal_toIbEEEE10hipError_tPvRmT2_T3_mT4_T5_T6_T7_T8_P12ihipStream_tbENKUlT_T0_E_clISt17integral_constantIbLb1EES17_IbLb0EEEEDaS13_S14_EUlS13_E_NS1_11comp_targetILNS1_3genE2ELNS1_11target_archE906ELNS1_3gpuE6ELNS1_3repE0EEENS1_30default_config_static_selectorELNS0_4arch9wavefront6targetE0EEEvT1_.private_seg_size, 0
	.set _ZN7rocprim17ROCPRIM_400000_NS6detail17trampoline_kernelINS0_14default_configENS1_33run_length_encode_config_selectorIbjNS0_4plusIjEEEEZZNS1_33reduce_by_key_impl_wrapped_configILNS1_25lookback_scan_determinismE0ES3_S7_N6hipcub16HIPCUB_304000_NS22TransformInputIteratorIbN2at6native8internal12_GLOBAL__N_110LoadBoolOpEPKhlEENS0_17constant_iteratorIjlEEPbPlSO_S6_NS0_8equal_toIbEEEE10hipError_tPvRmT2_T3_mT4_T5_T6_T7_T8_P12ihipStream_tbENKUlT_T0_E_clISt17integral_constantIbLb1EES17_IbLb0EEEEDaS13_S14_EUlS13_E_NS1_11comp_targetILNS1_3genE2ELNS1_11target_archE906ELNS1_3gpuE6ELNS1_3repE0EEENS1_30default_config_static_selectorELNS0_4arch9wavefront6targetE0EEEvT1_.uses_vcc, 0
	.set _ZN7rocprim17ROCPRIM_400000_NS6detail17trampoline_kernelINS0_14default_configENS1_33run_length_encode_config_selectorIbjNS0_4plusIjEEEEZZNS1_33reduce_by_key_impl_wrapped_configILNS1_25lookback_scan_determinismE0ES3_S7_N6hipcub16HIPCUB_304000_NS22TransformInputIteratorIbN2at6native8internal12_GLOBAL__N_110LoadBoolOpEPKhlEENS0_17constant_iteratorIjlEEPbPlSO_S6_NS0_8equal_toIbEEEE10hipError_tPvRmT2_T3_mT4_T5_T6_T7_T8_P12ihipStream_tbENKUlT_T0_E_clISt17integral_constantIbLb1EES17_IbLb0EEEEDaS13_S14_EUlS13_E_NS1_11comp_targetILNS1_3genE2ELNS1_11target_archE906ELNS1_3gpuE6ELNS1_3repE0EEENS1_30default_config_static_selectorELNS0_4arch9wavefront6targetE0EEEvT1_.uses_flat_scratch, 0
	.set _ZN7rocprim17ROCPRIM_400000_NS6detail17trampoline_kernelINS0_14default_configENS1_33run_length_encode_config_selectorIbjNS0_4plusIjEEEEZZNS1_33reduce_by_key_impl_wrapped_configILNS1_25lookback_scan_determinismE0ES3_S7_N6hipcub16HIPCUB_304000_NS22TransformInputIteratorIbN2at6native8internal12_GLOBAL__N_110LoadBoolOpEPKhlEENS0_17constant_iteratorIjlEEPbPlSO_S6_NS0_8equal_toIbEEEE10hipError_tPvRmT2_T3_mT4_T5_T6_T7_T8_P12ihipStream_tbENKUlT_T0_E_clISt17integral_constantIbLb1EES17_IbLb0EEEEDaS13_S14_EUlS13_E_NS1_11comp_targetILNS1_3genE2ELNS1_11target_archE906ELNS1_3gpuE6ELNS1_3repE0EEENS1_30default_config_static_selectorELNS0_4arch9wavefront6targetE0EEEvT1_.has_dyn_sized_stack, 0
	.set _ZN7rocprim17ROCPRIM_400000_NS6detail17trampoline_kernelINS0_14default_configENS1_33run_length_encode_config_selectorIbjNS0_4plusIjEEEEZZNS1_33reduce_by_key_impl_wrapped_configILNS1_25lookback_scan_determinismE0ES3_S7_N6hipcub16HIPCUB_304000_NS22TransformInputIteratorIbN2at6native8internal12_GLOBAL__N_110LoadBoolOpEPKhlEENS0_17constant_iteratorIjlEEPbPlSO_S6_NS0_8equal_toIbEEEE10hipError_tPvRmT2_T3_mT4_T5_T6_T7_T8_P12ihipStream_tbENKUlT_T0_E_clISt17integral_constantIbLb1EES17_IbLb0EEEEDaS13_S14_EUlS13_E_NS1_11comp_targetILNS1_3genE2ELNS1_11target_archE906ELNS1_3gpuE6ELNS1_3repE0EEENS1_30default_config_static_selectorELNS0_4arch9wavefront6targetE0EEEvT1_.has_recursion, 0
	.set _ZN7rocprim17ROCPRIM_400000_NS6detail17trampoline_kernelINS0_14default_configENS1_33run_length_encode_config_selectorIbjNS0_4plusIjEEEEZZNS1_33reduce_by_key_impl_wrapped_configILNS1_25lookback_scan_determinismE0ES3_S7_N6hipcub16HIPCUB_304000_NS22TransformInputIteratorIbN2at6native8internal12_GLOBAL__N_110LoadBoolOpEPKhlEENS0_17constant_iteratorIjlEEPbPlSO_S6_NS0_8equal_toIbEEEE10hipError_tPvRmT2_T3_mT4_T5_T6_T7_T8_P12ihipStream_tbENKUlT_T0_E_clISt17integral_constantIbLb1EES17_IbLb0EEEEDaS13_S14_EUlS13_E_NS1_11comp_targetILNS1_3genE2ELNS1_11target_archE906ELNS1_3gpuE6ELNS1_3repE0EEENS1_30default_config_static_selectorELNS0_4arch9wavefront6targetE0EEEvT1_.has_indirect_call, 0
	.section	.AMDGPU.csdata,"",@progbits
; Kernel info:
; codeLenInByte = 0
; TotalNumSgprs: 0
; NumVgprs: 0
; ScratchSize: 0
; MemoryBound: 0
; FloatMode: 240
; IeeeMode: 1
; LDSByteSize: 0 bytes/workgroup (compile time only)
; SGPRBlocks: 0
; VGPRBlocks: 0
; NumSGPRsForWavesPerEU: 1
; NumVGPRsForWavesPerEU: 1
; NamedBarCnt: 0
; Occupancy: 16
; WaveLimiterHint : 0
; COMPUTE_PGM_RSRC2:SCRATCH_EN: 0
; COMPUTE_PGM_RSRC2:USER_SGPR: 2
; COMPUTE_PGM_RSRC2:TRAP_HANDLER: 0
; COMPUTE_PGM_RSRC2:TGID_X_EN: 1
; COMPUTE_PGM_RSRC2:TGID_Y_EN: 0
; COMPUTE_PGM_RSRC2:TGID_Z_EN: 0
; COMPUTE_PGM_RSRC2:TIDIG_COMP_CNT: 0
	.section	.text._ZN7rocprim17ROCPRIM_400000_NS6detail17trampoline_kernelINS0_14default_configENS1_33run_length_encode_config_selectorIbjNS0_4plusIjEEEEZZNS1_33reduce_by_key_impl_wrapped_configILNS1_25lookback_scan_determinismE0ES3_S7_N6hipcub16HIPCUB_304000_NS22TransformInputIteratorIbN2at6native8internal12_GLOBAL__N_110LoadBoolOpEPKhlEENS0_17constant_iteratorIjlEEPbPlSO_S6_NS0_8equal_toIbEEEE10hipError_tPvRmT2_T3_mT4_T5_T6_T7_T8_P12ihipStream_tbENKUlT_T0_E_clISt17integral_constantIbLb1EES17_IbLb0EEEEDaS13_S14_EUlS13_E_NS1_11comp_targetILNS1_3genE10ELNS1_11target_archE1201ELNS1_3gpuE5ELNS1_3repE0EEENS1_30default_config_static_selectorELNS0_4arch9wavefront6targetE0EEEvT1_,"axG",@progbits,_ZN7rocprim17ROCPRIM_400000_NS6detail17trampoline_kernelINS0_14default_configENS1_33run_length_encode_config_selectorIbjNS0_4plusIjEEEEZZNS1_33reduce_by_key_impl_wrapped_configILNS1_25lookback_scan_determinismE0ES3_S7_N6hipcub16HIPCUB_304000_NS22TransformInputIteratorIbN2at6native8internal12_GLOBAL__N_110LoadBoolOpEPKhlEENS0_17constant_iteratorIjlEEPbPlSO_S6_NS0_8equal_toIbEEEE10hipError_tPvRmT2_T3_mT4_T5_T6_T7_T8_P12ihipStream_tbENKUlT_T0_E_clISt17integral_constantIbLb1EES17_IbLb0EEEEDaS13_S14_EUlS13_E_NS1_11comp_targetILNS1_3genE10ELNS1_11target_archE1201ELNS1_3gpuE5ELNS1_3repE0EEENS1_30default_config_static_selectorELNS0_4arch9wavefront6targetE0EEEvT1_,comdat
	.globl	_ZN7rocprim17ROCPRIM_400000_NS6detail17trampoline_kernelINS0_14default_configENS1_33run_length_encode_config_selectorIbjNS0_4plusIjEEEEZZNS1_33reduce_by_key_impl_wrapped_configILNS1_25lookback_scan_determinismE0ES3_S7_N6hipcub16HIPCUB_304000_NS22TransformInputIteratorIbN2at6native8internal12_GLOBAL__N_110LoadBoolOpEPKhlEENS0_17constant_iteratorIjlEEPbPlSO_S6_NS0_8equal_toIbEEEE10hipError_tPvRmT2_T3_mT4_T5_T6_T7_T8_P12ihipStream_tbENKUlT_T0_E_clISt17integral_constantIbLb1EES17_IbLb0EEEEDaS13_S14_EUlS13_E_NS1_11comp_targetILNS1_3genE10ELNS1_11target_archE1201ELNS1_3gpuE5ELNS1_3repE0EEENS1_30default_config_static_selectorELNS0_4arch9wavefront6targetE0EEEvT1_ ; -- Begin function _ZN7rocprim17ROCPRIM_400000_NS6detail17trampoline_kernelINS0_14default_configENS1_33run_length_encode_config_selectorIbjNS0_4plusIjEEEEZZNS1_33reduce_by_key_impl_wrapped_configILNS1_25lookback_scan_determinismE0ES3_S7_N6hipcub16HIPCUB_304000_NS22TransformInputIteratorIbN2at6native8internal12_GLOBAL__N_110LoadBoolOpEPKhlEENS0_17constant_iteratorIjlEEPbPlSO_S6_NS0_8equal_toIbEEEE10hipError_tPvRmT2_T3_mT4_T5_T6_T7_T8_P12ihipStream_tbENKUlT_T0_E_clISt17integral_constantIbLb1EES17_IbLb0EEEEDaS13_S14_EUlS13_E_NS1_11comp_targetILNS1_3genE10ELNS1_11target_archE1201ELNS1_3gpuE5ELNS1_3repE0EEENS1_30default_config_static_selectorELNS0_4arch9wavefront6targetE0EEEvT1_
	.p2align	8
	.type	_ZN7rocprim17ROCPRIM_400000_NS6detail17trampoline_kernelINS0_14default_configENS1_33run_length_encode_config_selectorIbjNS0_4plusIjEEEEZZNS1_33reduce_by_key_impl_wrapped_configILNS1_25lookback_scan_determinismE0ES3_S7_N6hipcub16HIPCUB_304000_NS22TransformInputIteratorIbN2at6native8internal12_GLOBAL__N_110LoadBoolOpEPKhlEENS0_17constant_iteratorIjlEEPbPlSO_S6_NS0_8equal_toIbEEEE10hipError_tPvRmT2_T3_mT4_T5_T6_T7_T8_P12ihipStream_tbENKUlT_T0_E_clISt17integral_constantIbLb1EES17_IbLb0EEEEDaS13_S14_EUlS13_E_NS1_11comp_targetILNS1_3genE10ELNS1_11target_archE1201ELNS1_3gpuE5ELNS1_3repE0EEENS1_30default_config_static_selectorELNS0_4arch9wavefront6targetE0EEEvT1_,@function
_ZN7rocprim17ROCPRIM_400000_NS6detail17trampoline_kernelINS0_14default_configENS1_33run_length_encode_config_selectorIbjNS0_4plusIjEEEEZZNS1_33reduce_by_key_impl_wrapped_configILNS1_25lookback_scan_determinismE0ES3_S7_N6hipcub16HIPCUB_304000_NS22TransformInputIteratorIbN2at6native8internal12_GLOBAL__N_110LoadBoolOpEPKhlEENS0_17constant_iteratorIjlEEPbPlSO_S6_NS0_8equal_toIbEEEE10hipError_tPvRmT2_T3_mT4_T5_T6_T7_T8_P12ihipStream_tbENKUlT_T0_E_clISt17integral_constantIbLb1EES17_IbLb0EEEEDaS13_S14_EUlS13_E_NS1_11comp_targetILNS1_3genE10ELNS1_11target_archE1201ELNS1_3gpuE5ELNS1_3repE0EEENS1_30default_config_static_selectorELNS0_4arch9wavefront6targetE0EEEvT1_: ; @_ZN7rocprim17ROCPRIM_400000_NS6detail17trampoline_kernelINS0_14default_configENS1_33run_length_encode_config_selectorIbjNS0_4plusIjEEEEZZNS1_33reduce_by_key_impl_wrapped_configILNS1_25lookback_scan_determinismE0ES3_S7_N6hipcub16HIPCUB_304000_NS22TransformInputIteratorIbN2at6native8internal12_GLOBAL__N_110LoadBoolOpEPKhlEENS0_17constant_iteratorIjlEEPbPlSO_S6_NS0_8equal_toIbEEEE10hipError_tPvRmT2_T3_mT4_T5_T6_T7_T8_P12ihipStream_tbENKUlT_T0_E_clISt17integral_constantIbLb1EES17_IbLb0EEEEDaS13_S14_EUlS13_E_NS1_11comp_targetILNS1_3genE10ELNS1_11target_archE1201ELNS1_3gpuE5ELNS1_3repE0EEENS1_30default_config_static_selectorELNS0_4arch9wavefront6targetE0EEEvT1_
; %bb.0:
	.section	.rodata,"a",@progbits
	.p2align	6, 0x0
	.amdhsa_kernel _ZN7rocprim17ROCPRIM_400000_NS6detail17trampoline_kernelINS0_14default_configENS1_33run_length_encode_config_selectorIbjNS0_4plusIjEEEEZZNS1_33reduce_by_key_impl_wrapped_configILNS1_25lookback_scan_determinismE0ES3_S7_N6hipcub16HIPCUB_304000_NS22TransformInputIteratorIbN2at6native8internal12_GLOBAL__N_110LoadBoolOpEPKhlEENS0_17constant_iteratorIjlEEPbPlSO_S6_NS0_8equal_toIbEEEE10hipError_tPvRmT2_T3_mT4_T5_T6_T7_T8_P12ihipStream_tbENKUlT_T0_E_clISt17integral_constantIbLb1EES17_IbLb0EEEEDaS13_S14_EUlS13_E_NS1_11comp_targetILNS1_3genE10ELNS1_11target_archE1201ELNS1_3gpuE5ELNS1_3repE0EEENS1_30default_config_static_selectorELNS0_4arch9wavefront6targetE0EEEvT1_
		.amdhsa_group_segment_fixed_size 0
		.amdhsa_private_segment_fixed_size 0
		.amdhsa_kernarg_size 136
		.amdhsa_user_sgpr_count 2
		.amdhsa_user_sgpr_dispatch_ptr 0
		.amdhsa_user_sgpr_queue_ptr 0
		.amdhsa_user_sgpr_kernarg_segment_ptr 1
		.amdhsa_user_sgpr_dispatch_id 0
		.amdhsa_user_sgpr_kernarg_preload_length 0
		.amdhsa_user_sgpr_kernarg_preload_offset 0
		.amdhsa_user_sgpr_private_segment_size 0
		.amdhsa_wavefront_size32 1
		.amdhsa_uses_dynamic_stack 0
		.amdhsa_enable_private_segment 0
		.amdhsa_system_sgpr_workgroup_id_x 1
		.amdhsa_system_sgpr_workgroup_id_y 0
		.amdhsa_system_sgpr_workgroup_id_z 0
		.amdhsa_system_sgpr_workgroup_info 0
		.amdhsa_system_vgpr_workitem_id 0
		.amdhsa_next_free_vgpr 1
		.amdhsa_next_free_sgpr 1
		.amdhsa_named_barrier_count 0
		.amdhsa_reserve_vcc 0
		.amdhsa_float_round_mode_32 0
		.amdhsa_float_round_mode_16_64 0
		.amdhsa_float_denorm_mode_32 3
		.amdhsa_float_denorm_mode_16_64 3
		.amdhsa_fp16_overflow 0
		.amdhsa_memory_ordered 1
		.amdhsa_forward_progress 1
		.amdhsa_inst_pref_size 0
		.amdhsa_round_robin_scheduling 0
		.amdhsa_exception_fp_ieee_invalid_op 0
		.amdhsa_exception_fp_denorm_src 0
		.amdhsa_exception_fp_ieee_div_zero 0
		.amdhsa_exception_fp_ieee_overflow 0
		.amdhsa_exception_fp_ieee_underflow 0
		.amdhsa_exception_fp_ieee_inexact 0
		.amdhsa_exception_int_div_zero 0
	.end_amdhsa_kernel
	.section	.text._ZN7rocprim17ROCPRIM_400000_NS6detail17trampoline_kernelINS0_14default_configENS1_33run_length_encode_config_selectorIbjNS0_4plusIjEEEEZZNS1_33reduce_by_key_impl_wrapped_configILNS1_25lookback_scan_determinismE0ES3_S7_N6hipcub16HIPCUB_304000_NS22TransformInputIteratorIbN2at6native8internal12_GLOBAL__N_110LoadBoolOpEPKhlEENS0_17constant_iteratorIjlEEPbPlSO_S6_NS0_8equal_toIbEEEE10hipError_tPvRmT2_T3_mT4_T5_T6_T7_T8_P12ihipStream_tbENKUlT_T0_E_clISt17integral_constantIbLb1EES17_IbLb0EEEEDaS13_S14_EUlS13_E_NS1_11comp_targetILNS1_3genE10ELNS1_11target_archE1201ELNS1_3gpuE5ELNS1_3repE0EEENS1_30default_config_static_selectorELNS0_4arch9wavefront6targetE0EEEvT1_,"axG",@progbits,_ZN7rocprim17ROCPRIM_400000_NS6detail17trampoline_kernelINS0_14default_configENS1_33run_length_encode_config_selectorIbjNS0_4plusIjEEEEZZNS1_33reduce_by_key_impl_wrapped_configILNS1_25lookback_scan_determinismE0ES3_S7_N6hipcub16HIPCUB_304000_NS22TransformInputIteratorIbN2at6native8internal12_GLOBAL__N_110LoadBoolOpEPKhlEENS0_17constant_iteratorIjlEEPbPlSO_S6_NS0_8equal_toIbEEEE10hipError_tPvRmT2_T3_mT4_T5_T6_T7_T8_P12ihipStream_tbENKUlT_T0_E_clISt17integral_constantIbLb1EES17_IbLb0EEEEDaS13_S14_EUlS13_E_NS1_11comp_targetILNS1_3genE10ELNS1_11target_archE1201ELNS1_3gpuE5ELNS1_3repE0EEENS1_30default_config_static_selectorELNS0_4arch9wavefront6targetE0EEEvT1_,comdat
.Lfunc_end83:
	.size	_ZN7rocprim17ROCPRIM_400000_NS6detail17trampoline_kernelINS0_14default_configENS1_33run_length_encode_config_selectorIbjNS0_4plusIjEEEEZZNS1_33reduce_by_key_impl_wrapped_configILNS1_25lookback_scan_determinismE0ES3_S7_N6hipcub16HIPCUB_304000_NS22TransformInputIteratorIbN2at6native8internal12_GLOBAL__N_110LoadBoolOpEPKhlEENS0_17constant_iteratorIjlEEPbPlSO_S6_NS0_8equal_toIbEEEE10hipError_tPvRmT2_T3_mT4_T5_T6_T7_T8_P12ihipStream_tbENKUlT_T0_E_clISt17integral_constantIbLb1EES17_IbLb0EEEEDaS13_S14_EUlS13_E_NS1_11comp_targetILNS1_3genE10ELNS1_11target_archE1201ELNS1_3gpuE5ELNS1_3repE0EEENS1_30default_config_static_selectorELNS0_4arch9wavefront6targetE0EEEvT1_, .Lfunc_end83-_ZN7rocprim17ROCPRIM_400000_NS6detail17trampoline_kernelINS0_14default_configENS1_33run_length_encode_config_selectorIbjNS0_4plusIjEEEEZZNS1_33reduce_by_key_impl_wrapped_configILNS1_25lookback_scan_determinismE0ES3_S7_N6hipcub16HIPCUB_304000_NS22TransformInputIteratorIbN2at6native8internal12_GLOBAL__N_110LoadBoolOpEPKhlEENS0_17constant_iteratorIjlEEPbPlSO_S6_NS0_8equal_toIbEEEE10hipError_tPvRmT2_T3_mT4_T5_T6_T7_T8_P12ihipStream_tbENKUlT_T0_E_clISt17integral_constantIbLb1EES17_IbLb0EEEEDaS13_S14_EUlS13_E_NS1_11comp_targetILNS1_3genE10ELNS1_11target_archE1201ELNS1_3gpuE5ELNS1_3repE0EEENS1_30default_config_static_selectorELNS0_4arch9wavefront6targetE0EEEvT1_
                                        ; -- End function
	.set _ZN7rocprim17ROCPRIM_400000_NS6detail17trampoline_kernelINS0_14default_configENS1_33run_length_encode_config_selectorIbjNS0_4plusIjEEEEZZNS1_33reduce_by_key_impl_wrapped_configILNS1_25lookback_scan_determinismE0ES3_S7_N6hipcub16HIPCUB_304000_NS22TransformInputIteratorIbN2at6native8internal12_GLOBAL__N_110LoadBoolOpEPKhlEENS0_17constant_iteratorIjlEEPbPlSO_S6_NS0_8equal_toIbEEEE10hipError_tPvRmT2_T3_mT4_T5_T6_T7_T8_P12ihipStream_tbENKUlT_T0_E_clISt17integral_constantIbLb1EES17_IbLb0EEEEDaS13_S14_EUlS13_E_NS1_11comp_targetILNS1_3genE10ELNS1_11target_archE1201ELNS1_3gpuE5ELNS1_3repE0EEENS1_30default_config_static_selectorELNS0_4arch9wavefront6targetE0EEEvT1_.num_vgpr, 0
	.set _ZN7rocprim17ROCPRIM_400000_NS6detail17trampoline_kernelINS0_14default_configENS1_33run_length_encode_config_selectorIbjNS0_4plusIjEEEEZZNS1_33reduce_by_key_impl_wrapped_configILNS1_25lookback_scan_determinismE0ES3_S7_N6hipcub16HIPCUB_304000_NS22TransformInputIteratorIbN2at6native8internal12_GLOBAL__N_110LoadBoolOpEPKhlEENS0_17constant_iteratorIjlEEPbPlSO_S6_NS0_8equal_toIbEEEE10hipError_tPvRmT2_T3_mT4_T5_T6_T7_T8_P12ihipStream_tbENKUlT_T0_E_clISt17integral_constantIbLb1EES17_IbLb0EEEEDaS13_S14_EUlS13_E_NS1_11comp_targetILNS1_3genE10ELNS1_11target_archE1201ELNS1_3gpuE5ELNS1_3repE0EEENS1_30default_config_static_selectorELNS0_4arch9wavefront6targetE0EEEvT1_.num_agpr, 0
	.set _ZN7rocprim17ROCPRIM_400000_NS6detail17trampoline_kernelINS0_14default_configENS1_33run_length_encode_config_selectorIbjNS0_4plusIjEEEEZZNS1_33reduce_by_key_impl_wrapped_configILNS1_25lookback_scan_determinismE0ES3_S7_N6hipcub16HIPCUB_304000_NS22TransformInputIteratorIbN2at6native8internal12_GLOBAL__N_110LoadBoolOpEPKhlEENS0_17constant_iteratorIjlEEPbPlSO_S6_NS0_8equal_toIbEEEE10hipError_tPvRmT2_T3_mT4_T5_T6_T7_T8_P12ihipStream_tbENKUlT_T0_E_clISt17integral_constantIbLb1EES17_IbLb0EEEEDaS13_S14_EUlS13_E_NS1_11comp_targetILNS1_3genE10ELNS1_11target_archE1201ELNS1_3gpuE5ELNS1_3repE0EEENS1_30default_config_static_selectorELNS0_4arch9wavefront6targetE0EEEvT1_.numbered_sgpr, 0
	.set _ZN7rocprim17ROCPRIM_400000_NS6detail17trampoline_kernelINS0_14default_configENS1_33run_length_encode_config_selectorIbjNS0_4plusIjEEEEZZNS1_33reduce_by_key_impl_wrapped_configILNS1_25lookback_scan_determinismE0ES3_S7_N6hipcub16HIPCUB_304000_NS22TransformInputIteratorIbN2at6native8internal12_GLOBAL__N_110LoadBoolOpEPKhlEENS0_17constant_iteratorIjlEEPbPlSO_S6_NS0_8equal_toIbEEEE10hipError_tPvRmT2_T3_mT4_T5_T6_T7_T8_P12ihipStream_tbENKUlT_T0_E_clISt17integral_constantIbLb1EES17_IbLb0EEEEDaS13_S14_EUlS13_E_NS1_11comp_targetILNS1_3genE10ELNS1_11target_archE1201ELNS1_3gpuE5ELNS1_3repE0EEENS1_30default_config_static_selectorELNS0_4arch9wavefront6targetE0EEEvT1_.num_named_barrier, 0
	.set _ZN7rocprim17ROCPRIM_400000_NS6detail17trampoline_kernelINS0_14default_configENS1_33run_length_encode_config_selectorIbjNS0_4plusIjEEEEZZNS1_33reduce_by_key_impl_wrapped_configILNS1_25lookback_scan_determinismE0ES3_S7_N6hipcub16HIPCUB_304000_NS22TransformInputIteratorIbN2at6native8internal12_GLOBAL__N_110LoadBoolOpEPKhlEENS0_17constant_iteratorIjlEEPbPlSO_S6_NS0_8equal_toIbEEEE10hipError_tPvRmT2_T3_mT4_T5_T6_T7_T8_P12ihipStream_tbENKUlT_T0_E_clISt17integral_constantIbLb1EES17_IbLb0EEEEDaS13_S14_EUlS13_E_NS1_11comp_targetILNS1_3genE10ELNS1_11target_archE1201ELNS1_3gpuE5ELNS1_3repE0EEENS1_30default_config_static_selectorELNS0_4arch9wavefront6targetE0EEEvT1_.private_seg_size, 0
	.set _ZN7rocprim17ROCPRIM_400000_NS6detail17trampoline_kernelINS0_14default_configENS1_33run_length_encode_config_selectorIbjNS0_4plusIjEEEEZZNS1_33reduce_by_key_impl_wrapped_configILNS1_25lookback_scan_determinismE0ES3_S7_N6hipcub16HIPCUB_304000_NS22TransformInputIteratorIbN2at6native8internal12_GLOBAL__N_110LoadBoolOpEPKhlEENS0_17constant_iteratorIjlEEPbPlSO_S6_NS0_8equal_toIbEEEE10hipError_tPvRmT2_T3_mT4_T5_T6_T7_T8_P12ihipStream_tbENKUlT_T0_E_clISt17integral_constantIbLb1EES17_IbLb0EEEEDaS13_S14_EUlS13_E_NS1_11comp_targetILNS1_3genE10ELNS1_11target_archE1201ELNS1_3gpuE5ELNS1_3repE0EEENS1_30default_config_static_selectorELNS0_4arch9wavefront6targetE0EEEvT1_.uses_vcc, 0
	.set _ZN7rocprim17ROCPRIM_400000_NS6detail17trampoline_kernelINS0_14default_configENS1_33run_length_encode_config_selectorIbjNS0_4plusIjEEEEZZNS1_33reduce_by_key_impl_wrapped_configILNS1_25lookback_scan_determinismE0ES3_S7_N6hipcub16HIPCUB_304000_NS22TransformInputIteratorIbN2at6native8internal12_GLOBAL__N_110LoadBoolOpEPKhlEENS0_17constant_iteratorIjlEEPbPlSO_S6_NS0_8equal_toIbEEEE10hipError_tPvRmT2_T3_mT4_T5_T6_T7_T8_P12ihipStream_tbENKUlT_T0_E_clISt17integral_constantIbLb1EES17_IbLb0EEEEDaS13_S14_EUlS13_E_NS1_11comp_targetILNS1_3genE10ELNS1_11target_archE1201ELNS1_3gpuE5ELNS1_3repE0EEENS1_30default_config_static_selectorELNS0_4arch9wavefront6targetE0EEEvT1_.uses_flat_scratch, 0
	.set _ZN7rocprim17ROCPRIM_400000_NS6detail17trampoline_kernelINS0_14default_configENS1_33run_length_encode_config_selectorIbjNS0_4plusIjEEEEZZNS1_33reduce_by_key_impl_wrapped_configILNS1_25lookback_scan_determinismE0ES3_S7_N6hipcub16HIPCUB_304000_NS22TransformInputIteratorIbN2at6native8internal12_GLOBAL__N_110LoadBoolOpEPKhlEENS0_17constant_iteratorIjlEEPbPlSO_S6_NS0_8equal_toIbEEEE10hipError_tPvRmT2_T3_mT4_T5_T6_T7_T8_P12ihipStream_tbENKUlT_T0_E_clISt17integral_constantIbLb1EES17_IbLb0EEEEDaS13_S14_EUlS13_E_NS1_11comp_targetILNS1_3genE10ELNS1_11target_archE1201ELNS1_3gpuE5ELNS1_3repE0EEENS1_30default_config_static_selectorELNS0_4arch9wavefront6targetE0EEEvT1_.has_dyn_sized_stack, 0
	.set _ZN7rocprim17ROCPRIM_400000_NS6detail17trampoline_kernelINS0_14default_configENS1_33run_length_encode_config_selectorIbjNS0_4plusIjEEEEZZNS1_33reduce_by_key_impl_wrapped_configILNS1_25lookback_scan_determinismE0ES3_S7_N6hipcub16HIPCUB_304000_NS22TransformInputIteratorIbN2at6native8internal12_GLOBAL__N_110LoadBoolOpEPKhlEENS0_17constant_iteratorIjlEEPbPlSO_S6_NS0_8equal_toIbEEEE10hipError_tPvRmT2_T3_mT4_T5_T6_T7_T8_P12ihipStream_tbENKUlT_T0_E_clISt17integral_constantIbLb1EES17_IbLb0EEEEDaS13_S14_EUlS13_E_NS1_11comp_targetILNS1_3genE10ELNS1_11target_archE1201ELNS1_3gpuE5ELNS1_3repE0EEENS1_30default_config_static_selectorELNS0_4arch9wavefront6targetE0EEEvT1_.has_recursion, 0
	.set _ZN7rocprim17ROCPRIM_400000_NS6detail17trampoline_kernelINS0_14default_configENS1_33run_length_encode_config_selectorIbjNS0_4plusIjEEEEZZNS1_33reduce_by_key_impl_wrapped_configILNS1_25lookback_scan_determinismE0ES3_S7_N6hipcub16HIPCUB_304000_NS22TransformInputIteratorIbN2at6native8internal12_GLOBAL__N_110LoadBoolOpEPKhlEENS0_17constant_iteratorIjlEEPbPlSO_S6_NS0_8equal_toIbEEEE10hipError_tPvRmT2_T3_mT4_T5_T6_T7_T8_P12ihipStream_tbENKUlT_T0_E_clISt17integral_constantIbLb1EES17_IbLb0EEEEDaS13_S14_EUlS13_E_NS1_11comp_targetILNS1_3genE10ELNS1_11target_archE1201ELNS1_3gpuE5ELNS1_3repE0EEENS1_30default_config_static_selectorELNS0_4arch9wavefront6targetE0EEEvT1_.has_indirect_call, 0
	.section	.AMDGPU.csdata,"",@progbits
; Kernel info:
; codeLenInByte = 0
; TotalNumSgprs: 0
; NumVgprs: 0
; ScratchSize: 0
; MemoryBound: 0
; FloatMode: 240
; IeeeMode: 1
; LDSByteSize: 0 bytes/workgroup (compile time only)
; SGPRBlocks: 0
; VGPRBlocks: 0
; NumSGPRsForWavesPerEU: 1
; NumVGPRsForWavesPerEU: 1
; NamedBarCnt: 0
; Occupancy: 16
; WaveLimiterHint : 0
; COMPUTE_PGM_RSRC2:SCRATCH_EN: 0
; COMPUTE_PGM_RSRC2:USER_SGPR: 2
; COMPUTE_PGM_RSRC2:TRAP_HANDLER: 0
; COMPUTE_PGM_RSRC2:TGID_X_EN: 1
; COMPUTE_PGM_RSRC2:TGID_Y_EN: 0
; COMPUTE_PGM_RSRC2:TGID_Z_EN: 0
; COMPUTE_PGM_RSRC2:TIDIG_COMP_CNT: 0
	.section	.text._ZN7rocprim17ROCPRIM_400000_NS6detail17trampoline_kernelINS0_14default_configENS1_33run_length_encode_config_selectorIbjNS0_4plusIjEEEEZZNS1_33reduce_by_key_impl_wrapped_configILNS1_25lookback_scan_determinismE0ES3_S7_N6hipcub16HIPCUB_304000_NS22TransformInputIteratorIbN2at6native8internal12_GLOBAL__N_110LoadBoolOpEPKhlEENS0_17constant_iteratorIjlEEPbPlSO_S6_NS0_8equal_toIbEEEE10hipError_tPvRmT2_T3_mT4_T5_T6_T7_T8_P12ihipStream_tbENKUlT_T0_E_clISt17integral_constantIbLb1EES17_IbLb0EEEEDaS13_S14_EUlS13_E_NS1_11comp_targetILNS1_3genE10ELNS1_11target_archE1200ELNS1_3gpuE4ELNS1_3repE0EEENS1_30default_config_static_selectorELNS0_4arch9wavefront6targetE0EEEvT1_,"axG",@progbits,_ZN7rocprim17ROCPRIM_400000_NS6detail17trampoline_kernelINS0_14default_configENS1_33run_length_encode_config_selectorIbjNS0_4plusIjEEEEZZNS1_33reduce_by_key_impl_wrapped_configILNS1_25lookback_scan_determinismE0ES3_S7_N6hipcub16HIPCUB_304000_NS22TransformInputIteratorIbN2at6native8internal12_GLOBAL__N_110LoadBoolOpEPKhlEENS0_17constant_iteratorIjlEEPbPlSO_S6_NS0_8equal_toIbEEEE10hipError_tPvRmT2_T3_mT4_T5_T6_T7_T8_P12ihipStream_tbENKUlT_T0_E_clISt17integral_constantIbLb1EES17_IbLb0EEEEDaS13_S14_EUlS13_E_NS1_11comp_targetILNS1_3genE10ELNS1_11target_archE1200ELNS1_3gpuE4ELNS1_3repE0EEENS1_30default_config_static_selectorELNS0_4arch9wavefront6targetE0EEEvT1_,comdat
	.globl	_ZN7rocprim17ROCPRIM_400000_NS6detail17trampoline_kernelINS0_14default_configENS1_33run_length_encode_config_selectorIbjNS0_4plusIjEEEEZZNS1_33reduce_by_key_impl_wrapped_configILNS1_25lookback_scan_determinismE0ES3_S7_N6hipcub16HIPCUB_304000_NS22TransformInputIteratorIbN2at6native8internal12_GLOBAL__N_110LoadBoolOpEPKhlEENS0_17constant_iteratorIjlEEPbPlSO_S6_NS0_8equal_toIbEEEE10hipError_tPvRmT2_T3_mT4_T5_T6_T7_T8_P12ihipStream_tbENKUlT_T0_E_clISt17integral_constantIbLb1EES17_IbLb0EEEEDaS13_S14_EUlS13_E_NS1_11comp_targetILNS1_3genE10ELNS1_11target_archE1200ELNS1_3gpuE4ELNS1_3repE0EEENS1_30default_config_static_selectorELNS0_4arch9wavefront6targetE0EEEvT1_ ; -- Begin function _ZN7rocprim17ROCPRIM_400000_NS6detail17trampoline_kernelINS0_14default_configENS1_33run_length_encode_config_selectorIbjNS0_4plusIjEEEEZZNS1_33reduce_by_key_impl_wrapped_configILNS1_25lookback_scan_determinismE0ES3_S7_N6hipcub16HIPCUB_304000_NS22TransformInputIteratorIbN2at6native8internal12_GLOBAL__N_110LoadBoolOpEPKhlEENS0_17constant_iteratorIjlEEPbPlSO_S6_NS0_8equal_toIbEEEE10hipError_tPvRmT2_T3_mT4_T5_T6_T7_T8_P12ihipStream_tbENKUlT_T0_E_clISt17integral_constantIbLb1EES17_IbLb0EEEEDaS13_S14_EUlS13_E_NS1_11comp_targetILNS1_3genE10ELNS1_11target_archE1200ELNS1_3gpuE4ELNS1_3repE0EEENS1_30default_config_static_selectorELNS0_4arch9wavefront6targetE0EEEvT1_
	.p2align	8
	.type	_ZN7rocprim17ROCPRIM_400000_NS6detail17trampoline_kernelINS0_14default_configENS1_33run_length_encode_config_selectorIbjNS0_4plusIjEEEEZZNS1_33reduce_by_key_impl_wrapped_configILNS1_25lookback_scan_determinismE0ES3_S7_N6hipcub16HIPCUB_304000_NS22TransformInputIteratorIbN2at6native8internal12_GLOBAL__N_110LoadBoolOpEPKhlEENS0_17constant_iteratorIjlEEPbPlSO_S6_NS0_8equal_toIbEEEE10hipError_tPvRmT2_T3_mT4_T5_T6_T7_T8_P12ihipStream_tbENKUlT_T0_E_clISt17integral_constantIbLb1EES17_IbLb0EEEEDaS13_S14_EUlS13_E_NS1_11comp_targetILNS1_3genE10ELNS1_11target_archE1200ELNS1_3gpuE4ELNS1_3repE0EEENS1_30default_config_static_selectorELNS0_4arch9wavefront6targetE0EEEvT1_,@function
_ZN7rocprim17ROCPRIM_400000_NS6detail17trampoline_kernelINS0_14default_configENS1_33run_length_encode_config_selectorIbjNS0_4plusIjEEEEZZNS1_33reduce_by_key_impl_wrapped_configILNS1_25lookback_scan_determinismE0ES3_S7_N6hipcub16HIPCUB_304000_NS22TransformInputIteratorIbN2at6native8internal12_GLOBAL__N_110LoadBoolOpEPKhlEENS0_17constant_iteratorIjlEEPbPlSO_S6_NS0_8equal_toIbEEEE10hipError_tPvRmT2_T3_mT4_T5_T6_T7_T8_P12ihipStream_tbENKUlT_T0_E_clISt17integral_constantIbLb1EES17_IbLb0EEEEDaS13_S14_EUlS13_E_NS1_11comp_targetILNS1_3genE10ELNS1_11target_archE1200ELNS1_3gpuE4ELNS1_3repE0EEENS1_30default_config_static_selectorELNS0_4arch9wavefront6targetE0EEEvT1_: ; @_ZN7rocprim17ROCPRIM_400000_NS6detail17trampoline_kernelINS0_14default_configENS1_33run_length_encode_config_selectorIbjNS0_4plusIjEEEEZZNS1_33reduce_by_key_impl_wrapped_configILNS1_25lookback_scan_determinismE0ES3_S7_N6hipcub16HIPCUB_304000_NS22TransformInputIteratorIbN2at6native8internal12_GLOBAL__N_110LoadBoolOpEPKhlEENS0_17constant_iteratorIjlEEPbPlSO_S6_NS0_8equal_toIbEEEE10hipError_tPvRmT2_T3_mT4_T5_T6_T7_T8_P12ihipStream_tbENKUlT_T0_E_clISt17integral_constantIbLb1EES17_IbLb0EEEEDaS13_S14_EUlS13_E_NS1_11comp_targetILNS1_3genE10ELNS1_11target_archE1200ELNS1_3gpuE4ELNS1_3repE0EEENS1_30default_config_static_selectorELNS0_4arch9wavefront6targetE0EEEvT1_
; %bb.0:
	.section	.rodata,"a",@progbits
	.p2align	6, 0x0
	.amdhsa_kernel _ZN7rocprim17ROCPRIM_400000_NS6detail17trampoline_kernelINS0_14default_configENS1_33run_length_encode_config_selectorIbjNS0_4plusIjEEEEZZNS1_33reduce_by_key_impl_wrapped_configILNS1_25lookback_scan_determinismE0ES3_S7_N6hipcub16HIPCUB_304000_NS22TransformInputIteratorIbN2at6native8internal12_GLOBAL__N_110LoadBoolOpEPKhlEENS0_17constant_iteratorIjlEEPbPlSO_S6_NS0_8equal_toIbEEEE10hipError_tPvRmT2_T3_mT4_T5_T6_T7_T8_P12ihipStream_tbENKUlT_T0_E_clISt17integral_constantIbLb1EES17_IbLb0EEEEDaS13_S14_EUlS13_E_NS1_11comp_targetILNS1_3genE10ELNS1_11target_archE1200ELNS1_3gpuE4ELNS1_3repE0EEENS1_30default_config_static_selectorELNS0_4arch9wavefront6targetE0EEEvT1_
		.amdhsa_group_segment_fixed_size 0
		.amdhsa_private_segment_fixed_size 0
		.amdhsa_kernarg_size 136
		.amdhsa_user_sgpr_count 2
		.amdhsa_user_sgpr_dispatch_ptr 0
		.amdhsa_user_sgpr_queue_ptr 0
		.amdhsa_user_sgpr_kernarg_segment_ptr 1
		.amdhsa_user_sgpr_dispatch_id 0
		.amdhsa_user_sgpr_kernarg_preload_length 0
		.amdhsa_user_sgpr_kernarg_preload_offset 0
		.amdhsa_user_sgpr_private_segment_size 0
		.amdhsa_wavefront_size32 1
		.amdhsa_uses_dynamic_stack 0
		.amdhsa_enable_private_segment 0
		.amdhsa_system_sgpr_workgroup_id_x 1
		.amdhsa_system_sgpr_workgroup_id_y 0
		.amdhsa_system_sgpr_workgroup_id_z 0
		.amdhsa_system_sgpr_workgroup_info 0
		.amdhsa_system_vgpr_workitem_id 0
		.amdhsa_next_free_vgpr 1
		.amdhsa_next_free_sgpr 1
		.amdhsa_named_barrier_count 0
		.amdhsa_reserve_vcc 0
		.amdhsa_float_round_mode_32 0
		.amdhsa_float_round_mode_16_64 0
		.amdhsa_float_denorm_mode_32 3
		.amdhsa_float_denorm_mode_16_64 3
		.amdhsa_fp16_overflow 0
		.amdhsa_memory_ordered 1
		.amdhsa_forward_progress 1
		.amdhsa_inst_pref_size 0
		.amdhsa_round_robin_scheduling 0
		.amdhsa_exception_fp_ieee_invalid_op 0
		.amdhsa_exception_fp_denorm_src 0
		.amdhsa_exception_fp_ieee_div_zero 0
		.amdhsa_exception_fp_ieee_overflow 0
		.amdhsa_exception_fp_ieee_underflow 0
		.amdhsa_exception_fp_ieee_inexact 0
		.amdhsa_exception_int_div_zero 0
	.end_amdhsa_kernel
	.section	.text._ZN7rocprim17ROCPRIM_400000_NS6detail17trampoline_kernelINS0_14default_configENS1_33run_length_encode_config_selectorIbjNS0_4plusIjEEEEZZNS1_33reduce_by_key_impl_wrapped_configILNS1_25lookback_scan_determinismE0ES3_S7_N6hipcub16HIPCUB_304000_NS22TransformInputIteratorIbN2at6native8internal12_GLOBAL__N_110LoadBoolOpEPKhlEENS0_17constant_iteratorIjlEEPbPlSO_S6_NS0_8equal_toIbEEEE10hipError_tPvRmT2_T3_mT4_T5_T6_T7_T8_P12ihipStream_tbENKUlT_T0_E_clISt17integral_constantIbLb1EES17_IbLb0EEEEDaS13_S14_EUlS13_E_NS1_11comp_targetILNS1_3genE10ELNS1_11target_archE1200ELNS1_3gpuE4ELNS1_3repE0EEENS1_30default_config_static_selectorELNS0_4arch9wavefront6targetE0EEEvT1_,"axG",@progbits,_ZN7rocprim17ROCPRIM_400000_NS6detail17trampoline_kernelINS0_14default_configENS1_33run_length_encode_config_selectorIbjNS0_4plusIjEEEEZZNS1_33reduce_by_key_impl_wrapped_configILNS1_25lookback_scan_determinismE0ES3_S7_N6hipcub16HIPCUB_304000_NS22TransformInputIteratorIbN2at6native8internal12_GLOBAL__N_110LoadBoolOpEPKhlEENS0_17constant_iteratorIjlEEPbPlSO_S6_NS0_8equal_toIbEEEE10hipError_tPvRmT2_T3_mT4_T5_T6_T7_T8_P12ihipStream_tbENKUlT_T0_E_clISt17integral_constantIbLb1EES17_IbLb0EEEEDaS13_S14_EUlS13_E_NS1_11comp_targetILNS1_3genE10ELNS1_11target_archE1200ELNS1_3gpuE4ELNS1_3repE0EEENS1_30default_config_static_selectorELNS0_4arch9wavefront6targetE0EEEvT1_,comdat
.Lfunc_end84:
	.size	_ZN7rocprim17ROCPRIM_400000_NS6detail17trampoline_kernelINS0_14default_configENS1_33run_length_encode_config_selectorIbjNS0_4plusIjEEEEZZNS1_33reduce_by_key_impl_wrapped_configILNS1_25lookback_scan_determinismE0ES3_S7_N6hipcub16HIPCUB_304000_NS22TransformInputIteratorIbN2at6native8internal12_GLOBAL__N_110LoadBoolOpEPKhlEENS0_17constant_iteratorIjlEEPbPlSO_S6_NS0_8equal_toIbEEEE10hipError_tPvRmT2_T3_mT4_T5_T6_T7_T8_P12ihipStream_tbENKUlT_T0_E_clISt17integral_constantIbLb1EES17_IbLb0EEEEDaS13_S14_EUlS13_E_NS1_11comp_targetILNS1_3genE10ELNS1_11target_archE1200ELNS1_3gpuE4ELNS1_3repE0EEENS1_30default_config_static_selectorELNS0_4arch9wavefront6targetE0EEEvT1_, .Lfunc_end84-_ZN7rocprim17ROCPRIM_400000_NS6detail17trampoline_kernelINS0_14default_configENS1_33run_length_encode_config_selectorIbjNS0_4plusIjEEEEZZNS1_33reduce_by_key_impl_wrapped_configILNS1_25lookback_scan_determinismE0ES3_S7_N6hipcub16HIPCUB_304000_NS22TransformInputIteratorIbN2at6native8internal12_GLOBAL__N_110LoadBoolOpEPKhlEENS0_17constant_iteratorIjlEEPbPlSO_S6_NS0_8equal_toIbEEEE10hipError_tPvRmT2_T3_mT4_T5_T6_T7_T8_P12ihipStream_tbENKUlT_T0_E_clISt17integral_constantIbLb1EES17_IbLb0EEEEDaS13_S14_EUlS13_E_NS1_11comp_targetILNS1_3genE10ELNS1_11target_archE1200ELNS1_3gpuE4ELNS1_3repE0EEENS1_30default_config_static_selectorELNS0_4arch9wavefront6targetE0EEEvT1_
                                        ; -- End function
	.set _ZN7rocprim17ROCPRIM_400000_NS6detail17trampoline_kernelINS0_14default_configENS1_33run_length_encode_config_selectorIbjNS0_4plusIjEEEEZZNS1_33reduce_by_key_impl_wrapped_configILNS1_25lookback_scan_determinismE0ES3_S7_N6hipcub16HIPCUB_304000_NS22TransformInputIteratorIbN2at6native8internal12_GLOBAL__N_110LoadBoolOpEPKhlEENS0_17constant_iteratorIjlEEPbPlSO_S6_NS0_8equal_toIbEEEE10hipError_tPvRmT2_T3_mT4_T5_T6_T7_T8_P12ihipStream_tbENKUlT_T0_E_clISt17integral_constantIbLb1EES17_IbLb0EEEEDaS13_S14_EUlS13_E_NS1_11comp_targetILNS1_3genE10ELNS1_11target_archE1200ELNS1_3gpuE4ELNS1_3repE0EEENS1_30default_config_static_selectorELNS0_4arch9wavefront6targetE0EEEvT1_.num_vgpr, 0
	.set _ZN7rocprim17ROCPRIM_400000_NS6detail17trampoline_kernelINS0_14default_configENS1_33run_length_encode_config_selectorIbjNS0_4plusIjEEEEZZNS1_33reduce_by_key_impl_wrapped_configILNS1_25lookback_scan_determinismE0ES3_S7_N6hipcub16HIPCUB_304000_NS22TransformInputIteratorIbN2at6native8internal12_GLOBAL__N_110LoadBoolOpEPKhlEENS0_17constant_iteratorIjlEEPbPlSO_S6_NS0_8equal_toIbEEEE10hipError_tPvRmT2_T3_mT4_T5_T6_T7_T8_P12ihipStream_tbENKUlT_T0_E_clISt17integral_constantIbLb1EES17_IbLb0EEEEDaS13_S14_EUlS13_E_NS1_11comp_targetILNS1_3genE10ELNS1_11target_archE1200ELNS1_3gpuE4ELNS1_3repE0EEENS1_30default_config_static_selectorELNS0_4arch9wavefront6targetE0EEEvT1_.num_agpr, 0
	.set _ZN7rocprim17ROCPRIM_400000_NS6detail17trampoline_kernelINS0_14default_configENS1_33run_length_encode_config_selectorIbjNS0_4plusIjEEEEZZNS1_33reduce_by_key_impl_wrapped_configILNS1_25lookback_scan_determinismE0ES3_S7_N6hipcub16HIPCUB_304000_NS22TransformInputIteratorIbN2at6native8internal12_GLOBAL__N_110LoadBoolOpEPKhlEENS0_17constant_iteratorIjlEEPbPlSO_S6_NS0_8equal_toIbEEEE10hipError_tPvRmT2_T3_mT4_T5_T6_T7_T8_P12ihipStream_tbENKUlT_T0_E_clISt17integral_constantIbLb1EES17_IbLb0EEEEDaS13_S14_EUlS13_E_NS1_11comp_targetILNS1_3genE10ELNS1_11target_archE1200ELNS1_3gpuE4ELNS1_3repE0EEENS1_30default_config_static_selectorELNS0_4arch9wavefront6targetE0EEEvT1_.numbered_sgpr, 0
	.set _ZN7rocprim17ROCPRIM_400000_NS6detail17trampoline_kernelINS0_14default_configENS1_33run_length_encode_config_selectorIbjNS0_4plusIjEEEEZZNS1_33reduce_by_key_impl_wrapped_configILNS1_25lookback_scan_determinismE0ES3_S7_N6hipcub16HIPCUB_304000_NS22TransformInputIteratorIbN2at6native8internal12_GLOBAL__N_110LoadBoolOpEPKhlEENS0_17constant_iteratorIjlEEPbPlSO_S6_NS0_8equal_toIbEEEE10hipError_tPvRmT2_T3_mT4_T5_T6_T7_T8_P12ihipStream_tbENKUlT_T0_E_clISt17integral_constantIbLb1EES17_IbLb0EEEEDaS13_S14_EUlS13_E_NS1_11comp_targetILNS1_3genE10ELNS1_11target_archE1200ELNS1_3gpuE4ELNS1_3repE0EEENS1_30default_config_static_selectorELNS0_4arch9wavefront6targetE0EEEvT1_.num_named_barrier, 0
	.set _ZN7rocprim17ROCPRIM_400000_NS6detail17trampoline_kernelINS0_14default_configENS1_33run_length_encode_config_selectorIbjNS0_4plusIjEEEEZZNS1_33reduce_by_key_impl_wrapped_configILNS1_25lookback_scan_determinismE0ES3_S7_N6hipcub16HIPCUB_304000_NS22TransformInputIteratorIbN2at6native8internal12_GLOBAL__N_110LoadBoolOpEPKhlEENS0_17constant_iteratorIjlEEPbPlSO_S6_NS0_8equal_toIbEEEE10hipError_tPvRmT2_T3_mT4_T5_T6_T7_T8_P12ihipStream_tbENKUlT_T0_E_clISt17integral_constantIbLb1EES17_IbLb0EEEEDaS13_S14_EUlS13_E_NS1_11comp_targetILNS1_3genE10ELNS1_11target_archE1200ELNS1_3gpuE4ELNS1_3repE0EEENS1_30default_config_static_selectorELNS0_4arch9wavefront6targetE0EEEvT1_.private_seg_size, 0
	.set _ZN7rocprim17ROCPRIM_400000_NS6detail17trampoline_kernelINS0_14default_configENS1_33run_length_encode_config_selectorIbjNS0_4plusIjEEEEZZNS1_33reduce_by_key_impl_wrapped_configILNS1_25lookback_scan_determinismE0ES3_S7_N6hipcub16HIPCUB_304000_NS22TransformInputIteratorIbN2at6native8internal12_GLOBAL__N_110LoadBoolOpEPKhlEENS0_17constant_iteratorIjlEEPbPlSO_S6_NS0_8equal_toIbEEEE10hipError_tPvRmT2_T3_mT4_T5_T6_T7_T8_P12ihipStream_tbENKUlT_T0_E_clISt17integral_constantIbLb1EES17_IbLb0EEEEDaS13_S14_EUlS13_E_NS1_11comp_targetILNS1_3genE10ELNS1_11target_archE1200ELNS1_3gpuE4ELNS1_3repE0EEENS1_30default_config_static_selectorELNS0_4arch9wavefront6targetE0EEEvT1_.uses_vcc, 0
	.set _ZN7rocprim17ROCPRIM_400000_NS6detail17trampoline_kernelINS0_14default_configENS1_33run_length_encode_config_selectorIbjNS0_4plusIjEEEEZZNS1_33reduce_by_key_impl_wrapped_configILNS1_25lookback_scan_determinismE0ES3_S7_N6hipcub16HIPCUB_304000_NS22TransformInputIteratorIbN2at6native8internal12_GLOBAL__N_110LoadBoolOpEPKhlEENS0_17constant_iteratorIjlEEPbPlSO_S6_NS0_8equal_toIbEEEE10hipError_tPvRmT2_T3_mT4_T5_T6_T7_T8_P12ihipStream_tbENKUlT_T0_E_clISt17integral_constantIbLb1EES17_IbLb0EEEEDaS13_S14_EUlS13_E_NS1_11comp_targetILNS1_3genE10ELNS1_11target_archE1200ELNS1_3gpuE4ELNS1_3repE0EEENS1_30default_config_static_selectorELNS0_4arch9wavefront6targetE0EEEvT1_.uses_flat_scratch, 0
	.set _ZN7rocprim17ROCPRIM_400000_NS6detail17trampoline_kernelINS0_14default_configENS1_33run_length_encode_config_selectorIbjNS0_4plusIjEEEEZZNS1_33reduce_by_key_impl_wrapped_configILNS1_25lookback_scan_determinismE0ES3_S7_N6hipcub16HIPCUB_304000_NS22TransformInputIteratorIbN2at6native8internal12_GLOBAL__N_110LoadBoolOpEPKhlEENS0_17constant_iteratorIjlEEPbPlSO_S6_NS0_8equal_toIbEEEE10hipError_tPvRmT2_T3_mT4_T5_T6_T7_T8_P12ihipStream_tbENKUlT_T0_E_clISt17integral_constantIbLb1EES17_IbLb0EEEEDaS13_S14_EUlS13_E_NS1_11comp_targetILNS1_3genE10ELNS1_11target_archE1200ELNS1_3gpuE4ELNS1_3repE0EEENS1_30default_config_static_selectorELNS0_4arch9wavefront6targetE0EEEvT1_.has_dyn_sized_stack, 0
	.set _ZN7rocprim17ROCPRIM_400000_NS6detail17trampoline_kernelINS0_14default_configENS1_33run_length_encode_config_selectorIbjNS0_4plusIjEEEEZZNS1_33reduce_by_key_impl_wrapped_configILNS1_25lookback_scan_determinismE0ES3_S7_N6hipcub16HIPCUB_304000_NS22TransformInputIteratorIbN2at6native8internal12_GLOBAL__N_110LoadBoolOpEPKhlEENS0_17constant_iteratorIjlEEPbPlSO_S6_NS0_8equal_toIbEEEE10hipError_tPvRmT2_T3_mT4_T5_T6_T7_T8_P12ihipStream_tbENKUlT_T0_E_clISt17integral_constantIbLb1EES17_IbLb0EEEEDaS13_S14_EUlS13_E_NS1_11comp_targetILNS1_3genE10ELNS1_11target_archE1200ELNS1_3gpuE4ELNS1_3repE0EEENS1_30default_config_static_selectorELNS0_4arch9wavefront6targetE0EEEvT1_.has_recursion, 0
	.set _ZN7rocprim17ROCPRIM_400000_NS6detail17trampoline_kernelINS0_14default_configENS1_33run_length_encode_config_selectorIbjNS0_4plusIjEEEEZZNS1_33reduce_by_key_impl_wrapped_configILNS1_25lookback_scan_determinismE0ES3_S7_N6hipcub16HIPCUB_304000_NS22TransformInputIteratorIbN2at6native8internal12_GLOBAL__N_110LoadBoolOpEPKhlEENS0_17constant_iteratorIjlEEPbPlSO_S6_NS0_8equal_toIbEEEE10hipError_tPvRmT2_T3_mT4_T5_T6_T7_T8_P12ihipStream_tbENKUlT_T0_E_clISt17integral_constantIbLb1EES17_IbLb0EEEEDaS13_S14_EUlS13_E_NS1_11comp_targetILNS1_3genE10ELNS1_11target_archE1200ELNS1_3gpuE4ELNS1_3repE0EEENS1_30default_config_static_selectorELNS0_4arch9wavefront6targetE0EEEvT1_.has_indirect_call, 0
	.section	.AMDGPU.csdata,"",@progbits
; Kernel info:
; codeLenInByte = 0
; TotalNumSgprs: 0
; NumVgprs: 0
; ScratchSize: 0
; MemoryBound: 0
; FloatMode: 240
; IeeeMode: 1
; LDSByteSize: 0 bytes/workgroup (compile time only)
; SGPRBlocks: 0
; VGPRBlocks: 0
; NumSGPRsForWavesPerEU: 1
; NumVGPRsForWavesPerEU: 1
; NamedBarCnt: 0
; Occupancy: 16
; WaveLimiterHint : 0
; COMPUTE_PGM_RSRC2:SCRATCH_EN: 0
; COMPUTE_PGM_RSRC2:USER_SGPR: 2
; COMPUTE_PGM_RSRC2:TRAP_HANDLER: 0
; COMPUTE_PGM_RSRC2:TGID_X_EN: 1
; COMPUTE_PGM_RSRC2:TGID_Y_EN: 0
; COMPUTE_PGM_RSRC2:TGID_Z_EN: 0
; COMPUTE_PGM_RSRC2:TIDIG_COMP_CNT: 0
	.section	.text._ZN7rocprim17ROCPRIM_400000_NS6detail17trampoline_kernelINS0_14default_configENS1_33run_length_encode_config_selectorIbjNS0_4plusIjEEEEZZNS1_33reduce_by_key_impl_wrapped_configILNS1_25lookback_scan_determinismE0ES3_S7_N6hipcub16HIPCUB_304000_NS22TransformInputIteratorIbN2at6native8internal12_GLOBAL__N_110LoadBoolOpEPKhlEENS0_17constant_iteratorIjlEEPbPlSO_S6_NS0_8equal_toIbEEEE10hipError_tPvRmT2_T3_mT4_T5_T6_T7_T8_P12ihipStream_tbENKUlT_T0_E_clISt17integral_constantIbLb1EES17_IbLb0EEEEDaS13_S14_EUlS13_E_NS1_11comp_targetILNS1_3genE9ELNS1_11target_archE1100ELNS1_3gpuE3ELNS1_3repE0EEENS1_30default_config_static_selectorELNS0_4arch9wavefront6targetE0EEEvT1_,"axG",@progbits,_ZN7rocprim17ROCPRIM_400000_NS6detail17trampoline_kernelINS0_14default_configENS1_33run_length_encode_config_selectorIbjNS0_4plusIjEEEEZZNS1_33reduce_by_key_impl_wrapped_configILNS1_25lookback_scan_determinismE0ES3_S7_N6hipcub16HIPCUB_304000_NS22TransformInputIteratorIbN2at6native8internal12_GLOBAL__N_110LoadBoolOpEPKhlEENS0_17constant_iteratorIjlEEPbPlSO_S6_NS0_8equal_toIbEEEE10hipError_tPvRmT2_T3_mT4_T5_T6_T7_T8_P12ihipStream_tbENKUlT_T0_E_clISt17integral_constantIbLb1EES17_IbLb0EEEEDaS13_S14_EUlS13_E_NS1_11comp_targetILNS1_3genE9ELNS1_11target_archE1100ELNS1_3gpuE3ELNS1_3repE0EEENS1_30default_config_static_selectorELNS0_4arch9wavefront6targetE0EEEvT1_,comdat
	.globl	_ZN7rocprim17ROCPRIM_400000_NS6detail17trampoline_kernelINS0_14default_configENS1_33run_length_encode_config_selectorIbjNS0_4plusIjEEEEZZNS1_33reduce_by_key_impl_wrapped_configILNS1_25lookback_scan_determinismE0ES3_S7_N6hipcub16HIPCUB_304000_NS22TransformInputIteratorIbN2at6native8internal12_GLOBAL__N_110LoadBoolOpEPKhlEENS0_17constant_iteratorIjlEEPbPlSO_S6_NS0_8equal_toIbEEEE10hipError_tPvRmT2_T3_mT4_T5_T6_T7_T8_P12ihipStream_tbENKUlT_T0_E_clISt17integral_constantIbLb1EES17_IbLb0EEEEDaS13_S14_EUlS13_E_NS1_11comp_targetILNS1_3genE9ELNS1_11target_archE1100ELNS1_3gpuE3ELNS1_3repE0EEENS1_30default_config_static_selectorELNS0_4arch9wavefront6targetE0EEEvT1_ ; -- Begin function _ZN7rocprim17ROCPRIM_400000_NS6detail17trampoline_kernelINS0_14default_configENS1_33run_length_encode_config_selectorIbjNS0_4plusIjEEEEZZNS1_33reduce_by_key_impl_wrapped_configILNS1_25lookback_scan_determinismE0ES3_S7_N6hipcub16HIPCUB_304000_NS22TransformInputIteratorIbN2at6native8internal12_GLOBAL__N_110LoadBoolOpEPKhlEENS0_17constant_iteratorIjlEEPbPlSO_S6_NS0_8equal_toIbEEEE10hipError_tPvRmT2_T3_mT4_T5_T6_T7_T8_P12ihipStream_tbENKUlT_T0_E_clISt17integral_constantIbLb1EES17_IbLb0EEEEDaS13_S14_EUlS13_E_NS1_11comp_targetILNS1_3genE9ELNS1_11target_archE1100ELNS1_3gpuE3ELNS1_3repE0EEENS1_30default_config_static_selectorELNS0_4arch9wavefront6targetE0EEEvT1_
	.p2align	8
	.type	_ZN7rocprim17ROCPRIM_400000_NS6detail17trampoline_kernelINS0_14default_configENS1_33run_length_encode_config_selectorIbjNS0_4plusIjEEEEZZNS1_33reduce_by_key_impl_wrapped_configILNS1_25lookback_scan_determinismE0ES3_S7_N6hipcub16HIPCUB_304000_NS22TransformInputIteratorIbN2at6native8internal12_GLOBAL__N_110LoadBoolOpEPKhlEENS0_17constant_iteratorIjlEEPbPlSO_S6_NS0_8equal_toIbEEEE10hipError_tPvRmT2_T3_mT4_T5_T6_T7_T8_P12ihipStream_tbENKUlT_T0_E_clISt17integral_constantIbLb1EES17_IbLb0EEEEDaS13_S14_EUlS13_E_NS1_11comp_targetILNS1_3genE9ELNS1_11target_archE1100ELNS1_3gpuE3ELNS1_3repE0EEENS1_30default_config_static_selectorELNS0_4arch9wavefront6targetE0EEEvT1_,@function
_ZN7rocprim17ROCPRIM_400000_NS6detail17trampoline_kernelINS0_14default_configENS1_33run_length_encode_config_selectorIbjNS0_4plusIjEEEEZZNS1_33reduce_by_key_impl_wrapped_configILNS1_25lookback_scan_determinismE0ES3_S7_N6hipcub16HIPCUB_304000_NS22TransformInputIteratorIbN2at6native8internal12_GLOBAL__N_110LoadBoolOpEPKhlEENS0_17constant_iteratorIjlEEPbPlSO_S6_NS0_8equal_toIbEEEE10hipError_tPvRmT2_T3_mT4_T5_T6_T7_T8_P12ihipStream_tbENKUlT_T0_E_clISt17integral_constantIbLb1EES17_IbLb0EEEEDaS13_S14_EUlS13_E_NS1_11comp_targetILNS1_3genE9ELNS1_11target_archE1100ELNS1_3gpuE3ELNS1_3repE0EEENS1_30default_config_static_selectorELNS0_4arch9wavefront6targetE0EEEvT1_: ; @_ZN7rocprim17ROCPRIM_400000_NS6detail17trampoline_kernelINS0_14default_configENS1_33run_length_encode_config_selectorIbjNS0_4plusIjEEEEZZNS1_33reduce_by_key_impl_wrapped_configILNS1_25lookback_scan_determinismE0ES3_S7_N6hipcub16HIPCUB_304000_NS22TransformInputIteratorIbN2at6native8internal12_GLOBAL__N_110LoadBoolOpEPKhlEENS0_17constant_iteratorIjlEEPbPlSO_S6_NS0_8equal_toIbEEEE10hipError_tPvRmT2_T3_mT4_T5_T6_T7_T8_P12ihipStream_tbENKUlT_T0_E_clISt17integral_constantIbLb1EES17_IbLb0EEEEDaS13_S14_EUlS13_E_NS1_11comp_targetILNS1_3genE9ELNS1_11target_archE1100ELNS1_3gpuE3ELNS1_3repE0EEENS1_30default_config_static_selectorELNS0_4arch9wavefront6targetE0EEEvT1_
; %bb.0:
	.section	.rodata,"a",@progbits
	.p2align	6, 0x0
	.amdhsa_kernel _ZN7rocprim17ROCPRIM_400000_NS6detail17trampoline_kernelINS0_14default_configENS1_33run_length_encode_config_selectorIbjNS0_4plusIjEEEEZZNS1_33reduce_by_key_impl_wrapped_configILNS1_25lookback_scan_determinismE0ES3_S7_N6hipcub16HIPCUB_304000_NS22TransformInputIteratorIbN2at6native8internal12_GLOBAL__N_110LoadBoolOpEPKhlEENS0_17constant_iteratorIjlEEPbPlSO_S6_NS0_8equal_toIbEEEE10hipError_tPvRmT2_T3_mT4_T5_T6_T7_T8_P12ihipStream_tbENKUlT_T0_E_clISt17integral_constantIbLb1EES17_IbLb0EEEEDaS13_S14_EUlS13_E_NS1_11comp_targetILNS1_3genE9ELNS1_11target_archE1100ELNS1_3gpuE3ELNS1_3repE0EEENS1_30default_config_static_selectorELNS0_4arch9wavefront6targetE0EEEvT1_
		.amdhsa_group_segment_fixed_size 0
		.amdhsa_private_segment_fixed_size 0
		.amdhsa_kernarg_size 136
		.amdhsa_user_sgpr_count 2
		.amdhsa_user_sgpr_dispatch_ptr 0
		.amdhsa_user_sgpr_queue_ptr 0
		.amdhsa_user_sgpr_kernarg_segment_ptr 1
		.amdhsa_user_sgpr_dispatch_id 0
		.amdhsa_user_sgpr_kernarg_preload_length 0
		.amdhsa_user_sgpr_kernarg_preload_offset 0
		.amdhsa_user_sgpr_private_segment_size 0
		.amdhsa_wavefront_size32 1
		.amdhsa_uses_dynamic_stack 0
		.amdhsa_enable_private_segment 0
		.amdhsa_system_sgpr_workgroup_id_x 1
		.amdhsa_system_sgpr_workgroup_id_y 0
		.amdhsa_system_sgpr_workgroup_id_z 0
		.amdhsa_system_sgpr_workgroup_info 0
		.amdhsa_system_vgpr_workitem_id 0
		.amdhsa_next_free_vgpr 1
		.amdhsa_next_free_sgpr 1
		.amdhsa_named_barrier_count 0
		.amdhsa_reserve_vcc 0
		.amdhsa_float_round_mode_32 0
		.amdhsa_float_round_mode_16_64 0
		.amdhsa_float_denorm_mode_32 3
		.amdhsa_float_denorm_mode_16_64 3
		.amdhsa_fp16_overflow 0
		.amdhsa_memory_ordered 1
		.amdhsa_forward_progress 1
		.amdhsa_inst_pref_size 0
		.amdhsa_round_robin_scheduling 0
		.amdhsa_exception_fp_ieee_invalid_op 0
		.amdhsa_exception_fp_denorm_src 0
		.amdhsa_exception_fp_ieee_div_zero 0
		.amdhsa_exception_fp_ieee_overflow 0
		.amdhsa_exception_fp_ieee_underflow 0
		.amdhsa_exception_fp_ieee_inexact 0
		.amdhsa_exception_int_div_zero 0
	.end_amdhsa_kernel
	.section	.text._ZN7rocprim17ROCPRIM_400000_NS6detail17trampoline_kernelINS0_14default_configENS1_33run_length_encode_config_selectorIbjNS0_4plusIjEEEEZZNS1_33reduce_by_key_impl_wrapped_configILNS1_25lookback_scan_determinismE0ES3_S7_N6hipcub16HIPCUB_304000_NS22TransformInputIteratorIbN2at6native8internal12_GLOBAL__N_110LoadBoolOpEPKhlEENS0_17constant_iteratorIjlEEPbPlSO_S6_NS0_8equal_toIbEEEE10hipError_tPvRmT2_T3_mT4_T5_T6_T7_T8_P12ihipStream_tbENKUlT_T0_E_clISt17integral_constantIbLb1EES17_IbLb0EEEEDaS13_S14_EUlS13_E_NS1_11comp_targetILNS1_3genE9ELNS1_11target_archE1100ELNS1_3gpuE3ELNS1_3repE0EEENS1_30default_config_static_selectorELNS0_4arch9wavefront6targetE0EEEvT1_,"axG",@progbits,_ZN7rocprim17ROCPRIM_400000_NS6detail17trampoline_kernelINS0_14default_configENS1_33run_length_encode_config_selectorIbjNS0_4plusIjEEEEZZNS1_33reduce_by_key_impl_wrapped_configILNS1_25lookback_scan_determinismE0ES3_S7_N6hipcub16HIPCUB_304000_NS22TransformInputIteratorIbN2at6native8internal12_GLOBAL__N_110LoadBoolOpEPKhlEENS0_17constant_iteratorIjlEEPbPlSO_S6_NS0_8equal_toIbEEEE10hipError_tPvRmT2_T3_mT4_T5_T6_T7_T8_P12ihipStream_tbENKUlT_T0_E_clISt17integral_constantIbLb1EES17_IbLb0EEEEDaS13_S14_EUlS13_E_NS1_11comp_targetILNS1_3genE9ELNS1_11target_archE1100ELNS1_3gpuE3ELNS1_3repE0EEENS1_30default_config_static_selectorELNS0_4arch9wavefront6targetE0EEEvT1_,comdat
.Lfunc_end85:
	.size	_ZN7rocprim17ROCPRIM_400000_NS6detail17trampoline_kernelINS0_14default_configENS1_33run_length_encode_config_selectorIbjNS0_4plusIjEEEEZZNS1_33reduce_by_key_impl_wrapped_configILNS1_25lookback_scan_determinismE0ES3_S7_N6hipcub16HIPCUB_304000_NS22TransformInputIteratorIbN2at6native8internal12_GLOBAL__N_110LoadBoolOpEPKhlEENS0_17constant_iteratorIjlEEPbPlSO_S6_NS0_8equal_toIbEEEE10hipError_tPvRmT2_T3_mT4_T5_T6_T7_T8_P12ihipStream_tbENKUlT_T0_E_clISt17integral_constantIbLb1EES17_IbLb0EEEEDaS13_S14_EUlS13_E_NS1_11comp_targetILNS1_3genE9ELNS1_11target_archE1100ELNS1_3gpuE3ELNS1_3repE0EEENS1_30default_config_static_selectorELNS0_4arch9wavefront6targetE0EEEvT1_, .Lfunc_end85-_ZN7rocprim17ROCPRIM_400000_NS6detail17trampoline_kernelINS0_14default_configENS1_33run_length_encode_config_selectorIbjNS0_4plusIjEEEEZZNS1_33reduce_by_key_impl_wrapped_configILNS1_25lookback_scan_determinismE0ES3_S7_N6hipcub16HIPCUB_304000_NS22TransformInputIteratorIbN2at6native8internal12_GLOBAL__N_110LoadBoolOpEPKhlEENS0_17constant_iteratorIjlEEPbPlSO_S6_NS0_8equal_toIbEEEE10hipError_tPvRmT2_T3_mT4_T5_T6_T7_T8_P12ihipStream_tbENKUlT_T0_E_clISt17integral_constantIbLb1EES17_IbLb0EEEEDaS13_S14_EUlS13_E_NS1_11comp_targetILNS1_3genE9ELNS1_11target_archE1100ELNS1_3gpuE3ELNS1_3repE0EEENS1_30default_config_static_selectorELNS0_4arch9wavefront6targetE0EEEvT1_
                                        ; -- End function
	.set _ZN7rocprim17ROCPRIM_400000_NS6detail17trampoline_kernelINS0_14default_configENS1_33run_length_encode_config_selectorIbjNS0_4plusIjEEEEZZNS1_33reduce_by_key_impl_wrapped_configILNS1_25lookback_scan_determinismE0ES3_S7_N6hipcub16HIPCUB_304000_NS22TransformInputIteratorIbN2at6native8internal12_GLOBAL__N_110LoadBoolOpEPKhlEENS0_17constant_iteratorIjlEEPbPlSO_S6_NS0_8equal_toIbEEEE10hipError_tPvRmT2_T3_mT4_T5_T6_T7_T8_P12ihipStream_tbENKUlT_T0_E_clISt17integral_constantIbLb1EES17_IbLb0EEEEDaS13_S14_EUlS13_E_NS1_11comp_targetILNS1_3genE9ELNS1_11target_archE1100ELNS1_3gpuE3ELNS1_3repE0EEENS1_30default_config_static_selectorELNS0_4arch9wavefront6targetE0EEEvT1_.num_vgpr, 0
	.set _ZN7rocprim17ROCPRIM_400000_NS6detail17trampoline_kernelINS0_14default_configENS1_33run_length_encode_config_selectorIbjNS0_4plusIjEEEEZZNS1_33reduce_by_key_impl_wrapped_configILNS1_25lookback_scan_determinismE0ES3_S7_N6hipcub16HIPCUB_304000_NS22TransformInputIteratorIbN2at6native8internal12_GLOBAL__N_110LoadBoolOpEPKhlEENS0_17constant_iteratorIjlEEPbPlSO_S6_NS0_8equal_toIbEEEE10hipError_tPvRmT2_T3_mT4_T5_T6_T7_T8_P12ihipStream_tbENKUlT_T0_E_clISt17integral_constantIbLb1EES17_IbLb0EEEEDaS13_S14_EUlS13_E_NS1_11comp_targetILNS1_3genE9ELNS1_11target_archE1100ELNS1_3gpuE3ELNS1_3repE0EEENS1_30default_config_static_selectorELNS0_4arch9wavefront6targetE0EEEvT1_.num_agpr, 0
	.set _ZN7rocprim17ROCPRIM_400000_NS6detail17trampoline_kernelINS0_14default_configENS1_33run_length_encode_config_selectorIbjNS0_4plusIjEEEEZZNS1_33reduce_by_key_impl_wrapped_configILNS1_25lookback_scan_determinismE0ES3_S7_N6hipcub16HIPCUB_304000_NS22TransformInputIteratorIbN2at6native8internal12_GLOBAL__N_110LoadBoolOpEPKhlEENS0_17constant_iteratorIjlEEPbPlSO_S6_NS0_8equal_toIbEEEE10hipError_tPvRmT2_T3_mT4_T5_T6_T7_T8_P12ihipStream_tbENKUlT_T0_E_clISt17integral_constantIbLb1EES17_IbLb0EEEEDaS13_S14_EUlS13_E_NS1_11comp_targetILNS1_3genE9ELNS1_11target_archE1100ELNS1_3gpuE3ELNS1_3repE0EEENS1_30default_config_static_selectorELNS0_4arch9wavefront6targetE0EEEvT1_.numbered_sgpr, 0
	.set _ZN7rocprim17ROCPRIM_400000_NS6detail17trampoline_kernelINS0_14default_configENS1_33run_length_encode_config_selectorIbjNS0_4plusIjEEEEZZNS1_33reduce_by_key_impl_wrapped_configILNS1_25lookback_scan_determinismE0ES3_S7_N6hipcub16HIPCUB_304000_NS22TransformInputIteratorIbN2at6native8internal12_GLOBAL__N_110LoadBoolOpEPKhlEENS0_17constant_iteratorIjlEEPbPlSO_S6_NS0_8equal_toIbEEEE10hipError_tPvRmT2_T3_mT4_T5_T6_T7_T8_P12ihipStream_tbENKUlT_T0_E_clISt17integral_constantIbLb1EES17_IbLb0EEEEDaS13_S14_EUlS13_E_NS1_11comp_targetILNS1_3genE9ELNS1_11target_archE1100ELNS1_3gpuE3ELNS1_3repE0EEENS1_30default_config_static_selectorELNS0_4arch9wavefront6targetE0EEEvT1_.num_named_barrier, 0
	.set _ZN7rocprim17ROCPRIM_400000_NS6detail17trampoline_kernelINS0_14default_configENS1_33run_length_encode_config_selectorIbjNS0_4plusIjEEEEZZNS1_33reduce_by_key_impl_wrapped_configILNS1_25lookback_scan_determinismE0ES3_S7_N6hipcub16HIPCUB_304000_NS22TransformInputIteratorIbN2at6native8internal12_GLOBAL__N_110LoadBoolOpEPKhlEENS0_17constant_iteratorIjlEEPbPlSO_S6_NS0_8equal_toIbEEEE10hipError_tPvRmT2_T3_mT4_T5_T6_T7_T8_P12ihipStream_tbENKUlT_T0_E_clISt17integral_constantIbLb1EES17_IbLb0EEEEDaS13_S14_EUlS13_E_NS1_11comp_targetILNS1_3genE9ELNS1_11target_archE1100ELNS1_3gpuE3ELNS1_3repE0EEENS1_30default_config_static_selectorELNS0_4arch9wavefront6targetE0EEEvT1_.private_seg_size, 0
	.set _ZN7rocprim17ROCPRIM_400000_NS6detail17trampoline_kernelINS0_14default_configENS1_33run_length_encode_config_selectorIbjNS0_4plusIjEEEEZZNS1_33reduce_by_key_impl_wrapped_configILNS1_25lookback_scan_determinismE0ES3_S7_N6hipcub16HIPCUB_304000_NS22TransformInputIteratorIbN2at6native8internal12_GLOBAL__N_110LoadBoolOpEPKhlEENS0_17constant_iteratorIjlEEPbPlSO_S6_NS0_8equal_toIbEEEE10hipError_tPvRmT2_T3_mT4_T5_T6_T7_T8_P12ihipStream_tbENKUlT_T0_E_clISt17integral_constantIbLb1EES17_IbLb0EEEEDaS13_S14_EUlS13_E_NS1_11comp_targetILNS1_3genE9ELNS1_11target_archE1100ELNS1_3gpuE3ELNS1_3repE0EEENS1_30default_config_static_selectorELNS0_4arch9wavefront6targetE0EEEvT1_.uses_vcc, 0
	.set _ZN7rocprim17ROCPRIM_400000_NS6detail17trampoline_kernelINS0_14default_configENS1_33run_length_encode_config_selectorIbjNS0_4plusIjEEEEZZNS1_33reduce_by_key_impl_wrapped_configILNS1_25lookback_scan_determinismE0ES3_S7_N6hipcub16HIPCUB_304000_NS22TransformInputIteratorIbN2at6native8internal12_GLOBAL__N_110LoadBoolOpEPKhlEENS0_17constant_iteratorIjlEEPbPlSO_S6_NS0_8equal_toIbEEEE10hipError_tPvRmT2_T3_mT4_T5_T6_T7_T8_P12ihipStream_tbENKUlT_T0_E_clISt17integral_constantIbLb1EES17_IbLb0EEEEDaS13_S14_EUlS13_E_NS1_11comp_targetILNS1_3genE9ELNS1_11target_archE1100ELNS1_3gpuE3ELNS1_3repE0EEENS1_30default_config_static_selectorELNS0_4arch9wavefront6targetE0EEEvT1_.uses_flat_scratch, 0
	.set _ZN7rocprim17ROCPRIM_400000_NS6detail17trampoline_kernelINS0_14default_configENS1_33run_length_encode_config_selectorIbjNS0_4plusIjEEEEZZNS1_33reduce_by_key_impl_wrapped_configILNS1_25lookback_scan_determinismE0ES3_S7_N6hipcub16HIPCUB_304000_NS22TransformInputIteratorIbN2at6native8internal12_GLOBAL__N_110LoadBoolOpEPKhlEENS0_17constant_iteratorIjlEEPbPlSO_S6_NS0_8equal_toIbEEEE10hipError_tPvRmT2_T3_mT4_T5_T6_T7_T8_P12ihipStream_tbENKUlT_T0_E_clISt17integral_constantIbLb1EES17_IbLb0EEEEDaS13_S14_EUlS13_E_NS1_11comp_targetILNS1_3genE9ELNS1_11target_archE1100ELNS1_3gpuE3ELNS1_3repE0EEENS1_30default_config_static_selectorELNS0_4arch9wavefront6targetE0EEEvT1_.has_dyn_sized_stack, 0
	.set _ZN7rocprim17ROCPRIM_400000_NS6detail17trampoline_kernelINS0_14default_configENS1_33run_length_encode_config_selectorIbjNS0_4plusIjEEEEZZNS1_33reduce_by_key_impl_wrapped_configILNS1_25lookback_scan_determinismE0ES3_S7_N6hipcub16HIPCUB_304000_NS22TransformInputIteratorIbN2at6native8internal12_GLOBAL__N_110LoadBoolOpEPKhlEENS0_17constant_iteratorIjlEEPbPlSO_S6_NS0_8equal_toIbEEEE10hipError_tPvRmT2_T3_mT4_T5_T6_T7_T8_P12ihipStream_tbENKUlT_T0_E_clISt17integral_constantIbLb1EES17_IbLb0EEEEDaS13_S14_EUlS13_E_NS1_11comp_targetILNS1_3genE9ELNS1_11target_archE1100ELNS1_3gpuE3ELNS1_3repE0EEENS1_30default_config_static_selectorELNS0_4arch9wavefront6targetE0EEEvT1_.has_recursion, 0
	.set _ZN7rocprim17ROCPRIM_400000_NS6detail17trampoline_kernelINS0_14default_configENS1_33run_length_encode_config_selectorIbjNS0_4plusIjEEEEZZNS1_33reduce_by_key_impl_wrapped_configILNS1_25lookback_scan_determinismE0ES3_S7_N6hipcub16HIPCUB_304000_NS22TransformInputIteratorIbN2at6native8internal12_GLOBAL__N_110LoadBoolOpEPKhlEENS0_17constant_iteratorIjlEEPbPlSO_S6_NS0_8equal_toIbEEEE10hipError_tPvRmT2_T3_mT4_T5_T6_T7_T8_P12ihipStream_tbENKUlT_T0_E_clISt17integral_constantIbLb1EES17_IbLb0EEEEDaS13_S14_EUlS13_E_NS1_11comp_targetILNS1_3genE9ELNS1_11target_archE1100ELNS1_3gpuE3ELNS1_3repE0EEENS1_30default_config_static_selectorELNS0_4arch9wavefront6targetE0EEEvT1_.has_indirect_call, 0
	.section	.AMDGPU.csdata,"",@progbits
; Kernel info:
; codeLenInByte = 0
; TotalNumSgprs: 0
; NumVgprs: 0
; ScratchSize: 0
; MemoryBound: 0
; FloatMode: 240
; IeeeMode: 1
; LDSByteSize: 0 bytes/workgroup (compile time only)
; SGPRBlocks: 0
; VGPRBlocks: 0
; NumSGPRsForWavesPerEU: 1
; NumVGPRsForWavesPerEU: 1
; NamedBarCnt: 0
; Occupancy: 16
; WaveLimiterHint : 0
; COMPUTE_PGM_RSRC2:SCRATCH_EN: 0
; COMPUTE_PGM_RSRC2:USER_SGPR: 2
; COMPUTE_PGM_RSRC2:TRAP_HANDLER: 0
; COMPUTE_PGM_RSRC2:TGID_X_EN: 1
; COMPUTE_PGM_RSRC2:TGID_Y_EN: 0
; COMPUTE_PGM_RSRC2:TGID_Z_EN: 0
; COMPUTE_PGM_RSRC2:TIDIG_COMP_CNT: 0
	.section	.text._ZN7rocprim17ROCPRIM_400000_NS6detail17trampoline_kernelINS0_14default_configENS1_33run_length_encode_config_selectorIbjNS0_4plusIjEEEEZZNS1_33reduce_by_key_impl_wrapped_configILNS1_25lookback_scan_determinismE0ES3_S7_N6hipcub16HIPCUB_304000_NS22TransformInputIteratorIbN2at6native8internal12_GLOBAL__N_110LoadBoolOpEPKhlEENS0_17constant_iteratorIjlEEPbPlSO_S6_NS0_8equal_toIbEEEE10hipError_tPvRmT2_T3_mT4_T5_T6_T7_T8_P12ihipStream_tbENKUlT_T0_E_clISt17integral_constantIbLb1EES17_IbLb0EEEEDaS13_S14_EUlS13_E_NS1_11comp_targetILNS1_3genE8ELNS1_11target_archE1030ELNS1_3gpuE2ELNS1_3repE0EEENS1_30default_config_static_selectorELNS0_4arch9wavefront6targetE0EEEvT1_,"axG",@progbits,_ZN7rocprim17ROCPRIM_400000_NS6detail17trampoline_kernelINS0_14default_configENS1_33run_length_encode_config_selectorIbjNS0_4plusIjEEEEZZNS1_33reduce_by_key_impl_wrapped_configILNS1_25lookback_scan_determinismE0ES3_S7_N6hipcub16HIPCUB_304000_NS22TransformInputIteratorIbN2at6native8internal12_GLOBAL__N_110LoadBoolOpEPKhlEENS0_17constant_iteratorIjlEEPbPlSO_S6_NS0_8equal_toIbEEEE10hipError_tPvRmT2_T3_mT4_T5_T6_T7_T8_P12ihipStream_tbENKUlT_T0_E_clISt17integral_constantIbLb1EES17_IbLb0EEEEDaS13_S14_EUlS13_E_NS1_11comp_targetILNS1_3genE8ELNS1_11target_archE1030ELNS1_3gpuE2ELNS1_3repE0EEENS1_30default_config_static_selectorELNS0_4arch9wavefront6targetE0EEEvT1_,comdat
	.globl	_ZN7rocprim17ROCPRIM_400000_NS6detail17trampoline_kernelINS0_14default_configENS1_33run_length_encode_config_selectorIbjNS0_4plusIjEEEEZZNS1_33reduce_by_key_impl_wrapped_configILNS1_25lookback_scan_determinismE0ES3_S7_N6hipcub16HIPCUB_304000_NS22TransformInputIteratorIbN2at6native8internal12_GLOBAL__N_110LoadBoolOpEPKhlEENS0_17constant_iteratorIjlEEPbPlSO_S6_NS0_8equal_toIbEEEE10hipError_tPvRmT2_T3_mT4_T5_T6_T7_T8_P12ihipStream_tbENKUlT_T0_E_clISt17integral_constantIbLb1EES17_IbLb0EEEEDaS13_S14_EUlS13_E_NS1_11comp_targetILNS1_3genE8ELNS1_11target_archE1030ELNS1_3gpuE2ELNS1_3repE0EEENS1_30default_config_static_selectorELNS0_4arch9wavefront6targetE0EEEvT1_ ; -- Begin function _ZN7rocprim17ROCPRIM_400000_NS6detail17trampoline_kernelINS0_14default_configENS1_33run_length_encode_config_selectorIbjNS0_4plusIjEEEEZZNS1_33reduce_by_key_impl_wrapped_configILNS1_25lookback_scan_determinismE0ES3_S7_N6hipcub16HIPCUB_304000_NS22TransformInputIteratorIbN2at6native8internal12_GLOBAL__N_110LoadBoolOpEPKhlEENS0_17constant_iteratorIjlEEPbPlSO_S6_NS0_8equal_toIbEEEE10hipError_tPvRmT2_T3_mT4_T5_T6_T7_T8_P12ihipStream_tbENKUlT_T0_E_clISt17integral_constantIbLb1EES17_IbLb0EEEEDaS13_S14_EUlS13_E_NS1_11comp_targetILNS1_3genE8ELNS1_11target_archE1030ELNS1_3gpuE2ELNS1_3repE0EEENS1_30default_config_static_selectorELNS0_4arch9wavefront6targetE0EEEvT1_
	.p2align	8
	.type	_ZN7rocprim17ROCPRIM_400000_NS6detail17trampoline_kernelINS0_14default_configENS1_33run_length_encode_config_selectorIbjNS0_4plusIjEEEEZZNS1_33reduce_by_key_impl_wrapped_configILNS1_25lookback_scan_determinismE0ES3_S7_N6hipcub16HIPCUB_304000_NS22TransformInputIteratorIbN2at6native8internal12_GLOBAL__N_110LoadBoolOpEPKhlEENS0_17constant_iteratorIjlEEPbPlSO_S6_NS0_8equal_toIbEEEE10hipError_tPvRmT2_T3_mT4_T5_T6_T7_T8_P12ihipStream_tbENKUlT_T0_E_clISt17integral_constantIbLb1EES17_IbLb0EEEEDaS13_S14_EUlS13_E_NS1_11comp_targetILNS1_3genE8ELNS1_11target_archE1030ELNS1_3gpuE2ELNS1_3repE0EEENS1_30default_config_static_selectorELNS0_4arch9wavefront6targetE0EEEvT1_,@function
_ZN7rocprim17ROCPRIM_400000_NS6detail17trampoline_kernelINS0_14default_configENS1_33run_length_encode_config_selectorIbjNS0_4plusIjEEEEZZNS1_33reduce_by_key_impl_wrapped_configILNS1_25lookback_scan_determinismE0ES3_S7_N6hipcub16HIPCUB_304000_NS22TransformInputIteratorIbN2at6native8internal12_GLOBAL__N_110LoadBoolOpEPKhlEENS0_17constant_iteratorIjlEEPbPlSO_S6_NS0_8equal_toIbEEEE10hipError_tPvRmT2_T3_mT4_T5_T6_T7_T8_P12ihipStream_tbENKUlT_T0_E_clISt17integral_constantIbLb1EES17_IbLb0EEEEDaS13_S14_EUlS13_E_NS1_11comp_targetILNS1_3genE8ELNS1_11target_archE1030ELNS1_3gpuE2ELNS1_3repE0EEENS1_30default_config_static_selectorELNS0_4arch9wavefront6targetE0EEEvT1_: ; @_ZN7rocprim17ROCPRIM_400000_NS6detail17trampoline_kernelINS0_14default_configENS1_33run_length_encode_config_selectorIbjNS0_4plusIjEEEEZZNS1_33reduce_by_key_impl_wrapped_configILNS1_25lookback_scan_determinismE0ES3_S7_N6hipcub16HIPCUB_304000_NS22TransformInputIteratorIbN2at6native8internal12_GLOBAL__N_110LoadBoolOpEPKhlEENS0_17constant_iteratorIjlEEPbPlSO_S6_NS0_8equal_toIbEEEE10hipError_tPvRmT2_T3_mT4_T5_T6_T7_T8_P12ihipStream_tbENKUlT_T0_E_clISt17integral_constantIbLb1EES17_IbLb0EEEEDaS13_S14_EUlS13_E_NS1_11comp_targetILNS1_3genE8ELNS1_11target_archE1030ELNS1_3gpuE2ELNS1_3repE0EEENS1_30default_config_static_selectorELNS0_4arch9wavefront6targetE0EEEvT1_
; %bb.0:
	.section	.rodata,"a",@progbits
	.p2align	6, 0x0
	.amdhsa_kernel _ZN7rocprim17ROCPRIM_400000_NS6detail17trampoline_kernelINS0_14default_configENS1_33run_length_encode_config_selectorIbjNS0_4plusIjEEEEZZNS1_33reduce_by_key_impl_wrapped_configILNS1_25lookback_scan_determinismE0ES3_S7_N6hipcub16HIPCUB_304000_NS22TransformInputIteratorIbN2at6native8internal12_GLOBAL__N_110LoadBoolOpEPKhlEENS0_17constant_iteratorIjlEEPbPlSO_S6_NS0_8equal_toIbEEEE10hipError_tPvRmT2_T3_mT4_T5_T6_T7_T8_P12ihipStream_tbENKUlT_T0_E_clISt17integral_constantIbLb1EES17_IbLb0EEEEDaS13_S14_EUlS13_E_NS1_11comp_targetILNS1_3genE8ELNS1_11target_archE1030ELNS1_3gpuE2ELNS1_3repE0EEENS1_30default_config_static_selectorELNS0_4arch9wavefront6targetE0EEEvT1_
		.amdhsa_group_segment_fixed_size 0
		.amdhsa_private_segment_fixed_size 0
		.amdhsa_kernarg_size 136
		.amdhsa_user_sgpr_count 2
		.amdhsa_user_sgpr_dispatch_ptr 0
		.amdhsa_user_sgpr_queue_ptr 0
		.amdhsa_user_sgpr_kernarg_segment_ptr 1
		.amdhsa_user_sgpr_dispatch_id 0
		.amdhsa_user_sgpr_kernarg_preload_length 0
		.amdhsa_user_sgpr_kernarg_preload_offset 0
		.amdhsa_user_sgpr_private_segment_size 0
		.amdhsa_wavefront_size32 1
		.amdhsa_uses_dynamic_stack 0
		.amdhsa_enable_private_segment 0
		.amdhsa_system_sgpr_workgroup_id_x 1
		.amdhsa_system_sgpr_workgroup_id_y 0
		.amdhsa_system_sgpr_workgroup_id_z 0
		.amdhsa_system_sgpr_workgroup_info 0
		.amdhsa_system_vgpr_workitem_id 0
		.amdhsa_next_free_vgpr 1
		.amdhsa_next_free_sgpr 1
		.amdhsa_named_barrier_count 0
		.amdhsa_reserve_vcc 0
		.amdhsa_float_round_mode_32 0
		.amdhsa_float_round_mode_16_64 0
		.amdhsa_float_denorm_mode_32 3
		.amdhsa_float_denorm_mode_16_64 3
		.amdhsa_fp16_overflow 0
		.amdhsa_memory_ordered 1
		.amdhsa_forward_progress 1
		.amdhsa_inst_pref_size 0
		.amdhsa_round_robin_scheduling 0
		.amdhsa_exception_fp_ieee_invalid_op 0
		.amdhsa_exception_fp_denorm_src 0
		.amdhsa_exception_fp_ieee_div_zero 0
		.amdhsa_exception_fp_ieee_overflow 0
		.amdhsa_exception_fp_ieee_underflow 0
		.amdhsa_exception_fp_ieee_inexact 0
		.amdhsa_exception_int_div_zero 0
	.end_amdhsa_kernel
	.section	.text._ZN7rocprim17ROCPRIM_400000_NS6detail17trampoline_kernelINS0_14default_configENS1_33run_length_encode_config_selectorIbjNS0_4plusIjEEEEZZNS1_33reduce_by_key_impl_wrapped_configILNS1_25lookback_scan_determinismE0ES3_S7_N6hipcub16HIPCUB_304000_NS22TransformInputIteratorIbN2at6native8internal12_GLOBAL__N_110LoadBoolOpEPKhlEENS0_17constant_iteratorIjlEEPbPlSO_S6_NS0_8equal_toIbEEEE10hipError_tPvRmT2_T3_mT4_T5_T6_T7_T8_P12ihipStream_tbENKUlT_T0_E_clISt17integral_constantIbLb1EES17_IbLb0EEEEDaS13_S14_EUlS13_E_NS1_11comp_targetILNS1_3genE8ELNS1_11target_archE1030ELNS1_3gpuE2ELNS1_3repE0EEENS1_30default_config_static_selectorELNS0_4arch9wavefront6targetE0EEEvT1_,"axG",@progbits,_ZN7rocprim17ROCPRIM_400000_NS6detail17trampoline_kernelINS0_14default_configENS1_33run_length_encode_config_selectorIbjNS0_4plusIjEEEEZZNS1_33reduce_by_key_impl_wrapped_configILNS1_25lookback_scan_determinismE0ES3_S7_N6hipcub16HIPCUB_304000_NS22TransformInputIteratorIbN2at6native8internal12_GLOBAL__N_110LoadBoolOpEPKhlEENS0_17constant_iteratorIjlEEPbPlSO_S6_NS0_8equal_toIbEEEE10hipError_tPvRmT2_T3_mT4_T5_T6_T7_T8_P12ihipStream_tbENKUlT_T0_E_clISt17integral_constantIbLb1EES17_IbLb0EEEEDaS13_S14_EUlS13_E_NS1_11comp_targetILNS1_3genE8ELNS1_11target_archE1030ELNS1_3gpuE2ELNS1_3repE0EEENS1_30default_config_static_selectorELNS0_4arch9wavefront6targetE0EEEvT1_,comdat
.Lfunc_end86:
	.size	_ZN7rocprim17ROCPRIM_400000_NS6detail17trampoline_kernelINS0_14default_configENS1_33run_length_encode_config_selectorIbjNS0_4plusIjEEEEZZNS1_33reduce_by_key_impl_wrapped_configILNS1_25lookback_scan_determinismE0ES3_S7_N6hipcub16HIPCUB_304000_NS22TransformInputIteratorIbN2at6native8internal12_GLOBAL__N_110LoadBoolOpEPKhlEENS0_17constant_iteratorIjlEEPbPlSO_S6_NS0_8equal_toIbEEEE10hipError_tPvRmT2_T3_mT4_T5_T6_T7_T8_P12ihipStream_tbENKUlT_T0_E_clISt17integral_constantIbLb1EES17_IbLb0EEEEDaS13_S14_EUlS13_E_NS1_11comp_targetILNS1_3genE8ELNS1_11target_archE1030ELNS1_3gpuE2ELNS1_3repE0EEENS1_30default_config_static_selectorELNS0_4arch9wavefront6targetE0EEEvT1_, .Lfunc_end86-_ZN7rocprim17ROCPRIM_400000_NS6detail17trampoline_kernelINS0_14default_configENS1_33run_length_encode_config_selectorIbjNS0_4plusIjEEEEZZNS1_33reduce_by_key_impl_wrapped_configILNS1_25lookback_scan_determinismE0ES3_S7_N6hipcub16HIPCUB_304000_NS22TransformInputIteratorIbN2at6native8internal12_GLOBAL__N_110LoadBoolOpEPKhlEENS0_17constant_iteratorIjlEEPbPlSO_S6_NS0_8equal_toIbEEEE10hipError_tPvRmT2_T3_mT4_T5_T6_T7_T8_P12ihipStream_tbENKUlT_T0_E_clISt17integral_constantIbLb1EES17_IbLb0EEEEDaS13_S14_EUlS13_E_NS1_11comp_targetILNS1_3genE8ELNS1_11target_archE1030ELNS1_3gpuE2ELNS1_3repE0EEENS1_30default_config_static_selectorELNS0_4arch9wavefront6targetE0EEEvT1_
                                        ; -- End function
	.set _ZN7rocprim17ROCPRIM_400000_NS6detail17trampoline_kernelINS0_14default_configENS1_33run_length_encode_config_selectorIbjNS0_4plusIjEEEEZZNS1_33reduce_by_key_impl_wrapped_configILNS1_25lookback_scan_determinismE0ES3_S7_N6hipcub16HIPCUB_304000_NS22TransformInputIteratorIbN2at6native8internal12_GLOBAL__N_110LoadBoolOpEPKhlEENS0_17constant_iteratorIjlEEPbPlSO_S6_NS0_8equal_toIbEEEE10hipError_tPvRmT2_T3_mT4_T5_T6_T7_T8_P12ihipStream_tbENKUlT_T0_E_clISt17integral_constantIbLb1EES17_IbLb0EEEEDaS13_S14_EUlS13_E_NS1_11comp_targetILNS1_3genE8ELNS1_11target_archE1030ELNS1_3gpuE2ELNS1_3repE0EEENS1_30default_config_static_selectorELNS0_4arch9wavefront6targetE0EEEvT1_.num_vgpr, 0
	.set _ZN7rocprim17ROCPRIM_400000_NS6detail17trampoline_kernelINS0_14default_configENS1_33run_length_encode_config_selectorIbjNS0_4plusIjEEEEZZNS1_33reduce_by_key_impl_wrapped_configILNS1_25lookback_scan_determinismE0ES3_S7_N6hipcub16HIPCUB_304000_NS22TransformInputIteratorIbN2at6native8internal12_GLOBAL__N_110LoadBoolOpEPKhlEENS0_17constant_iteratorIjlEEPbPlSO_S6_NS0_8equal_toIbEEEE10hipError_tPvRmT2_T3_mT4_T5_T6_T7_T8_P12ihipStream_tbENKUlT_T0_E_clISt17integral_constantIbLb1EES17_IbLb0EEEEDaS13_S14_EUlS13_E_NS1_11comp_targetILNS1_3genE8ELNS1_11target_archE1030ELNS1_3gpuE2ELNS1_3repE0EEENS1_30default_config_static_selectorELNS0_4arch9wavefront6targetE0EEEvT1_.num_agpr, 0
	.set _ZN7rocprim17ROCPRIM_400000_NS6detail17trampoline_kernelINS0_14default_configENS1_33run_length_encode_config_selectorIbjNS0_4plusIjEEEEZZNS1_33reduce_by_key_impl_wrapped_configILNS1_25lookback_scan_determinismE0ES3_S7_N6hipcub16HIPCUB_304000_NS22TransformInputIteratorIbN2at6native8internal12_GLOBAL__N_110LoadBoolOpEPKhlEENS0_17constant_iteratorIjlEEPbPlSO_S6_NS0_8equal_toIbEEEE10hipError_tPvRmT2_T3_mT4_T5_T6_T7_T8_P12ihipStream_tbENKUlT_T0_E_clISt17integral_constantIbLb1EES17_IbLb0EEEEDaS13_S14_EUlS13_E_NS1_11comp_targetILNS1_3genE8ELNS1_11target_archE1030ELNS1_3gpuE2ELNS1_3repE0EEENS1_30default_config_static_selectorELNS0_4arch9wavefront6targetE0EEEvT1_.numbered_sgpr, 0
	.set _ZN7rocprim17ROCPRIM_400000_NS6detail17trampoline_kernelINS0_14default_configENS1_33run_length_encode_config_selectorIbjNS0_4plusIjEEEEZZNS1_33reduce_by_key_impl_wrapped_configILNS1_25lookback_scan_determinismE0ES3_S7_N6hipcub16HIPCUB_304000_NS22TransformInputIteratorIbN2at6native8internal12_GLOBAL__N_110LoadBoolOpEPKhlEENS0_17constant_iteratorIjlEEPbPlSO_S6_NS0_8equal_toIbEEEE10hipError_tPvRmT2_T3_mT4_T5_T6_T7_T8_P12ihipStream_tbENKUlT_T0_E_clISt17integral_constantIbLb1EES17_IbLb0EEEEDaS13_S14_EUlS13_E_NS1_11comp_targetILNS1_3genE8ELNS1_11target_archE1030ELNS1_3gpuE2ELNS1_3repE0EEENS1_30default_config_static_selectorELNS0_4arch9wavefront6targetE0EEEvT1_.num_named_barrier, 0
	.set _ZN7rocprim17ROCPRIM_400000_NS6detail17trampoline_kernelINS0_14default_configENS1_33run_length_encode_config_selectorIbjNS0_4plusIjEEEEZZNS1_33reduce_by_key_impl_wrapped_configILNS1_25lookback_scan_determinismE0ES3_S7_N6hipcub16HIPCUB_304000_NS22TransformInputIteratorIbN2at6native8internal12_GLOBAL__N_110LoadBoolOpEPKhlEENS0_17constant_iteratorIjlEEPbPlSO_S6_NS0_8equal_toIbEEEE10hipError_tPvRmT2_T3_mT4_T5_T6_T7_T8_P12ihipStream_tbENKUlT_T0_E_clISt17integral_constantIbLb1EES17_IbLb0EEEEDaS13_S14_EUlS13_E_NS1_11comp_targetILNS1_3genE8ELNS1_11target_archE1030ELNS1_3gpuE2ELNS1_3repE0EEENS1_30default_config_static_selectorELNS0_4arch9wavefront6targetE0EEEvT1_.private_seg_size, 0
	.set _ZN7rocprim17ROCPRIM_400000_NS6detail17trampoline_kernelINS0_14default_configENS1_33run_length_encode_config_selectorIbjNS0_4plusIjEEEEZZNS1_33reduce_by_key_impl_wrapped_configILNS1_25lookback_scan_determinismE0ES3_S7_N6hipcub16HIPCUB_304000_NS22TransformInputIteratorIbN2at6native8internal12_GLOBAL__N_110LoadBoolOpEPKhlEENS0_17constant_iteratorIjlEEPbPlSO_S6_NS0_8equal_toIbEEEE10hipError_tPvRmT2_T3_mT4_T5_T6_T7_T8_P12ihipStream_tbENKUlT_T0_E_clISt17integral_constantIbLb1EES17_IbLb0EEEEDaS13_S14_EUlS13_E_NS1_11comp_targetILNS1_3genE8ELNS1_11target_archE1030ELNS1_3gpuE2ELNS1_3repE0EEENS1_30default_config_static_selectorELNS0_4arch9wavefront6targetE0EEEvT1_.uses_vcc, 0
	.set _ZN7rocprim17ROCPRIM_400000_NS6detail17trampoline_kernelINS0_14default_configENS1_33run_length_encode_config_selectorIbjNS0_4plusIjEEEEZZNS1_33reduce_by_key_impl_wrapped_configILNS1_25lookback_scan_determinismE0ES3_S7_N6hipcub16HIPCUB_304000_NS22TransformInputIteratorIbN2at6native8internal12_GLOBAL__N_110LoadBoolOpEPKhlEENS0_17constant_iteratorIjlEEPbPlSO_S6_NS0_8equal_toIbEEEE10hipError_tPvRmT2_T3_mT4_T5_T6_T7_T8_P12ihipStream_tbENKUlT_T0_E_clISt17integral_constantIbLb1EES17_IbLb0EEEEDaS13_S14_EUlS13_E_NS1_11comp_targetILNS1_3genE8ELNS1_11target_archE1030ELNS1_3gpuE2ELNS1_3repE0EEENS1_30default_config_static_selectorELNS0_4arch9wavefront6targetE0EEEvT1_.uses_flat_scratch, 0
	.set _ZN7rocprim17ROCPRIM_400000_NS6detail17trampoline_kernelINS0_14default_configENS1_33run_length_encode_config_selectorIbjNS0_4plusIjEEEEZZNS1_33reduce_by_key_impl_wrapped_configILNS1_25lookback_scan_determinismE0ES3_S7_N6hipcub16HIPCUB_304000_NS22TransformInputIteratorIbN2at6native8internal12_GLOBAL__N_110LoadBoolOpEPKhlEENS0_17constant_iteratorIjlEEPbPlSO_S6_NS0_8equal_toIbEEEE10hipError_tPvRmT2_T3_mT4_T5_T6_T7_T8_P12ihipStream_tbENKUlT_T0_E_clISt17integral_constantIbLb1EES17_IbLb0EEEEDaS13_S14_EUlS13_E_NS1_11comp_targetILNS1_3genE8ELNS1_11target_archE1030ELNS1_3gpuE2ELNS1_3repE0EEENS1_30default_config_static_selectorELNS0_4arch9wavefront6targetE0EEEvT1_.has_dyn_sized_stack, 0
	.set _ZN7rocprim17ROCPRIM_400000_NS6detail17trampoline_kernelINS0_14default_configENS1_33run_length_encode_config_selectorIbjNS0_4plusIjEEEEZZNS1_33reduce_by_key_impl_wrapped_configILNS1_25lookback_scan_determinismE0ES3_S7_N6hipcub16HIPCUB_304000_NS22TransformInputIteratorIbN2at6native8internal12_GLOBAL__N_110LoadBoolOpEPKhlEENS0_17constant_iteratorIjlEEPbPlSO_S6_NS0_8equal_toIbEEEE10hipError_tPvRmT2_T3_mT4_T5_T6_T7_T8_P12ihipStream_tbENKUlT_T0_E_clISt17integral_constantIbLb1EES17_IbLb0EEEEDaS13_S14_EUlS13_E_NS1_11comp_targetILNS1_3genE8ELNS1_11target_archE1030ELNS1_3gpuE2ELNS1_3repE0EEENS1_30default_config_static_selectorELNS0_4arch9wavefront6targetE0EEEvT1_.has_recursion, 0
	.set _ZN7rocprim17ROCPRIM_400000_NS6detail17trampoline_kernelINS0_14default_configENS1_33run_length_encode_config_selectorIbjNS0_4plusIjEEEEZZNS1_33reduce_by_key_impl_wrapped_configILNS1_25lookback_scan_determinismE0ES3_S7_N6hipcub16HIPCUB_304000_NS22TransformInputIteratorIbN2at6native8internal12_GLOBAL__N_110LoadBoolOpEPKhlEENS0_17constant_iteratorIjlEEPbPlSO_S6_NS0_8equal_toIbEEEE10hipError_tPvRmT2_T3_mT4_T5_T6_T7_T8_P12ihipStream_tbENKUlT_T0_E_clISt17integral_constantIbLb1EES17_IbLb0EEEEDaS13_S14_EUlS13_E_NS1_11comp_targetILNS1_3genE8ELNS1_11target_archE1030ELNS1_3gpuE2ELNS1_3repE0EEENS1_30default_config_static_selectorELNS0_4arch9wavefront6targetE0EEEvT1_.has_indirect_call, 0
	.section	.AMDGPU.csdata,"",@progbits
; Kernel info:
; codeLenInByte = 0
; TotalNumSgprs: 0
; NumVgprs: 0
; ScratchSize: 0
; MemoryBound: 0
; FloatMode: 240
; IeeeMode: 1
; LDSByteSize: 0 bytes/workgroup (compile time only)
; SGPRBlocks: 0
; VGPRBlocks: 0
; NumSGPRsForWavesPerEU: 1
; NumVGPRsForWavesPerEU: 1
; NamedBarCnt: 0
; Occupancy: 16
; WaveLimiterHint : 0
; COMPUTE_PGM_RSRC2:SCRATCH_EN: 0
; COMPUTE_PGM_RSRC2:USER_SGPR: 2
; COMPUTE_PGM_RSRC2:TRAP_HANDLER: 0
; COMPUTE_PGM_RSRC2:TGID_X_EN: 1
; COMPUTE_PGM_RSRC2:TGID_Y_EN: 0
; COMPUTE_PGM_RSRC2:TGID_Z_EN: 0
; COMPUTE_PGM_RSRC2:TIDIG_COMP_CNT: 0
	.section	.text._ZN7rocprim17ROCPRIM_400000_NS6detail25reduce_by_key_init_kernelINS1_19lookback_scan_stateINS0_5tupleIJjjEEELb0ELb1EEEjNS1_16block_id_wrapperIjLb1EEEEEvT_jbjPmPT0_T1_,"axG",@progbits,_ZN7rocprim17ROCPRIM_400000_NS6detail25reduce_by_key_init_kernelINS1_19lookback_scan_stateINS0_5tupleIJjjEEELb0ELb1EEEjNS1_16block_id_wrapperIjLb1EEEEEvT_jbjPmPT0_T1_,comdat
	.protected	_ZN7rocprim17ROCPRIM_400000_NS6detail25reduce_by_key_init_kernelINS1_19lookback_scan_stateINS0_5tupleIJjjEEELb0ELb1EEEjNS1_16block_id_wrapperIjLb1EEEEEvT_jbjPmPT0_T1_ ; -- Begin function _ZN7rocprim17ROCPRIM_400000_NS6detail25reduce_by_key_init_kernelINS1_19lookback_scan_stateINS0_5tupleIJjjEEELb0ELb1EEEjNS1_16block_id_wrapperIjLb1EEEEEvT_jbjPmPT0_T1_
	.globl	_ZN7rocprim17ROCPRIM_400000_NS6detail25reduce_by_key_init_kernelINS1_19lookback_scan_stateINS0_5tupleIJjjEEELb0ELb1EEEjNS1_16block_id_wrapperIjLb1EEEEEvT_jbjPmPT0_T1_
	.p2align	8
	.type	_ZN7rocprim17ROCPRIM_400000_NS6detail25reduce_by_key_init_kernelINS1_19lookback_scan_stateINS0_5tupleIJjjEEELb0ELb1EEEjNS1_16block_id_wrapperIjLb1EEEEEvT_jbjPmPT0_T1_,@function
_ZN7rocprim17ROCPRIM_400000_NS6detail25reduce_by_key_init_kernelINS1_19lookback_scan_stateINS0_5tupleIJjjEEELb0ELb1EEEjNS1_16block_id_wrapperIjLb1EEEEEvT_jbjPmPT0_T1_: ; @_ZN7rocprim17ROCPRIM_400000_NS6detail25reduce_by_key_init_kernelINS1_19lookback_scan_stateINS0_5tupleIJjjEEELb0ELb1EEEjNS1_16block_id_wrapperIjLb1EEEEEvT_jbjPmPT0_T1_
; %bb.0:
	s_clause 0x2
	s_load_b96 s[8:10], s[0:1], 0x8
	s_load_b32 s11, s[0:1], 0x3c
	s_load_b64 s[2:3], s[0:1], 0x0
	s_bfe_u32 s4, ttmp6, 0x4000c
	s_and_b32 s14, ttmp6, 15
	s_add_co_i32 s16, s4, 1
	s_clause 0x1
	s_load_b128 s[4:7], s[0:1], 0x18
	s_load_b64 s[12:13], s[0:1], 0x28
	s_wait_xcnt 0x0
	s_mul_i32 s0, ttmp9, s16
	s_getreg_b32 s15, hwreg(HW_REG_IB_STS2, 6, 4)
	s_add_co_i32 s14, s14, s0
	s_wait_kmcnt 0x0
	s_and_b32 s1, s9, 1
	s_and_b32 s9, s11, 0xffff
	s_cmp_eq_u32 s15, 0
	s_cselect_b32 s0, ttmp9, s14
	s_cmp_eq_u32 s1, 0
	v_mad_u32 v8, s0, s9, v0
	s_mov_b32 s1, -1
	s_cbranch_scc0 .LBB87_8
; %bb.1:
	s_cmp_lt_u32 s10, s8
	s_mov_b32 s9, exec_lo
	s_cselect_b32 s0, s10, 0
	s_delay_alu instid0(VALU_DEP_1) | instid1(SALU_CYCLE_1)
	v_cmpx_eq_u32_e64 s0, v8
	s_cbranch_execz .LBB87_7
; %bb.2:
	s_add_co_i32 s0, s10, 32
	s_mov_b32 s1, 0
	v_mov_b32_e32 v5, 0
	s_lshl_b64 s[10:11], s[0:1], 4
	s_mov_b32 s0, exec_lo
	s_add_nc_u64 s[10:11], s[2:3], s[10:11]
	s_delay_alu instid0(SALU_CYCLE_1) | instskip(SKIP_2) | instid1(VALU_DEP_1)
	v_mov_b64_e32 v[0:1], s[10:11]
	;;#ASMSTART
	global_load_b128 v[0:3], v[0:1] off scope:SCOPE_DEV	
s_wait_loadcnt 0x0
	;;#ASMEND
	v_and_b32_e32 v4, 0xff, v2
	v_cmpx_eq_u64_e32 0, v[4:5]
	s_cbranch_execz .LBB87_6
; %bb.3:
	v_mov_b64_e32 v[6:7], s[10:11]
.LBB87_4:                               ; =>This Inner Loop Header: Depth=1
	;;#ASMSTART
	global_load_b128 v[0:3], v[6:7] off scope:SCOPE_DEV	
s_wait_loadcnt 0x0
	;;#ASMEND
	v_and_b32_e32 v4, 0xff, v2
	s_delay_alu instid0(VALU_DEP_1) | instskip(SKIP_1) | instid1(SALU_CYCLE_1)
	v_cmp_ne_u64_e32 vcc_lo, 0, v[4:5]
	s_or_b32 s1, vcc_lo, s1
	s_and_not1_b32 exec_lo, exec_lo, s1
	s_cbranch_execnz .LBB87_4
; %bb.5:
	s_or_b32 exec_lo, exec_lo, s1
.LBB87_6:
	s_delay_alu instid0(SALU_CYCLE_1) | instskip(NEXT) | instid1(VALU_DEP_3)
	s_or_b32 exec_lo, exec_lo, s0
	v_dual_mov_b32 v3, 0 :: v_dual_mov_b32 v2, v0
	global_load_b64 v[4:5], v3, s[4:5]
	s_wait_loadcnt 0x0
	v_add_nc_u64_e32 v[4:5], v[4:5], v[2:3]
	s_clause 0x1
	global_store_b64 v3, v[4:5], s[4:5]
	global_store_b32 v3, v1, s[6:7]
.LBB87_7:
	s_wait_xcnt 0x0
	s_or_b32 exec_lo, exec_lo, s9
	s_mov_b32 s1, 0
.LBB87_8:
	s_delay_alu instid0(VALU_DEP_1)
	v_cmp_eq_u32_e64 s0, 0, v8
	s_and_not1_b32 vcc_lo, exec_lo, s1
	s_cbranch_vccnz .LBB87_12
; %bb.9:
	s_cmp_lg_u64 s[4:5], 0
	s_cselect_b32 s1, -1, 0
	s_delay_alu instid0(SALU_CYCLE_1) | instskip(NEXT) | instid1(SALU_CYCLE_1)
	s_and_b32 s1, s1, s0
	s_and_saveexec_b32 s0, s1
	s_cbranch_execz .LBB87_11
; %bb.10:
	v_mov_b64_e32 v[0:1], 0
	v_mov_b32_e32 v2, 0
	global_store_b64 v2, v[0:1], s[4:5]
.LBB87_11:
	s_wait_xcnt 0x0
	s_or_b32 exec_lo, exec_lo, s0
.LBB87_12:
	s_delay_alu instid0(SALU_CYCLE_1)
	s_mov_b32 s0, exec_lo
	v_cmpx_eq_u32_e32 0, v8
	s_cbranch_execz .LBB87_14
; %bb.13:
	v_mov_b32_e32 v0, 0
	global_store_b32 v0, v0, s[12:13]
.LBB87_14:
	s_wait_xcnt 0x0
	s_or_b32 exec_lo, exec_lo, s0
	s_delay_alu instid0(SALU_CYCLE_1)
	s_mov_b32 s0, exec_lo
	v_cmpx_gt_u32_e64 s8, v8
	s_cbranch_execz .LBB87_16
; %bb.15:
	v_dual_mov_b32 v0, 0 :: v_dual_add_nc_u32 v4, 32, v8
	s_delay_alu instid0(VALU_DEP_1)
	v_dual_mov_b32 v1, v0 :: v_dual_mov_b32 v2, v0
	v_mov_b32_e32 v3, v0
	global_store_b128 v4, v[0:3], s[2:3] scale_offset
.LBB87_16:
	s_wait_xcnt 0x0
	s_or_b32 exec_lo, exec_lo, s0
	s_delay_alu instid0(SALU_CYCLE_1)
	s_mov_b32 s0, exec_lo
	v_cmpx_gt_u32_e32 32, v8
	s_cbranch_execz .LBB87_18
; %bb.17:
	v_mov_b32_e32 v0, 0
	s_delay_alu instid0(VALU_DEP_1)
	v_dual_mov_b32 v2, 0xff :: v_dual_mov_b32 v1, v0
	v_mov_b32_e32 v3, v0
	global_store_b128 v8, v[0:3], s[2:3] scale_offset
.LBB87_18:
	s_endpgm
	.section	.rodata,"a",@progbits
	.p2align	6, 0x0
	.amdhsa_kernel _ZN7rocprim17ROCPRIM_400000_NS6detail25reduce_by_key_init_kernelINS1_19lookback_scan_stateINS0_5tupleIJjjEEELb0ELb1EEEjNS1_16block_id_wrapperIjLb1EEEEEvT_jbjPmPT0_T1_
		.amdhsa_group_segment_fixed_size 0
		.amdhsa_private_segment_fixed_size 0
		.amdhsa_kernarg_size 304
		.amdhsa_user_sgpr_count 2
		.amdhsa_user_sgpr_dispatch_ptr 0
		.amdhsa_user_sgpr_queue_ptr 0
		.amdhsa_user_sgpr_kernarg_segment_ptr 1
		.amdhsa_user_sgpr_dispatch_id 0
		.amdhsa_user_sgpr_kernarg_preload_length 0
		.amdhsa_user_sgpr_kernarg_preload_offset 0
		.amdhsa_user_sgpr_private_segment_size 0
		.amdhsa_wavefront_size32 1
		.amdhsa_uses_dynamic_stack 0
		.amdhsa_enable_private_segment 0
		.amdhsa_system_sgpr_workgroup_id_x 1
		.amdhsa_system_sgpr_workgroup_id_y 0
		.amdhsa_system_sgpr_workgroup_id_z 0
		.amdhsa_system_sgpr_workgroup_info 0
		.amdhsa_system_vgpr_workitem_id 0
		.amdhsa_next_free_vgpr 9
		.amdhsa_next_free_sgpr 17
		.amdhsa_named_barrier_count 0
		.amdhsa_reserve_vcc 1
		.amdhsa_float_round_mode_32 0
		.amdhsa_float_round_mode_16_64 0
		.amdhsa_float_denorm_mode_32 3
		.amdhsa_float_denorm_mode_16_64 3
		.amdhsa_fp16_overflow 0
		.amdhsa_memory_ordered 1
		.amdhsa_forward_progress 1
		.amdhsa_inst_pref_size 5
		.amdhsa_round_robin_scheduling 0
		.amdhsa_exception_fp_ieee_invalid_op 0
		.amdhsa_exception_fp_denorm_src 0
		.amdhsa_exception_fp_ieee_div_zero 0
		.amdhsa_exception_fp_ieee_overflow 0
		.amdhsa_exception_fp_ieee_underflow 0
		.amdhsa_exception_fp_ieee_inexact 0
		.amdhsa_exception_int_div_zero 0
	.end_amdhsa_kernel
	.section	.text._ZN7rocprim17ROCPRIM_400000_NS6detail25reduce_by_key_init_kernelINS1_19lookback_scan_stateINS0_5tupleIJjjEEELb0ELb1EEEjNS1_16block_id_wrapperIjLb1EEEEEvT_jbjPmPT0_T1_,"axG",@progbits,_ZN7rocprim17ROCPRIM_400000_NS6detail25reduce_by_key_init_kernelINS1_19lookback_scan_stateINS0_5tupleIJjjEEELb0ELb1EEEjNS1_16block_id_wrapperIjLb1EEEEEvT_jbjPmPT0_T1_,comdat
.Lfunc_end87:
	.size	_ZN7rocprim17ROCPRIM_400000_NS6detail25reduce_by_key_init_kernelINS1_19lookback_scan_stateINS0_5tupleIJjjEEELb0ELb1EEEjNS1_16block_id_wrapperIjLb1EEEEEvT_jbjPmPT0_T1_, .Lfunc_end87-_ZN7rocprim17ROCPRIM_400000_NS6detail25reduce_by_key_init_kernelINS1_19lookback_scan_stateINS0_5tupleIJjjEEELb0ELb1EEEjNS1_16block_id_wrapperIjLb1EEEEEvT_jbjPmPT0_T1_
                                        ; -- End function
	.set _ZN7rocprim17ROCPRIM_400000_NS6detail25reduce_by_key_init_kernelINS1_19lookback_scan_stateINS0_5tupleIJjjEEELb0ELb1EEEjNS1_16block_id_wrapperIjLb1EEEEEvT_jbjPmPT0_T1_.num_vgpr, 9
	.set _ZN7rocprim17ROCPRIM_400000_NS6detail25reduce_by_key_init_kernelINS1_19lookback_scan_stateINS0_5tupleIJjjEEELb0ELb1EEEjNS1_16block_id_wrapperIjLb1EEEEEvT_jbjPmPT0_T1_.num_agpr, 0
	.set _ZN7rocprim17ROCPRIM_400000_NS6detail25reduce_by_key_init_kernelINS1_19lookback_scan_stateINS0_5tupleIJjjEEELb0ELb1EEEjNS1_16block_id_wrapperIjLb1EEEEEvT_jbjPmPT0_T1_.numbered_sgpr, 17
	.set _ZN7rocprim17ROCPRIM_400000_NS6detail25reduce_by_key_init_kernelINS1_19lookback_scan_stateINS0_5tupleIJjjEEELb0ELb1EEEjNS1_16block_id_wrapperIjLb1EEEEEvT_jbjPmPT0_T1_.num_named_barrier, 0
	.set _ZN7rocprim17ROCPRIM_400000_NS6detail25reduce_by_key_init_kernelINS1_19lookback_scan_stateINS0_5tupleIJjjEEELb0ELb1EEEjNS1_16block_id_wrapperIjLb1EEEEEvT_jbjPmPT0_T1_.private_seg_size, 0
	.set _ZN7rocprim17ROCPRIM_400000_NS6detail25reduce_by_key_init_kernelINS1_19lookback_scan_stateINS0_5tupleIJjjEEELb0ELb1EEEjNS1_16block_id_wrapperIjLb1EEEEEvT_jbjPmPT0_T1_.uses_vcc, 1
	.set _ZN7rocprim17ROCPRIM_400000_NS6detail25reduce_by_key_init_kernelINS1_19lookback_scan_stateINS0_5tupleIJjjEEELb0ELb1EEEjNS1_16block_id_wrapperIjLb1EEEEEvT_jbjPmPT0_T1_.uses_flat_scratch, 0
	.set _ZN7rocprim17ROCPRIM_400000_NS6detail25reduce_by_key_init_kernelINS1_19lookback_scan_stateINS0_5tupleIJjjEEELb0ELb1EEEjNS1_16block_id_wrapperIjLb1EEEEEvT_jbjPmPT0_T1_.has_dyn_sized_stack, 0
	.set _ZN7rocprim17ROCPRIM_400000_NS6detail25reduce_by_key_init_kernelINS1_19lookback_scan_stateINS0_5tupleIJjjEEELb0ELb1EEEjNS1_16block_id_wrapperIjLb1EEEEEvT_jbjPmPT0_T1_.has_recursion, 0
	.set _ZN7rocprim17ROCPRIM_400000_NS6detail25reduce_by_key_init_kernelINS1_19lookback_scan_stateINS0_5tupleIJjjEEELb0ELb1EEEjNS1_16block_id_wrapperIjLb1EEEEEvT_jbjPmPT0_T1_.has_indirect_call, 0
	.section	.AMDGPU.csdata,"",@progbits
; Kernel info:
; codeLenInByte = 548
; TotalNumSgprs: 19
; NumVgprs: 9
; ScratchSize: 0
; MemoryBound: 0
; FloatMode: 240
; IeeeMode: 1
; LDSByteSize: 0 bytes/workgroup (compile time only)
; SGPRBlocks: 0
; VGPRBlocks: 0
; NumSGPRsForWavesPerEU: 19
; NumVGPRsForWavesPerEU: 9
; NamedBarCnt: 0
; Occupancy: 16
; WaveLimiterHint : 0
; COMPUTE_PGM_RSRC2:SCRATCH_EN: 0
; COMPUTE_PGM_RSRC2:USER_SGPR: 2
; COMPUTE_PGM_RSRC2:TRAP_HANDLER: 0
; COMPUTE_PGM_RSRC2:TGID_X_EN: 1
; COMPUTE_PGM_RSRC2:TGID_Y_EN: 0
; COMPUTE_PGM_RSRC2:TGID_Z_EN: 0
; COMPUTE_PGM_RSRC2:TIDIG_COMP_CNT: 0
	.section	.text._ZN7rocprim17ROCPRIM_400000_NS6detail17trampoline_kernelINS0_14default_configENS1_33run_length_encode_config_selectorIbjNS0_4plusIjEEEEZZNS1_33reduce_by_key_impl_wrapped_configILNS1_25lookback_scan_determinismE0ES3_S7_N6hipcub16HIPCUB_304000_NS22TransformInputIteratorIbN2at6native8internal12_GLOBAL__N_110LoadBoolOpEPKhlEENS0_17constant_iteratorIjlEEPbPlSO_S6_NS0_8equal_toIbEEEE10hipError_tPvRmT2_T3_mT4_T5_T6_T7_T8_P12ihipStream_tbENKUlT_T0_E_clISt17integral_constantIbLb0EES17_IbLb1EEEEDaS13_S14_EUlS13_E_NS1_11comp_targetILNS1_3genE0ELNS1_11target_archE4294967295ELNS1_3gpuE0ELNS1_3repE0EEENS1_30default_config_static_selectorELNS0_4arch9wavefront6targetE0EEEvT1_,"axG",@progbits,_ZN7rocprim17ROCPRIM_400000_NS6detail17trampoline_kernelINS0_14default_configENS1_33run_length_encode_config_selectorIbjNS0_4plusIjEEEEZZNS1_33reduce_by_key_impl_wrapped_configILNS1_25lookback_scan_determinismE0ES3_S7_N6hipcub16HIPCUB_304000_NS22TransformInputIteratorIbN2at6native8internal12_GLOBAL__N_110LoadBoolOpEPKhlEENS0_17constant_iteratorIjlEEPbPlSO_S6_NS0_8equal_toIbEEEE10hipError_tPvRmT2_T3_mT4_T5_T6_T7_T8_P12ihipStream_tbENKUlT_T0_E_clISt17integral_constantIbLb0EES17_IbLb1EEEEDaS13_S14_EUlS13_E_NS1_11comp_targetILNS1_3genE0ELNS1_11target_archE4294967295ELNS1_3gpuE0ELNS1_3repE0EEENS1_30default_config_static_selectorELNS0_4arch9wavefront6targetE0EEEvT1_,comdat
	.globl	_ZN7rocprim17ROCPRIM_400000_NS6detail17trampoline_kernelINS0_14default_configENS1_33run_length_encode_config_selectorIbjNS0_4plusIjEEEEZZNS1_33reduce_by_key_impl_wrapped_configILNS1_25lookback_scan_determinismE0ES3_S7_N6hipcub16HIPCUB_304000_NS22TransformInputIteratorIbN2at6native8internal12_GLOBAL__N_110LoadBoolOpEPKhlEENS0_17constant_iteratorIjlEEPbPlSO_S6_NS0_8equal_toIbEEEE10hipError_tPvRmT2_T3_mT4_T5_T6_T7_T8_P12ihipStream_tbENKUlT_T0_E_clISt17integral_constantIbLb0EES17_IbLb1EEEEDaS13_S14_EUlS13_E_NS1_11comp_targetILNS1_3genE0ELNS1_11target_archE4294967295ELNS1_3gpuE0ELNS1_3repE0EEENS1_30default_config_static_selectorELNS0_4arch9wavefront6targetE0EEEvT1_ ; -- Begin function _ZN7rocprim17ROCPRIM_400000_NS6detail17trampoline_kernelINS0_14default_configENS1_33run_length_encode_config_selectorIbjNS0_4plusIjEEEEZZNS1_33reduce_by_key_impl_wrapped_configILNS1_25lookback_scan_determinismE0ES3_S7_N6hipcub16HIPCUB_304000_NS22TransformInputIteratorIbN2at6native8internal12_GLOBAL__N_110LoadBoolOpEPKhlEENS0_17constant_iteratorIjlEEPbPlSO_S6_NS0_8equal_toIbEEEE10hipError_tPvRmT2_T3_mT4_T5_T6_T7_T8_P12ihipStream_tbENKUlT_T0_E_clISt17integral_constantIbLb0EES17_IbLb1EEEEDaS13_S14_EUlS13_E_NS1_11comp_targetILNS1_3genE0ELNS1_11target_archE4294967295ELNS1_3gpuE0ELNS1_3repE0EEENS1_30default_config_static_selectorELNS0_4arch9wavefront6targetE0EEEvT1_
	.p2align	8
	.type	_ZN7rocprim17ROCPRIM_400000_NS6detail17trampoline_kernelINS0_14default_configENS1_33run_length_encode_config_selectorIbjNS0_4plusIjEEEEZZNS1_33reduce_by_key_impl_wrapped_configILNS1_25lookback_scan_determinismE0ES3_S7_N6hipcub16HIPCUB_304000_NS22TransformInputIteratorIbN2at6native8internal12_GLOBAL__N_110LoadBoolOpEPKhlEENS0_17constant_iteratorIjlEEPbPlSO_S6_NS0_8equal_toIbEEEE10hipError_tPvRmT2_T3_mT4_T5_T6_T7_T8_P12ihipStream_tbENKUlT_T0_E_clISt17integral_constantIbLb0EES17_IbLb1EEEEDaS13_S14_EUlS13_E_NS1_11comp_targetILNS1_3genE0ELNS1_11target_archE4294967295ELNS1_3gpuE0ELNS1_3repE0EEENS1_30default_config_static_selectorELNS0_4arch9wavefront6targetE0EEEvT1_,@function
_ZN7rocprim17ROCPRIM_400000_NS6detail17trampoline_kernelINS0_14default_configENS1_33run_length_encode_config_selectorIbjNS0_4plusIjEEEEZZNS1_33reduce_by_key_impl_wrapped_configILNS1_25lookback_scan_determinismE0ES3_S7_N6hipcub16HIPCUB_304000_NS22TransformInputIteratorIbN2at6native8internal12_GLOBAL__N_110LoadBoolOpEPKhlEENS0_17constant_iteratorIjlEEPbPlSO_S6_NS0_8equal_toIbEEEE10hipError_tPvRmT2_T3_mT4_T5_T6_T7_T8_P12ihipStream_tbENKUlT_T0_E_clISt17integral_constantIbLb0EES17_IbLb1EEEEDaS13_S14_EUlS13_E_NS1_11comp_targetILNS1_3genE0ELNS1_11target_archE4294967295ELNS1_3gpuE0ELNS1_3repE0EEENS1_30default_config_static_selectorELNS0_4arch9wavefront6targetE0EEEvT1_: ; @_ZN7rocprim17ROCPRIM_400000_NS6detail17trampoline_kernelINS0_14default_configENS1_33run_length_encode_config_selectorIbjNS0_4plusIjEEEEZZNS1_33reduce_by_key_impl_wrapped_configILNS1_25lookback_scan_determinismE0ES3_S7_N6hipcub16HIPCUB_304000_NS22TransformInputIteratorIbN2at6native8internal12_GLOBAL__N_110LoadBoolOpEPKhlEENS0_17constant_iteratorIjlEEPbPlSO_S6_NS0_8equal_toIbEEEE10hipError_tPvRmT2_T3_mT4_T5_T6_T7_T8_P12ihipStream_tbENKUlT_T0_E_clISt17integral_constantIbLb0EES17_IbLb1EEEEDaS13_S14_EUlS13_E_NS1_11comp_targetILNS1_3genE0ELNS1_11target_archE4294967295ELNS1_3gpuE0ELNS1_3repE0EEENS1_30default_config_static_selectorELNS0_4arch9wavefront6targetE0EEEvT1_
; %bb.0:
	s_clause 0x5
	s_load_b32 s8, s[0:1], 0x18
	s_load_b128 s[28:31], s[0:1], 0x28
	s_load_b64 s[34:35], s[0:1], 0x38
	s_load_b64 s[48:49], s[0:1], 0x78
	s_load_b128 s[44:47], s[0:1], 0x68
	s_load_b256 s[36:43], s[0:1], 0x48
	v_cmp_ne_u32_e64 s3, 0, v0
	v_cmp_eq_u32_e64 s2, 0, v0
	s_and_saveexec_b32 s4, s2
	s_cbranch_execz .LBB88_4
; %bb.1:
	s_mov_b32 s6, exec_lo
	s_mov_b32 s5, exec_lo
	v_mbcnt_lo_u32_b32 v1, s6, 0
                                        ; implicit-def: $vgpr2
	s_delay_alu instid0(VALU_DEP_1)
	v_cmpx_eq_u32_e32 0, v1
	s_cbranch_execz .LBB88_3
; %bb.2:
	s_load_b64 s[10:11], s[0:1], 0x80
	s_bcnt1_i32_b32 s6, s6
	s_delay_alu instid0(SALU_CYCLE_1)
	v_dual_mov_b32 v2, 0 :: v_dual_mov_b32 v3, s6
	s_wait_xcnt 0x0
	s_wait_kmcnt 0x0
	global_atomic_add_u32 v2, v2, v3, s[10:11] th:TH_ATOMIC_RETURN scope:SCOPE_DEV
.LBB88_3:
	s_wait_xcnt 0x0
	s_or_b32 exec_lo, exec_lo, s5
	s_wait_loadcnt 0x0
	v_readfirstlane_b32 s5, v2
	s_delay_alu instid0(VALU_DEP_1)
	v_dual_mov_b32 v2, 0 :: v_dual_add_nc_u32 v1, s5, v1
	ds_store_b32 v2, v1
.LBB88_4:
	s_or_b32 exec_lo, exec_lo, s4
	v_mov_b32_e32 v3, 0
	s_clause 0x1
	s_load_b64 s[4:5], s[0:1], 0x0
	s_load_b64 s[6:7], s[0:1], 0x10
	s_wait_dscnt 0x0
	s_barrier_signal -1
	s_barrier_wait -1
	ds_load_b32 v1, v3
	v_mad_u32_u24 v4, v0, 13, v0
	s_wait_dscnt 0x0
	s_barrier_signal -1
	s_barrier_wait -1
	s_wait_kmcnt 0x0
	s_add_nc_u64 s[0:1], s[4:5], s[6:7]
	s_mul_u64 s[4:5], s[40:41], s[38:39]
	s_mov_b32 s41, 0
	s_add_nc_u64 s[6:7], s[42:43], -1
	v_mul_lo_u32 v2, 0xe00, v1
	v_readfirstlane_b32 s40, v1
	s_mul_i32 s33, s6, 0xfffff200
	s_add_nc_u64 s[16:17], s[4:5], s[40:41]
	s_delay_alu instid0(SALU_CYCLE_1)
	s_cmp_eq_u64 s[16:17], s[6:7]
	s_cselect_b32 s27, -1, 0
	v_add_nc_u64_e32 v[2:3], s[0:1], v[2:3]
	s_cmp_lg_u64 s[16:17], s[6:7]
	s_cselect_b32 s0, -1, 0
	s_and_b32 vcc_lo, exec_lo, s27
	s_cbranch_vccnz .LBB88_6
; %bb.5:
	s_delay_alu instid0(VALU_DEP_1) | instskip(NEXT) | instid1(VALU_DEP_2)
	v_readfirstlane_b32 s4, v2
	v_readfirstlane_b32 s5, v3
	s_mov_b32 s1, 0
	s_mov_b32 s41, -1
	s_clause 0xd
	global_load_u8 v1, v0, s[4:5]
	global_load_u8 v5, v0, s[4:5] offset:256
	global_load_u8 v6, v0, s[4:5] offset:512
	;; [unrolled: 1-line block ×13, first 2 shown]
	s_wait_loadcnt 0xd
	v_cmp_ne_u16_e32 vcc_lo, 0, v1
	v_cndmask_b32_e64 v1, 0, 1, vcc_lo
	s_wait_loadcnt 0xc
	v_cmp_ne_u16_e32 vcc_lo, 0, v5
	v_cndmask_b32_e64 v5, 0, 1, vcc_lo
	;; [unrolled: 3-line block ×14, first 2 shown]
	ds_store_b8 v0, v1
	ds_store_b8 v0, v5 offset:256
	ds_store_b8 v0, v6 offset:512
	ds_store_b8 v0, v7 offset:768
	ds_store_b8 v0, v8 offset:1024
	ds_store_b8 v0, v9 offset:1280
	ds_store_b8 v0, v10 offset:1536
	ds_store_b8 v0, v11 offset:1792
	ds_store_b8 v0, v12 offset:2048
	ds_store_b8 v0, v13 offset:2304
	ds_store_b8 v0, v14 offset:2560
	ds_store_b8 v0, v15 offset:2816
	ds_store_b8 v0, v16 offset:3072
	ds_store_b8 v0, v17 offset:3328
	s_wait_dscnt 0x0
	s_barrier_signal -1
	s_barrier_wait -1
	ds_load_u16 v1, v4
	ds_load_b96 v[10:12], v4 offset:2
	s_wait_dscnt 0x1
	v_lshrrev_b16 v13, 8, v1
	s_branch .LBB88_7
.LBB88_6:
	s_mov_b32 s1, -1
                                        ; implicit-def: $vgpr10
                                        ; implicit-def: $vgpr1
                                        ; implicit-def: $vgpr13
.LBB88_7:
	v_dual_mov_b32 v50, s8 :: v_dual_mov_b32 v51, s8
	v_dual_mov_b32 v52, s8 :: v_dual_mov_b32 v54, s8
	;; [unrolled: 1-line block ×6, first 2 shown]
	v_mov_b32_e32 v53, s8
	s_and_not1_b32 vcc_lo, exec_lo, s1
	s_add_co_i32 s33, s33, s44
                                        ; implicit-def: $vgpr76
	s_cbranch_vccnz .LBB88_37
; %bb.8:
	s_mov_b32 s1, exec_lo
                                        ; implicit-def: $vgpr1
	v_cmpx_gt_u32_e64 s33, v0
	s_cbranch_execz .LBB88_10
; %bb.9:
	v_readfirstlane_b32 s4, v2
	v_readfirstlane_b32 s5, v3
	global_load_u8 v1, v0, s[4:5]
	s_wait_loadcnt 0x0
	v_cmp_ne_u16_e32 vcc_lo, 0, v1
	v_cndmask_b32_e64 v1, 0, 1, vcc_lo
.LBB88_10:
	s_or_b32 exec_lo, exec_lo, s1
	v_or_b32_e32 v5, 0x100, v0
	s_delay_alu instid0(VALU_DEP_1)
	v_cmp_gt_u32_e32 vcc_lo, s33, v5
                                        ; implicit-def: $vgpr5
	s_and_saveexec_b32 s1, vcc_lo
	s_cbranch_execz .LBB88_12
; %bb.11:
	v_readfirstlane_b32 s4, v2
	v_readfirstlane_b32 s5, v3
	global_load_u8 v5, v0, s[4:5] offset:256
	s_wait_loadcnt 0x0
	v_cmp_ne_u16_e32 vcc_lo, 0, v5
	v_cndmask_b32_e64 v5, 0, 1, vcc_lo
.LBB88_12:
	s_or_b32 exec_lo, exec_lo, s1
	v_or_b32_e32 v6, 0x200, v0
	s_delay_alu instid0(VALU_DEP_1)
	v_cmp_gt_u32_e32 vcc_lo, s33, v6
                                        ; implicit-def: $vgpr6
	s_and_saveexec_b32 s1, vcc_lo
	s_cbranch_execz .LBB88_14
; %bb.13:
	v_readfirstlane_b32 s4, v2
	v_readfirstlane_b32 s5, v3
	global_load_u8 v6, v0, s[4:5] offset:512
	s_wait_loadcnt 0x0
	v_cmp_ne_u16_e32 vcc_lo, 0, v6
	v_cndmask_b32_e64 v6, 0, 1, vcc_lo
.LBB88_14:
	s_or_b32 exec_lo, exec_lo, s1
	v_or_b32_e32 v7, 0x300, v0
	s_delay_alu instid0(VALU_DEP_1)
	v_cmp_gt_u32_e32 vcc_lo, s33, v7
                                        ; implicit-def: $vgpr7
	s_and_saveexec_b32 s1, vcc_lo
	s_cbranch_execz .LBB88_16
; %bb.15:
	v_readfirstlane_b32 s4, v2
	v_readfirstlane_b32 s5, v3
	global_load_u8 v7, v0, s[4:5] offset:768
	s_wait_loadcnt 0x0
	v_cmp_ne_u16_e32 vcc_lo, 0, v7
	v_cndmask_b32_e64 v7, 0, 1, vcc_lo
.LBB88_16:
	s_or_b32 exec_lo, exec_lo, s1
	v_or_b32_e32 v8, 0x400, v0
	s_delay_alu instid0(VALU_DEP_1)
	v_cmp_gt_u32_e32 vcc_lo, s33, v8
                                        ; implicit-def: $vgpr8
	s_and_saveexec_b32 s1, vcc_lo
	s_cbranch_execz .LBB88_18
; %bb.17:
	v_readfirstlane_b32 s4, v2
	v_readfirstlane_b32 s5, v3
	global_load_u8 v8, v0, s[4:5] offset:1024
	s_wait_loadcnt 0x0
	v_cmp_ne_u16_e32 vcc_lo, 0, v8
	v_cndmask_b32_e64 v8, 0, 1, vcc_lo
.LBB88_18:
	s_or_b32 exec_lo, exec_lo, s1
	v_or_b32_e32 v9, 0x500, v0
	s_delay_alu instid0(VALU_DEP_1)
	v_cmp_gt_u32_e32 vcc_lo, s33, v9
                                        ; implicit-def: $vgpr9
	s_and_saveexec_b32 s1, vcc_lo
	s_cbranch_execz .LBB88_20
; %bb.19:
	v_readfirstlane_b32 s4, v2
	v_readfirstlane_b32 s5, v3
	global_load_u8 v9, v0, s[4:5] offset:1280
	s_wait_loadcnt 0x0
	v_cmp_ne_u16_e32 vcc_lo, 0, v9
	v_cndmask_b32_e64 v9, 0, 1, vcc_lo
.LBB88_20:
	s_or_b32 exec_lo, exec_lo, s1
	s_wait_dscnt 0x0
	v_or_b32_e32 v10, 0x600, v0
	s_delay_alu instid0(VALU_DEP_1)
	v_cmp_gt_u32_e32 vcc_lo, s33, v10
                                        ; implicit-def: $vgpr10
	s_and_saveexec_b32 s1, vcc_lo
	s_cbranch_execz .LBB88_22
; %bb.21:
	v_readfirstlane_b32 s4, v2
	v_readfirstlane_b32 s5, v3
	global_load_u8 v10, v0, s[4:5] offset:1536
	s_wait_loadcnt 0x0
	v_cmp_ne_u16_e32 vcc_lo, 0, v10
	v_cndmask_b32_e64 v10, 0, 1, vcc_lo
.LBB88_22:
	s_or_b32 exec_lo, exec_lo, s1
	v_or_b32_e32 v11, 0x700, v0
	s_delay_alu instid0(VALU_DEP_1)
	v_cmp_gt_u32_e32 vcc_lo, s33, v11
                                        ; implicit-def: $vgpr11
	s_and_saveexec_b32 s1, vcc_lo
	s_cbranch_execz .LBB88_24
; %bb.23:
	v_readfirstlane_b32 s4, v2
	v_readfirstlane_b32 s5, v3
	global_load_u8 v11, v0, s[4:5] offset:1792
	s_wait_loadcnt 0x0
	v_cmp_ne_u16_e32 vcc_lo, 0, v11
	v_cndmask_b32_e64 v11, 0, 1, vcc_lo
.LBB88_24:
	s_or_b32 exec_lo, exec_lo, s1
	v_or_b32_e32 v12, 0x800, v0
	s_delay_alu instid0(VALU_DEP_1)
	v_cmp_gt_u32_e32 vcc_lo, s33, v12
                                        ; implicit-def: $vgpr12
	s_and_saveexec_b32 s1, vcc_lo
	s_cbranch_execz .LBB88_26
; %bb.25:
	v_readfirstlane_b32 s4, v2
	v_readfirstlane_b32 s5, v3
	global_load_u8 v12, v0, s[4:5] offset:2048
	s_wait_loadcnt 0x0
	v_cmp_ne_u16_e32 vcc_lo, 0, v12
	v_cndmask_b32_e64 v12, 0, 1, vcc_lo
.LBB88_26:
	s_or_b32 exec_lo, exec_lo, s1
	v_or_b32_e32 v13, 0x900, v0
	s_delay_alu instid0(VALU_DEP_1)
	v_cmp_gt_u32_e32 vcc_lo, s33, v13
                                        ; implicit-def: $vgpr13
	s_and_saveexec_b32 s1, vcc_lo
	s_cbranch_execz .LBB88_28
; %bb.27:
	v_readfirstlane_b32 s4, v2
	v_readfirstlane_b32 s5, v3
	global_load_u8 v13, v0, s[4:5] offset:2304
	s_wait_loadcnt 0x0
	v_cmp_ne_u16_e32 vcc_lo, 0, v13
	v_cndmask_b32_e64 v13, 0, 1, vcc_lo
.LBB88_28:
	s_or_b32 exec_lo, exec_lo, s1
	v_or_b32_e32 v14, 0xa00, v0
	s_delay_alu instid0(VALU_DEP_1)
	v_cmp_gt_u32_e32 vcc_lo, s33, v14
                                        ; implicit-def: $vgpr14
	s_and_saveexec_b32 s1, vcc_lo
	s_cbranch_execz .LBB88_30
; %bb.29:
	v_readfirstlane_b32 s4, v2
	v_readfirstlane_b32 s5, v3
	global_load_u8 v14, v0, s[4:5] offset:2560
	s_wait_loadcnt 0x0
	v_cmp_ne_u16_e32 vcc_lo, 0, v14
	v_cndmask_b32_e64 v14, 0, 1, vcc_lo
.LBB88_30:
	s_or_b32 exec_lo, exec_lo, s1
	v_or_b32_e32 v15, 0xb00, v0
	s_delay_alu instid0(VALU_DEP_1)
	v_cmp_gt_u32_e32 vcc_lo, s33, v15
                                        ; implicit-def: $vgpr15
	s_and_saveexec_b32 s1, vcc_lo
	s_cbranch_execz .LBB88_32
; %bb.31:
	v_readfirstlane_b32 s4, v2
	v_readfirstlane_b32 s5, v3
	global_load_u8 v15, v0, s[4:5] offset:2816
	s_wait_loadcnt 0x0
	v_cmp_ne_u16_e32 vcc_lo, 0, v15
	v_cndmask_b32_e64 v15, 0, 1, vcc_lo
.LBB88_32:
	s_or_b32 exec_lo, exec_lo, s1
	v_or_b32_e32 v16, 0xc00, v0
	s_delay_alu instid0(VALU_DEP_1)
	v_cmp_gt_u32_e32 vcc_lo, s33, v16
                                        ; implicit-def: $vgpr16
	s_and_saveexec_b32 s1, vcc_lo
	s_cbranch_execz .LBB88_34
; %bb.33:
	v_readfirstlane_b32 s4, v2
	v_readfirstlane_b32 s5, v3
	global_load_u8 v16, v0, s[4:5] offset:3072
	s_wait_loadcnt 0x0
	v_cmp_ne_u16_e32 vcc_lo, 0, v16
	v_cndmask_b32_e64 v16, 0, 1, vcc_lo
.LBB88_34:
	s_or_b32 exec_lo, exec_lo, s1
	v_or_b32_e32 v17, 0xd00, v0
	s_delay_alu instid0(VALU_DEP_1)
	v_cmp_gt_u32_e32 vcc_lo, s33, v17
                                        ; implicit-def: $vgpr17
	s_and_saveexec_b32 s1, vcc_lo
	s_cbranch_execz .LBB88_36
; %bb.35:
	v_readfirstlane_b32 s4, v2
	v_readfirstlane_b32 s5, v3
	global_load_u8 v17, v0, s[4:5] offset:3328
	s_wait_loadcnt 0x0
	v_cmp_ne_u16_e32 vcc_lo, 0, v17
	v_cndmask_b32_e64 v17, 0, 1, vcc_lo
.LBB88_36:
	s_or_b32 exec_lo, exec_lo, s1
	ds_store_b8 v0, v1
	ds_store_b8 v0, v5 offset:256
	ds_store_b8 v0, v6 offset:512
	;; [unrolled: 1-line block ×13, first 2 shown]
	v_mul_u32_u24_e32 v5, 14, v0
	s_wait_dscnt 0x0
	s_barrier_signal -1
	s_barrier_wait -1
	ds_load_u16 v1, v4
	ds_load_b96 v[10:12], v4 offset:2
	v_dual_mov_b32 v76, 0 :: v_dual_bitop2_b32 v4, 1, v5 bitop3:0x54
	v_cmp_gt_u32_e32 vcc_lo, s33, v5
	v_mad_u32_u24 v5, v0, 14, 2
	v_mad_u32_u24 v6, v0, 14, 4
	v_cndmask_b32_e64 v53, 0, s8, vcc_lo
	v_cmp_gt_u32_e32 vcc_lo, s33, v4
	v_mad_u32_u24 v4, v0, 14, 3
	v_cndmask_b32_e64 v55, 0, s8, vcc_lo
	v_cmp_gt_u32_e32 vcc_lo, s33, v5
	v_mad_u32_u24 v5, v0, 14, 5
	s_wait_dscnt 0x1
	v_lshrrev_b16 v13, 8, v1
	v_cndmask_b32_e64 v72, 0, s8, vcc_lo
	v_cmp_gt_u32_e32 vcc_lo, s33, v4
	v_mad_u32_u24 v4, v0, 14, 6
	v_cndmask_b32_e64 v74, 0, s8, vcc_lo
	v_cmp_gt_u32_e32 vcc_lo, s33, v6
	v_mad_u32_u24 v6, v0, 14, 8
	;; [unrolled: 3-line block ×8, first 2 shown]
	v_cndmask_b32_e64 v52, 0, s8, vcc_lo
	v_cmp_gt_u32_e32 vcc_lo, s33, v4
	s_delay_alu instid0(VALU_DEP_3)
	v_cmp_gt_u32_e64 s41, s33, v5
	v_cndmask_b32_e64 v51, 0, s8, vcc_lo
	v_cmp_gt_u32_e32 vcc_lo, s33, v6
	v_cndmask_b32_e64 v50, 0, s8, vcc_lo
.LBB88_37:
	s_delay_alu instid0(VALU_DEP_4)
	s_and_saveexec_b32 s1, s41
; %bb.38:
	v_mov_b32_e32 v76, s8
; %bb.39:
	s_or_b32 exec_lo, exec_lo, s1
	s_cmp_eq_u64 s[16:17], 0
	s_wait_dscnt 0x0
	s_cselect_b32 s41, -1, 0
	s_cmp_lg_u64 s[16:17], 0
	s_barrier_signal -1
	s_cselect_b32 s18, -1, 0
	s_and_b32 vcc_lo, exec_lo, s0
	s_barrier_wait -1
	s_cbranch_vccz .LBB88_44
; %bb.40:
	s_and_b32 vcc_lo, exec_lo, s18
	s_cbranch_vccz .LBB88_45
; %bb.41:
	global_load_u8 v5, v[2:3], off offset:-1
	v_dual_lshrrev_b32 v6, 16, v12 :: v_dual_lshrrev_b32 v7, 16, v11
	v_dual_lshrrev_b32 v8, 16, v10 :: v_dual_lshrrev_b32 v9, 24, v12
	;; [unrolled: 1-line block ×4, first 2 shown]
	v_lshrrev_b32_e32 v20, 8, v10
	v_and_b32_e32 v15, 0xff, v12
	v_and_b32_e32 v18, 0xff, v11
	;; [unrolled: 1-line block ×11, first 2 shown]
	v_cmp_ne_u16_e64 s4, v16, v15
	v_cmp_ne_u16_e64 s1, v19, v18
	;; [unrolled: 1-line block ×12, first 2 shown]
	s_mov_b32 s19, 0
	ds_store_b8 v0, v9
	v_cmp_ne_u16_e32 vcc_lo, v22, v21
	s_wait_loadcnt_dscnt 0x0
	s_barrier_signal -1
	s_barrier_wait -1
	v_cmp_ne_u32_e64 s14, 0, v5
	s_delay_alu instid0(VALU_DEP_1)
	v_cndmask_b32_e64 v5, 0, 1, s14
	s_and_saveexec_b32 s14, s3
; %bb.42:
	v_add_nc_u32_e32 v5, -1, v0
	ds_load_u8 v5, v5
; %bb.43:
	s_or_b32 exec_lo, exec_lo, s14
	s_wait_dscnt 0x0
	v_and_b32_e32 v5, 0xff, v5
	v_cndmask_b32_e64 v61, 0, 1, s11
	v_cndmask_b32_e64 v59, 0, 1, s12
	;; [unrolled: 1-line block ×11, first 2 shown]
	v_cndmask_b32_e64 v66, 0, 1, vcc_lo
	v_cndmask_b32_e64 v67, 0, 1, s0
	v_cmp_ne_u16_e64 s15, v5, v4
	s_mov_b32 s14, -1
	s_and_b32 vcc_lo, exec_lo, s19
	s_cbranch_vccnz .LBB88_46
	s_branch .LBB88_49
.LBB88_44:
	s_mov_b32 s14, 0
                                        ; implicit-def: $sgpr15
                                        ; implicit-def: $vgpr61
                                        ; implicit-def: $vgpr59
                                        ; implicit-def: $vgpr56
                                        ; implicit-def: $vgpr21
                                        ; implicit-def: $vgpr57
                                        ; implicit-def: $vgpr58
                                        ; implicit-def: $vgpr60
                                        ; implicit-def: $vgpr62
                                        ; implicit-def: $vgpr64
                                        ; implicit-def: $vgpr63
                                        ; implicit-def: $vgpr65
                                        ; implicit-def: $vgpr66
                                        ; implicit-def: $vgpr67
	s_cbranch_execnz .LBB88_50
	s_branch .LBB88_58
.LBB88_45:
	s_mov_b32 s14, 0
                                        ; implicit-def: $sgpr15
                                        ; implicit-def: $vgpr61
                                        ; implicit-def: $vgpr59
                                        ; implicit-def: $vgpr56
                                        ; implicit-def: $vgpr21
                                        ; implicit-def: $vgpr57
                                        ; implicit-def: $vgpr58
                                        ; implicit-def: $vgpr60
                                        ; implicit-def: $vgpr62
                                        ; implicit-def: $vgpr64
                                        ; implicit-def: $vgpr63
                                        ; implicit-def: $vgpr65
                                        ; implicit-def: $vgpr66
                                        ; implicit-def: $vgpr67
	s_cbranch_execz .LBB88_49
.LBB88_46:
	v_dual_lshrrev_b32 v4, 16, v12 :: v_dual_lshrrev_b32 v5, 16, v11
	v_dual_lshrrev_b32 v6, 8, v12 :: v_dual_lshrrev_b32 v7, 16, v10
	v_dual_lshrrev_b32 v8, 24, v12 :: v_dual_lshrrev_b32 v14, 24, v11
	s_delay_alu instid0(VALU_DEP_3) | instskip(SKIP_1) | instid1(VALU_DEP_4)
	v_and_b32_e32 v4, 0xff, v4
	v_and_b32_e32 v9, 0xff, v12
	;; [unrolled: 1-line block ×3, first 2 shown]
	ds_store_b8 v0, v8
	s_wait_dscnt 0x0
	v_cmp_ne_u16_e32 vcc_lo, v4, v8
	v_lshrrev_b32_e32 v8, 8, v11
	v_cmp_ne_u16_e64 s0, v6, v4
	v_cmp_ne_u16_e64 s1, v9, v6
	v_and_b32_e32 v4, 0xff, v5
	v_cmp_ne_u16_e64 s4, v14, v9
	v_and_b32_e32 v6, 0xff, v11
	v_lshrrev_b32_e32 v9, 8, v10
	v_and_b32_e32 v5, 0xff, v8
	v_lshrrev_b32_e32 v8, 24, v10
	v_cmp_ne_u16_e64 s5, v4, v14
	s_barrier_signal -1
	s_barrier_wait -1
	v_cmp_ne_u16_e64 s6, v5, v4
	v_cmp_ne_u16_e64 s7, v6, v5
	;; [unrolled: 1-line block ×3, first 2 shown]
	v_and_b32_e32 v5, 0xff, v7
	v_and_b32_e32 v6, 0xff, v9
	;; [unrolled: 1-line block ×5, first 2 shown]
	v_cmp_ne_u16_e64 s9, v5, v8
	v_cmp_ne_u16_e64 s10, v6, v5
	;; [unrolled: 1-line block ×5, first 2 shown]
                                        ; implicit-def: $sgpr15
	s_and_saveexec_b32 s19, s3
	s_delay_alu instid0(SALU_CYCLE_1)
	s_xor_b32 s19, exec_lo, s19
	s_cbranch_execz .LBB88_48
; %bb.47:
	v_add_nc_u32_e32 v5, -1, v0
	s_or_b32 s14, s14, exec_lo
	ds_load_u8 v5, v5
	s_wait_dscnt 0x0
	v_cmp_ne_u16_e64 s15, v5, v4
.LBB88_48:
	s_or_b32 exec_lo, exec_lo, s19
	v_cndmask_b32_e64 v61, 0, 1, vcc_lo
	v_cndmask_b32_e64 v59, 0, 1, s0
	v_cndmask_b32_e64 v56, 0, 1, s1
	;; [unrolled: 1-line block ×12, first 2 shown]
.LBB88_49:
	s_branch .LBB88_58
.LBB88_50:
	s_mov_b64 s[0:1], 0xfffffffffffff200
	v_dual_lshrrev_b32 v41, 16, v12 :: v_dual_lshrrev_b32 v39, 16, v11
	v_lshrrev_b32_e32 v37, 16, v10
	v_mul_u32_u24_e32 v4, 14, v0
	v_mad_u32_u24 v6, v0, 14, 13
	v_mad_u32_u24 v32, v0, 14, 12
	v_mad_u32_u24 v30, v0, 14, 11
	v_and_b32_e32 v40, 0xff, v12
	v_mad_u32_u24 v28, v0, 14, 10
	v_mad_u32_u24 v26, v0, 14, 9
	v_mad_u32_u24 v24, v0, 14, 8
	v_mad_u32_u24 v22, v0, 14, 7
	v_and_b32_e32 v38, 0xff, v11
	v_mad_u32_u24 v20, v0, 14, 6
	;; [unrolled: 5-line block ×3, first 2 shown]
	v_and_b32_e32 v36, 0xff, v13
	v_and_b32_e32 v34, 0xff, v1
	s_mul_u64 s[0:1], s[16:17], s[0:1]
	s_and_b32 vcc_lo, exec_lo, s18
	s_add_nc_u64 s[42:43], s[0:1], s[44:45]
	s_cbranch_vccz .LBB88_54
; %bb.51:
	global_load_u8 v5, v[2:3], off offset:-1
	s_wait_xcnt 0x0
	v_dual_lshrrev_b32 v3, 24, v12 :: v_dual_mov_b32 v7, 0
	v_dual_lshrrev_b32 v9, 8, v12 :: v_dual_lshrrev_b32 v15, 24, v11
	v_and_b32_e32 v42, 0xff, v41
	v_and_b32_e32 v43, 0xff, v39
	v_dual_lshrrev_b32 v17, 8, v11 :: v_dual_lshrrev_b32 v44, 24, v10
	s_delay_alu instid0(VALU_DEP_4)
	v_and_b32_e32 v47, 0xff, v9
	v_mov_b32_e32 v9, v7
	v_and_b32_e32 v45, 0xff, v37
	v_dual_lshrrev_b32 v46, 8, v10 :: v_dual_bitop2_b32 v2, 1, v4 bitop3:0x54
	ds_store_b8 v0, v3
	v_cmp_gt_u64_e64 s1, s[42:43], v[6:7]
	v_cmp_ne_u16_e64 s4, v42, v3
	v_mov_b32_e32 v3, v7
	v_cmp_gt_u64_e64 s25, s[42:43], v[8:9]
	v_cmp_ne_u16_e32 vcc_lo, v36, v35
	v_dual_mov_b32 v33, v7 :: v_dual_mov_b32 v31, v7
	v_dual_mov_b32 v29, v7 :: v_dual_mov_b32 v27, v7
	v_cmp_ne_u16_e64 s5, v15, v40
	v_cmp_ne_u16_e64 s6, v43, v15
	v_dual_mov_b32 v25, v7 :: v_dual_mov_b32 v23, v7
	v_and_b32_e32 v48, 0xff, v17
	v_dual_mov_b32 v21, v7 :: v_dual_mov_b32 v19, v7
	v_dual_mov_b32 v17, v7 :: v_dual_mov_b32 v15, v7
	v_cmp_ne_u16_e64 s7, v44, v38
	v_cmp_ne_u16_e64 s8, v45, v44
	v_and_b32_e32 v44, 0xff, v46
	s_and_b32 s45, s1, s4
	s_and_b32 s4, s25, vcc_lo
	v_cmp_gt_u64_e64 s9, s[42:43], v[32:33]
	v_cmp_gt_u64_e64 s11, s[42:43], v[30:31]
	;; [unrolled: 1-line block ×11, first 2 shown]
	v_cmp_ne_u16_e64 s0, v34, v36
	v_cmp_ne_u16_e64 s10, v47, v42
	;; [unrolled: 1-line block ×7, first 2 shown]
	s_mov_b32 s44, 0
	s_and_b32 s10, s9, s10
	s_and_b32 s11, s11, s12
	;; [unrolled: 1-line block ×11, first 2 shown]
	s_wait_loadcnt_dscnt 0x0
	s_barrier_signal -1
	s_barrier_wait -1
	v_cmp_ne_u32_e32 vcc_lo, 0, v5
	v_cndmask_b32_e64 v2, 0, 1, vcc_lo
	s_and_saveexec_b32 s0, s3
; %bb.52:
	v_add_nc_u32_e32 v2, -1, v0
	ds_load_u8 v2, v2
; %bb.53:
	s_or_b32 exec_lo, exec_lo, s0
	v_mov_b32_e32 v5, v7
	s_wait_dscnt 0x0
	v_and_b32_e32 v2, 0xff, v2
	v_cndmask_b32_e64 v61, 0, 1, s45
	v_cndmask_b32_e64 v59, 0, 1, s10
	;; [unrolled: 1-line block ×3, first 2 shown]
	v_cmp_gt_u64_e32 vcc_lo, s[42:43], v[4:5]
	v_cmp_ne_u16_e64 s0, v2, v34
	v_cndmask_b32_e64 v21, 0, 1, s12
	v_cndmask_b32_e64 v57, 0, 1, s13
	v_cndmask_b32_e64 v58, 0, 1, s14
	v_cndmask_b32_e64 v60, 0, 1, s9
	v_cndmask_b32_e64 v62, 0, 1, s7
	v_cndmask_b32_e64 v64, 0, 1, s8
	v_cndmask_b32_e64 v63, 0, 1, s6
	v_cndmask_b32_e64 v65, 0, 1, s1
	v_cndmask_b32_e64 v66, 0, 1, s4
	v_cndmask_b32_e64 v67, 0, 1, s5
	s_and_b32 s15, vcc_lo, s0
	s_mov_b32 s14, -1
	s_and_b32 vcc_lo, exec_lo, s44
	s_cbranch_vccnz .LBB88_55
	s_branch .LBB88_58
.LBB88_54:
                                        ; implicit-def: $sgpr15
                                        ; implicit-def: $vgpr61
                                        ; implicit-def: $vgpr59
                                        ; implicit-def: $vgpr56
                                        ; implicit-def: $vgpr21
                                        ; implicit-def: $vgpr57
                                        ; implicit-def: $vgpr58
                                        ; implicit-def: $vgpr60
                                        ; implicit-def: $vgpr62
                                        ; implicit-def: $vgpr64
                                        ; implicit-def: $vgpr63
                                        ; implicit-def: $vgpr65
                                        ; implicit-def: $vgpr66
                                        ; implicit-def: $vgpr67
	s_cbranch_execz .LBB88_58
.LBB88_55:
	v_dual_mov_b32 v7, 0 :: v_dual_lshrrev_b32 v2, 24, v12
	v_and_b32_e32 v3, 0xff, v41
	v_lshrrev_b32_e32 v5, 8, v12
	v_cmp_ne_u16_e64 s9, v36, v35
	ds_store_b8 v0, v2
	v_cmp_gt_u64_e32 vcc_lo, s[42:43], v[6:7]
	v_dual_mov_b32 v31, v7 :: v_dual_mov_b32 v29, v7
	v_mov_b32_e32 v33, v7
	v_cmp_ne_u16_e64 s0, v3, v2
	v_and_b32_e32 v2, 0xff, v5
	v_lshrrev_b32_e32 v5, 24, v11
	v_cmp_gt_u64_e64 s7, s[42:43], v[28:29]
	v_dual_mov_b32 v27, v7 :: v_dual_mov_b32 v25, v7
	s_delay_alu instid0(VALU_DEP_4)
	v_cmp_ne_u16_e64 s5, v2, v3
	v_cmp_ne_u16_e64 s6, v40, v2
	v_lshrrev_b32_e32 v2, 8, v11
	s_and_b32 s11, vcc_lo, s0
	v_cmp_ne_u16_e32 vcc_lo, v5, v40
	v_cmp_gt_u64_e64 s4, s[42:43], v[30:31]
	v_and_b32_e32 v3, 0xff, v39
	v_and_b32_e32 v2, 0xff, v2
	v_dual_mov_b32 v23, v7 :: v_dual_mov_b32 v21, v7
	s_and_b32 s16, s7, vcc_lo
	v_cmp_gt_u64_e32 vcc_lo, s[42:43], v[26:27]
	v_cmp_ne_u16_e64 s0, v3, v5
	v_cmp_gt_u64_e64 s1, s[42:43], v[32:33]
	s_and_b32 s13, s4, s6
	v_cmp_ne_u16_e64 s4, v2, v3
	v_dual_lshrrev_b32 v3, 24, v10 :: v_dual_mov_b32 v19, v7
	s_and_b32 s17, vcc_lo, s0
	v_cmp_gt_u64_e32 vcc_lo, s[42:43], v[20:21]
	v_cmp_ne_u16_e64 s6, v38, v2
	s_delay_alu instid0(VALU_DEP_3)
	v_cmp_ne_u16_e64 s0, v3, v38
	v_and_b32_e32 v2, 0xff, v37
	v_dual_lshrrev_b32 v5, 8, v10 :: v_dual_mov_b32 v17, v7
	s_and_b32 s12, s1, s5
	v_cmp_gt_u64_e64 s1, s[42:43], v[24:25]
	v_cmp_gt_u64_e64 s5, s[42:43], v[22:23]
	v_dual_mov_b32 v15, v7 :: v_dual_mov_b32 v9, v7
	v_or_b32_e32 v6, 1, v4
	s_and_b32 s20, vcc_lo, s0
	v_cmp_ne_u16_e64 s0, v2, v3
	v_and_b32_e32 v3, 0xff, v5
	s_and_b32 s18, s1, s4
	s_and_b32 s19, s5, s6
	v_cmp_gt_u64_e32 vcc_lo, s[42:43], v[18:19]
	v_cmp_gt_u64_e64 s1, s[42:43], v[16:17]
	v_cmp_gt_u64_e64 s5, s[42:43], v[14:15]
	;; [unrolled: 1-line block ×4, first 2 shown]
	v_cmp_ne_u16_e64 s4, v3, v2
	v_cmp_ne_u16_e64 s6, v35, v3
	;; [unrolled: 1-line block ×3, first 2 shown]
	s_and_b32 s21, vcc_lo, s0
	s_wait_dscnt 0x0
	s_and_b32 s1, s1, s4
	s_and_b32 s4, s5, s6
	;; [unrolled: 1-line block ×4, first 2 shown]
	s_barrier_signal -1
	s_barrier_wait -1
                                        ; implicit-def: $sgpr15
	s_and_saveexec_b32 s7, s3
	s_cbranch_execz .LBB88_57
; %bb.56:
	v_dual_mov_b32 v5, v7 :: v_dual_add_nc_u32 v2, -1, v0
	s_or_b32 s14, s14, exec_lo
	ds_load_u8 v2, v2
	v_cmp_gt_u64_e32 vcc_lo, s[42:43], v[4:5]
	s_wait_dscnt 0x0
	v_and_b32_e32 v2, 0xff, v2
	s_delay_alu instid0(VALU_DEP_1)
	v_cmp_ne_u16_e64 s0, v2, v34
	s_and_b32 s15, vcc_lo, s0
.LBB88_57:
	s_or_b32 exec_lo, exec_lo, s7
	v_cndmask_b32_e64 v61, 0, 1, s11
	v_cndmask_b32_e64 v59, 0, 1, s12
	;; [unrolled: 1-line block ×13, first 2 shown]
.LBB88_58:
	v_mov_b32_e32 v68, 1
	s_and_saveexec_b32 s0, s14
; %bb.59:
	v_cndmask_b32_e64 v68, 0, 1, s15
; %bb.60:
	s_or_b32 exec_lo, exec_lo, s0
	s_delay_alu instid0(VALU_DEP_1)
	v_add_nc_u32_e32 v2, v67, v68
	v_cmp_eq_u32_e64 s12, 0, v67
	v_cmp_eq_u32_e64 s11, 0, v66
	;; [unrolled: 1-line block ×4, first 2 shown]
	v_add3_u32 v80, v2, v66, v65
	v_cmp_eq_u32_e64 s8, 0, v64
	v_cmp_eq_u32_e64 s7, 0, v62
	;; [unrolled: 1-line block ×8, first 2 shown]
	v_mbcnt_lo_u32_b32 v77, -1, 0
	v_dual_lshrrev_b32 v78, 5, v0 :: v_dual_bitop2_b32 v79, 31, v0 bitop3:0x54
	s_cmp_eq_u64 s[38:39], 0
	v_cmp_eq_u32_e32 vcc_lo, 0, v61
	s_cselect_b32 s16, -1, 0
	s_cmp_lg_u32 s40, 0
	s_cbranch_scc0 .LBB88_81
; %bb.61:
	v_add3_u32 v3, v80, v63, v64
	v_cndmask_b32_e64 v2, 0, v53, s12
	v_and_b32_e32 v5, 15, v77
	s_delay_alu instid0(VALU_DEP_3) | instskip(NEXT) | instid1(VALU_DEP_3)
	v_add3_u32 v3, v3, v62, v60
	v_add_nc_u32_e32 v2, v2, v55
	s_delay_alu instid0(VALU_DEP_2) | instskip(NEXT) | instid1(VALU_DEP_1)
	v_add3_u32 v3, v3, v58, v57
	v_add3_u32 v3, v3, v21, v56
	s_delay_alu instid0(VALU_DEP_1) | instskip(NEXT) | instid1(VALU_DEP_4)
	v_add3_u32 v3, v3, v59, v61
	v_cndmask_b32_e64 v2, 0, v2, s11
	s_delay_alu instid0(VALU_DEP_2) | instskip(NEXT) | instid1(VALU_DEP_2)
	v_mov_b32_dpp v6, v3 row_shr:1 row_mask:0xf bank_mask:0xf
	v_add_nc_u32_e32 v2, v2, v72
	s_delay_alu instid0(VALU_DEP_1) | instskip(NEXT) | instid1(VALU_DEP_1)
	v_cndmask_b32_e64 v2, 0, v2, s10
	v_add_nc_u32_e32 v2, v2, v74
	s_delay_alu instid0(VALU_DEP_1) | instskip(NEXT) | instid1(VALU_DEP_1)
	v_cndmask_b32_e64 v2, 0, v2, s9
	;; [unrolled: 3-line block ×10, first 2 shown]
	v_add_nc_u32_e32 v2, v2, v50
	s_delay_alu instid0(VALU_DEP_1) | instskip(SKIP_1) | instid1(VALU_DEP_2)
	v_cndmask_b32_e32 v2, 0, v2, vcc_lo
	v_cmp_eq_u32_e32 vcc_lo, 0, v3
	v_add_nc_u32_e32 v2, v2, v76
	s_delay_alu instid0(VALU_DEP_1) | instskip(NEXT) | instid1(VALU_DEP_1)
	v_mov_b32_dpp v4, v2 row_shr:1 row_mask:0xf bank_mask:0xf
	v_cndmask_b32_e32 v4, 0, v4, vcc_lo
	v_cmp_eq_u32_e32 vcc_lo, 0, v5
	v_cndmask_b32_e64 v6, v6, 0, vcc_lo
	s_delay_alu instid0(VALU_DEP_3) | instskip(SKIP_1) | instid1(VALU_DEP_2)
	v_cndmask_b32_e64 v4, v4, 0, vcc_lo
	v_cmp_lt_u32_e32 vcc_lo, 1, v5
	v_dual_add_nc_u32 v3, v6, v3 :: v_dual_add_nc_u32 v2, v4, v2
	s_delay_alu instid0(VALU_DEP_1) | instskip(SKIP_1) | instid1(VALU_DEP_3)
	v_mov_b32_dpp v4, v3 row_shr:2 row_mask:0xf bank_mask:0xf
	v_cmp_eq_u32_e64 s13, 0, v3
	v_mov_b32_dpp v6, v2 row_shr:2 row_mask:0xf bank_mask:0xf
	s_delay_alu instid0(VALU_DEP_3) | instskip(SKIP_1) | instid1(VALU_DEP_2)
	v_cndmask_b32_e32 v4, 0, v4, vcc_lo
	s_and_b32 vcc_lo, vcc_lo, s13
	v_cndmask_b32_e32 v6, 0, v6, vcc_lo
	v_cmp_lt_u32_e32 vcc_lo, 3, v5
	s_delay_alu instid0(VALU_DEP_2) | instskip(NEXT) | instid1(VALU_DEP_1)
	v_dual_add_nc_u32 v3, v3, v4 :: v_dual_add_nc_u32 v2, v6, v2
	v_mov_b32_dpp v4, v3 row_shr:4 row_mask:0xf bank_mask:0xf
	v_cmp_eq_u32_e64 s13, 0, v3
	s_delay_alu instid0(VALU_DEP_3) | instskip(NEXT) | instid1(VALU_DEP_3)
	v_mov_b32_dpp v6, v2 row_shr:4 row_mask:0xf bank_mask:0xf
	v_cndmask_b32_e32 v4, 0, v4, vcc_lo
	s_and_b32 vcc_lo, vcc_lo, s13
	s_delay_alu instid0(VALU_DEP_2) | instskip(SKIP_1) | instid1(VALU_DEP_2)
	v_cndmask_b32_e32 v6, 0, v6, vcc_lo
	v_cmp_lt_u32_e32 vcc_lo, 7, v5
	v_dual_add_nc_u32 v3, v4, v3 :: v_dual_add_nc_u32 v2, v2, v6
	v_bfe_i32 v6, v77, 4, 1
	s_delay_alu instid0(VALU_DEP_2) | instskip(SKIP_1) | instid1(VALU_DEP_4)
	v_mov_b32_dpp v4, v3 row_shr:8 row_mask:0xf bank_mask:0xf
	v_cmp_eq_u32_e64 s13, 0, v3
	v_mov_b32_dpp v5, v2 row_shr:8 row_mask:0xf bank_mask:0xf
	s_delay_alu instid0(VALU_DEP_3) | instskip(SKIP_2) | instid1(VALU_DEP_2)
	v_cndmask_b32_e32 v4, 0, v4, vcc_lo
	s_and_b32 vcc_lo, vcc_lo, s13
	s_mov_b32 s13, exec_lo
	v_cndmask_b32_e32 v5, 0, v5, vcc_lo
	s_delay_alu instid0(VALU_DEP_1)
	v_dual_add_nc_u32 v5, v5, v2 :: v_dual_add_nc_u32 v2, v4, v3
	ds_swizzle_b32 v3, v5 offset:swizzle(BROADCAST,32,15)
	ds_swizzle_b32 v4, v2 offset:swizzle(BROADCAST,32,15)
	v_cmp_eq_u32_e32 vcc_lo, 0, v2
	s_wait_dscnt 0x0
	v_dual_cndmask_b32 v3, 0, v3, vcc_lo :: v_dual_bitop2_b32 v4, v6, v4 bitop3:0x40
	s_delay_alu instid0(VALU_DEP_1) | instskip(NEXT) | instid1(VALU_DEP_1)
	v_dual_add_nc_u32 v2, v4, v2 :: v_dual_bitop2_b32 v3, v6, v3 bitop3:0x40
	v_dual_lshlrev_b32 v4, 3, v78 :: v_dual_add_nc_u32 v3, v3, v5
	v_cmpx_eq_u32_e64 v0, v79
; %bb.62:
	ds_store_b64 v4, v[2:3] offset:528
; %bb.63:
	s_or_b32 exec_lo, exec_lo, s13
	s_delay_alu instid0(SALU_CYCLE_1)
	s_mov_b32 s14, exec_lo
	s_wait_dscnt 0x0
	s_barrier_signal -1
	s_barrier_wait -1
	v_cmpx_gt_u32_e32 8, v0
	s_cbranch_execz .LBB88_65
; %bb.64:
	v_dual_lshlrev_b32 v5, 3, v0 :: v_dual_bitop2_b32 v9, 7, v77 bitop3:0x40
	ds_load_b64 v[6:7], v5 offset:528
	s_wait_dscnt 0x0
	v_mov_b32_dpp v8, v7 row_shr:1 row_mask:0xf bank_mask:0xf
	v_cmp_eq_u32_e32 vcc_lo, 0, v6
	v_mov_b32_dpp v14, v6 row_shr:1 row_mask:0xf bank_mask:0xf
	s_delay_alu instid0(VALU_DEP_3) | instskip(SKIP_1) | instid1(VALU_DEP_3)
	v_cndmask_b32_e32 v8, 0, v8, vcc_lo
	v_cmp_eq_u32_e32 vcc_lo, 0, v9
	v_cndmask_b32_e64 v14, v14, 0, vcc_lo
	s_delay_alu instid0(VALU_DEP_1) | instskip(NEXT) | instid1(VALU_DEP_4)
	v_add_nc_u32_e32 v6, v14, v6
	v_cndmask_b32_e64 v8, v8, 0, vcc_lo
	v_cmp_lt_u32_e32 vcc_lo, 1, v9
	s_delay_alu instid0(VALU_DEP_3) | instskip(NEXT) | instid1(VALU_DEP_3)
	v_cmp_eq_u32_e64 s13, 0, v6
	v_add_nc_u32_e32 v7, v8, v7
	v_mov_b32_dpp v8, v6 row_shr:2 row_mask:0xf bank_mask:0xf
	s_delay_alu instid0(VALU_DEP_1) | instskip(NEXT) | instid1(VALU_DEP_3)
	v_cndmask_b32_e32 v8, 0, v8, vcc_lo
	v_mov_b32_dpp v14, v7 row_shr:2 row_mask:0xf bank_mask:0xf
	s_and_b32 vcc_lo, vcc_lo, s13
	s_delay_alu instid0(VALU_DEP_2) | instskip(NEXT) | instid1(VALU_DEP_1)
	v_add_nc_u32_e32 v6, v8, v6
	v_mov_b32_dpp v8, v6 row_shr:4 row_mask:0xf bank_mask:0xf
	s_delay_alu instid0(VALU_DEP_3) | instskip(SKIP_1) | instid1(VALU_DEP_2)
	v_cndmask_b32_e32 v14, 0, v14, vcc_lo
	v_cmp_lt_u32_e32 vcc_lo, 3, v9
	v_dual_cndmask_b32 v8, 0, v8 :: v_dual_add_nc_u32 v7, v14, v7
	v_cmp_eq_u32_e64 s13, 0, v6
	s_delay_alu instid0(VALU_DEP_2) | instskip(NEXT) | instid1(VALU_DEP_3)
	v_add_nc_u32_e32 v6, v8, v6
	v_mov_b32_dpp v9, v7 row_shr:4 row_mask:0xf bank_mask:0xf
	s_and_b32 vcc_lo, vcc_lo, s13
	s_delay_alu instid0(VALU_DEP_1) | instskip(NEXT) | instid1(VALU_DEP_1)
	v_cndmask_b32_e32 v9, 0, v9, vcc_lo
	v_add_nc_u32_e32 v7, v9, v7
	ds_store_b64 v5, v[6:7] offset:528
.LBB88_65:
	s_or_b32 exec_lo, exec_lo, s14
	v_dual_mov_b32 v14, 0 :: v_dual_mov_b32 v15, 0
	s_mov_b32 s14, exec_lo
	v_cmp_gt_u32_e32 vcc_lo, 32, v0
	s_wait_dscnt 0x0
	s_barrier_signal -1
	s_barrier_wait -1
	v_cmpx_lt_u32_e32 31, v0
	s_cbranch_execz .LBB88_67
; %bb.66:
	ds_load_b64 v[14:15], v4 offset:520
	v_cmp_eq_u32_e64 s13, 0, v2
	s_wait_dscnt 0x0
	s_delay_alu instid0(VALU_DEP_1) | instskip(NEXT) | instid1(VALU_DEP_1)
	v_dual_cndmask_b32 v4, 0, v15, s13 :: v_dual_add_nc_u32 v2, v14, v2
	v_add_nc_u32_e32 v3, v4, v3
.LBB88_67:
	s_or_b32 exec_lo, exec_lo, s14
	v_sub_co_u32 v4, s13, v77, 1
	s_delay_alu instid0(VALU_DEP_1) | instskip(NEXT) | instid1(VALU_DEP_1)
	v_cmp_gt_i32_e64 s14, 0, v4
	v_cndmask_b32_e64 v4, v4, v77, s14
	s_delay_alu instid0(VALU_DEP_1)
	v_lshlrev_b32_e32 v4, 2, v4
	ds_bpermute_b32 v20, v4, v2
	ds_bpermute_b32 v22, v4, v3
	s_and_saveexec_b32 s17, vcc_lo
	s_cbranch_execz .LBB88_86
; %bb.68:
	v_mov_b32_e32 v5, 0
	ds_load_b64 v[2:3], v5 offset:584
	s_and_saveexec_b32 s14, s13
	s_cbranch_execz .LBB88_70
; %bb.69:
	s_add_co_i32 s18, s40, 32
	s_mov_b32 s19, 0
	v_mov_b32_e32 v4, 1
	s_lshl_b64 s[18:19], s[18:19], 4
	s_delay_alu instid0(SALU_CYCLE_1) | instskip(NEXT) | instid1(SALU_CYCLE_1)
	s_add_nc_u64 s[18:19], s[36:37], s[18:19]
	v_mov_b64_e32 v[6:7], s[18:19]
	s_wait_dscnt 0x0
	;;#ASMSTART
	global_store_b128 v[6:7], v[2:5] off scope:SCOPE_DEV	
s_wait_storecnt 0x0
	;;#ASMEND
.LBB88_70:
	s_or_b32 exec_lo, exec_lo, s14
	v_xad_u32 v16, v77, -1, s40
	s_mov_b32 s15, 0
	s_mov_b32 s14, exec_lo
	s_delay_alu instid0(VALU_DEP_1) | instskip(NEXT) | instid1(VALU_DEP_1)
	v_add_nc_u32_e32 v4, 32, v16
	v_lshl_add_u64 v[4:5], v[4:5], 4, s[36:37]
	;;#ASMSTART
	global_load_b128 v[6:9], v[4:5] off scope:SCOPE_DEV	
s_wait_loadcnt 0x0
	;;#ASMEND
	v_and_b32_e32 v9, 0xff, v8
	s_delay_alu instid0(VALU_DEP_1)
	v_cmpx_eq_u16_e32 0, v9
	s_cbranch_execz .LBB88_73
.LBB88_71:                              ; =>This Inner Loop Header: Depth=1
	;;#ASMSTART
	global_load_b128 v[6:9], v[4:5] off scope:SCOPE_DEV	
s_wait_loadcnt 0x0
	;;#ASMEND
	v_and_b32_e32 v9, 0xff, v8
	s_delay_alu instid0(VALU_DEP_1) | instskip(SKIP_1) | instid1(SALU_CYCLE_1)
	v_cmp_ne_u16_e32 vcc_lo, 0, v9
	s_or_b32 s15, vcc_lo, s15
	s_and_not1_b32 exec_lo, exec_lo, s15
	s_cbranch_execnz .LBB88_71
; %bb.72:
	s_or_b32 exec_lo, exec_lo, s15
.LBB88_73:
	s_delay_alu instid0(SALU_CYCLE_1)
	s_or_b32 exec_lo, exec_lo, s14
	v_cmp_ne_u32_e32 vcc_lo, 31, v77
	v_lshlrev_b32_e64 v24, v77, -1
	v_cmp_gt_u32_e64 s15, 30, v77
	v_lshl_or_b32 v31, v77, 2, 64
	v_add_nc_u32_e32 v26, 2, v77
	v_add_co_ci_u32_e64 v4, null, 0, v77, vcc_lo
	s_delay_alu instid0(VALU_DEP_4) | instskip(SKIP_1) | instid1(VALU_DEP_3)
	v_cndmask_b32_e64 v17, 0, 2, s15
	v_dual_add_nc_u32 v28, 4, v77 :: v_dual_add_nc_u32 v30, 8, v77
	v_lshlrev_b32_e32 v23, 2, v4
	v_and_b32_e32 v4, 0xff, v8
	s_delay_alu instid0(VALU_DEP_4)
	v_add_lshl_u32 v25, v17, v77, 2
	v_add_nc_u32_e32 v32, 16, v77
	ds_bpermute_b32 v5, v23, v6
	v_cmp_eq_u16_e32 vcc_lo, 2, v4
	v_and_or_b32 v9, vcc_lo, v24, 0x80000000
	v_cmp_eq_u32_e32 vcc_lo, 0, v6
	s_delay_alu instid0(VALU_DEP_2) | instskip(NEXT) | instid1(VALU_DEP_1)
	v_ctz_i32_b32_e32 v9, v9
	v_cmp_lt_u32_e64 s14, v77, v9
	s_wait_dscnt 0x0
	s_delay_alu instid0(VALU_DEP_1) | instskip(SKIP_4) | instid1(VALU_DEP_1)
	v_cndmask_b32_e64 v5, 0, v5, s14
	ds_bpermute_b32 v4, v23, v7
	s_and_b32 vcc_lo, s14, vcc_lo
	s_wait_dscnt 0x0
	v_dual_cndmask_b32 v4, 0, v4 :: v_dual_add_nc_u32 v5, v5, v6
	v_cmp_eq_u32_e32 vcc_lo, 0, v5
	s_delay_alu instid0(VALU_DEP_2)
	v_add_nc_u32_e32 v4, v4, v7
	ds_bpermute_b32 v7, v25, v4
	s_wait_dscnt 0x0
	v_cndmask_b32_e32 v6, 0, v7, vcc_lo
	ds_bpermute_b32 v7, v25, v5
	v_cmp_gt_u32_e32 vcc_lo, 28, v77
	v_cndmask_b32_e64 v17, 0, 4, vcc_lo
	v_cmp_gt_u32_e32 vcc_lo, v26, v9
	s_delay_alu instid0(VALU_DEP_2) | instskip(SKIP_2) | instid1(VALU_DEP_1)
	v_add_lshl_u32 v27, v17, v77, 2
	s_wait_dscnt 0x0
	v_cndmask_b32_e64 v7, v7, 0, vcc_lo
	v_add_nc_u32_e32 v5, v5, v7
	v_cndmask_b32_e64 v6, v6, 0, vcc_lo
	ds_bpermute_b32 v7, v27, v5
	v_add_nc_u32_e32 v4, v6, v4
	v_cmp_eq_u32_e32 vcc_lo, 0, v5
	ds_bpermute_b32 v6, v27, v4
	s_wait_dscnt 0x0
	v_cndmask_b32_e32 v6, 0, v6, vcc_lo
	v_cmp_gt_u32_e32 vcc_lo, 24, v77
	v_cndmask_b32_e64 v17, 0, 8, vcc_lo
	v_cmp_gt_u32_e32 vcc_lo, v28, v9
	s_delay_alu instid0(VALU_DEP_2) | instskip(SKIP_1) | instid1(VALU_DEP_1)
	v_add_lshl_u32 v29, v17, v77, 2
	v_cndmask_b32_e64 v7, v7, 0, vcc_lo
	v_dual_mov_b32 v17, 0 :: v_dual_add_nc_u32 v5, v5, v7
	v_cndmask_b32_e64 v6, v6, 0, vcc_lo
	ds_bpermute_b32 v7, v29, v5
	v_add_nc_u32_e32 v4, v4, v6
	v_cmp_eq_u32_e32 vcc_lo, 0, v5
	ds_bpermute_b32 v6, v29, v4
	s_wait_dscnt 0x0
	v_cndmask_b32_e32 v6, 0, v6, vcc_lo
	v_cmp_gt_u32_e32 vcc_lo, v30, v9
	s_delay_alu instid0(VALU_DEP_2) | instskip(NEXT) | instid1(VALU_DEP_1)
	v_cndmask_b32_e64 v6, v6, 0, vcc_lo
	v_add_nc_u32_e32 v4, v4, v6
	v_cndmask_b32_e64 v6, v7, 0, vcc_lo
	s_delay_alu instid0(VALU_DEP_1)
	v_add_nc_u32_e32 v5, v5, v6
	ds_bpermute_b32 v7, v31, v4
	ds_bpermute_b32 v6, v31, v5
	v_cmp_eq_u32_e32 vcc_lo, 0, v5
	s_wait_dscnt 0x1
	v_cndmask_b32_e32 v7, 0, v7, vcc_lo
	v_cmp_gt_u32_e32 vcc_lo, v32, v9
	s_wait_dscnt 0x0
	v_cndmask_b32_e64 v6, v6, 0, vcc_lo
	s_delay_alu instid0(VALU_DEP_1) | instskip(SKIP_1) | instid1(VALU_DEP_1)
	v_add_nc_u32_e32 v6, v6, v5
	v_cndmask_b32_e64 v7, v7, 0, vcc_lo
	v_add_nc_u32_e32 v7, v7, v4
	s_branch .LBB88_77
.LBB88_74:                              ;   in Loop: Header=BB88_77 Depth=1
	s_or_b32 exec_lo, exec_lo, s15
.LBB88_75:                              ;   in Loop: Header=BB88_77 Depth=1
	s_delay_alu instid0(SALU_CYCLE_1)
	s_or_b32 exec_lo, exec_lo, s14
	v_and_b32_e32 v9, 0xff, v8
	ds_bpermute_b32 v18, v23, v6
	v_subrev_nc_u32_e32 v16, 32, v16
	v_cmp_eq_u16_e32 vcc_lo, 2, v9
	ds_bpermute_b32 v9, v23, v7
	v_and_or_b32 v19, vcc_lo, v24, 0x80000000
	v_cmp_eq_u32_e32 vcc_lo, 0, v6
	s_delay_alu instid0(VALU_DEP_2) | instskip(NEXT) | instid1(VALU_DEP_1)
	v_ctz_i32_b32_e32 v19, v19
	v_cmp_lt_u32_e64 s14, v77, v19
	s_and_b32 vcc_lo, s14, vcc_lo
	s_wait_dscnt 0x0
	v_dual_cndmask_b32 v18, 0, v18, s14 :: v_dual_cndmask_b32 v9, 0, v9, vcc_lo
	s_mov_b32 s14, 0
	s_delay_alu instid0(VALU_DEP_1)
	v_dual_add_nc_u32 v6, v18, v6 :: v_dual_add_nc_u32 v7, v9, v7
	ds_bpermute_b32 v18, v25, v6
	ds_bpermute_b32 v9, v25, v7
	v_cmp_eq_u32_e32 vcc_lo, 0, v6
	s_wait_dscnt 0x0
	v_cndmask_b32_e32 v9, 0, v9, vcc_lo
	v_cmp_gt_u32_e32 vcc_lo, v26, v19
	v_cndmask_b32_e64 v18, v18, 0, vcc_lo
	s_delay_alu instid0(VALU_DEP_1) | instskip(NEXT) | instid1(VALU_DEP_4)
	v_add_nc_u32_e32 v6, v6, v18
	v_cndmask_b32_e64 v9, v9, 0, vcc_lo
	s_delay_alu instid0(VALU_DEP_2) | instskip(NEXT) | instid1(VALU_DEP_2)
	v_cmp_eq_u32_e32 vcc_lo, 0, v6
	v_add_nc_u32_e32 v7, v9, v7
	ds_bpermute_b32 v18, v27, v6
	ds_bpermute_b32 v9, v27, v7
	s_wait_dscnt 0x0
	v_cndmask_b32_e32 v9, 0, v9, vcc_lo
	v_cmp_gt_u32_e32 vcc_lo, v28, v19
	s_delay_alu instid0(VALU_DEP_2) | instskip(SKIP_1) | instid1(VALU_DEP_1)
	v_cndmask_b32_e64 v9, v9, 0, vcc_lo
	v_cndmask_b32_e64 v18, v18, 0, vcc_lo
	v_dual_add_nc_u32 v7, v7, v9 :: v_dual_add_nc_u32 v6, v6, v18
	ds_bpermute_b32 v9, v29, v7
	ds_bpermute_b32 v18, v29, v6
	v_cmp_eq_u32_e32 vcc_lo, 0, v6
	s_wait_dscnt 0x1
	v_cndmask_b32_e32 v9, 0, v9, vcc_lo
	v_cmp_gt_u32_e32 vcc_lo, v30, v19
	s_wait_dscnt 0x0
	v_cndmask_b32_e64 v18, v18, 0, vcc_lo
	s_delay_alu instid0(VALU_DEP_1) | instskip(SKIP_1) | instid1(VALU_DEP_2)
	v_add_nc_u32_e32 v6, v6, v18
	v_cndmask_b32_e64 v9, v9, 0, vcc_lo
	v_cmp_eq_u32_e32 vcc_lo, 0, v6
	s_delay_alu instid0(VALU_DEP_2)
	v_add_nc_u32_e32 v7, v7, v9
	ds_bpermute_b32 v18, v31, v6
	ds_bpermute_b32 v9, v31, v7
	s_wait_dscnt 0x0
	v_cndmask_b32_e32 v9, 0, v9, vcc_lo
	v_cmp_gt_u32_e32 vcc_lo, v32, v19
	s_delay_alu instid0(VALU_DEP_2) | instskip(NEXT) | instid1(VALU_DEP_1)
	v_cndmask_b32_e64 v9, v9, 0, vcc_lo
	v_add_nc_u32_e32 v7, v9, v7
	v_cndmask_b32_e64 v9, v18, 0, vcc_lo
	v_cmp_eq_u32_e32 vcc_lo, 0, v4
	s_delay_alu instid0(VALU_DEP_2) | instskip(NEXT) | instid1(VALU_DEP_4)
	v_add3_u32 v6, v6, v4, v9
	v_cndmask_b32_e32 v7, 0, v7, vcc_lo
	s_delay_alu instid0(VALU_DEP_1)
	v_add_nc_u32_e32 v7, v7, v5
.LBB88_76:                              ;   in Loop: Header=BB88_77 Depth=1
	s_and_b32 vcc_lo, exec_lo, s14
	s_cbranch_vccnz .LBB88_82
.LBB88_77:                              ; =>This Loop Header: Depth=1
                                        ;     Child Loop BB88_80 Depth 2
	v_and_b32_e32 v4, 0xff, v8
	s_delay_alu instid0(VALU_DEP_2) | instskip(SKIP_1) | instid1(VALU_DEP_2)
	v_mov_b32_e32 v5, v7
	s_mov_b32 s14, -1
                                        ; implicit-def: $vgpr7
                                        ; implicit-def: $vgpr8
	v_cmp_ne_u16_e32 vcc_lo, 2, v4
	v_mov_b32_e32 v4, v6
                                        ; implicit-def: $vgpr6
	s_cmp_lg_u32 vcc_lo, exec_lo
	s_cbranch_scc1 .LBB88_76
; %bb.78:                               ;   in Loop: Header=BB88_77 Depth=1
	v_lshl_add_u64 v[18:19], v[16:17], 4, s[36:37]
	;;#ASMSTART
	global_load_b128 v[6:9], v[18:19] off scope:SCOPE_DEV	
s_wait_loadcnt 0x0
	;;#ASMEND
	v_and_b32_e32 v9, 0xff, v8
	s_mov_b32 s14, exec_lo
	s_delay_alu instid0(VALU_DEP_1)
	v_cmpx_eq_u16_e32 0, v9
	s_cbranch_execz .LBB88_75
; %bb.79:                               ;   in Loop: Header=BB88_77 Depth=1
	s_mov_b32 s15, 0
.LBB88_80:                              ;   Parent Loop BB88_77 Depth=1
                                        ; =>  This Inner Loop Header: Depth=2
	;;#ASMSTART
	global_load_b128 v[6:9], v[18:19] off scope:SCOPE_DEV	
s_wait_loadcnt 0x0
	;;#ASMEND
	v_and_b32_e32 v9, 0xff, v8
	s_delay_alu instid0(VALU_DEP_1) | instskip(SKIP_1) | instid1(SALU_CYCLE_1)
	v_cmp_ne_u16_e32 vcc_lo, 0, v9
	s_or_b32 s15, vcc_lo, s15
	s_and_not1_b32 exec_lo, exec_lo, s15
	s_cbranch_execnz .LBB88_80
	s_branch .LBB88_74
.LBB88_81:
                                        ; implicit-def: $vgpr16
                                        ; implicit-def: $vgpr20
                                        ; implicit-def: $vgpr22_vgpr23
                                        ; implicit-def: $vgpr28_vgpr29
                                        ; implicit-def: $vgpr36_vgpr37
                                        ; implicit-def: $vgpr30_vgpr31
                                        ; implicit-def: $vgpr44_vgpr45
                                        ; implicit-def: $vgpr48_vgpr49
                                        ; implicit-def: $vgpr46_vgpr47
                                        ; implicit-def: $vgpr42_vgpr43
                                        ; implicit-def: $vgpr38_vgpr39
                                        ; implicit-def: $vgpr32_vgpr33
                                        ; implicit-def: $vgpr34_vgpr35
                                        ; implicit-def: $vgpr40_vgpr41
                                        ; implicit-def: $vgpr24_vgpr25
                                        ; implicit-def: $vgpr26_vgpr27
	s_cbranch_execnz .LBB88_87
	s_branch .LBB88_98
.LBB88_82:
	s_and_saveexec_b32 s14, s13
	s_cbranch_execz .LBB88_84
; %bb.83:
	v_cmp_eq_u32_e32 vcc_lo, 0, v2
	s_mov_b32 s19, 0
	s_add_co_i32 s18, s40, 32
	v_mov_b32_e32 v9, 0
	s_lshl_b64 s[18:19], s[18:19], 4
	v_dual_cndmask_b32 v7, 0, v5 :: v_dual_add_nc_u32 v6, v4, v2
	s_add_nc_u64 s[18:19], s[36:37], s[18:19]
	v_mov_b32_e32 v8, 2
	v_mov_b64_e32 v[16:17], s[18:19]
	s_delay_alu instid0(VALU_DEP_3)
	v_add_nc_u32_e32 v7, v7, v3
	;;#ASMSTART
	global_store_b128 v[16:17], v[6:9] off scope:SCOPE_DEV	
s_wait_storecnt 0x0
	;;#ASMEND
	ds_store_b128 v9, v[2:5] offset:512
.LBB88_84:
	s_or_b32 exec_lo, exec_lo, s14
	s_delay_alu instid0(SALU_CYCLE_1)
	s_and_b32 exec_lo, exec_lo, s2
; %bb.85:
	v_mov_b32_e32 v2, 0
	ds_store_b64 v2, v[4:5] offset:584
.LBB88_86:
	s_or_b32 exec_lo, exec_lo, s17
	s_wait_dscnt 0x1
	v_dual_mov_b32 v4, 0 :: v_dual_cndmask_b32 v5, v20, v14, s13
	s_wait_dscnt 0x0
	s_barrier_signal -1
	s_barrier_wait -1
	ds_load_b64 v[2:3], v4 offset:584
	v_cmp_eq_u32_e32 vcc_lo, 0, v5
	v_cndmask_b32_e64 v5, v5, 0, s2
	s_wait_dscnt 0x0
	s_barrier_signal -1
	s_barrier_wait -1
	ds_load_b128 v[16:19], v4 offset:512
	v_cndmask_b32_e32 v7, 0, v3, vcc_lo
	v_cmp_eq_u32_e32 vcc_lo, 0, v68
	v_cndmask_b32_e64 v6, v22, v15, s13
	s_delay_alu instid0(VALU_DEP_1) | instskip(NEXT) | instid1(VALU_DEP_1)
	v_dual_add_nc_u32 v44, v2, v5 :: v_dual_add_nc_u32 v6, v7, v6
	v_dual_add_nc_u32 v48, v44, v68 :: v_dual_cndmask_b32 v45, v6, v3, s2
	s_delay_alu instid0(VALU_DEP_1) | instskip(SKIP_2) | instid1(VALU_DEP_2)
	v_dual_cndmask_b32 v3, 0, v45 :: v_dual_add_nc_u32 v46, v48, v67
	s_wait_dscnt 0x0
	v_cmp_eq_u32_e32 vcc_lo, 0, v16
	v_add_nc_u32_e32 v49, v3, v53
	s_delay_alu instid0(VALU_DEP_1) | instskip(NEXT) | instid1(VALU_DEP_1)
	v_cndmask_b32_e64 v3, 0, v49, s12
	v_add_nc_u32_e32 v47, v3, v55
	s_delay_alu instid0(VALU_DEP_1) | instskip(NEXT) | instid1(VALU_DEP_1)
	v_cndmask_b32_e64 v3, 0, v47, s11
	;; [unrolled: 3-line block ×5, first 2 shown]
	v_add_nc_u32_e32 v35, v3, v71
	v_cndmask_b32_e32 v3, 0, v19, vcc_lo
	s_delay_alu instid0(VALU_DEP_1) | instskip(NEXT) | instid1(VALU_DEP_1)
	v_dual_cndmask_b32 v2, 0, v35, s7 :: v_dual_add_nc_u32 v20, v3, v17
	v_add_nc_u32_e32 v41, v2, v75
	s_delay_alu instid0(VALU_DEP_1) | instskip(NEXT) | instid1(VALU_DEP_1)
	v_cndmask_b32_e64 v2, 0, v41, s6
	v_add_nc_u32_e32 v25, v2, v73
	s_delay_alu instid0(VALU_DEP_1) | instskip(NEXT) | instid1(VALU_DEP_1)
	v_dual_add_nc_u32 v42, v46, v66 :: v_dual_cndmask_b32 v2, 0, v25, s5
	v_add_nc_u32_e32 v38, v42, v65
	s_delay_alu instid0(VALU_DEP_1) | instskip(NEXT) | instid1(VALU_DEP_1)
	v_add_nc_u32_e32 v32, v38, v63
	v_dual_add_nc_u32 v27, v2, v69 :: v_dual_add_nc_u32 v34, v32, v64
	s_delay_alu instid0(VALU_DEP_1) | instskip(NEXT) | instid1(VALU_DEP_1)
	v_dual_cndmask_b32 v2, 0, v27, s4 :: v_dual_add_nc_u32 v40, v34, v62
	v_dual_add_nc_u32 v31, v2, v54 :: v_dual_add_nc_u32 v24, v40, v60
	s_delay_alu instid0(VALU_DEP_1) | instskip(NEXT) | instid1(VALU_DEP_1)
	v_dual_cndmask_b32 v2, 0, v31, s3 :: v_dual_add_nc_u32 v26, v24, v58
	v_add_nc_u32_e32 v37, v2, v52
	s_delay_alu instid0(VALU_DEP_2) | instskip(NEXT) | instid1(VALU_DEP_2)
	v_add_nc_u32_e32 v30, v26, v57
	v_cndmask_b32_e64 v2, 0, v37, s1
	s_delay_alu instid0(VALU_DEP_2) | instskip(NEXT) | instid1(VALU_DEP_1)
	v_add_nc_u32_e32 v36, v30, v21
	v_dual_add_nc_u32 v29, v2, v51 :: v_dual_add_nc_u32 v28, v36, v56
	s_delay_alu instid0(VALU_DEP_1) | instskip(NEXT) | instid1(VALU_DEP_1)
	v_cndmask_b32_e64 v2, 0, v29, s0
	v_dual_add_nc_u32 v22, v28, v59 :: v_dual_add_nc_u32 v23, v2, v50
	s_branch .LBB88_98
.LBB88_87:
	s_cmp_eq_u64 s[48:49], 0
	v_mov_b32_e32 v6, v53
	s_cselect_b32 s0, -1, 0
	s_delay_alu instid0(SALU_CYCLE_1) | instskip(NEXT) | instid1(SALU_CYCLE_1)
	s_or_b32 s0, s16, s0
	s_and_b32 vcc_lo, exec_lo, s0
	s_cbranch_vccnz .LBB88_89
; %bb.88:
	v_mov_b32_e32 v2, 0
	global_load_b32 v6, v2, s[48:49]
.LBB88_89:
	v_add3_u32 v3, v80, v63, v64
	v_cmp_eq_u32_e64 s6, 0, v67
	v_cmp_eq_u32_e64 s7, 0, v66
	;; [unrolled: 1-line block ×4, first 2 shown]
	v_add3_u32 v3, v3, v62, v60
	s_wait_xcnt 0x0
	v_cndmask_b32_e64 v2, 0, v53, s6
	v_cmp_eq_u32_e64 s11, 0, v64
	v_cmp_eq_u32_e64 s10, 0, v62
	;; [unrolled: 1-line block ×3, first 2 shown]
	v_add3_u32 v3, v3, v58, v57
	v_dual_add_nc_u32 v2, v2, v55 :: v_dual_bitop2_b32 v5, 15, v77 bitop3:0x40
	v_cmp_eq_u32_e64 s4, 0, v58
	v_cmp_eq_u32_e64 s3, 0, v57
	s_delay_alu instid0(VALU_DEP_4)
	v_add3_u32 v3, v3, v21, v56
	v_cmp_eq_u32_e64 s1, 0, v21
	v_cmp_eq_u32_e32 vcc_lo, 0, v56
	v_cmp_eq_u32_e64 s0, 0, v59
	v_cmp_eq_u32_e64 s12, 0, v61
	v_add3_u32 v3, v3, v59, v61
	v_cndmask_b32_e64 v2, 0, v2, s7
	s_delay_alu instid0(VALU_DEP_2) | instskip(NEXT) | instid1(VALU_DEP_2)
	v_mov_b32_dpp v7, v3 row_shr:1 row_mask:0xf bank_mask:0xf
	v_add_nc_u32_e32 v2, v2, v72
	s_delay_alu instid0(VALU_DEP_1) | instskip(NEXT) | instid1(VALU_DEP_1)
	v_cndmask_b32_e64 v2, 0, v2, s8
	v_add_nc_u32_e32 v2, v2, v74
	s_delay_alu instid0(VALU_DEP_1) | instskip(NEXT) | instid1(VALU_DEP_1)
	v_cndmask_b32_e64 v2, 0, v2, s9
	;; [unrolled: 3-line block ×8, first 2 shown]
	v_add_nc_u32_e32 v2, v2, v52
	s_delay_alu instid0(VALU_DEP_1) | instskip(NEXT) | instid1(VALU_DEP_1)
	v_cndmask_b32_e32 v2, 0, v2, vcc_lo
	v_add_nc_u32_e32 v2, v2, v51
	s_delay_alu instid0(VALU_DEP_1) | instskip(NEXT) | instid1(VALU_DEP_1)
	v_cndmask_b32_e64 v2, 0, v2, s0
	v_add_nc_u32_e32 v2, v2, v50
	s_delay_alu instid0(VALU_DEP_1) | instskip(SKIP_1) | instid1(VALU_DEP_2)
	v_cndmask_b32_e64 v2, 0, v2, s12
	v_cmp_eq_u32_e64 s12, 0, v3
	v_add_nc_u32_e32 v2, v2, v76
	s_delay_alu instid0(VALU_DEP_1) | instskip(NEXT) | instid1(VALU_DEP_1)
	v_mov_b32_dpp v4, v2 row_shr:1 row_mask:0xf bank_mask:0xf
	v_cndmask_b32_e64 v4, 0, v4, s12
	v_cmp_eq_u32_e64 s12, 0, v5
	s_delay_alu instid0(VALU_DEP_1) | instskip(NEXT) | instid1(VALU_DEP_3)
	v_cndmask_b32_e64 v7, v7, 0, s12
	v_cndmask_b32_e64 v4, v4, 0, s12
	v_cmp_lt_u32_e64 s12, 1, v5
	s_delay_alu instid0(VALU_DEP_2) | instskip(NEXT) | instid1(VALU_DEP_1)
	v_dual_add_nc_u32 v3, v7, v3 :: v_dual_add_nc_u32 v2, v4, v2
	v_mov_b32_dpp v4, v3 row_shr:2 row_mask:0xf bank_mask:0xf
	v_cmp_eq_u32_e64 s13, 0, v3
	s_delay_alu instid0(VALU_DEP_3) | instskip(NEXT) | instid1(VALU_DEP_3)
	v_mov_b32_dpp v7, v2 row_shr:2 row_mask:0xf bank_mask:0xf
	v_cndmask_b32_e64 v4, 0, v4, s12
	s_and_b32 s12, s12, s13
	s_delay_alu instid0(VALU_DEP_2) | instid1(SALU_CYCLE_1)
	v_cndmask_b32_e64 v7, 0, v7, s12
	v_cmp_lt_u32_e64 s12, 3, v5
	s_delay_alu instid0(VALU_DEP_3) | instskip(NEXT) | instid1(VALU_DEP_3)
	v_add_nc_u32_e32 v3, v3, v4
	v_add_nc_u32_e32 v2, v7, v2
	s_delay_alu instid0(VALU_DEP_2) | instskip(SKIP_1) | instid1(VALU_DEP_3)
	v_mov_b32_dpp v4, v3 row_shr:4 row_mask:0xf bank_mask:0xf
	v_cmp_eq_u32_e64 s13, 0, v3
	v_mov_b32_dpp v7, v2 row_shr:4 row_mask:0xf bank_mask:0xf
	s_delay_alu instid0(VALU_DEP_3)
	v_cndmask_b32_e64 v4, 0, v4, s12
	s_and_b32 s12, s12, s13
	s_delay_alu instid0(VALU_DEP_2) | instid1(SALU_CYCLE_1)
	v_cndmask_b32_e64 v7, 0, v7, s12
	v_cmp_lt_u32_e64 s12, 7, v5
	s_delay_alu instid0(VALU_DEP_3) | instskip(NEXT) | instid1(VALU_DEP_3)
	v_add_nc_u32_e32 v3, v4, v3
	v_add_nc_u32_e32 v2, v2, v7
	v_bfe_i32 v7, v77, 4, 1
	s_delay_alu instid0(VALU_DEP_3) | instskip(SKIP_1) | instid1(VALU_DEP_4)
	v_mov_b32_dpp v4, v3 row_shr:8 row_mask:0xf bank_mask:0xf
	v_cmp_eq_u32_e64 s13, 0, v3
	v_mov_b32_dpp v5, v2 row_shr:8 row_mask:0xf bank_mask:0xf
	s_delay_alu instid0(VALU_DEP_3) | instskip(SKIP_2) | instid1(VALU_DEP_2)
	v_cndmask_b32_e64 v4, 0, v4, s12
	s_and_b32 s12, s12, s13
	s_mov_b32 s13, exec_lo
	v_cndmask_b32_e64 v5, 0, v5, s12
	s_delay_alu instid0(VALU_DEP_1) | instskip(SKIP_4) | instid1(VALU_DEP_1)
	v_dual_add_nc_u32 v5, v5, v2 :: v_dual_add_nc_u32 v2, v4, v3
	ds_swizzle_b32 v3, v5 offset:swizzle(BROADCAST,32,15)
	ds_swizzle_b32 v4, v2 offset:swizzle(BROADCAST,32,15)
	v_cmp_eq_u32_e64 s12, 0, v2
	s_wait_dscnt 0x0
	v_dual_cndmask_b32 v3, 0, v3, s12 :: v_dual_bitop2_b32 v4, v7, v4 bitop3:0x40
	s_delay_alu instid0(VALU_DEP_1) | instskip(NEXT) | instid1(VALU_DEP_1)
	v_dual_add_nc_u32 v2, v4, v2 :: v_dual_bitop2_b32 v3, v7, v3 bitop3:0x40
	v_dual_add_nc_u32 v3, v3, v5 :: v_dual_lshlrev_b32 v5, 3, v78
	v_cmpx_eq_u32_e64 v0, v79
; %bb.90:
	ds_store_b64 v5, v[2:3] offset:528
; %bb.91:
	s_or_b32 exec_lo, exec_lo, s13
	s_delay_alu instid0(SALU_CYCLE_1)
	s_mov_b32 s14, exec_lo
	s_wait_loadcnt_dscnt 0x0
	s_barrier_signal -1
	s_barrier_wait -1
	v_cmpx_gt_u32_e32 8, v0
	s_cbranch_execz .LBB88_93
; %bb.92:
	v_dual_lshlrev_b32 v4, 3, v0 :: v_dual_bitop2_b32 v14, 7, v77 bitop3:0x40
	ds_load_b64 v[8:9], v4 offset:528
	s_wait_dscnt 0x0
	v_mov_b32_dpp v7, v9 row_shr:1 row_mask:0xf bank_mask:0xf
	v_cmp_eq_u32_e64 s12, 0, v8
	v_mov_b32_dpp v15, v8 row_shr:1 row_mask:0xf bank_mask:0xf
	s_delay_alu instid0(VALU_DEP_2) | instskip(SKIP_1) | instid1(VALU_DEP_1)
	v_cndmask_b32_e64 v7, 0, v7, s12
	v_cmp_eq_u32_e64 s12, 0, v14
	v_cndmask_b32_e64 v15, v15, 0, s12
	s_delay_alu instid0(VALU_DEP_1) | instskip(NEXT) | instid1(VALU_DEP_4)
	v_add_nc_u32_e32 v8, v15, v8
	v_cndmask_b32_e64 v7, v7, 0, s12
	v_cmp_lt_u32_e64 s12, 1, v14
	s_delay_alu instid0(VALU_DEP_3) | instskip(NEXT) | instid1(VALU_DEP_3)
	v_cmp_eq_u32_e64 s13, 0, v8
	v_add_nc_u32_e32 v7, v7, v9
	v_mov_b32_dpp v9, v8 row_shr:2 row_mask:0xf bank_mask:0xf
	s_delay_alu instid0(VALU_DEP_1) | instskip(NEXT) | instid1(VALU_DEP_3)
	v_cndmask_b32_e64 v9, 0, v9, s12
	v_mov_b32_dpp v15, v7 row_shr:2 row_mask:0xf bank_mask:0xf
	s_and_b32 s12, s12, s13
	s_delay_alu instid0(VALU_DEP_1) | instid1(SALU_CYCLE_1)
	v_dual_add_nc_u32 v8, v9, v8 :: v_dual_cndmask_b32 v15, 0, v15, s12
	v_cmp_lt_u32_e64 s12, 3, v14
	s_delay_alu instid0(VALU_DEP_2) | instskip(NEXT) | instid1(VALU_DEP_3)
	v_mov_b32_dpp v9, v8 row_shr:4 row_mask:0xf bank_mask:0xf
	v_add_nc_u32_e32 v7, v15, v7
	v_cmp_eq_u32_e64 s13, 0, v8
	s_delay_alu instid0(VALU_DEP_3) | instskip(NEXT) | instid1(VALU_DEP_3)
	v_cndmask_b32_e64 v9, 0, v9, s12
	v_mov_b32_dpp v14, v7 row_shr:4 row_mask:0xf bank_mask:0xf
	s_and_b32 s12, s12, s13
	s_delay_alu instid0(VALU_DEP_1) | instid1(SALU_CYCLE_1)
	v_dual_add_nc_u32 v8, v9, v8 :: v_dual_cndmask_b32 v14, 0, v14, s12
	s_delay_alu instid0(VALU_DEP_1)
	v_add_nc_u32_e32 v9, v14, v7
	ds_store_b64 v4, v[8:9] offset:528
.LBB88_93:
	s_or_b32 exec_lo, exec_lo, s14
	v_dual_mov_b32 v7, 0 :: v_dual_mov_b32 v4, 0
	v_mov_b32_e32 v8, v6
	s_mov_b32 s13, exec_lo
	s_wait_dscnt 0x0
	s_barrier_signal -1
	s_barrier_wait -1
	v_cmpx_lt_u32_e32 31, v0
	s_cbranch_execz .LBB88_95
; %bb.94:
	ds_load_b64 v[4:5], v5 offset:520
	s_wait_dscnt 0x0
	v_cmp_eq_u32_e64 s12, 0, v4
	s_delay_alu instid0(VALU_DEP_1) | instskip(NEXT) | instid1(VALU_DEP_1)
	v_cndmask_b32_e64 v8, 0, v6, s12
	v_add_nc_u32_e32 v8, v8, v5
.LBB88_95:
	s_or_b32 exec_lo, exec_lo, s13
	v_sub_co_u32 v5, s12, v77, 1
	ds_load_b64 v[16:17], v7 offset:584
	v_cmp_gt_i32_e64 s13, 0, v5
	s_delay_alu instid0(VALU_DEP_1) | instskip(SKIP_1) | instid1(VALU_DEP_1)
	v_cndmask_b32_e64 v5, v5, v77, s13
	v_cmp_eq_u32_e64 s13, 0, v2
	v_dual_cndmask_b32 v9, 0, v8, s13 :: v_dual_add_nc_u32 v2, v4, v2
	s_delay_alu instid0(VALU_DEP_3)
	v_lshlrev_b32_e32 v5, 2, v5
	ds_bpermute_b32 v2, v5, v2
	s_wait_dscnt 0x0
	v_dual_add_nc_u32 v3, v9, v3 :: v_dual_cndmask_b32 v2, v2, v4, s12
	ds_bpermute_b32 v3, v5, v3
	v_cndmask_b32_e64 v44, v2, 0, s2
	s_delay_alu instid0(VALU_DEP_1) | instskip(NEXT) | instid1(VALU_DEP_1)
	v_add_nc_u32_e32 v48, v44, v68
	v_add_nc_u32_e32 v46, v48, v67
	s_wait_dscnt 0x0
	s_delay_alu instid0(VALU_DEP_1) | instskip(SKIP_1) | instid1(VALU_DEP_2)
	v_dual_add_nc_u32 v42, v46, v66 :: v_dual_cndmask_b32 v3, v3, v8, s12
	v_cmp_eq_u32_e64 s12, 0, v68
	v_dual_add_nc_u32 v38, v42, v65 :: v_dual_cndmask_b32 v45, v3, v6, s2
	s_delay_alu instid0(VALU_DEP_1) | instskip(NEXT) | instid1(VALU_DEP_1)
	v_dual_add_nc_u32 v32, v38, v63 :: v_dual_cndmask_b32 v3, 0, v45, s12
	v_dual_add_nc_u32 v34, v32, v64 :: v_dual_add_nc_u32 v49, v3, v53
	s_delay_alu instid0(VALU_DEP_1) | instskip(NEXT) | instid1(VALU_DEP_1)
	v_dual_add_nc_u32 v40, v34, v62 :: v_dual_cndmask_b32 v3, 0, v49, s6
	v_dual_add_nc_u32 v24, v40, v60 :: v_dual_add_nc_u32 v47, v3, v55
	;; [unrolled: 3-line block ×4, first 2 shown]
	s_delay_alu instid0(VALU_DEP_1) | instskip(NEXT) | instid1(VALU_DEP_2)
	v_add_nc_u32_e32 v22, v28, v59
	v_cndmask_b32_e64 v3, 0, v39, s9
	s_delay_alu instid0(VALU_DEP_1) | instskip(NEXT) | instid1(VALU_DEP_1)
	v_add_nc_u32_e32 v33, v3, v70
	v_cndmask_b32_e64 v3, 0, v33, s11
	s_delay_alu instid0(VALU_DEP_1) | instskip(NEXT) | instid1(VALU_DEP_1)
	;; [unrolled: 3-line block ×7, first 2 shown]
	v_add_nc_u32_e32 v37, v2, v52
	v_cndmask_b32_e32 v2, 0, v37, vcc_lo
	v_cmp_eq_u32_e32 vcc_lo, 0, v16
	s_delay_alu instid0(VALU_DEP_2) | instskip(NEXT) | instid1(VALU_DEP_1)
	v_dual_cndmask_b32 v3, 0, v6, vcc_lo :: v_dual_add_nc_u32 v29, v2, v51
	v_add_nc_u32_e32 v20, v3, v17
	s_delay_alu instid0(VALU_DEP_2) | instskip(NEXT) | instid1(VALU_DEP_1)
	v_cndmask_b32_e64 v2, 0, v29, s0
	v_add_nc_u32_e32 v23, v2, v50
	s_and_saveexec_b32 s0, s2
	s_cbranch_execz .LBB88_97
; %bb.96:
	s_add_nc_u64 s[4:5], s[36:37], 0x200
	v_dual_mov_b32 v18, 2 :: v_dual_mov_b32 v19, 0
	v_mov_b32_e32 v17, v20
	v_mov_b64_e32 v[2:3], s[4:5]
	;;#ASMSTART
	global_store_b128 v[2:3], v[16:19] off scope:SCOPE_DEV	
s_wait_storecnt 0x0
	;;#ASMEND
.LBB88_97:
	s_or_b32 exec_lo, exec_lo, s0
	v_mov_b32_e32 v18, 0
.LBB88_98:
	s_cmp_eq_u64 s[46:47], 0
	v_mov_b64_e32 v[50:51], 0
	s_cselect_b32 s0, -1, 0
	s_delay_alu instid0(SALU_CYCLE_1)
	s_or_b32 s0, s16, s0
	s_barrier_signal -1
	s_and_b32 vcc_lo, exec_lo, s0
	s_barrier_wait -1
	s_cbranch_vccnz .LBB88_100
; %bb.99:
	v_mov_b32_e32 v2, 0
	global_load_b64 v[50:51], v2, s[46:47]
.LBB88_100:
	v_cmp_eq_u32_e32 vcc_lo, 0, v68
	v_cmp_ne_u32_e64 s14, 0, v68
	v_cmp_ne_u32_e64 s13, 0, v67
	;; [unrolled: 1-line block ×4, first 2 shown]
	s_wait_xcnt 0x0
	v_cndmask_b32_e64 v2, 1, 2, vcc_lo
	v_cmp_eq_u32_e32 vcc_lo, 0, v67
	v_cmp_ne_u32_e64 s10, 0, v63
	v_cmp_ne_u32_e64 s9, 0, v64
	;; [unrolled: 1-line block ×4, first 2 shown]
	v_cndmask_b32_e64 v3, 1, 2, vcc_lo
	v_cmp_eq_u32_e32 vcc_lo, 0, v66
	v_cmp_ne_u32_e64 s6, 0, v58
	v_cmp_ne_u32_e64 s5, 0, v57
	s_delay_alu instid0(VALU_DEP_4)
	v_dual_mov_b32 v19, 0 :: v_dual_bitop2_b32 v2, v3, v2 bitop3:0x40
	v_cndmask_b32_e64 v3, 1, 2, vcc_lo
	v_cmp_eq_u32_e32 vcc_lo, 0, v65
	v_cmp_ne_u32_e64 s4, 0, v21
	v_cmp_ne_u32_e64 s3, 0, v56
	;; [unrolled: 1-line block ×4, first 2 shown]
	v_cndmask_b32_e64 v4, 1, 2, vcc_lo
	v_cmp_eq_u32_e32 vcc_lo, 0, v63
	s_mov_b32 s16, -1
	s_delay_alu instid0(VALU_DEP_2) | instskip(SKIP_4) | instid1(VALU_DEP_2)
	v_bitop3_b16 v2, v2, v4, v3 bitop3:0x80
	v_cndmask_b32_e64 v5, 1, 2, vcc_lo
	v_cmp_eq_u32_e32 vcc_lo, 0, v64
	v_cndmask_b32_e64 v6, 1, 2, vcc_lo
	v_cmp_eq_u32_e32 vcc_lo, 0, v62
	v_bitop3_b16 v4, v2, v6, v5 bitop3:0x80
	v_cndmask_b32_e64 v5, 1, 2, vcc_lo
	v_cmp_eq_u32_e32 vcc_lo, 0, v60
	s_wait_loadcnt 0x0
	v_add_nc_u64_e32 v[2:3], s[28:29], v[50:51]
	v_cndmask_b32_e64 v6, 1, 2, vcc_lo
	v_cmp_eq_u32_e32 vcc_lo, 0, v58
	s_delay_alu instid0(VALU_DEP_3) | instskip(NEXT) | instid1(VALU_DEP_3)
	v_add_nc_u64_e32 v[52:53], v[2:3], v[18:19]
	v_bitop3_b16 v4, v4, v6, v5 bitop3:0x80
	v_cndmask_b32_e64 v5, 1, 2, vcc_lo
	v_cmp_eq_u32_e32 vcc_lo, 0, v57
	v_cndmask_b32_e64 v6, 1, 2, vcc_lo
	v_cmp_eq_u32_e32 vcc_lo, 0, v21
	s_delay_alu instid0(VALU_DEP_2) | instskip(SKIP_4) | instid1(VALU_DEP_2)
	v_bitop3_b16 v2, v4, v6, v5 bitop3:0x80
	v_cndmask_b32_e64 v3, 1, 2, vcc_lo
	v_cmp_eq_u32_e32 vcc_lo, 0, v56
	v_cndmask_b32_e64 v4, 1, 2, vcc_lo
	v_cmp_eq_u32_e32 vcc_lo, 0, v59
	v_bitop3_b16 v2, v2, v4, v3 bitop3:0x80
	v_cndmask_b32_e64 v3, 1, 2, vcc_lo
	v_cmp_eq_u32_e32 vcc_lo, 0, v61
	v_cndmask_b32_e64 v4, 1, 2, vcc_lo
	v_cmp_gt_u32_e32 vcc_lo, 0x100, v16
	s_delay_alu instid0(VALU_DEP_2) | instskip(NEXT) | instid1(VALU_DEP_1)
	v_bitop3_b16 v2, v2, v4, v3 bitop3:0x80
	v_cmp_gt_i16_e64 s15, 2, v2
	s_cbranch_vccz .LBB88_107
; %bb.101:
	s_and_saveexec_b32 s16, s15
	s_cbranch_execz .LBB88_106
; %bb.102:
	s_mov_b32 s17, 0
	s_mov_b32 s15, exec_lo
	v_cmpx_ne_u16_e32 1, v2
	s_xor_b32 s15, exec_lo, s15
	s_cbranch_execnz .LBB88_149
; %bb.103:
	s_and_not1_saveexec_b32 s15, s15
	s_cbranch_execnz .LBB88_164
.LBB88_104:
	s_or_b32 exec_lo, exec_lo, s15
	s_delay_alu instid0(SALU_CYCLE_1)
	s_and_b32 exec_lo, exec_lo, s17
	s_cbranch_execz .LBB88_106
.LBB88_105:
	v_dual_sub_nc_u32 v3, v22, v18 :: v_dual_lshrrev_b32 v4, 24, v12
	v_readfirstlane_b32 s18, v52
	v_readfirstlane_b32 s19, v53
	global_store_b8 v3, v4, s[18:19]
.LBB88_106:
	s_wait_xcnt 0x0
	s_or_b32 exec_lo, exec_lo, s16
	s_mov_b32 s16, 0
.LBB88_107:
	s_delay_alu instid0(SALU_CYCLE_1)
	s_and_b32 vcc_lo, exec_lo, s16
	s_cbranch_vccz .LBB88_128
; %bb.108:
	s_mov_b32 s15, exec_lo
	v_cmpx_gt_i16_e32 2, v2
	s_cbranch_execz .LBB88_113
; %bb.109:
	s_mov_b32 s17, 0
	s_mov_b32 s16, exec_lo
	v_cmpx_ne_u16_e32 1, v2
	s_xor_b32 s16, exec_lo, s16
	s_cbranch_execnz .LBB88_165
; %bb.110:
	s_and_not1_saveexec_b32 s0, s16
	s_cbranch_execnz .LBB88_180
.LBB88_111:
	s_or_b32 exec_lo, exec_lo, s0
	s_delay_alu instid0(SALU_CYCLE_1)
	s_and_b32 exec_lo, exec_lo, s17
.LBB88_112:
	v_dual_sub_nc_u32 v1, v22, v18 :: v_dual_lshrrev_b32 v2, 24, v12
	ds_store_b8 v1, v2
.LBB88_113:
	s_or_b32 exec_lo, exec_lo, s15
	s_delay_alu instid0(SALU_CYCLE_1)
	s_mov_b32 s0, exec_lo
	s_wait_storecnt_dscnt 0x0
	s_barrier_signal -1
	s_barrier_wait -1
	v_cmpx_lt_u32_e64 v0, v16
	s_cbranch_execz .LBB88_127
; %bb.114:
	v_xad_u32 v2, v0, -1, v16
	v_mov_b32_e32 v1, v0
	s_mov_b32 s5, -1
	s_mov_b32 s3, exec_lo
	s_delay_alu instid0(VALU_DEP_2)
	v_cmp_gt_u32_e64 s1, 0x1f00, v2
	v_cmpx_lt_u32_e32 0x1eff, v2
	s_cbranch_execz .LBB88_124
; %bb.115:
	v_sub_nc_u32_e32 v1, v0, v16
	s_delay_alu instid0(VALU_DEP_1) | instskip(NEXT) | instid1(VALU_DEP_1)
	v_or_b32_e32 v1, 0xff, v1
	v_cmp_ge_u32_e32 vcc_lo, v1, v0
	v_mov_b32_e32 v1, v0
	s_and_saveexec_b32 s4, vcc_lo
	s_cbranch_execz .LBB88_123
; %bb.116:
	v_or_b32_e32 v7, 0x700, v0
	v_or_b32_e32 v6, 0x600, v0
	v_dual_mov_b32 v54, 0 :: v_dual_lshrrev_b32 v17, 8, v2
	v_or_b32_e32 v5, 0x500, v0
	v_or_b32_e32 v4, 0x400, v0
	;; [unrolled: 1-line block ×5, first 2 shown]
	v_mov_b64_e32 v[14:15], v[6:7]
	v_mov_b64_e32 v[12:13], v[4:5]
	v_add_nc_u32_e32 v69, -7, v17
	v_mov_b64_e32 v[10:11], v[2:3]
	v_mov_b64_e32 v[8:9], v[0:1]
	s_mov_b32 s5, exec_lo
	s_delay_alu instid0(VALU_DEP_3)
	v_cmpx_lt_u32_e32 7, v69
	s_cbranch_execz .LBB88_120
; %bb.117:
	v_dual_mov_b32 v55, 0 :: v_dual_lshrrev_b32 v8, 3, v69
	s_mov_b32 s6, 0
	s_mov_b32 s7, 0
	s_delay_alu instid0(VALU_DEP_1) | instskip(NEXT) | instid1(VALU_DEP_1)
	v_dual_mov_b32 v70, v0 :: v_dual_add_nc_u32 v8, 1, v8
	v_and_b32_e32 v71, 0x3ffffffe, v8
	v_mov_b64_e32 v[14:15], v[6:7]
	v_mov_b64_e32 v[12:13], v[4:5]
	v_mov_b64_e32 v[10:11], v[2:3]
	v_mov_b64_e32 v[8:9], v[0:1]
.LBB88_118:                             ; =>This Inner Loop Header: Depth=1
	s_delay_alu instid0(VALU_DEP_1)
	v_dual_mov_b32 v54, v8 :: v_dual_mov_b32 v79, v55
	v_add_nc_u32_e32 v71, -2, v71
	s_add_co_i32 s7, s7, 16
	s_delay_alu instid0(VALU_DEP_3) | instid1(SALU_CYCLE_1)
	v_dual_mov_b32 v1, s7 :: v_dual_add_nc_u32 v78, 0x800, v9
	s_delay_alu instid0(VALU_DEP_3)
	v_add_nc_u64_e32 v[80:81], v[52:53], v[54:55]
	v_dual_mov_b32 v54, v9 :: v_dual_add_nc_u32 v9, 0x1000, v9
	ds_load_u8 v88, v70
	ds_load_u8 v89, v70 offset:256
	ds_load_u8 v90, v70 offset:512
	;; [unrolled: 1-line block ×7, first 2 shown]
	v_dual_mov_b32 v5, v55 :: v_dual_add_nc_u32 v74, 0x800, v11
	v_add_nc_u64_e32 v[82:83], v[52:53], v[54:55]
	v_mov_b32_e32 v54, v10
	ds_load_u8 v96, v70 offset:2048
	ds_load_u8 v97, v70 offset:2304
	;; [unrolled: 1-line block ×8, first 2 shown]
	v_dual_mov_b32 v77, v55 :: v_dual_add_nc_u32 v2, 0x800, v15
	s_wait_dscnt 0xf
	global_store_b8 v[80:81], v88, off
	s_wait_dscnt 0xe
	global_store_b8 v[82:83], v89, off
	v_add_nc_u64_e32 v[84:85], v[52:53], v[54:55]
	v_dual_mov_b32 v54, v11 :: v_dual_add_nc_u32 v11, 0x1000, v11
	v_dual_mov_b32 v3, v55 :: v_dual_add_nc_u32 v76, 0x800, v10
	;; [unrolled: 1-line block ×3, first 2 shown]
	s_delay_alu instid0(VALU_DEP_3)
	v_add_nc_u64_e32 v[86:87], v[52:53], v[54:55]
	v_mov_b32_e32 v54, v12
	s_wait_dscnt 0xd
	global_store_b8 v[84:85], v90, off
	v_dual_mov_b32 v73, v55 :: v_dual_add_nc_u32 v6, 0x800, v13
	v_dual_mov_b32 v7, v55 :: v_dual_add_nc_u32 v72, 0x800, v12
	s_wait_xcnt 0x2
	v_add_nc_u64_e32 v[80:81], v[52:53], v[54:55]
	v_mov_b32_e32 v54, v13
	s_wait_dscnt 0xc
	global_store_b8 v[86:87], v91, off
	v_cmp_eq_u32_e32 vcc_lo, 0, v71
	v_add_nc_u32_e32 v70, 0x1000, v70
	v_add_nc_u64_e32 v[78:79], v[52:53], v[78:79]
	s_wait_xcnt 0x2
	v_add_nc_u64_e32 v[82:83], v[52:53], v[54:55]
	v_mov_b32_e32 v54, v14
	s_wait_dscnt 0xb
	global_store_b8 v[80:81], v92, off
	v_add_nc_u32_e32 v10, 0x1000, v10
	v_add_nc_u32_e32 v12, 0x1000, v12
	;; [unrolled: 1-line block ×3, first 2 shown]
	s_wait_xcnt 0x0
	v_add_nc_u64_e32 v[80:81], v[52:53], v[54:55]
	v_mov_b32_e32 v54, v15
	s_wait_dscnt 0xa
	global_store_b8 v[82:83], v93, off
	v_add_nc_u32_e32 v14, 0x1000, v14
	v_add_nc_u32_e32 v15, 0x1000, v15
	v_add_nc_u64_e32 v[76:77], v[52:53], v[76:77]
	s_wait_xcnt 0x0
	v_add_nc_u64_e32 v[82:83], v[52:53], v[54:55]
	v_add_nc_u32_e32 v54, 0x800, v8
	s_wait_dscnt 0x9
	global_store_b8 v[80:81], v94, off
	v_add_nc_u32_e32 v8, 0x1000, v8
	v_add_nc_u64_e32 v[74:75], v[52:53], v[74:75]
	v_add_nc_u64_e32 v[72:73], v[52:53], v[72:73]
	s_wait_xcnt 0x0
	v_add_nc_u64_e32 v[80:81], v[52:53], v[54:55]
	s_or_b32 s6, vcc_lo, s6
	v_add_nc_u64_e32 v[6:7], v[52:53], v[6:7]
	v_add_nc_u64_e32 v[4:5], v[52:53], v[4:5]
	;; [unrolled: 1-line block ×3, first 2 shown]
	s_wait_dscnt 0x8
	global_store_b8 v[82:83], v95, off
	s_wait_dscnt 0x7
	global_store_b8 v[80:81], v96, off
	;; [unrolled: 2-line block ×9, first 2 shown]
	s_wait_xcnt 0x0
	s_and_not1_b32 exec_lo, exec_lo, s6
	s_cbranch_execnz .LBB88_118
; %bb.119:
	s_or_b32 exec_lo, exec_lo, s6
	v_lshlrev_b32_e32 v54, 8, v1
.LBB88_120:
	s_or_b32 exec_lo, exec_lo, s5
	v_and_b32_e32 v1, 8, v69
	s_mov_b32 s5, exec_lo
	s_delay_alu instid0(VALU_DEP_1)
	v_cmpx_eq_u32_e32 0, v1
	s_cbranch_execz .LBB88_122
; %bb.121:
	v_dual_mov_b32 v3, 0 :: v_dual_mov_b32 v2, v8
	v_or_b32_e32 v1, v0, v54
	ds_load_u8 v69, v1
	ds_load_u8 v72, v1 offset:256
	ds_load_u8 v73, v1 offset:512
	;; [unrolled: 1-line block ×7, first 2 shown]
	v_add_nc_u64_e32 v[4:5], v[52:53], v[2:3]
	v_mov_b32_e32 v2, v9
	s_delay_alu instid0(VALU_DEP_1) | instskip(SKIP_1) | instid1(VALU_DEP_1)
	v_add_nc_u64_e32 v[6:7], v[52:53], v[2:3]
	v_mov_b32_e32 v2, v10
	v_add_nc_u64_e32 v[8:9], v[52:53], v[2:3]
	v_mov_b32_e32 v2, v11
	s_delay_alu instid0(VALU_DEP_1) | instskip(SKIP_1) | instid1(VALU_DEP_1)
	v_add_nc_u64_e32 v[10:11], v[52:53], v[2:3]
	v_mov_b32_e32 v2, v12
	;; [unrolled: 5-line block ×3, first 2 shown]
	v_add_nc_u64_e32 v[70:71], v[52:53], v[2:3]
	v_mov_b32_e32 v2, v15
	s_delay_alu instid0(VALU_DEP_1)
	v_add_nc_u64_e32 v[2:3], v[52:53], v[2:3]
	s_wait_dscnt 0x7
	global_store_b8 v[4:5], v69, off
	s_wait_dscnt 0x6
	global_store_b8 v[6:7], v72, off
	;; [unrolled: 2-line block ×8, first 2 shown]
.LBB88_122:
	s_wait_xcnt 0x0
	s_or_b32 exec_lo, exec_lo, s5
	v_add_nc_u32_e32 v1, 1, v17
	s_delay_alu instid0(VALU_DEP_1) | instskip(NEXT) | instid1(VALU_DEP_1)
	v_and_b32_e32 v2, 0x1fffff8, v1
	v_cmp_ne_u32_e32 vcc_lo, v1, v2
	v_lshl_or_b32 v1, v2, 8, v0
	s_or_not1_b32 s5, vcc_lo, exec_lo
.LBB88_123:
	s_or_b32 exec_lo, exec_lo, s4
	s_delay_alu instid0(SALU_CYCLE_1) | instskip(SKIP_1) | instid1(SALU_CYCLE_1)
	s_and_not1_b32 s1, s1, exec_lo
	s_and_b32 s4, s5, exec_lo
	s_or_b32 s1, s1, s4
.LBB88_124:
	s_or_b32 exec_lo, exec_lo, s3
	s_delay_alu instid0(SALU_CYCLE_1)
	s_and_b32 exec_lo, exec_lo, s1
	s_cbranch_execz .LBB88_127
; %bb.125:
	s_mov_b32 s1, 0
.LBB88_126:                             ; =>This Inner Loop Header: Depth=1
	ds_load_u8 v2, v1
	v_readfirstlane_b32 s4, v52
	v_readfirstlane_b32 s5, v53
	s_wait_dscnt 0x0
	global_store_b8 v1, v2, s[4:5]
	s_wait_xcnt 0x0
	v_add_nc_u32_e32 v1, 0x100, v1
	s_delay_alu instid0(VALU_DEP_1) | instskip(SKIP_1) | instid1(SALU_CYCLE_1)
	v_cmp_ge_u32_e32 vcc_lo, v1, v16
	s_or_b32 s1, vcc_lo, s1
	s_and_not1_b32 exec_lo, exec_lo, s1
	s_cbranch_execnz .LBB88_126
.LBB88_127:
	s_or_b32 exec_lo, exec_lo, s0
.LBB88_128:
	s_cmp_lg_u32 s33, 0xe00
	v_cndmask_b32_e64 v6, 0, 1, s41
	s_cselect_b32 s0, -1, 0
	s_lshr_b32 s1, s33, 1
	s_and_b32 s0, s0, s27
	v_mad_i32_i24 v3, v0, -14, s33
	v_cndmask_b32_e64 v2, 0, 1, s0
	s_mul_hi_u32 s0, s1, 0x92492493
	s_and_b32 s1, s2, s41
	s_lshr_b32 s0, s0, 2
	v_cndmask_b32_e64 v4, v68, 0, s1
	v_cmp_eq_u32_e32 vcc_lo, s0, v0
	v_cmp_ne_u32_e64 s0, 0, v3
	v_sub_nc_u32_e32 v1, v16, v6
	s_mov_b32 s15, -1
	s_wait_storecnt 0x0
	s_and_b32 vcc_lo, vcc_lo, s27
	s_barrier_signal -1
	v_dual_add_nc_u32 v1, v1, v2 :: v_dual_cndmask_b32 v2, 1, v4, s0
	v_cmp_ne_u32_e64 s0, 1, v3
	s_barrier_wait -1
	s_delay_alu instid0(VALU_DEP_1) | instskip(SKIP_1) | instid1(VALU_DEP_2)
	v_dual_cndmask_b32 v54, v4, v2, vcc_lo :: v_dual_cndmask_b32 v5, 1, v67, s0
	v_cmp_ne_u32_e64 s0, 2, v3
	v_cmp_ne_u32_e64 s13, 0, v54
	s_delay_alu instid0(VALU_DEP_2) | instskip(SKIP_1) | instid1(VALU_DEP_1)
	v_cndmask_b32_e64 v7, 1, v66, s0
	v_cmp_ne_u32_e64 s0, 3, v3
	v_cndmask_b32_e64 v8, 1, v65, s0
	v_cmp_ne_u32_e64 s0, 4, v3
	s_delay_alu instid0(VALU_DEP_4) | instskip(SKIP_1) | instid1(VALU_DEP_3)
	v_dual_cndmask_b32 v55, v67, v5, vcc_lo :: v_dual_cndmask_b32 v7, v66, v7, vcc_lo
	v_lshlrev_b64_e32 v[4:5], 3, v[18:19]
	v_cndmask_b32_e64 v9, 1, v63, s0
	v_cmp_ne_u32_e64 s0, 5, v3
	s_delay_alu instid0(VALU_DEP_4) | instskip(SKIP_1) | instid1(VALU_DEP_3)
	v_cmp_ne_u32_e64 s11, 0, v7
	v_cmp_ne_u32_e64 s12, 0, v55
	v_cndmask_b32_e64 v10, 1, v64, s0
	v_cmp_ne_u32_e64 s0, 6, v3
	v_dual_cndmask_b32 v8, v65, v8 :: v_dual_cndmask_b32 v9, v63, v9
	s_delay_alu instid0(VALU_DEP_3) | instskip(NEXT) | instid1(VALU_DEP_3)
	v_cndmask_b32_e32 v10, v64, v10, vcc_lo
	v_cndmask_b32_e64 v11, 1, v62, s0
	v_cmp_ne_u32_e64 s0, 7, v3
	s_delay_alu instid0(VALU_DEP_4) | instskip(SKIP_2) | instid1(VALU_DEP_4)
	v_cmp_ne_u32_e64 s10, 0, v8
	v_cmp_ne_u32_e64 s9, 0, v9
	;; [unrolled: 1-line block ×3, first 2 shown]
	v_cndmask_b32_e64 v12, 1, v60, s0
	v_cmp_ne_u32_e64 s0, 8, v3
	s_delay_alu instid0(VALU_DEP_1) | instskip(SKIP_1) | instid1(VALU_DEP_2)
	v_dual_cndmask_b32 v11, v62, v11, vcc_lo :: v_dual_cndmask_b32 v13, 1, v58, s0
	v_cmp_ne_u32_e64 s0, 9, v3
	v_cmp_ne_u32_e64 s7, 0, v11
	s_delay_alu instid0(VALU_DEP_2) | instskip(SKIP_2) | instid1(VALU_DEP_2)
	v_cndmask_b32_e64 v14, 1, v57, s0
	v_cmp_ne_u32_e64 s0, 10, v3
	v_dual_cndmask_b32 v12, v60, v12 :: v_dual_cndmask_b32 v13, v58, v13
	v_dual_cndmask_b32 v14, v57, v14, vcc_lo :: v_dual_cndmask_b32 v15, 1, v21, s0
	v_cmp_ne_u32_e64 s0, 13, v3
	s_delay_alu instid0(VALU_DEP_3) | instskip(NEXT) | instid1(VALU_DEP_4)
	v_cmp_ne_u32_e64 s6, 0, v12
	v_cmp_ne_u32_e64 s5, 0, v13
	s_delay_alu instid0(VALU_DEP_4) | instskip(NEXT) | instid1(VALU_DEP_4)
	v_cmp_ne_u32_e64 s4, 0, v14
	v_cndmask_b32_e64 v17, 1, v61, s0
	v_cmp_ne_u32_e64 s0, 12, v3
	s_delay_alu instid0(VALU_DEP_1) | instskip(SKIP_2) | instid1(VALU_DEP_3)
	v_cndmask_b32_e64 v52, 1, v59, s0
	v_cmp_ne_u32_e64 s0, 11, v3
	v_lshlrev_b64_e32 v[2:3], 3, v[50:51]
	v_dual_cndmask_b32 v15, v21, v15 :: v_dual_cndmask_b32 v52, v59, v52
	s_delay_alu instid0(VALU_DEP_3) | instskip(SKIP_1) | instid1(VALU_DEP_4)
	v_dual_cndmask_b32 v53, 1, v56, s0 :: v_dual_cndmask_b32 v17, v61, v17, vcc_lo
	v_cmp_eq_u32_e64 s0, 0, v54
	v_add_nc_u64_e32 v[2:3], s[30:31], v[2:3]
	s_delay_alu instid0(VALU_DEP_4) | instskip(NEXT) | instid1(VALU_DEP_4)
	v_cmp_ne_u32_e64 s3, 0, v15
	v_cndmask_b32_e32 v53, v56, v53, vcc_lo
	v_cmp_eq_u32_e32 vcc_lo, 0, v13
	v_cndmask_b32_e64 v59, 1, 2, s0
	v_cmp_eq_u32_e64 s0, 0, v55
	v_cmp_ne_u32_e64 s1, 0, v52
	v_add_nc_u64_e32 v[2:3], v[2:3], v[4:5]
	v_dual_mov_b32 v5, 0 :: v_dual_lshlrev_b32 v4, 3, v6
	s_delay_alu instid0(VALU_DEP_4)
	v_cndmask_b32_e64 v61, 1, 2, s0
	v_cmp_eq_u32_e64 s0, 0, v7
	v_add_nc_u32_e32 v6, v18, v6
	v_cmp_ne_u32_e64 s2, 0, v53
	v_add_nc_u64_e32 v[4:5], v[2:3], v[4:5]
	v_and_b32_e32 v59, v61, v59
	v_cndmask_b32_e64 v61, 1, 2, s0
	v_cmp_eq_u32_e64 s0, 0, v8
	s_delay_alu instid0(VALU_DEP_4) | instskip(NEXT) | instid1(VALU_DEP_2)
	v_add_nc_u64_e32 v[4:5], -8, v[4:5]
	v_cndmask_b32_e64 v64, 1, 2, s0
	v_cmp_eq_u32_e64 s0, 0, v9
	s_delay_alu instid0(VALU_DEP_2) | instskip(NEXT) | instid1(VALU_DEP_2)
	v_bitop3_b16 v59, v59, v64, v61 bitop3:0x80
	v_cndmask_b32_e64 v61, 1, 2, s0
	v_cmp_eq_u32_e64 s0, 0, v10
	s_delay_alu instid0(VALU_DEP_1) | instskip(SKIP_1) | instid1(VALU_DEP_2)
	v_cndmask_b32_e64 v63, 1, 2, s0
	v_cmp_eq_u32_e64 s0, 0, v11
	v_bitop3_b16 v56, v59, v63, v61 bitop3:0x80
	s_delay_alu instid0(VALU_DEP_2) | instskip(SKIP_1) | instid1(VALU_DEP_1)
	v_cndmask_b32_e64 v59, 1, 2, s0
	v_cmp_eq_u32_e64 s0, 0, v12
	v_cndmask_b32_e64 v60, 1, 2, s0
	v_cmp_ne_u32_e64 s0, 0, v17
	s_delay_alu instid0(VALU_DEP_2) | instskip(SKIP_4) | instid1(VALU_DEP_2)
	v_bitop3_b16 v21, v56, v60, v59 bitop3:0x80
	v_cndmask_b32_e64 v56, 1, 2, vcc_lo
	v_cmp_eq_u32_e32 vcc_lo, 0, v14
	v_cndmask_b32_e64 v57, 1, 2, vcc_lo
	v_cmp_eq_u32_e32 vcc_lo, 0, v15
	v_bitop3_b16 v7, v21, v57, v56 bitop3:0x80
	v_cndmask_b32_e64 v21, 1, 2, vcc_lo
	v_cmp_eq_u32_e32 vcc_lo, 0, v53
	v_cndmask_b32_e64 v54, 1, 2, vcc_lo
	v_cmp_eq_u32_e32 vcc_lo, 0, v52
	s_delay_alu instid0(VALU_DEP_2) | instskip(SKIP_4) | instid1(VALU_DEP_2)
	v_bitop3_b16 v7, v7, v54, v21 bitop3:0x80
	v_cndmask_b32_e64 v8, 1, 2, vcc_lo
	v_cmp_eq_u32_e32 vcc_lo, 0, v17
	v_cndmask_b32_e64 v9, 1, 2, vcc_lo
	v_cmp_gt_u32_e32 vcc_lo, 0x100, v1
	v_bitop3_b16 v7, v7, v9, v8 bitop3:0x80
	s_delay_alu instid0(VALU_DEP_1)
	v_cmp_gt_i16_e64 s14, 2, v7
	s_cbranch_vccnz .LBB88_132
; %bb.129:
	s_and_b32 vcc_lo, exec_lo, s15
	s_cbranch_vccnz .LBB88_138
.LBB88_130:
	v_cmp_eq_u32_e32 vcc_lo, 0xff, v0
	s_and_b32 s0, vcc_lo, s27
	s_delay_alu instid0(SALU_CYCLE_1)
	s_and_saveexec_b32 s1, s0
	s_cbranch_execnz .LBB88_147
.LBB88_131:
	s_sendmsg sendmsg(MSG_DEALLOC_VGPRS)
	s_endpgm
.LBB88_132:
	s_and_saveexec_b32 s15, s14
	s_cbranch_execz .LBB88_137
; %bb.133:
	s_mov_b32 s16, 0
	s_mov_b32 s14, exec_lo
	v_cmpx_ne_u16_e32 1, v7
	s_xor_b32 s14, exec_lo, s14
	s_cbranch_execnz .LBB88_181
; %bb.134:
	s_and_not1_saveexec_b32 s14, s14
	s_cbranch_execnz .LBB88_196
.LBB88_135:
	s_or_b32 exec_lo, exec_lo, s14
	s_delay_alu instid0(SALU_CYCLE_1)
	s_and_b32 exec_lo, exec_lo, s16
	s_cbranch_execz .LBB88_137
.LBB88_136:
	v_dual_mov_b32 v9, 0 :: v_dual_mov_b32 v8, v23
	v_sub_nc_u32_e32 v10, v22, v6
	v_readfirstlane_b32 s16, v4
	v_readfirstlane_b32 s17, v5
	global_store_b64 v10, v[8:9], s[16:17] scale_offset
.LBB88_137:
	s_wait_xcnt 0x0
	s_or_b32 exec_lo, exec_lo, s15
	s_branch .LBB88_130
.LBB88_138:
	s_mov_b32 s14, exec_lo
	v_cmpx_gt_i16_e32 2, v7
	s_cbranch_execz .LBB88_143
; %bb.139:
	s_mov_b32 s16, 0
	s_mov_b32 s15, exec_lo
	v_cmpx_ne_u16_e32 1, v7
	s_xor_b32 s15, exec_lo, s15
	s_cbranch_execnz .LBB88_197
; %bb.140:
	s_and_not1_saveexec_b32 s0, s15
	s_cbranch_execnz .LBB88_212
.LBB88_141:
	s_or_b32 exec_lo, exec_lo, s0
	s_delay_alu instid0(SALU_CYCLE_1)
	s_and_b32 exec_lo, exec_lo, s16
.LBB88_142:
	v_sub_nc_u32_e32 v6, v22, v6
	s_delay_alu instid0(VALU_DEP_1)
	v_lshlrev_b32_e32 v6, 2, v6
	ds_store_b32 v6, v23
.LBB88_143:
	s_or_b32 exec_lo, exec_lo, s14
	s_delay_alu instid0(SALU_CYCLE_1)
	s_mov_b32 s0, exec_lo
	s_wait_storecnt_dscnt 0x0
	s_barrier_signal -1
	s_barrier_wait -1
	v_cmpx_lt_u32_e64 v0, v1
	s_cbranch_execz .LBB88_146
; %bb.144:
	v_dual_mov_b32 v7, 0 :: v_dual_lshlrev_b32 v8, 2, v0
	v_mov_b32_e32 v9, v0
	s_mov_b32 s1, 0
.LBB88_145:                             ; =>This Inner Loop Header: Depth=1
	ds_load_b32 v6, v8
	v_readfirstlane_b32 s2, v4
	v_readfirstlane_b32 s3, v5
	v_add_nc_u32_e32 v8, 0x400, v8
	s_wait_dscnt 0x0
	global_store_b64 v9, v[6:7], s[2:3] scale_offset
	s_wait_xcnt 0x0
	v_add_nc_u32_e32 v9, 0x100, v9
	s_delay_alu instid0(VALU_DEP_1) | instskip(SKIP_1) | instid1(SALU_CYCLE_1)
	v_cmp_ge_u32_e32 vcc_lo, v9, v1
	s_or_b32 s1, vcc_lo, s1
	s_and_not1_b32 exec_lo, exec_lo, s1
	s_cbranch_execnz .LBB88_145
.LBB88_146:
	s_or_b32 exec_lo, exec_lo, s0
	v_cmp_eq_u32_e32 vcc_lo, 0xff, v0
	s_and_b32 s0, vcc_lo, s27
	s_delay_alu instid0(SALU_CYCLE_1)
	s_and_saveexec_b32 s1, s0
	s_cbranch_execz .LBB88_131
.LBB88_147:
	v_mov_b32_e32 v17, 0
	s_cmp_lg_u32 s33, 0xe00
	s_delay_alu instid0(VALU_DEP_1) | instskip(NEXT) | instid1(VALU_DEP_1)
	v_add_nc_u64_e32 v[0:1], v[16:17], v[18:19]
	v_add_nc_u64_e32 v[0:1], v[0:1], v[50:51]
	global_store_b64 v17, v[0:1], s[34:35]
	s_cbranch_scc1 .LBB88_131
; %bb.148:
	s_wait_xcnt 0x0
	v_lshlrev_b64_e32 v[0:1], 3, v[16:17]
	v_mov_b32_e32 v21, v17
	s_delay_alu instid0(VALU_DEP_2)
	v_add_nc_u64_e32 v[0:1], v[2:3], v[0:1]
	global_store_b64 v[0:1], v[20:21], off offset:-8
	s_sendmsg sendmsg(MSG_DEALLOC_VGPRS)
	s_endpgm
.LBB88_149:
	s_and_saveexec_b32 s17, s14
	s_cbranch_execnz .LBB88_213
; %bb.150:
	s_or_b32 exec_lo, exec_lo, s17
	s_and_saveexec_b32 s17, s13
	s_cbranch_execnz .LBB88_214
.LBB88_151:
	s_or_b32 exec_lo, exec_lo, s17
	s_and_saveexec_b32 s17, s12
	s_cbranch_execnz .LBB88_215
.LBB88_152:
	s_or_b32 exec_lo, exec_lo, s17
	s_and_saveexec_b32 s17, s11
	s_cbranch_execnz .LBB88_216
.LBB88_153:
	s_or_b32 exec_lo, exec_lo, s17
	s_and_saveexec_b32 s17, s10
	s_cbranch_execnz .LBB88_217
.LBB88_154:
	s_or_b32 exec_lo, exec_lo, s17
	s_and_saveexec_b32 s17, s9
	s_cbranch_execnz .LBB88_218
.LBB88_155:
	s_or_b32 exec_lo, exec_lo, s17
	s_and_saveexec_b32 s17, s8
	s_cbranch_execnz .LBB88_219
.LBB88_156:
	s_or_b32 exec_lo, exec_lo, s17
	s_and_saveexec_b32 s17, s7
	s_cbranch_execnz .LBB88_220
.LBB88_157:
	s_or_b32 exec_lo, exec_lo, s17
	s_and_saveexec_b32 s17, s6
	s_cbranch_execnz .LBB88_221
.LBB88_158:
	s_or_b32 exec_lo, exec_lo, s17
	s_and_saveexec_b32 s17, s5
	s_cbranch_execnz .LBB88_222
.LBB88_159:
	s_or_b32 exec_lo, exec_lo, s17
	s_and_saveexec_b32 s17, s4
	s_cbranch_execnz .LBB88_223
.LBB88_160:
	s_or_b32 exec_lo, exec_lo, s17
	s_and_saveexec_b32 s17, s3
	s_cbranch_execnz .LBB88_224
.LBB88_161:
	s_or_b32 exec_lo, exec_lo, s17
	s_and_saveexec_b32 s17, s1
	s_cbranch_execz .LBB88_163
.LBB88_162:
	v_sub_nc_u32_e32 v3, v28, v18
	v_readfirstlane_b32 s18, v52
	v_readfirstlane_b32 s19, v53
	global_store_d16_hi_b8 v3, v12, s[18:19]
.LBB88_163:
	s_wait_xcnt 0x0
	s_or_b32 exec_lo, exec_lo, s17
	s_delay_alu instid0(SALU_CYCLE_1)
	s_and_b32 s17, s0, exec_lo
	s_and_not1_saveexec_b32 s15, s15
	s_cbranch_execz .LBB88_104
.LBB88_164:
	v_dual_sub_nc_u32 v3, v44, v18 :: v_dual_sub_nc_u32 v5, v46, v18
	v_readfirstlane_b32 s18, v52
	v_readfirstlane_b32 s19, v53
	v_sub_nc_u32_e32 v4, v48, v18
	s_clause 0x2
	global_store_b8 v3, v1, s[18:19]
	global_store_b8 v4, v13, s[18:19]
	;; [unrolled: 1-line block ×3, first 2 shown]
	s_wait_xcnt 0x2
	v_sub_nc_u32_e32 v3, v42, v18
	s_wait_xcnt 0x1
	v_dual_lshrrev_b32 v4, 8, v10 :: v_dual_lshrrev_b32 v7, 24, v10
	s_wait_xcnt 0x0
	v_dual_sub_nc_u32 v5, v38, v18 :: v_dual_sub_nc_u32 v6, v32, v18
	v_dual_sub_nc_u32 v8, v34, v18 :: v_dual_sub_nc_u32 v9, v40, v18
	v_lshrrev_b32_e32 v14, 8, v11
	s_clause 0x4
	global_store_b8 v3, v4, s[18:19]
	global_store_d16_hi_b8 v5, v10, s[18:19]
	global_store_b8 v6, v7, s[18:19]
	global_store_b8 v8, v11, s[18:19]
	;; [unrolled: 1-line block ×3, first 2 shown]
	s_wait_xcnt 0x4
	v_dual_sub_nc_u32 v3, v24, v18 :: v_dual_sub_nc_u32 v4, v26, v18
	s_wait_xcnt 0x1
	v_dual_lshrrev_b32 v5, 24, v11 :: v_dual_lshrrev_b32 v8, 8, v12
	v_dual_sub_nc_u32 v6, v30, v18 :: v_dual_sub_nc_u32 v7, v36, v18
	global_store_d16_hi_b8 v3, v11, s[18:19]
	s_wait_xcnt 0x0
	v_sub_nc_u32_e32 v3, v28, v18
	s_or_b32 s17, s17, exec_lo
	s_clause 0x3
	global_store_b8 v4, v5, s[18:19]
	global_store_b8 v6, v12, s[18:19]
	;; [unrolled: 1-line block ×3, first 2 shown]
	global_store_d16_hi_b8 v3, v12, s[18:19]
	s_wait_xcnt 0x0
	s_or_b32 exec_lo, exec_lo, s15
	s_delay_alu instid0(SALU_CYCLE_1)
	s_and_b32 exec_lo, exec_lo, s17
	s_cbranch_execnz .LBB88_105
	s_branch .LBB88_106
.LBB88_165:
	s_and_saveexec_b32 s17, s14
	s_cbranch_execnz .LBB88_225
; %bb.166:
	s_or_b32 exec_lo, exec_lo, s17
	s_and_saveexec_b32 s14, s13
	s_cbranch_execnz .LBB88_226
.LBB88_167:
	s_or_b32 exec_lo, exec_lo, s14
	s_and_saveexec_b32 s13, s12
	s_cbranch_execnz .LBB88_227
.LBB88_168:
	s_or_b32 exec_lo, exec_lo, s13
	s_and_saveexec_b32 s12, s11
	s_cbranch_execnz .LBB88_228
.LBB88_169:
	s_or_b32 exec_lo, exec_lo, s12
	s_and_saveexec_b32 s11, s10
	s_cbranch_execnz .LBB88_229
.LBB88_170:
	s_or_b32 exec_lo, exec_lo, s11
	s_and_saveexec_b32 s10, s9
	s_cbranch_execnz .LBB88_230
.LBB88_171:
	s_or_b32 exec_lo, exec_lo, s10
	s_and_saveexec_b32 s9, s8
	s_cbranch_execnz .LBB88_231
.LBB88_172:
	s_or_b32 exec_lo, exec_lo, s9
	s_and_saveexec_b32 s8, s7
	s_cbranch_execnz .LBB88_232
.LBB88_173:
	s_or_b32 exec_lo, exec_lo, s8
	s_and_saveexec_b32 s7, s6
	s_cbranch_execnz .LBB88_233
.LBB88_174:
	s_or_b32 exec_lo, exec_lo, s7
	s_and_saveexec_b32 s6, s5
	s_cbranch_execnz .LBB88_234
.LBB88_175:
	s_or_b32 exec_lo, exec_lo, s6
	s_and_saveexec_b32 s5, s4
	s_cbranch_execnz .LBB88_235
.LBB88_176:
	s_or_b32 exec_lo, exec_lo, s5
	s_and_saveexec_b32 s4, s3
	s_cbranch_execnz .LBB88_236
.LBB88_177:
	s_or_b32 exec_lo, exec_lo, s4
	s_and_saveexec_b32 s3, s1
.LBB88_178:
	v_sub_nc_u32_e32 v1, v28, v18
	ds_store_b8_d16_hi v1, v12
.LBB88_179:
	s_or_b32 exec_lo, exec_lo, s3
	s_delay_alu instid0(SALU_CYCLE_1)
	s_and_b32 s17, s0, exec_lo
                                        ; implicit-def: $vgpr1
                                        ; implicit-def: $vgpr13
	s_and_not1_saveexec_b32 s0, s16
	s_cbranch_execz .LBB88_111
.LBB88_180:
	v_dual_sub_nc_u32 v2, v44, v18 :: v_dual_sub_nc_u32 v4, v46, v18
	v_dual_sub_nc_u32 v3, v48, v18 :: v_dual_sub_nc_u32 v6, v34, v18
	v_sub_nc_u32_e32 v7, v40, v18
	ds_store_b8 v2, v1
	ds_store_b8 v3, v13
	;; [unrolled: 1-line block ×3, first 2 shown]
	v_sub_nc_u32_e32 v1, v42, v18
	v_dual_lshrrev_b32 v2, 8, v10 :: v_dual_lshrrev_b32 v5, 24, v10
	v_dual_sub_nc_u32 v3, v38, v18 :: v_dual_sub_nc_u32 v4, v32, v18
	v_lshrrev_b32_e32 v8, 8, v11
	ds_store_b8 v1, v2
	ds_store_b8_d16_hi v3, v10
	ds_store_b8 v4, v5
	ds_store_b8 v6, v11
	;; [unrolled: 1-line block ×3, first 2 shown]
	v_dual_sub_nc_u32 v1, v24, v18 :: v_dual_sub_nc_u32 v2, v26, v18
	v_dual_lshrrev_b32 v3, 24, v11 :: v_dual_lshrrev_b32 v6, 8, v12
	v_dual_sub_nc_u32 v4, v30, v18 :: v_dual_sub_nc_u32 v5, v36, v18
	ds_store_b8_d16_hi v1, v11
	v_sub_nc_u32_e32 v1, v28, v18
	s_or_b32 s17, s17, exec_lo
	ds_store_b8 v2, v3
	ds_store_b8 v4, v12
	ds_store_b8 v5, v6
	ds_store_b8_d16_hi v1, v12
	s_or_b32 exec_lo, exec_lo, s0
	s_delay_alu instid0(SALU_CYCLE_1)
	s_and_b32 exec_lo, exec_lo, s17
	s_cbranch_execnz .LBB88_112
	s_branch .LBB88_113
.LBB88_181:
	s_and_saveexec_b32 s16, s13
	s_cbranch_execnz .LBB88_237
; %bb.182:
	s_or_b32 exec_lo, exec_lo, s16
	s_and_saveexec_b32 s16, s12
	s_cbranch_execnz .LBB88_238
.LBB88_183:
	s_or_b32 exec_lo, exec_lo, s16
	s_and_saveexec_b32 s16, s11
	s_cbranch_execnz .LBB88_239
.LBB88_184:
	s_or_b32 exec_lo, exec_lo, s16
	s_and_saveexec_b32 s16, s10
	s_cbranch_execnz .LBB88_240
.LBB88_185:
	s_or_b32 exec_lo, exec_lo, s16
	s_and_saveexec_b32 s16, s9
	s_cbranch_execnz .LBB88_241
.LBB88_186:
	s_or_b32 exec_lo, exec_lo, s16
	s_and_saveexec_b32 s16, s8
	s_cbranch_execnz .LBB88_242
.LBB88_187:
	s_or_b32 exec_lo, exec_lo, s16
	s_and_saveexec_b32 s16, s7
	s_cbranch_execnz .LBB88_243
.LBB88_188:
	s_or_b32 exec_lo, exec_lo, s16
	s_and_saveexec_b32 s16, s6
	s_cbranch_execnz .LBB88_244
.LBB88_189:
	s_or_b32 exec_lo, exec_lo, s16
	s_and_saveexec_b32 s16, s5
	s_cbranch_execnz .LBB88_245
.LBB88_190:
	s_or_b32 exec_lo, exec_lo, s16
	s_and_saveexec_b32 s16, s4
	s_cbranch_execnz .LBB88_246
.LBB88_191:
	s_or_b32 exec_lo, exec_lo, s16
	s_and_saveexec_b32 s16, s3
	s_cbranch_execnz .LBB88_247
.LBB88_192:
	s_or_b32 exec_lo, exec_lo, s16
	s_and_saveexec_b32 s16, s2
	s_cbranch_execnz .LBB88_248
.LBB88_193:
	s_or_b32 exec_lo, exec_lo, s16
	s_and_saveexec_b32 s16, s1
	s_cbranch_execz .LBB88_195
.LBB88_194:
	v_dual_mov_b32 v9, 0 :: v_dual_sub_nc_u32 v10, v28, v6
	v_mov_b32_e32 v8, v29
	v_readfirstlane_b32 s18, v4
	v_readfirstlane_b32 s19, v5
	global_store_b64 v10, v[8:9], s[18:19] scale_offset
.LBB88_195:
	s_wait_xcnt 0x0
	s_or_b32 exec_lo, exec_lo, s16
	s_delay_alu instid0(SALU_CYCLE_1)
	s_and_b32 s16, s0, exec_lo
	s_and_not1_saveexec_b32 s14, s14
	s_cbranch_execz .LBB88_135
.LBB88_196:
	v_dual_mov_b32 v9, 0 :: v_dual_mov_b32 v8, v45
	v_sub_nc_u32_e32 v10, v44, v6
	v_readfirstlane_b32 s18, v4
	v_readfirstlane_b32 s19, v5
	v_sub_nc_u32_e32 v11, v46, v6
	s_or_b32 s16, s16, exec_lo
	global_store_b64 v10, v[8:9], s[18:19] scale_offset
	s_wait_xcnt 0x0
	v_dual_sub_nc_u32 v10, v48, v6 :: v_dual_mov_b32 v8, v49
	global_store_b64 v10, v[8:9], s[18:19] scale_offset
	s_wait_xcnt 0x0
	v_dual_mov_b32 v8, v47 :: v_dual_sub_nc_u32 v10, v42, v6
	global_store_b64 v11, v[8:9], s[18:19] scale_offset
	s_wait_xcnt 0x0
	v_dual_mov_b32 v8, v43 :: v_dual_sub_nc_u32 v11, v38, v6
	;; [unrolled: 3-line block ×9, first 2 shown]
	global_store_b64 v11, v[8:9], s[18:19] scale_offset
	s_wait_xcnt 0x0
	v_mov_b32_e32 v8, v37
	global_store_b64 v10, v[8:9], s[18:19] scale_offset
	s_wait_xcnt 0x0
	v_dual_mov_b32 v8, v29 :: v_dual_sub_nc_u32 v10, v28, v6
	global_store_b64 v10, v[8:9], s[18:19] scale_offset
	s_wait_xcnt 0x0
	s_or_b32 exec_lo, exec_lo, s14
	s_delay_alu instid0(SALU_CYCLE_1)
	s_and_b32 exec_lo, exec_lo, s16
	s_cbranch_execnz .LBB88_136
	s_branch .LBB88_137
.LBB88_197:
	s_and_saveexec_b32 s16, s13
	s_cbranch_execnz .LBB88_249
; %bb.198:
	s_or_b32 exec_lo, exec_lo, s16
	s_and_saveexec_b32 s13, s12
	s_cbranch_execnz .LBB88_250
.LBB88_199:
	s_or_b32 exec_lo, exec_lo, s13
	s_and_saveexec_b32 s12, s11
	s_cbranch_execnz .LBB88_251
.LBB88_200:
	s_or_b32 exec_lo, exec_lo, s12
	s_and_saveexec_b32 s11, s10
	s_cbranch_execnz .LBB88_252
.LBB88_201:
	s_or_b32 exec_lo, exec_lo, s11
	s_and_saveexec_b32 s10, s9
	s_cbranch_execnz .LBB88_253
.LBB88_202:
	s_or_b32 exec_lo, exec_lo, s10
	s_and_saveexec_b32 s9, s8
	s_cbranch_execnz .LBB88_254
.LBB88_203:
	s_or_b32 exec_lo, exec_lo, s9
	s_and_saveexec_b32 s8, s7
	s_cbranch_execnz .LBB88_255
.LBB88_204:
	s_or_b32 exec_lo, exec_lo, s8
	s_and_saveexec_b32 s7, s6
	s_cbranch_execnz .LBB88_256
.LBB88_205:
	s_or_b32 exec_lo, exec_lo, s7
	s_and_saveexec_b32 s6, s5
	s_cbranch_execnz .LBB88_257
.LBB88_206:
	s_or_b32 exec_lo, exec_lo, s6
	s_and_saveexec_b32 s5, s4
	s_cbranch_execnz .LBB88_258
.LBB88_207:
	s_or_b32 exec_lo, exec_lo, s5
	s_and_saveexec_b32 s4, s3
	s_cbranch_execnz .LBB88_259
.LBB88_208:
	s_or_b32 exec_lo, exec_lo, s4
	s_and_saveexec_b32 s3, s2
	s_cbranch_execnz .LBB88_260
.LBB88_209:
	s_or_b32 exec_lo, exec_lo, s3
	s_and_saveexec_b32 s2, s1
.LBB88_210:
	v_sub_nc_u32_e32 v7, v28, v6
	s_delay_alu instid0(VALU_DEP_1)
	v_lshlrev_b32_e32 v7, 2, v7
	ds_store_b32 v7, v29
.LBB88_211:
	s_or_b32 exec_lo, exec_lo, s2
	s_delay_alu instid0(SALU_CYCLE_1)
	s_and_b32 s16, s0, exec_lo
                                        ; implicit-def: $vgpr28_vgpr29
                                        ; implicit-def: $vgpr36_vgpr37
                                        ; implicit-def: $vgpr30_vgpr31
                                        ; implicit-def: $vgpr44_vgpr45
                                        ; implicit-def: $vgpr48_vgpr49
                                        ; implicit-def: $vgpr46_vgpr47
                                        ; implicit-def: $vgpr42_vgpr43
                                        ; implicit-def: $vgpr38_vgpr39
                                        ; implicit-def: $vgpr32_vgpr33
                                        ; implicit-def: $vgpr34_vgpr35
                                        ; implicit-def: $vgpr40_vgpr41
                                        ; implicit-def: $vgpr24_vgpr25
                                        ; implicit-def: $vgpr26_vgpr27
	s_and_not1_saveexec_b32 s0, s15
	s_cbranch_execz .LBB88_141
.LBB88_212:
	v_dual_sub_nc_u32 v7, v44, v6 :: v_dual_sub_nc_u32 v9, v46, v6
	v_dual_sub_nc_u32 v8, v48, v6 :: v_dual_sub_nc_u32 v10, v42, v6
	s_delay_alu instid0(VALU_DEP_2) | instskip(NEXT) | instid1(VALU_DEP_2)
	v_dual_sub_nc_u32 v11, v38, v6 :: v_dual_lshlrev_b32 v7, 2, v7
	v_dual_lshlrev_b32 v9, 2, v9 :: v_dual_lshlrev_b32 v8, 2, v8
	s_or_b32 s16, s16, exec_lo
	ds_store_b32 v7, v45
	ds_store_b32 v8, v49
	ds_store_b32 v9, v47
	v_sub_nc_u32_e32 v7, v32, v6
	v_lshlrev_b32_e32 v9, 2, v10
	v_dual_sub_nc_u32 v10, v40, v6 :: v_dual_sub_nc_u32 v8, v34, v6
	v_lshlrev_b32_e32 v11, 2, v11
	s_delay_alu instid0(VALU_DEP_4)
	v_lshlrev_b32_e32 v7, 2, v7
	ds_store_b32 v9, v43
	v_dual_lshlrev_b32 v9, 2, v10 :: v_dual_lshlrev_b32 v8, 2, v8
	ds_store_b32 v11, v39
	ds_store_b32 v7, v33
	;; [unrolled: 1-line block ×3, first 2 shown]
	v_dual_sub_nc_u32 v7, v24, v6 :: v_dual_sub_nc_u32 v8, v26, v6
	ds_store_b32 v9, v41
	v_dual_sub_nc_u32 v9, v30, v6 :: v_dual_sub_nc_u32 v10, v36, v6
	v_dual_lshlrev_b32 v7, 2, v7 :: v_dual_sub_nc_u32 v11, v28, v6
	s_delay_alu instid0(VALU_DEP_2) | instskip(NEXT) | instid1(VALU_DEP_3)
	v_dual_lshlrev_b32 v8, 2, v8 :: v_dual_lshlrev_b32 v9, 2, v9
	v_lshlrev_b32_e32 v10, 2, v10
	ds_store_b32 v7, v25
	v_lshlrev_b32_e32 v7, 2, v11
	ds_store_b32 v8, v27
	ds_store_b32 v9, v31
	;; [unrolled: 1-line block ×4, first 2 shown]
	s_or_b32 exec_lo, exec_lo, s0
	s_delay_alu instid0(SALU_CYCLE_1)
	s_and_b32 exec_lo, exec_lo, s16
	s_cbranch_execnz .LBB88_142
	s_branch .LBB88_143
.LBB88_213:
	v_sub_nc_u32_e32 v3, v44, v18
	v_readfirstlane_b32 s18, v52
	v_readfirstlane_b32 s19, v53
	global_store_b8 v3, v1, s[18:19]
	s_wait_xcnt 0x0
	s_or_b32 exec_lo, exec_lo, s17
	s_and_saveexec_b32 s17, s13
	s_cbranch_execz .LBB88_151
.LBB88_214:
	v_sub_nc_u32_e32 v3, v48, v18
	v_readfirstlane_b32 s18, v52
	v_readfirstlane_b32 s19, v53
	global_store_b8 v3, v13, s[18:19]
	s_wait_xcnt 0x0
	s_or_b32 exec_lo, exec_lo, s17
	s_and_saveexec_b32 s17, s12
	s_cbranch_execz .LBB88_152
.LBB88_215:
	v_sub_nc_u32_e32 v3, v46, v18
	v_readfirstlane_b32 s18, v52
	v_readfirstlane_b32 s19, v53
	global_store_b8 v3, v10, s[18:19]
	s_wait_xcnt 0x0
	s_or_b32 exec_lo, exec_lo, s17
	s_and_saveexec_b32 s17, s11
	s_cbranch_execz .LBB88_153
.LBB88_216:
	v_sub_nc_u32_e32 v3, v42, v18
	v_lshrrev_b32_e32 v4, 8, v10
	v_readfirstlane_b32 s18, v52
	v_readfirstlane_b32 s19, v53
	global_store_b8 v3, v4, s[18:19]
	s_wait_xcnt 0x0
	s_or_b32 exec_lo, exec_lo, s17
	s_and_saveexec_b32 s17, s10
	s_cbranch_execz .LBB88_154
.LBB88_217:
	v_sub_nc_u32_e32 v3, v38, v18
	v_readfirstlane_b32 s18, v52
	v_readfirstlane_b32 s19, v53
	global_store_d16_hi_b8 v3, v10, s[18:19]
	s_wait_xcnt 0x0
	s_or_b32 exec_lo, exec_lo, s17
	s_and_saveexec_b32 s17, s9
	s_cbranch_execz .LBB88_155
.LBB88_218:
	v_sub_nc_u32_e32 v3, v32, v18
	v_lshrrev_b32_e32 v4, 24, v10
	v_readfirstlane_b32 s18, v52
	v_readfirstlane_b32 s19, v53
	global_store_b8 v3, v4, s[18:19]
	s_wait_xcnt 0x0
	s_or_b32 exec_lo, exec_lo, s17
	s_and_saveexec_b32 s17, s8
	s_cbranch_execz .LBB88_156
.LBB88_219:
	v_sub_nc_u32_e32 v3, v34, v18
	v_readfirstlane_b32 s18, v52
	v_readfirstlane_b32 s19, v53
	global_store_b8 v3, v11, s[18:19]
	s_wait_xcnt 0x0
	s_or_b32 exec_lo, exec_lo, s17
	s_and_saveexec_b32 s17, s7
	s_cbranch_execz .LBB88_157
.LBB88_220:
	v_dual_sub_nc_u32 v3, v40, v18 :: v_dual_lshrrev_b32 v4, 8, v11
	v_readfirstlane_b32 s18, v52
	v_readfirstlane_b32 s19, v53
	global_store_b8 v3, v4, s[18:19]
	s_wait_xcnt 0x0
	s_or_b32 exec_lo, exec_lo, s17
	s_and_saveexec_b32 s17, s6
	s_cbranch_execz .LBB88_158
.LBB88_221:
	v_sub_nc_u32_e32 v3, v24, v18
	v_readfirstlane_b32 s18, v52
	v_readfirstlane_b32 s19, v53
	global_store_d16_hi_b8 v3, v11, s[18:19]
	s_wait_xcnt 0x0
	s_or_b32 exec_lo, exec_lo, s17
	s_and_saveexec_b32 s17, s5
	s_cbranch_execz .LBB88_159
.LBB88_222:
	v_dual_sub_nc_u32 v3, v26, v18 :: v_dual_lshrrev_b32 v4, 24, v11
	v_readfirstlane_b32 s18, v52
	v_readfirstlane_b32 s19, v53
	global_store_b8 v3, v4, s[18:19]
	s_wait_xcnt 0x0
	s_or_b32 exec_lo, exec_lo, s17
	s_and_saveexec_b32 s17, s4
	s_cbranch_execz .LBB88_160
.LBB88_223:
	v_sub_nc_u32_e32 v3, v30, v18
	v_readfirstlane_b32 s18, v52
	v_readfirstlane_b32 s19, v53
	global_store_b8 v3, v12, s[18:19]
	s_wait_xcnt 0x0
	s_or_b32 exec_lo, exec_lo, s17
	s_and_saveexec_b32 s17, s3
	s_cbranch_execz .LBB88_161
.LBB88_224:
	v_dual_sub_nc_u32 v3, v36, v18 :: v_dual_lshrrev_b32 v4, 8, v12
	v_readfirstlane_b32 s18, v52
	v_readfirstlane_b32 s19, v53
	global_store_b8 v3, v4, s[18:19]
	s_wait_xcnt 0x0
	s_or_b32 exec_lo, exec_lo, s17
	s_and_saveexec_b32 s17, s1
	s_cbranch_execnz .LBB88_162
	s_branch .LBB88_163
.LBB88_225:
	v_sub_nc_u32_e32 v2, v44, v18
	ds_store_b8 v2, v1
	s_or_b32 exec_lo, exec_lo, s17
	s_and_saveexec_b32 s14, s13
	s_cbranch_execz .LBB88_167
.LBB88_226:
	v_sub_nc_u32_e32 v1, v48, v18
	ds_store_b8 v1, v13
	s_or_b32 exec_lo, exec_lo, s14
	s_and_saveexec_b32 s13, s12
	s_cbranch_execz .LBB88_168
.LBB88_227:
	v_sub_nc_u32_e32 v1, v46, v18
	ds_store_b8 v1, v10
	s_or_b32 exec_lo, exec_lo, s13
	s_and_saveexec_b32 s12, s11
	s_cbranch_execz .LBB88_169
.LBB88_228:
	v_sub_nc_u32_e32 v1, v42, v18
	v_lshrrev_b32_e32 v2, 8, v10
	ds_store_b8 v1, v2
	s_or_b32 exec_lo, exec_lo, s12
	s_and_saveexec_b32 s11, s10
	s_cbranch_execz .LBB88_170
.LBB88_229:
	v_sub_nc_u32_e32 v1, v38, v18
	ds_store_b8_d16_hi v1, v10
	s_or_b32 exec_lo, exec_lo, s11
	s_and_saveexec_b32 s10, s9
	s_cbranch_execz .LBB88_171
.LBB88_230:
	v_sub_nc_u32_e32 v1, v32, v18
	v_lshrrev_b32_e32 v2, 24, v10
	ds_store_b8 v1, v2
	s_or_b32 exec_lo, exec_lo, s10
	s_and_saveexec_b32 s9, s8
	s_cbranch_execz .LBB88_172
.LBB88_231:
	v_sub_nc_u32_e32 v1, v34, v18
	ds_store_b8 v1, v11
	s_or_b32 exec_lo, exec_lo, s9
	s_and_saveexec_b32 s8, s7
	s_cbranch_execz .LBB88_173
.LBB88_232:
	v_dual_sub_nc_u32 v1, v40, v18 :: v_dual_lshrrev_b32 v2, 8, v11
	ds_store_b8 v1, v2
	s_or_b32 exec_lo, exec_lo, s8
	s_and_saveexec_b32 s7, s6
	s_cbranch_execz .LBB88_174
.LBB88_233:
	v_sub_nc_u32_e32 v1, v24, v18
	ds_store_b8_d16_hi v1, v11
	s_or_b32 exec_lo, exec_lo, s7
	s_and_saveexec_b32 s6, s5
	s_cbranch_execz .LBB88_175
.LBB88_234:
	v_dual_sub_nc_u32 v1, v26, v18 :: v_dual_lshrrev_b32 v2, 24, v11
	ds_store_b8 v1, v2
	s_or_b32 exec_lo, exec_lo, s6
	s_and_saveexec_b32 s5, s4
	s_cbranch_execz .LBB88_176
.LBB88_235:
	v_sub_nc_u32_e32 v1, v30, v18
	ds_store_b8 v1, v12
	s_or_b32 exec_lo, exec_lo, s5
	s_and_saveexec_b32 s4, s3
	s_cbranch_execz .LBB88_177
.LBB88_236:
	v_dual_sub_nc_u32 v1, v36, v18 :: v_dual_lshrrev_b32 v2, 8, v12
	ds_store_b8 v1, v2
	s_or_b32 exec_lo, exec_lo, s4
	s_and_saveexec_b32 s3, s1
	s_cbranch_execnz .LBB88_178
	s_branch .LBB88_179
.LBB88_237:
	v_dual_mov_b32 v9, 0 :: v_dual_sub_nc_u32 v10, v44, v6
	v_mov_b32_e32 v8, v45
	v_readfirstlane_b32 s18, v4
	v_readfirstlane_b32 s19, v5
	global_store_b64 v10, v[8:9], s[18:19] scale_offset
	s_wait_xcnt 0x0
	s_or_b32 exec_lo, exec_lo, s16
	s_and_saveexec_b32 s16, s12
	s_cbranch_execz .LBB88_183
.LBB88_238:
	v_dual_mov_b32 v9, 0 :: v_dual_sub_nc_u32 v10, v48, v6
	v_mov_b32_e32 v8, v49
	v_readfirstlane_b32 s18, v4
	v_readfirstlane_b32 s19, v5
	global_store_b64 v10, v[8:9], s[18:19] scale_offset
	s_wait_xcnt 0x0
	s_or_b32 exec_lo, exec_lo, s16
	s_and_saveexec_b32 s16, s11
	s_cbranch_execz .LBB88_184
.LBB88_239:
	v_dual_mov_b32 v9, 0 :: v_dual_sub_nc_u32 v10, v46, v6
	v_mov_b32_e32 v8, v47
	v_readfirstlane_b32 s18, v4
	v_readfirstlane_b32 s19, v5
	global_store_b64 v10, v[8:9], s[18:19] scale_offset
	s_wait_xcnt 0x0
	s_or_b32 exec_lo, exec_lo, s16
	s_and_saveexec_b32 s16, s10
	s_cbranch_execz .LBB88_185
.LBB88_240:
	v_dual_mov_b32 v9, 0 :: v_dual_sub_nc_u32 v10, v42, v6
	v_mov_b32_e32 v8, v43
	v_readfirstlane_b32 s18, v4
	v_readfirstlane_b32 s19, v5
	global_store_b64 v10, v[8:9], s[18:19] scale_offset
	s_wait_xcnt 0x0
	s_or_b32 exec_lo, exec_lo, s16
	s_and_saveexec_b32 s16, s9
	s_cbranch_execz .LBB88_186
.LBB88_241:
	v_dual_mov_b32 v9, 0 :: v_dual_sub_nc_u32 v10, v38, v6
	v_mov_b32_e32 v8, v39
	v_readfirstlane_b32 s18, v4
	v_readfirstlane_b32 s19, v5
	global_store_b64 v10, v[8:9], s[18:19] scale_offset
	s_wait_xcnt 0x0
	s_or_b32 exec_lo, exec_lo, s16
	s_and_saveexec_b32 s16, s8
	s_cbranch_execz .LBB88_187
.LBB88_242:
	v_dual_mov_b32 v9, 0 :: v_dual_sub_nc_u32 v10, v32, v6
	v_mov_b32_e32 v8, v33
	v_readfirstlane_b32 s18, v4
	v_readfirstlane_b32 s19, v5
	global_store_b64 v10, v[8:9], s[18:19] scale_offset
	s_wait_xcnt 0x0
	s_or_b32 exec_lo, exec_lo, s16
	s_and_saveexec_b32 s16, s7
	s_cbranch_execz .LBB88_188
.LBB88_243:
	v_dual_mov_b32 v9, 0 :: v_dual_sub_nc_u32 v10, v34, v6
	v_mov_b32_e32 v8, v35
	v_readfirstlane_b32 s18, v4
	v_readfirstlane_b32 s19, v5
	global_store_b64 v10, v[8:9], s[18:19] scale_offset
	s_wait_xcnt 0x0
	s_or_b32 exec_lo, exec_lo, s16
	s_and_saveexec_b32 s16, s6
	s_cbranch_execz .LBB88_189
.LBB88_244:
	v_dual_mov_b32 v9, 0 :: v_dual_sub_nc_u32 v10, v40, v6
	v_mov_b32_e32 v8, v41
	v_readfirstlane_b32 s18, v4
	v_readfirstlane_b32 s19, v5
	global_store_b64 v10, v[8:9], s[18:19] scale_offset
	s_wait_xcnt 0x0
	s_or_b32 exec_lo, exec_lo, s16
	s_and_saveexec_b32 s16, s5
	s_cbranch_execz .LBB88_190
.LBB88_245:
	v_dual_mov_b32 v9, 0 :: v_dual_sub_nc_u32 v10, v24, v6
	v_mov_b32_e32 v8, v25
	v_readfirstlane_b32 s18, v4
	v_readfirstlane_b32 s19, v5
	global_store_b64 v10, v[8:9], s[18:19] scale_offset
	s_wait_xcnt 0x0
	s_or_b32 exec_lo, exec_lo, s16
	s_and_saveexec_b32 s16, s4
	s_cbranch_execz .LBB88_191
.LBB88_246:
	v_dual_mov_b32 v9, 0 :: v_dual_sub_nc_u32 v10, v26, v6
	v_mov_b32_e32 v8, v27
	v_readfirstlane_b32 s18, v4
	v_readfirstlane_b32 s19, v5
	global_store_b64 v10, v[8:9], s[18:19] scale_offset
	s_wait_xcnt 0x0
	s_or_b32 exec_lo, exec_lo, s16
	s_and_saveexec_b32 s16, s3
	s_cbranch_execz .LBB88_192
.LBB88_247:
	v_dual_mov_b32 v9, 0 :: v_dual_sub_nc_u32 v10, v30, v6
	v_mov_b32_e32 v8, v31
	v_readfirstlane_b32 s18, v4
	v_readfirstlane_b32 s19, v5
	global_store_b64 v10, v[8:9], s[18:19] scale_offset
	s_wait_xcnt 0x0
	s_or_b32 exec_lo, exec_lo, s16
	s_and_saveexec_b32 s16, s2
	s_cbranch_execz .LBB88_193
.LBB88_248:
	v_dual_mov_b32 v9, 0 :: v_dual_sub_nc_u32 v10, v36, v6
	v_mov_b32_e32 v8, v37
	v_readfirstlane_b32 s18, v4
	v_readfirstlane_b32 s19, v5
	global_store_b64 v10, v[8:9], s[18:19] scale_offset
	s_wait_xcnt 0x0
	s_or_b32 exec_lo, exec_lo, s16
	s_and_saveexec_b32 s16, s1
	s_cbranch_execnz .LBB88_194
	s_branch .LBB88_195
.LBB88_249:
	v_sub_nc_u32_e32 v7, v44, v6
	s_delay_alu instid0(VALU_DEP_1)
	v_lshlrev_b32_e32 v7, 2, v7
	ds_store_b32 v7, v45
	s_or_b32 exec_lo, exec_lo, s16
	s_and_saveexec_b32 s13, s12
	s_cbranch_execz .LBB88_199
.LBB88_250:
	v_sub_nc_u32_e32 v7, v48, v6
	s_delay_alu instid0(VALU_DEP_1)
	v_lshlrev_b32_e32 v7, 2, v7
	ds_store_b32 v7, v49
	s_or_b32 exec_lo, exec_lo, s13
	s_and_saveexec_b32 s12, s11
	s_cbranch_execz .LBB88_200
.LBB88_251:
	v_sub_nc_u32_e32 v7, v46, v6
	s_delay_alu instid0(VALU_DEP_1)
	v_lshlrev_b32_e32 v7, 2, v7
	ds_store_b32 v7, v47
	s_or_b32 exec_lo, exec_lo, s12
	s_and_saveexec_b32 s11, s10
	s_cbranch_execz .LBB88_201
.LBB88_252:
	v_sub_nc_u32_e32 v7, v42, v6
	s_delay_alu instid0(VALU_DEP_1)
	v_lshlrev_b32_e32 v7, 2, v7
	ds_store_b32 v7, v43
	s_or_b32 exec_lo, exec_lo, s11
	s_and_saveexec_b32 s10, s9
	s_cbranch_execz .LBB88_202
.LBB88_253:
	v_sub_nc_u32_e32 v7, v38, v6
	s_delay_alu instid0(VALU_DEP_1)
	v_lshlrev_b32_e32 v7, 2, v7
	ds_store_b32 v7, v39
	s_or_b32 exec_lo, exec_lo, s10
	s_and_saveexec_b32 s9, s8
	s_cbranch_execz .LBB88_203
.LBB88_254:
	v_sub_nc_u32_e32 v7, v32, v6
	s_delay_alu instid0(VALU_DEP_1)
	v_lshlrev_b32_e32 v7, 2, v7
	ds_store_b32 v7, v33
	s_or_b32 exec_lo, exec_lo, s9
	s_and_saveexec_b32 s8, s7
	s_cbranch_execz .LBB88_204
.LBB88_255:
	v_sub_nc_u32_e32 v7, v34, v6
	s_delay_alu instid0(VALU_DEP_1)
	v_lshlrev_b32_e32 v7, 2, v7
	ds_store_b32 v7, v35
	s_or_b32 exec_lo, exec_lo, s8
	s_and_saveexec_b32 s7, s6
	s_cbranch_execz .LBB88_205
.LBB88_256:
	v_sub_nc_u32_e32 v7, v40, v6
	s_delay_alu instid0(VALU_DEP_1)
	v_lshlrev_b32_e32 v7, 2, v7
	ds_store_b32 v7, v41
	s_or_b32 exec_lo, exec_lo, s7
	s_and_saveexec_b32 s6, s5
	s_cbranch_execz .LBB88_206
.LBB88_257:
	v_sub_nc_u32_e32 v7, v24, v6
	s_delay_alu instid0(VALU_DEP_1)
	v_lshlrev_b32_e32 v7, 2, v7
	ds_store_b32 v7, v25
	s_or_b32 exec_lo, exec_lo, s6
	s_and_saveexec_b32 s5, s4
	s_cbranch_execz .LBB88_207
.LBB88_258:
	v_sub_nc_u32_e32 v7, v26, v6
	s_delay_alu instid0(VALU_DEP_1)
	v_lshlrev_b32_e32 v7, 2, v7
	ds_store_b32 v7, v27
	s_or_b32 exec_lo, exec_lo, s5
	s_and_saveexec_b32 s4, s3
	s_cbranch_execz .LBB88_208
.LBB88_259:
	v_sub_nc_u32_e32 v7, v30, v6
	s_delay_alu instid0(VALU_DEP_1)
	v_lshlrev_b32_e32 v7, 2, v7
	ds_store_b32 v7, v31
	s_or_b32 exec_lo, exec_lo, s4
	s_and_saveexec_b32 s3, s2
	s_cbranch_execz .LBB88_209
.LBB88_260:
	v_sub_nc_u32_e32 v7, v36, v6
	s_delay_alu instid0(VALU_DEP_1)
	v_lshlrev_b32_e32 v7, 2, v7
	ds_store_b32 v7, v37
	s_or_b32 exec_lo, exec_lo, s3
	s_and_saveexec_b32 s2, s1
	s_cbranch_execnz .LBB88_210
	s_branch .LBB88_211
	.section	.rodata,"a",@progbits
	.p2align	6, 0x0
	.amdhsa_kernel _ZN7rocprim17ROCPRIM_400000_NS6detail17trampoline_kernelINS0_14default_configENS1_33run_length_encode_config_selectorIbjNS0_4plusIjEEEEZZNS1_33reduce_by_key_impl_wrapped_configILNS1_25lookback_scan_determinismE0ES3_S7_N6hipcub16HIPCUB_304000_NS22TransformInputIteratorIbN2at6native8internal12_GLOBAL__N_110LoadBoolOpEPKhlEENS0_17constant_iteratorIjlEEPbPlSO_S6_NS0_8equal_toIbEEEE10hipError_tPvRmT2_T3_mT4_T5_T6_T7_T8_P12ihipStream_tbENKUlT_T0_E_clISt17integral_constantIbLb0EES17_IbLb1EEEEDaS13_S14_EUlS13_E_NS1_11comp_targetILNS1_3genE0ELNS1_11target_archE4294967295ELNS1_3gpuE0ELNS1_3repE0EEENS1_30default_config_static_selectorELNS0_4arch9wavefront6targetE0EEEvT1_
		.amdhsa_group_segment_fixed_size 14336
		.amdhsa_private_segment_fixed_size 0
		.amdhsa_kernarg_size 136
		.amdhsa_user_sgpr_count 2
		.amdhsa_user_sgpr_dispatch_ptr 0
		.amdhsa_user_sgpr_queue_ptr 0
		.amdhsa_user_sgpr_kernarg_segment_ptr 1
		.amdhsa_user_sgpr_dispatch_id 0
		.amdhsa_user_sgpr_kernarg_preload_length 0
		.amdhsa_user_sgpr_kernarg_preload_offset 0
		.amdhsa_user_sgpr_private_segment_size 0
		.amdhsa_wavefront_size32 1
		.amdhsa_uses_dynamic_stack 0
		.amdhsa_enable_private_segment 0
		.amdhsa_system_sgpr_workgroup_id_x 1
		.amdhsa_system_sgpr_workgroup_id_y 0
		.amdhsa_system_sgpr_workgroup_id_z 0
		.amdhsa_system_sgpr_workgroup_info 0
		.amdhsa_system_vgpr_workitem_id 0
		.amdhsa_next_free_vgpr 104
		.amdhsa_next_free_sgpr 50
		.amdhsa_named_barrier_count 0
		.amdhsa_reserve_vcc 1
		.amdhsa_float_round_mode_32 0
		.amdhsa_float_round_mode_16_64 0
		.amdhsa_float_denorm_mode_32 3
		.amdhsa_float_denorm_mode_16_64 3
		.amdhsa_fp16_overflow 0
		.amdhsa_memory_ordered 1
		.amdhsa_forward_progress 1
		.amdhsa_inst_pref_size 128
		.amdhsa_round_robin_scheduling 0
		.amdhsa_exception_fp_ieee_invalid_op 0
		.amdhsa_exception_fp_denorm_src 0
		.amdhsa_exception_fp_ieee_div_zero 0
		.amdhsa_exception_fp_ieee_overflow 0
		.amdhsa_exception_fp_ieee_underflow 0
		.amdhsa_exception_fp_ieee_inexact 0
		.amdhsa_exception_int_div_zero 0
	.end_amdhsa_kernel
	.section	.text._ZN7rocprim17ROCPRIM_400000_NS6detail17trampoline_kernelINS0_14default_configENS1_33run_length_encode_config_selectorIbjNS0_4plusIjEEEEZZNS1_33reduce_by_key_impl_wrapped_configILNS1_25lookback_scan_determinismE0ES3_S7_N6hipcub16HIPCUB_304000_NS22TransformInputIteratorIbN2at6native8internal12_GLOBAL__N_110LoadBoolOpEPKhlEENS0_17constant_iteratorIjlEEPbPlSO_S6_NS0_8equal_toIbEEEE10hipError_tPvRmT2_T3_mT4_T5_T6_T7_T8_P12ihipStream_tbENKUlT_T0_E_clISt17integral_constantIbLb0EES17_IbLb1EEEEDaS13_S14_EUlS13_E_NS1_11comp_targetILNS1_3genE0ELNS1_11target_archE4294967295ELNS1_3gpuE0ELNS1_3repE0EEENS1_30default_config_static_selectorELNS0_4arch9wavefront6targetE0EEEvT1_,"axG",@progbits,_ZN7rocprim17ROCPRIM_400000_NS6detail17trampoline_kernelINS0_14default_configENS1_33run_length_encode_config_selectorIbjNS0_4plusIjEEEEZZNS1_33reduce_by_key_impl_wrapped_configILNS1_25lookback_scan_determinismE0ES3_S7_N6hipcub16HIPCUB_304000_NS22TransformInputIteratorIbN2at6native8internal12_GLOBAL__N_110LoadBoolOpEPKhlEENS0_17constant_iteratorIjlEEPbPlSO_S6_NS0_8equal_toIbEEEE10hipError_tPvRmT2_T3_mT4_T5_T6_T7_T8_P12ihipStream_tbENKUlT_T0_E_clISt17integral_constantIbLb0EES17_IbLb1EEEEDaS13_S14_EUlS13_E_NS1_11comp_targetILNS1_3genE0ELNS1_11target_archE4294967295ELNS1_3gpuE0ELNS1_3repE0EEENS1_30default_config_static_selectorELNS0_4arch9wavefront6targetE0EEEvT1_,comdat
.Lfunc_end88:
	.size	_ZN7rocprim17ROCPRIM_400000_NS6detail17trampoline_kernelINS0_14default_configENS1_33run_length_encode_config_selectorIbjNS0_4plusIjEEEEZZNS1_33reduce_by_key_impl_wrapped_configILNS1_25lookback_scan_determinismE0ES3_S7_N6hipcub16HIPCUB_304000_NS22TransformInputIteratorIbN2at6native8internal12_GLOBAL__N_110LoadBoolOpEPKhlEENS0_17constant_iteratorIjlEEPbPlSO_S6_NS0_8equal_toIbEEEE10hipError_tPvRmT2_T3_mT4_T5_T6_T7_T8_P12ihipStream_tbENKUlT_T0_E_clISt17integral_constantIbLb0EES17_IbLb1EEEEDaS13_S14_EUlS13_E_NS1_11comp_targetILNS1_3genE0ELNS1_11target_archE4294967295ELNS1_3gpuE0ELNS1_3repE0EEENS1_30default_config_static_selectorELNS0_4arch9wavefront6targetE0EEEvT1_, .Lfunc_end88-_ZN7rocprim17ROCPRIM_400000_NS6detail17trampoline_kernelINS0_14default_configENS1_33run_length_encode_config_selectorIbjNS0_4plusIjEEEEZZNS1_33reduce_by_key_impl_wrapped_configILNS1_25lookback_scan_determinismE0ES3_S7_N6hipcub16HIPCUB_304000_NS22TransformInputIteratorIbN2at6native8internal12_GLOBAL__N_110LoadBoolOpEPKhlEENS0_17constant_iteratorIjlEEPbPlSO_S6_NS0_8equal_toIbEEEE10hipError_tPvRmT2_T3_mT4_T5_T6_T7_T8_P12ihipStream_tbENKUlT_T0_E_clISt17integral_constantIbLb0EES17_IbLb1EEEEDaS13_S14_EUlS13_E_NS1_11comp_targetILNS1_3genE0ELNS1_11target_archE4294967295ELNS1_3gpuE0ELNS1_3repE0EEENS1_30default_config_static_selectorELNS0_4arch9wavefront6targetE0EEEvT1_
                                        ; -- End function
	.set _ZN7rocprim17ROCPRIM_400000_NS6detail17trampoline_kernelINS0_14default_configENS1_33run_length_encode_config_selectorIbjNS0_4plusIjEEEEZZNS1_33reduce_by_key_impl_wrapped_configILNS1_25lookback_scan_determinismE0ES3_S7_N6hipcub16HIPCUB_304000_NS22TransformInputIteratorIbN2at6native8internal12_GLOBAL__N_110LoadBoolOpEPKhlEENS0_17constant_iteratorIjlEEPbPlSO_S6_NS0_8equal_toIbEEEE10hipError_tPvRmT2_T3_mT4_T5_T6_T7_T8_P12ihipStream_tbENKUlT_T0_E_clISt17integral_constantIbLb0EES17_IbLb1EEEEDaS13_S14_EUlS13_E_NS1_11comp_targetILNS1_3genE0ELNS1_11target_archE4294967295ELNS1_3gpuE0ELNS1_3repE0EEENS1_30default_config_static_selectorELNS0_4arch9wavefront6targetE0EEEvT1_.num_vgpr, 104
	.set _ZN7rocprim17ROCPRIM_400000_NS6detail17trampoline_kernelINS0_14default_configENS1_33run_length_encode_config_selectorIbjNS0_4plusIjEEEEZZNS1_33reduce_by_key_impl_wrapped_configILNS1_25lookback_scan_determinismE0ES3_S7_N6hipcub16HIPCUB_304000_NS22TransformInputIteratorIbN2at6native8internal12_GLOBAL__N_110LoadBoolOpEPKhlEENS0_17constant_iteratorIjlEEPbPlSO_S6_NS0_8equal_toIbEEEE10hipError_tPvRmT2_T3_mT4_T5_T6_T7_T8_P12ihipStream_tbENKUlT_T0_E_clISt17integral_constantIbLb0EES17_IbLb1EEEEDaS13_S14_EUlS13_E_NS1_11comp_targetILNS1_3genE0ELNS1_11target_archE4294967295ELNS1_3gpuE0ELNS1_3repE0EEENS1_30default_config_static_selectorELNS0_4arch9wavefront6targetE0EEEvT1_.num_agpr, 0
	.set _ZN7rocprim17ROCPRIM_400000_NS6detail17trampoline_kernelINS0_14default_configENS1_33run_length_encode_config_selectorIbjNS0_4plusIjEEEEZZNS1_33reduce_by_key_impl_wrapped_configILNS1_25lookback_scan_determinismE0ES3_S7_N6hipcub16HIPCUB_304000_NS22TransformInputIteratorIbN2at6native8internal12_GLOBAL__N_110LoadBoolOpEPKhlEENS0_17constant_iteratorIjlEEPbPlSO_S6_NS0_8equal_toIbEEEE10hipError_tPvRmT2_T3_mT4_T5_T6_T7_T8_P12ihipStream_tbENKUlT_T0_E_clISt17integral_constantIbLb0EES17_IbLb1EEEEDaS13_S14_EUlS13_E_NS1_11comp_targetILNS1_3genE0ELNS1_11target_archE4294967295ELNS1_3gpuE0ELNS1_3repE0EEENS1_30default_config_static_selectorELNS0_4arch9wavefront6targetE0EEEvT1_.numbered_sgpr, 50
	.set _ZN7rocprim17ROCPRIM_400000_NS6detail17trampoline_kernelINS0_14default_configENS1_33run_length_encode_config_selectorIbjNS0_4plusIjEEEEZZNS1_33reduce_by_key_impl_wrapped_configILNS1_25lookback_scan_determinismE0ES3_S7_N6hipcub16HIPCUB_304000_NS22TransformInputIteratorIbN2at6native8internal12_GLOBAL__N_110LoadBoolOpEPKhlEENS0_17constant_iteratorIjlEEPbPlSO_S6_NS0_8equal_toIbEEEE10hipError_tPvRmT2_T3_mT4_T5_T6_T7_T8_P12ihipStream_tbENKUlT_T0_E_clISt17integral_constantIbLb0EES17_IbLb1EEEEDaS13_S14_EUlS13_E_NS1_11comp_targetILNS1_3genE0ELNS1_11target_archE4294967295ELNS1_3gpuE0ELNS1_3repE0EEENS1_30default_config_static_selectorELNS0_4arch9wavefront6targetE0EEEvT1_.num_named_barrier, 0
	.set _ZN7rocprim17ROCPRIM_400000_NS6detail17trampoline_kernelINS0_14default_configENS1_33run_length_encode_config_selectorIbjNS0_4plusIjEEEEZZNS1_33reduce_by_key_impl_wrapped_configILNS1_25lookback_scan_determinismE0ES3_S7_N6hipcub16HIPCUB_304000_NS22TransformInputIteratorIbN2at6native8internal12_GLOBAL__N_110LoadBoolOpEPKhlEENS0_17constant_iteratorIjlEEPbPlSO_S6_NS0_8equal_toIbEEEE10hipError_tPvRmT2_T3_mT4_T5_T6_T7_T8_P12ihipStream_tbENKUlT_T0_E_clISt17integral_constantIbLb0EES17_IbLb1EEEEDaS13_S14_EUlS13_E_NS1_11comp_targetILNS1_3genE0ELNS1_11target_archE4294967295ELNS1_3gpuE0ELNS1_3repE0EEENS1_30default_config_static_selectorELNS0_4arch9wavefront6targetE0EEEvT1_.private_seg_size, 0
	.set _ZN7rocprim17ROCPRIM_400000_NS6detail17trampoline_kernelINS0_14default_configENS1_33run_length_encode_config_selectorIbjNS0_4plusIjEEEEZZNS1_33reduce_by_key_impl_wrapped_configILNS1_25lookback_scan_determinismE0ES3_S7_N6hipcub16HIPCUB_304000_NS22TransformInputIteratorIbN2at6native8internal12_GLOBAL__N_110LoadBoolOpEPKhlEENS0_17constant_iteratorIjlEEPbPlSO_S6_NS0_8equal_toIbEEEE10hipError_tPvRmT2_T3_mT4_T5_T6_T7_T8_P12ihipStream_tbENKUlT_T0_E_clISt17integral_constantIbLb0EES17_IbLb1EEEEDaS13_S14_EUlS13_E_NS1_11comp_targetILNS1_3genE0ELNS1_11target_archE4294967295ELNS1_3gpuE0ELNS1_3repE0EEENS1_30default_config_static_selectorELNS0_4arch9wavefront6targetE0EEEvT1_.uses_vcc, 1
	.set _ZN7rocprim17ROCPRIM_400000_NS6detail17trampoline_kernelINS0_14default_configENS1_33run_length_encode_config_selectorIbjNS0_4plusIjEEEEZZNS1_33reduce_by_key_impl_wrapped_configILNS1_25lookback_scan_determinismE0ES3_S7_N6hipcub16HIPCUB_304000_NS22TransformInputIteratorIbN2at6native8internal12_GLOBAL__N_110LoadBoolOpEPKhlEENS0_17constant_iteratorIjlEEPbPlSO_S6_NS0_8equal_toIbEEEE10hipError_tPvRmT2_T3_mT4_T5_T6_T7_T8_P12ihipStream_tbENKUlT_T0_E_clISt17integral_constantIbLb0EES17_IbLb1EEEEDaS13_S14_EUlS13_E_NS1_11comp_targetILNS1_3genE0ELNS1_11target_archE4294967295ELNS1_3gpuE0ELNS1_3repE0EEENS1_30default_config_static_selectorELNS0_4arch9wavefront6targetE0EEEvT1_.uses_flat_scratch, 0
	.set _ZN7rocprim17ROCPRIM_400000_NS6detail17trampoline_kernelINS0_14default_configENS1_33run_length_encode_config_selectorIbjNS0_4plusIjEEEEZZNS1_33reduce_by_key_impl_wrapped_configILNS1_25lookback_scan_determinismE0ES3_S7_N6hipcub16HIPCUB_304000_NS22TransformInputIteratorIbN2at6native8internal12_GLOBAL__N_110LoadBoolOpEPKhlEENS0_17constant_iteratorIjlEEPbPlSO_S6_NS0_8equal_toIbEEEE10hipError_tPvRmT2_T3_mT4_T5_T6_T7_T8_P12ihipStream_tbENKUlT_T0_E_clISt17integral_constantIbLb0EES17_IbLb1EEEEDaS13_S14_EUlS13_E_NS1_11comp_targetILNS1_3genE0ELNS1_11target_archE4294967295ELNS1_3gpuE0ELNS1_3repE0EEENS1_30default_config_static_selectorELNS0_4arch9wavefront6targetE0EEEvT1_.has_dyn_sized_stack, 0
	.set _ZN7rocprim17ROCPRIM_400000_NS6detail17trampoline_kernelINS0_14default_configENS1_33run_length_encode_config_selectorIbjNS0_4plusIjEEEEZZNS1_33reduce_by_key_impl_wrapped_configILNS1_25lookback_scan_determinismE0ES3_S7_N6hipcub16HIPCUB_304000_NS22TransformInputIteratorIbN2at6native8internal12_GLOBAL__N_110LoadBoolOpEPKhlEENS0_17constant_iteratorIjlEEPbPlSO_S6_NS0_8equal_toIbEEEE10hipError_tPvRmT2_T3_mT4_T5_T6_T7_T8_P12ihipStream_tbENKUlT_T0_E_clISt17integral_constantIbLb0EES17_IbLb1EEEEDaS13_S14_EUlS13_E_NS1_11comp_targetILNS1_3genE0ELNS1_11target_archE4294967295ELNS1_3gpuE0ELNS1_3repE0EEENS1_30default_config_static_selectorELNS0_4arch9wavefront6targetE0EEEvT1_.has_recursion, 0
	.set _ZN7rocprim17ROCPRIM_400000_NS6detail17trampoline_kernelINS0_14default_configENS1_33run_length_encode_config_selectorIbjNS0_4plusIjEEEEZZNS1_33reduce_by_key_impl_wrapped_configILNS1_25lookback_scan_determinismE0ES3_S7_N6hipcub16HIPCUB_304000_NS22TransformInputIteratorIbN2at6native8internal12_GLOBAL__N_110LoadBoolOpEPKhlEENS0_17constant_iteratorIjlEEPbPlSO_S6_NS0_8equal_toIbEEEE10hipError_tPvRmT2_T3_mT4_T5_T6_T7_T8_P12ihipStream_tbENKUlT_T0_E_clISt17integral_constantIbLb0EES17_IbLb1EEEEDaS13_S14_EUlS13_E_NS1_11comp_targetILNS1_3genE0ELNS1_11target_archE4294967295ELNS1_3gpuE0ELNS1_3repE0EEENS1_30default_config_static_selectorELNS0_4arch9wavefront6targetE0EEEvT1_.has_indirect_call, 0
	.section	.AMDGPU.csdata,"",@progbits
; Kernel info:
; codeLenInByte = 16332
; TotalNumSgprs: 52
; NumVgprs: 104
; ScratchSize: 0
; MemoryBound: 0
; FloatMode: 240
; IeeeMode: 1
; LDSByteSize: 14336 bytes/workgroup (compile time only)
; SGPRBlocks: 0
; VGPRBlocks: 6
; NumSGPRsForWavesPerEU: 52
; NumVGPRsForWavesPerEU: 104
; NamedBarCnt: 0
; Occupancy: 9
; WaveLimiterHint : 1
; COMPUTE_PGM_RSRC2:SCRATCH_EN: 0
; COMPUTE_PGM_RSRC2:USER_SGPR: 2
; COMPUTE_PGM_RSRC2:TRAP_HANDLER: 0
; COMPUTE_PGM_RSRC2:TGID_X_EN: 1
; COMPUTE_PGM_RSRC2:TGID_Y_EN: 0
; COMPUTE_PGM_RSRC2:TGID_Z_EN: 0
; COMPUTE_PGM_RSRC2:TIDIG_COMP_CNT: 0
	.section	.text._ZN7rocprim17ROCPRIM_400000_NS6detail17trampoline_kernelINS0_14default_configENS1_33run_length_encode_config_selectorIbjNS0_4plusIjEEEEZZNS1_33reduce_by_key_impl_wrapped_configILNS1_25lookback_scan_determinismE0ES3_S7_N6hipcub16HIPCUB_304000_NS22TransformInputIteratorIbN2at6native8internal12_GLOBAL__N_110LoadBoolOpEPKhlEENS0_17constant_iteratorIjlEEPbPlSO_S6_NS0_8equal_toIbEEEE10hipError_tPvRmT2_T3_mT4_T5_T6_T7_T8_P12ihipStream_tbENKUlT_T0_E_clISt17integral_constantIbLb0EES17_IbLb1EEEEDaS13_S14_EUlS13_E_NS1_11comp_targetILNS1_3genE5ELNS1_11target_archE942ELNS1_3gpuE9ELNS1_3repE0EEENS1_30default_config_static_selectorELNS0_4arch9wavefront6targetE0EEEvT1_,"axG",@progbits,_ZN7rocprim17ROCPRIM_400000_NS6detail17trampoline_kernelINS0_14default_configENS1_33run_length_encode_config_selectorIbjNS0_4plusIjEEEEZZNS1_33reduce_by_key_impl_wrapped_configILNS1_25lookback_scan_determinismE0ES3_S7_N6hipcub16HIPCUB_304000_NS22TransformInputIteratorIbN2at6native8internal12_GLOBAL__N_110LoadBoolOpEPKhlEENS0_17constant_iteratorIjlEEPbPlSO_S6_NS0_8equal_toIbEEEE10hipError_tPvRmT2_T3_mT4_T5_T6_T7_T8_P12ihipStream_tbENKUlT_T0_E_clISt17integral_constantIbLb0EES17_IbLb1EEEEDaS13_S14_EUlS13_E_NS1_11comp_targetILNS1_3genE5ELNS1_11target_archE942ELNS1_3gpuE9ELNS1_3repE0EEENS1_30default_config_static_selectorELNS0_4arch9wavefront6targetE0EEEvT1_,comdat
	.globl	_ZN7rocprim17ROCPRIM_400000_NS6detail17trampoline_kernelINS0_14default_configENS1_33run_length_encode_config_selectorIbjNS0_4plusIjEEEEZZNS1_33reduce_by_key_impl_wrapped_configILNS1_25lookback_scan_determinismE0ES3_S7_N6hipcub16HIPCUB_304000_NS22TransformInputIteratorIbN2at6native8internal12_GLOBAL__N_110LoadBoolOpEPKhlEENS0_17constant_iteratorIjlEEPbPlSO_S6_NS0_8equal_toIbEEEE10hipError_tPvRmT2_T3_mT4_T5_T6_T7_T8_P12ihipStream_tbENKUlT_T0_E_clISt17integral_constantIbLb0EES17_IbLb1EEEEDaS13_S14_EUlS13_E_NS1_11comp_targetILNS1_3genE5ELNS1_11target_archE942ELNS1_3gpuE9ELNS1_3repE0EEENS1_30default_config_static_selectorELNS0_4arch9wavefront6targetE0EEEvT1_ ; -- Begin function _ZN7rocprim17ROCPRIM_400000_NS6detail17trampoline_kernelINS0_14default_configENS1_33run_length_encode_config_selectorIbjNS0_4plusIjEEEEZZNS1_33reduce_by_key_impl_wrapped_configILNS1_25lookback_scan_determinismE0ES3_S7_N6hipcub16HIPCUB_304000_NS22TransformInputIteratorIbN2at6native8internal12_GLOBAL__N_110LoadBoolOpEPKhlEENS0_17constant_iteratorIjlEEPbPlSO_S6_NS0_8equal_toIbEEEE10hipError_tPvRmT2_T3_mT4_T5_T6_T7_T8_P12ihipStream_tbENKUlT_T0_E_clISt17integral_constantIbLb0EES17_IbLb1EEEEDaS13_S14_EUlS13_E_NS1_11comp_targetILNS1_3genE5ELNS1_11target_archE942ELNS1_3gpuE9ELNS1_3repE0EEENS1_30default_config_static_selectorELNS0_4arch9wavefront6targetE0EEEvT1_
	.p2align	8
	.type	_ZN7rocprim17ROCPRIM_400000_NS6detail17trampoline_kernelINS0_14default_configENS1_33run_length_encode_config_selectorIbjNS0_4plusIjEEEEZZNS1_33reduce_by_key_impl_wrapped_configILNS1_25lookback_scan_determinismE0ES3_S7_N6hipcub16HIPCUB_304000_NS22TransformInputIteratorIbN2at6native8internal12_GLOBAL__N_110LoadBoolOpEPKhlEENS0_17constant_iteratorIjlEEPbPlSO_S6_NS0_8equal_toIbEEEE10hipError_tPvRmT2_T3_mT4_T5_T6_T7_T8_P12ihipStream_tbENKUlT_T0_E_clISt17integral_constantIbLb0EES17_IbLb1EEEEDaS13_S14_EUlS13_E_NS1_11comp_targetILNS1_3genE5ELNS1_11target_archE942ELNS1_3gpuE9ELNS1_3repE0EEENS1_30default_config_static_selectorELNS0_4arch9wavefront6targetE0EEEvT1_,@function
_ZN7rocprim17ROCPRIM_400000_NS6detail17trampoline_kernelINS0_14default_configENS1_33run_length_encode_config_selectorIbjNS0_4plusIjEEEEZZNS1_33reduce_by_key_impl_wrapped_configILNS1_25lookback_scan_determinismE0ES3_S7_N6hipcub16HIPCUB_304000_NS22TransformInputIteratorIbN2at6native8internal12_GLOBAL__N_110LoadBoolOpEPKhlEENS0_17constant_iteratorIjlEEPbPlSO_S6_NS0_8equal_toIbEEEE10hipError_tPvRmT2_T3_mT4_T5_T6_T7_T8_P12ihipStream_tbENKUlT_T0_E_clISt17integral_constantIbLb0EES17_IbLb1EEEEDaS13_S14_EUlS13_E_NS1_11comp_targetILNS1_3genE5ELNS1_11target_archE942ELNS1_3gpuE9ELNS1_3repE0EEENS1_30default_config_static_selectorELNS0_4arch9wavefront6targetE0EEEvT1_: ; @_ZN7rocprim17ROCPRIM_400000_NS6detail17trampoline_kernelINS0_14default_configENS1_33run_length_encode_config_selectorIbjNS0_4plusIjEEEEZZNS1_33reduce_by_key_impl_wrapped_configILNS1_25lookback_scan_determinismE0ES3_S7_N6hipcub16HIPCUB_304000_NS22TransformInputIteratorIbN2at6native8internal12_GLOBAL__N_110LoadBoolOpEPKhlEENS0_17constant_iteratorIjlEEPbPlSO_S6_NS0_8equal_toIbEEEE10hipError_tPvRmT2_T3_mT4_T5_T6_T7_T8_P12ihipStream_tbENKUlT_T0_E_clISt17integral_constantIbLb0EES17_IbLb1EEEEDaS13_S14_EUlS13_E_NS1_11comp_targetILNS1_3genE5ELNS1_11target_archE942ELNS1_3gpuE9ELNS1_3repE0EEENS1_30default_config_static_selectorELNS0_4arch9wavefront6targetE0EEEvT1_
; %bb.0:
	.section	.rodata,"a",@progbits
	.p2align	6, 0x0
	.amdhsa_kernel _ZN7rocprim17ROCPRIM_400000_NS6detail17trampoline_kernelINS0_14default_configENS1_33run_length_encode_config_selectorIbjNS0_4plusIjEEEEZZNS1_33reduce_by_key_impl_wrapped_configILNS1_25lookback_scan_determinismE0ES3_S7_N6hipcub16HIPCUB_304000_NS22TransformInputIteratorIbN2at6native8internal12_GLOBAL__N_110LoadBoolOpEPKhlEENS0_17constant_iteratorIjlEEPbPlSO_S6_NS0_8equal_toIbEEEE10hipError_tPvRmT2_T3_mT4_T5_T6_T7_T8_P12ihipStream_tbENKUlT_T0_E_clISt17integral_constantIbLb0EES17_IbLb1EEEEDaS13_S14_EUlS13_E_NS1_11comp_targetILNS1_3genE5ELNS1_11target_archE942ELNS1_3gpuE9ELNS1_3repE0EEENS1_30default_config_static_selectorELNS0_4arch9wavefront6targetE0EEEvT1_
		.amdhsa_group_segment_fixed_size 0
		.amdhsa_private_segment_fixed_size 0
		.amdhsa_kernarg_size 136
		.amdhsa_user_sgpr_count 2
		.amdhsa_user_sgpr_dispatch_ptr 0
		.amdhsa_user_sgpr_queue_ptr 0
		.amdhsa_user_sgpr_kernarg_segment_ptr 1
		.amdhsa_user_sgpr_dispatch_id 0
		.amdhsa_user_sgpr_kernarg_preload_length 0
		.amdhsa_user_sgpr_kernarg_preload_offset 0
		.amdhsa_user_sgpr_private_segment_size 0
		.amdhsa_wavefront_size32 1
		.amdhsa_uses_dynamic_stack 0
		.amdhsa_enable_private_segment 0
		.amdhsa_system_sgpr_workgroup_id_x 1
		.amdhsa_system_sgpr_workgroup_id_y 0
		.amdhsa_system_sgpr_workgroup_id_z 0
		.amdhsa_system_sgpr_workgroup_info 0
		.amdhsa_system_vgpr_workitem_id 0
		.amdhsa_next_free_vgpr 1
		.amdhsa_next_free_sgpr 1
		.amdhsa_named_barrier_count 0
		.amdhsa_reserve_vcc 0
		.amdhsa_float_round_mode_32 0
		.amdhsa_float_round_mode_16_64 0
		.amdhsa_float_denorm_mode_32 3
		.amdhsa_float_denorm_mode_16_64 3
		.amdhsa_fp16_overflow 0
		.amdhsa_memory_ordered 1
		.amdhsa_forward_progress 1
		.amdhsa_inst_pref_size 0
		.amdhsa_round_robin_scheduling 0
		.amdhsa_exception_fp_ieee_invalid_op 0
		.amdhsa_exception_fp_denorm_src 0
		.amdhsa_exception_fp_ieee_div_zero 0
		.amdhsa_exception_fp_ieee_overflow 0
		.amdhsa_exception_fp_ieee_underflow 0
		.amdhsa_exception_fp_ieee_inexact 0
		.amdhsa_exception_int_div_zero 0
	.end_amdhsa_kernel
	.section	.text._ZN7rocprim17ROCPRIM_400000_NS6detail17trampoline_kernelINS0_14default_configENS1_33run_length_encode_config_selectorIbjNS0_4plusIjEEEEZZNS1_33reduce_by_key_impl_wrapped_configILNS1_25lookback_scan_determinismE0ES3_S7_N6hipcub16HIPCUB_304000_NS22TransformInputIteratorIbN2at6native8internal12_GLOBAL__N_110LoadBoolOpEPKhlEENS0_17constant_iteratorIjlEEPbPlSO_S6_NS0_8equal_toIbEEEE10hipError_tPvRmT2_T3_mT4_T5_T6_T7_T8_P12ihipStream_tbENKUlT_T0_E_clISt17integral_constantIbLb0EES17_IbLb1EEEEDaS13_S14_EUlS13_E_NS1_11comp_targetILNS1_3genE5ELNS1_11target_archE942ELNS1_3gpuE9ELNS1_3repE0EEENS1_30default_config_static_selectorELNS0_4arch9wavefront6targetE0EEEvT1_,"axG",@progbits,_ZN7rocprim17ROCPRIM_400000_NS6detail17trampoline_kernelINS0_14default_configENS1_33run_length_encode_config_selectorIbjNS0_4plusIjEEEEZZNS1_33reduce_by_key_impl_wrapped_configILNS1_25lookback_scan_determinismE0ES3_S7_N6hipcub16HIPCUB_304000_NS22TransformInputIteratorIbN2at6native8internal12_GLOBAL__N_110LoadBoolOpEPKhlEENS0_17constant_iteratorIjlEEPbPlSO_S6_NS0_8equal_toIbEEEE10hipError_tPvRmT2_T3_mT4_T5_T6_T7_T8_P12ihipStream_tbENKUlT_T0_E_clISt17integral_constantIbLb0EES17_IbLb1EEEEDaS13_S14_EUlS13_E_NS1_11comp_targetILNS1_3genE5ELNS1_11target_archE942ELNS1_3gpuE9ELNS1_3repE0EEENS1_30default_config_static_selectorELNS0_4arch9wavefront6targetE0EEEvT1_,comdat
.Lfunc_end89:
	.size	_ZN7rocprim17ROCPRIM_400000_NS6detail17trampoline_kernelINS0_14default_configENS1_33run_length_encode_config_selectorIbjNS0_4plusIjEEEEZZNS1_33reduce_by_key_impl_wrapped_configILNS1_25lookback_scan_determinismE0ES3_S7_N6hipcub16HIPCUB_304000_NS22TransformInputIteratorIbN2at6native8internal12_GLOBAL__N_110LoadBoolOpEPKhlEENS0_17constant_iteratorIjlEEPbPlSO_S6_NS0_8equal_toIbEEEE10hipError_tPvRmT2_T3_mT4_T5_T6_T7_T8_P12ihipStream_tbENKUlT_T0_E_clISt17integral_constantIbLb0EES17_IbLb1EEEEDaS13_S14_EUlS13_E_NS1_11comp_targetILNS1_3genE5ELNS1_11target_archE942ELNS1_3gpuE9ELNS1_3repE0EEENS1_30default_config_static_selectorELNS0_4arch9wavefront6targetE0EEEvT1_, .Lfunc_end89-_ZN7rocprim17ROCPRIM_400000_NS6detail17trampoline_kernelINS0_14default_configENS1_33run_length_encode_config_selectorIbjNS0_4plusIjEEEEZZNS1_33reduce_by_key_impl_wrapped_configILNS1_25lookback_scan_determinismE0ES3_S7_N6hipcub16HIPCUB_304000_NS22TransformInputIteratorIbN2at6native8internal12_GLOBAL__N_110LoadBoolOpEPKhlEENS0_17constant_iteratorIjlEEPbPlSO_S6_NS0_8equal_toIbEEEE10hipError_tPvRmT2_T3_mT4_T5_T6_T7_T8_P12ihipStream_tbENKUlT_T0_E_clISt17integral_constantIbLb0EES17_IbLb1EEEEDaS13_S14_EUlS13_E_NS1_11comp_targetILNS1_3genE5ELNS1_11target_archE942ELNS1_3gpuE9ELNS1_3repE0EEENS1_30default_config_static_selectorELNS0_4arch9wavefront6targetE0EEEvT1_
                                        ; -- End function
	.set _ZN7rocprim17ROCPRIM_400000_NS6detail17trampoline_kernelINS0_14default_configENS1_33run_length_encode_config_selectorIbjNS0_4plusIjEEEEZZNS1_33reduce_by_key_impl_wrapped_configILNS1_25lookback_scan_determinismE0ES3_S7_N6hipcub16HIPCUB_304000_NS22TransformInputIteratorIbN2at6native8internal12_GLOBAL__N_110LoadBoolOpEPKhlEENS0_17constant_iteratorIjlEEPbPlSO_S6_NS0_8equal_toIbEEEE10hipError_tPvRmT2_T3_mT4_T5_T6_T7_T8_P12ihipStream_tbENKUlT_T0_E_clISt17integral_constantIbLb0EES17_IbLb1EEEEDaS13_S14_EUlS13_E_NS1_11comp_targetILNS1_3genE5ELNS1_11target_archE942ELNS1_3gpuE9ELNS1_3repE0EEENS1_30default_config_static_selectorELNS0_4arch9wavefront6targetE0EEEvT1_.num_vgpr, 0
	.set _ZN7rocprim17ROCPRIM_400000_NS6detail17trampoline_kernelINS0_14default_configENS1_33run_length_encode_config_selectorIbjNS0_4plusIjEEEEZZNS1_33reduce_by_key_impl_wrapped_configILNS1_25lookback_scan_determinismE0ES3_S7_N6hipcub16HIPCUB_304000_NS22TransformInputIteratorIbN2at6native8internal12_GLOBAL__N_110LoadBoolOpEPKhlEENS0_17constant_iteratorIjlEEPbPlSO_S6_NS0_8equal_toIbEEEE10hipError_tPvRmT2_T3_mT4_T5_T6_T7_T8_P12ihipStream_tbENKUlT_T0_E_clISt17integral_constantIbLb0EES17_IbLb1EEEEDaS13_S14_EUlS13_E_NS1_11comp_targetILNS1_3genE5ELNS1_11target_archE942ELNS1_3gpuE9ELNS1_3repE0EEENS1_30default_config_static_selectorELNS0_4arch9wavefront6targetE0EEEvT1_.num_agpr, 0
	.set _ZN7rocprim17ROCPRIM_400000_NS6detail17trampoline_kernelINS0_14default_configENS1_33run_length_encode_config_selectorIbjNS0_4plusIjEEEEZZNS1_33reduce_by_key_impl_wrapped_configILNS1_25lookback_scan_determinismE0ES3_S7_N6hipcub16HIPCUB_304000_NS22TransformInputIteratorIbN2at6native8internal12_GLOBAL__N_110LoadBoolOpEPKhlEENS0_17constant_iteratorIjlEEPbPlSO_S6_NS0_8equal_toIbEEEE10hipError_tPvRmT2_T3_mT4_T5_T6_T7_T8_P12ihipStream_tbENKUlT_T0_E_clISt17integral_constantIbLb0EES17_IbLb1EEEEDaS13_S14_EUlS13_E_NS1_11comp_targetILNS1_3genE5ELNS1_11target_archE942ELNS1_3gpuE9ELNS1_3repE0EEENS1_30default_config_static_selectorELNS0_4arch9wavefront6targetE0EEEvT1_.numbered_sgpr, 0
	.set _ZN7rocprim17ROCPRIM_400000_NS6detail17trampoline_kernelINS0_14default_configENS1_33run_length_encode_config_selectorIbjNS0_4plusIjEEEEZZNS1_33reduce_by_key_impl_wrapped_configILNS1_25lookback_scan_determinismE0ES3_S7_N6hipcub16HIPCUB_304000_NS22TransformInputIteratorIbN2at6native8internal12_GLOBAL__N_110LoadBoolOpEPKhlEENS0_17constant_iteratorIjlEEPbPlSO_S6_NS0_8equal_toIbEEEE10hipError_tPvRmT2_T3_mT4_T5_T6_T7_T8_P12ihipStream_tbENKUlT_T0_E_clISt17integral_constantIbLb0EES17_IbLb1EEEEDaS13_S14_EUlS13_E_NS1_11comp_targetILNS1_3genE5ELNS1_11target_archE942ELNS1_3gpuE9ELNS1_3repE0EEENS1_30default_config_static_selectorELNS0_4arch9wavefront6targetE0EEEvT1_.num_named_barrier, 0
	.set _ZN7rocprim17ROCPRIM_400000_NS6detail17trampoline_kernelINS0_14default_configENS1_33run_length_encode_config_selectorIbjNS0_4plusIjEEEEZZNS1_33reduce_by_key_impl_wrapped_configILNS1_25lookback_scan_determinismE0ES3_S7_N6hipcub16HIPCUB_304000_NS22TransformInputIteratorIbN2at6native8internal12_GLOBAL__N_110LoadBoolOpEPKhlEENS0_17constant_iteratorIjlEEPbPlSO_S6_NS0_8equal_toIbEEEE10hipError_tPvRmT2_T3_mT4_T5_T6_T7_T8_P12ihipStream_tbENKUlT_T0_E_clISt17integral_constantIbLb0EES17_IbLb1EEEEDaS13_S14_EUlS13_E_NS1_11comp_targetILNS1_3genE5ELNS1_11target_archE942ELNS1_3gpuE9ELNS1_3repE0EEENS1_30default_config_static_selectorELNS0_4arch9wavefront6targetE0EEEvT1_.private_seg_size, 0
	.set _ZN7rocprim17ROCPRIM_400000_NS6detail17trampoline_kernelINS0_14default_configENS1_33run_length_encode_config_selectorIbjNS0_4plusIjEEEEZZNS1_33reduce_by_key_impl_wrapped_configILNS1_25lookback_scan_determinismE0ES3_S7_N6hipcub16HIPCUB_304000_NS22TransformInputIteratorIbN2at6native8internal12_GLOBAL__N_110LoadBoolOpEPKhlEENS0_17constant_iteratorIjlEEPbPlSO_S6_NS0_8equal_toIbEEEE10hipError_tPvRmT2_T3_mT4_T5_T6_T7_T8_P12ihipStream_tbENKUlT_T0_E_clISt17integral_constantIbLb0EES17_IbLb1EEEEDaS13_S14_EUlS13_E_NS1_11comp_targetILNS1_3genE5ELNS1_11target_archE942ELNS1_3gpuE9ELNS1_3repE0EEENS1_30default_config_static_selectorELNS0_4arch9wavefront6targetE0EEEvT1_.uses_vcc, 0
	.set _ZN7rocprim17ROCPRIM_400000_NS6detail17trampoline_kernelINS0_14default_configENS1_33run_length_encode_config_selectorIbjNS0_4plusIjEEEEZZNS1_33reduce_by_key_impl_wrapped_configILNS1_25lookback_scan_determinismE0ES3_S7_N6hipcub16HIPCUB_304000_NS22TransformInputIteratorIbN2at6native8internal12_GLOBAL__N_110LoadBoolOpEPKhlEENS0_17constant_iteratorIjlEEPbPlSO_S6_NS0_8equal_toIbEEEE10hipError_tPvRmT2_T3_mT4_T5_T6_T7_T8_P12ihipStream_tbENKUlT_T0_E_clISt17integral_constantIbLb0EES17_IbLb1EEEEDaS13_S14_EUlS13_E_NS1_11comp_targetILNS1_3genE5ELNS1_11target_archE942ELNS1_3gpuE9ELNS1_3repE0EEENS1_30default_config_static_selectorELNS0_4arch9wavefront6targetE0EEEvT1_.uses_flat_scratch, 0
	.set _ZN7rocprim17ROCPRIM_400000_NS6detail17trampoline_kernelINS0_14default_configENS1_33run_length_encode_config_selectorIbjNS0_4plusIjEEEEZZNS1_33reduce_by_key_impl_wrapped_configILNS1_25lookback_scan_determinismE0ES3_S7_N6hipcub16HIPCUB_304000_NS22TransformInputIteratorIbN2at6native8internal12_GLOBAL__N_110LoadBoolOpEPKhlEENS0_17constant_iteratorIjlEEPbPlSO_S6_NS0_8equal_toIbEEEE10hipError_tPvRmT2_T3_mT4_T5_T6_T7_T8_P12ihipStream_tbENKUlT_T0_E_clISt17integral_constantIbLb0EES17_IbLb1EEEEDaS13_S14_EUlS13_E_NS1_11comp_targetILNS1_3genE5ELNS1_11target_archE942ELNS1_3gpuE9ELNS1_3repE0EEENS1_30default_config_static_selectorELNS0_4arch9wavefront6targetE0EEEvT1_.has_dyn_sized_stack, 0
	.set _ZN7rocprim17ROCPRIM_400000_NS6detail17trampoline_kernelINS0_14default_configENS1_33run_length_encode_config_selectorIbjNS0_4plusIjEEEEZZNS1_33reduce_by_key_impl_wrapped_configILNS1_25lookback_scan_determinismE0ES3_S7_N6hipcub16HIPCUB_304000_NS22TransformInputIteratorIbN2at6native8internal12_GLOBAL__N_110LoadBoolOpEPKhlEENS0_17constant_iteratorIjlEEPbPlSO_S6_NS0_8equal_toIbEEEE10hipError_tPvRmT2_T3_mT4_T5_T6_T7_T8_P12ihipStream_tbENKUlT_T0_E_clISt17integral_constantIbLb0EES17_IbLb1EEEEDaS13_S14_EUlS13_E_NS1_11comp_targetILNS1_3genE5ELNS1_11target_archE942ELNS1_3gpuE9ELNS1_3repE0EEENS1_30default_config_static_selectorELNS0_4arch9wavefront6targetE0EEEvT1_.has_recursion, 0
	.set _ZN7rocprim17ROCPRIM_400000_NS6detail17trampoline_kernelINS0_14default_configENS1_33run_length_encode_config_selectorIbjNS0_4plusIjEEEEZZNS1_33reduce_by_key_impl_wrapped_configILNS1_25lookback_scan_determinismE0ES3_S7_N6hipcub16HIPCUB_304000_NS22TransformInputIteratorIbN2at6native8internal12_GLOBAL__N_110LoadBoolOpEPKhlEENS0_17constant_iteratorIjlEEPbPlSO_S6_NS0_8equal_toIbEEEE10hipError_tPvRmT2_T3_mT4_T5_T6_T7_T8_P12ihipStream_tbENKUlT_T0_E_clISt17integral_constantIbLb0EES17_IbLb1EEEEDaS13_S14_EUlS13_E_NS1_11comp_targetILNS1_3genE5ELNS1_11target_archE942ELNS1_3gpuE9ELNS1_3repE0EEENS1_30default_config_static_selectorELNS0_4arch9wavefront6targetE0EEEvT1_.has_indirect_call, 0
	.section	.AMDGPU.csdata,"",@progbits
; Kernel info:
; codeLenInByte = 0
; TotalNumSgprs: 0
; NumVgprs: 0
; ScratchSize: 0
; MemoryBound: 0
; FloatMode: 240
; IeeeMode: 1
; LDSByteSize: 0 bytes/workgroup (compile time only)
; SGPRBlocks: 0
; VGPRBlocks: 0
; NumSGPRsForWavesPerEU: 1
; NumVGPRsForWavesPerEU: 1
; NamedBarCnt: 0
; Occupancy: 16
; WaveLimiterHint : 0
; COMPUTE_PGM_RSRC2:SCRATCH_EN: 0
; COMPUTE_PGM_RSRC2:USER_SGPR: 2
; COMPUTE_PGM_RSRC2:TRAP_HANDLER: 0
; COMPUTE_PGM_RSRC2:TGID_X_EN: 1
; COMPUTE_PGM_RSRC2:TGID_Y_EN: 0
; COMPUTE_PGM_RSRC2:TGID_Z_EN: 0
; COMPUTE_PGM_RSRC2:TIDIG_COMP_CNT: 0
	.section	.text._ZN7rocprim17ROCPRIM_400000_NS6detail17trampoline_kernelINS0_14default_configENS1_33run_length_encode_config_selectorIbjNS0_4plusIjEEEEZZNS1_33reduce_by_key_impl_wrapped_configILNS1_25lookback_scan_determinismE0ES3_S7_N6hipcub16HIPCUB_304000_NS22TransformInputIteratorIbN2at6native8internal12_GLOBAL__N_110LoadBoolOpEPKhlEENS0_17constant_iteratorIjlEEPbPlSO_S6_NS0_8equal_toIbEEEE10hipError_tPvRmT2_T3_mT4_T5_T6_T7_T8_P12ihipStream_tbENKUlT_T0_E_clISt17integral_constantIbLb0EES17_IbLb1EEEEDaS13_S14_EUlS13_E_NS1_11comp_targetILNS1_3genE4ELNS1_11target_archE910ELNS1_3gpuE8ELNS1_3repE0EEENS1_30default_config_static_selectorELNS0_4arch9wavefront6targetE0EEEvT1_,"axG",@progbits,_ZN7rocprim17ROCPRIM_400000_NS6detail17trampoline_kernelINS0_14default_configENS1_33run_length_encode_config_selectorIbjNS0_4plusIjEEEEZZNS1_33reduce_by_key_impl_wrapped_configILNS1_25lookback_scan_determinismE0ES3_S7_N6hipcub16HIPCUB_304000_NS22TransformInputIteratorIbN2at6native8internal12_GLOBAL__N_110LoadBoolOpEPKhlEENS0_17constant_iteratorIjlEEPbPlSO_S6_NS0_8equal_toIbEEEE10hipError_tPvRmT2_T3_mT4_T5_T6_T7_T8_P12ihipStream_tbENKUlT_T0_E_clISt17integral_constantIbLb0EES17_IbLb1EEEEDaS13_S14_EUlS13_E_NS1_11comp_targetILNS1_3genE4ELNS1_11target_archE910ELNS1_3gpuE8ELNS1_3repE0EEENS1_30default_config_static_selectorELNS0_4arch9wavefront6targetE0EEEvT1_,comdat
	.globl	_ZN7rocprim17ROCPRIM_400000_NS6detail17trampoline_kernelINS0_14default_configENS1_33run_length_encode_config_selectorIbjNS0_4plusIjEEEEZZNS1_33reduce_by_key_impl_wrapped_configILNS1_25lookback_scan_determinismE0ES3_S7_N6hipcub16HIPCUB_304000_NS22TransformInputIteratorIbN2at6native8internal12_GLOBAL__N_110LoadBoolOpEPKhlEENS0_17constant_iteratorIjlEEPbPlSO_S6_NS0_8equal_toIbEEEE10hipError_tPvRmT2_T3_mT4_T5_T6_T7_T8_P12ihipStream_tbENKUlT_T0_E_clISt17integral_constantIbLb0EES17_IbLb1EEEEDaS13_S14_EUlS13_E_NS1_11comp_targetILNS1_3genE4ELNS1_11target_archE910ELNS1_3gpuE8ELNS1_3repE0EEENS1_30default_config_static_selectorELNS0_4arch9wavefront6targetE0EEEvT1_ ; -- Begin function _ZN7rocprim17ROCPRIM_400000_NS6detail17trampoline_kernelINS0_14default_configENS1_33run_length_encode_config_selectorIbjNS0_4plusIjEEEEZZNS1_33reduce_by_key_impl_wrapped_configILNS1_25lookback_scan_determinismE0ES3_S7_N6hipcub16HIPCUB_304000_NS22TransformInputIteratorIbN2at6native8internal12_GLOBAL__N_110LoadBoolOpEPKhlEENS0_17constant_iteratorIjlEEPbPlSO_S6_NS0_8equal_toIbEEEE10hipError_tPvRmT2_T3_mT4_T5_T6_T7_T8_P12ihipStream_tbENKUlT_T0_E_clISt17integral_constantIbLb0EES17_IbLb1EEEEDaS13_S14_EUlS13_E_NS1_11comp_targetILNS1_3genE4ELNS1_11target_archE910ELNS1_3gpuE8ELNS1_3repE0EEENS1_30default_config_static_selectorELNS0_4arch9wavefront6targetE0EEEvT1_
	.p2align	8
	.type	_ZN7rocprim17ROCPRIM_400000_NS6detail17trampoline_kernelINS0_14default_configENS1_33run_length_encode_config_selectorIbjNS0_4plusIjEEEEZZNS1_33reduce_by_key_impl_wrapped_configILNS1_25lookback_scan_determinismE0ES3_S7_N6hipcub16HIPCUB_304000_NS22TransformInputIteratorIbN2at6native8internal12_GLOBAL__N_110LoadBoolOpEPKhlEENS0_17constant_iteratorIjlEEPbPlSO_S6_NS0_8equal_toIbEEEE10hipError_tPvRmT2_T3_mT4_T5_T6_T7_T8_P12ihipStream_tbENKUlT_T0_E_clISt17integral_constantIbLb0EES17_IbLb1EEEEDaS13_S14_EUlS13_E_NS1_11comp_targetILNS1_3genE4ELNS1_11target_archE910ELNS1_3gpuE8ELNS1_3repE0EEENS1_30default_config_static_selectorELNS0_4arch9wavefront6targetE0EEEvT1_,@function
_ZN7rocprim17ROCPRIM_400000_NS6detail17trampoline_kernelINS0_14default_configENS1_33run_length_encode_config_selectorIbjNS0_4plusIjEEEEZZNS1_33reduce_by_key_impl_wrapped_configILNS1_25lookback_scan_determinismE0ES3_S7_N6hipcub16HIPCUB_304000_NS22TransformInputIteratorIbN2at6native8internal12_GLOBAL__N_110LoadBoolOpEPKhlEENS0_17constant_iteratorIjlEEPbPlSO_S6_NS0_8equal_toIbEEEE10hipError_tPvRmT2_T3_mT4_T5_T6_T7_T8_P12ihipStream_tbENKUlT_T0_E_clISt17integral_constantIbLb0EES17_IbLb1EEEEDaS13_S14_EUlS13_E_NS1_11comp_targetILNS1_3genE4ELNS1_11target_archE910ELNS1_3gpuE8ELNS1_3repE0EEENS1_30default_config_static_selectorELNS0_4arch9wavefront6targetE0EEEvT1_: ; @_ZN7rocprim17ROCPRIM_400000_NS6detail17trampoline_kernelINS0_14default_configENS1_33run_length_encode_config_selectorIbjNS0_4plusIjEEEEZZNS1_33reduce_by_key_impl_wrapped_configILNS1_25lookback_scan_determinismE0ES3_S7_N6hipcub16HIPCUB_304000_NS22TransformInputIteratorIbN2at6native8internal12_GLOBAL__N_110LoadBoolOpEPKhlEENS0_17constant_iteratorIjlEEPbPlSO_S6_NS0_8equal_toIbEEEE10hipError_tPvRmT2_T3_mT4_T5_T6_T7_T8_P12ihipStream_tbENKUlT_T0_E_clISt17integral_constantIbLb0EES17_IbLb1EEEEDaS13_S14_EUlS13_E_NS1_11comp_targetILNS1_3genE4ELNS1_11target_archE910ELNS1_3gpuE8ELNS1_3repE0EEENS1_30default_config_static_selectorELNS0_4arch9wavefront6targetE0EEEvT1_
; %bb.0:
	.section	.rodata,"a",@progbits
	.p2align	6, 0x0
	.amdhsa_kernel _ZN7rocprim17ROCPRIM_400000_NS6detail17trampoline_kernelINS0_14default_configENS1_33run_length_encode_config_selectorIbjNS0_4plusIjEEEEZZNS1_33reduce_by_key_impl_wrapped_configILNS1_25lookback_scan_determinismE0ES3_S7_N6hipcub16HIPCUB_304000_NS22TransformInputIteratorIbN2at6native8internal12_GLOBAL__N_110LoadBoolOpEPKhlEENS0_17constant_iteratorIjlEEPbPlSO_S6_NS0_8equal_toIbEEEE10hipError_tPvRmT2_T3_mT4_T5_T6_T7_T8_P12ihipStream_tbENKUlT_T0_E_clISt17integral_constantIbLb0EES17_IbLb1EEEEDaS13_S14_EUlS13_E_NS1_11comp_targetILNS1_3genE4ELNS1_11target_archE910ELNS1_3gpuE8ELNS1_3repE0EEENS1_30default_config_static_selectorELNS0_4arch9wavefront6targetE0EEEvT1_
		.amdhsa_group_segment_fixed_size 0
		.amdhsa_private_segment_fixed_size 0
		.amdhsa_kernarg_size 136
		.amdhsa_user_sgpr_count 2
		.amdhsa_user_sgpr_dispatch_ptr 0
		.amdhsa_user_sgpr_queue_ptr 0
		.amdhsa_user_sgpr_kernarg_segment_ptr 1
		.amdhsa_user_sgpr_dispatch_id 0
		.amdhsa_user_sgpr_kernarg_preload_length 0
		.amdhsa_user_sgpr_kernarg_preload_offset 0
		.amdhsa_user_sgpr_private_segment_size 0
		.amdhsa_wavefront_size32 1
		.amdhsa_uses_dynamic_stack 0
		.amdhsa_enable_private_segment 0
		.amdhsa_system_sgpr_workgroup_id_x 1
		.amdhsa_system_sgpr_workgroup_id_y 0
		.amdhsa_system_sgpr_workgroup_id_z 0
		.amdhsa_system_sgpr_workgroup_info 0
		.amdhsa_system_vgpr_workitem_id 0
		.amdhsa_next_free_vgpr 1
		.amdhsa_next_free_sgpr 1
		.amdhsa_named_barrier_count 0
		.amdhsa_reserve_vcc 0
		.amdhsa_float_round_mode_32 0
		.amdhsa_float_round_mode_16_64 0
		.amdhsa_float_denorm_mode_32 3
		.amdhsa_float_denorm_mode_16_64 3
		.amdhsa_fp16_overflow 0
		.amdhsa_memory_ordered 1
		.amdhsa_forward_progress 1
		.amdhsa_inst_pref_size 0
		.amdhsa_round_robin_scheduling 0
		.amdhsa_exception_fp_ieee_invalid_op 0
		.amdhsa_exception_fp_denorm_src 0
		.amdhsa_exception_fp_ieee_div_zero 0
		.amdhsa_exception_fp_ieee_overflow 0
		.amdhsa_exception_fp_ieee_underflow 0
		.amdhsa_exception_fp_ieee_inexact 0
		.amdhsa_exception_int_div_zero 0
	.end_amdhsa_kernel
	.section	.text._ZN7rocprim17ROCPRIM_400000_NS6detail17trampoline_kernelINS0_14default_configENS1_33run_length_encode_config_selectorIbjNS0_4plusIjEEEEZZNS1_33reduce_by_key_impl_wrapped_configILNS1_25lookback_scan_determinismE0ES3_S7_N6hipcub16HIPCUB_304000_NS22TransformInputIteratorIbN2at6native8internal12_GLOBAL__N_110LoadBoolOpEPKhlEENS0_17constant_iteratorIjlEEPbPlSO_S6_NS0_8equal_toIbEEEE10hipError_tPvRmT2_T3_mT4_T5_T6_T7_T8_P12ihipStream_tbENKUlT_T0_E_clISt17integral_constantIbLb0EES17_IbLb1EEEEDaS13_S14_EUlS13_E_NS1_11comp_targetILNS1_3genE4ELNS1_11target_archE910ELNS1_3gpuE8ELNS1_3repE0EEENS1_30default_config_static_selectorELNS0_4arch9wavefront6targetE0EEEvT1_,"axG",@progbits,_ZN7rocprim17ROCPRIM_400000_NS6detail17trampoline_kernelINS0_14default_configENS1_33run_length_encode_config_selectorIbjNS0_4plusIjEEEEZZNS1_33reduce_by_key_impl_wrapped_configILNS1_25lookback_scan_determinismE0ES3_S7_N6hipcub16HIPCUB_304000_NS22TransformInputIteratorIbN2at6native8internal12_GLOBAL__N_110LoadBoolOpEPKhlEENS0_17constant_iteratorIjlEEPbPlSO_S6_NS0_8equal_toIbEEEE10hipError_tPvRmT2_T3_mT4_T5_T6_T7_T8_P12ihipStream_tbENKUlT_T0_E_clISt17integral_constantIbLb0EES17_IbLb1EEEEDaS13_S14_EUlS13_E_NS1_11comp_targetILNS1_3genE4ELNS1_11target_archE910ELNS1_3gpuE8ELNS1_3repE0EEENS1_30default_config_static_selectorELNS0_4arch9wavefront6targetE0EEEvT1_,comdat
.Lfunc_end90:
	.size	_ZN7rocprim17ROCPRIM_400000_NS6detail17trampoline_kernelINS0_14default_configENS1_33run_length_encode_config_selectorIbjNS0_4plusIjEEEEZZNS1_33reduce_by_key_impl_wrapped_configILNS1_25lookback_scan_determinismE0ES3_S7_N6hipcub16HIPCUB_304000_NS22TransformInputIteratorIbN2at6native8internal12_GLOBAL__N_110LoadBoolOpEPKhlEENS0_17constant_iteratorIjlEEPbPlSO_S6_NS0_8equal_toIbEEEE10hipError_tPvRmT2_T3_mT4_T5_T6_T7_T8_P12ihipStream_tbENKUlT_T0_E_clISt17integral_constantIbLb0EES17_IbLb1EEEEDaS13_S14_EUlS13_E_NS1_11comp_targetILNS1_3genE4ELNS1_11target_archE910ELNS1_3gpuE8ELNS1_3repE0EEENS1_30default_config_static_selectorELNS0_4arch9wavefront6targetE0EEEvT1_, .Lfunc_end90-_ZN7rocprim17ROCPRIM_400000_NS6detail17trampoline_kernelINS0_14default_configENS1_33run_length_encode_config_selectorIbjNS0_4plusIjEEEEZZNS1_33reduce_by_key_impl_wrapped_configILNS1_25lookback_scan_determinismE0ES3_S7_N6hipcub16HIPCUB_304000_NS22TransformInputIteratorIbN2at6native8internal12_GLOBAL__N_110LoadBoolOpEPKhlEENS0_17constant_iteratorIjlEEPbPlSO_S6_NS0_8equal_toIbEEEE10hipError_tPvRmT2_T3_mT4_T5_T6_T7_T8_P12ihipStream_tbENKUlT_T0_E_clISt17integral_constantIbLb0EES17_IbLb1EEEEDaS13_S14_EUlS13_E_NS1_11comp_targetILNS1_3genE4ELNS1_11target_archE910ELNS1_3gpuE8ELNS1_3repE0EEENS1_30default_config_static_selectorELNS0_4arch9wavefront6targetE0EEEvT1_
                                        ; -- End function
	.set _ZN7rocprim17ROCPRIM_400000_NS6detail17trampoline_kernelINS0_14default_configENS1_33run_length_encode_config_selectorIbjNS0_4plusIjEEEEZZNS1_33reduce_by_key_impl_wrapped_configILNS1_25lookback_scan_determinismE0ES3_S7_N6hipcub16HIPCUB_304000_NS22TransformInputIteratorIbN2at6native8internal12_GLOBAL__N_110LoadBoolOpEPKhlEENS0_17constant_iteratorIjlEEPbPlSO_S6_NS0_8equal_toIbEEEE10hipError_tPvRmT2_T3_mT4_T5_T6_T7_T8_P12ihipStream_tbENKUlT_T0_E_clISt17integral_constantIbLb0EES17_IbLb1EEEEDaS13_S14_EUlS13_E_NS1_11comp_targetILNS1_3genE4ELNS1_11target_archE910ELNS1_3gpuE8ELNS1_3repE0EEENS1_30default_config_static_selectorELNS0_4arch9wavefront6targetE0EEEvT1_.num_vgpr, 0
	.set _ZN7rocprim17ROCPRIM_400000_NS6detail17trampoline_kernelINS0_14default_configENS1_33run_length_encode_config_selectorIbjNS0_4plusIjEEEEZZNS1_33reduce_by_key_impl_wrapped_configILNS1_25lookback_scan_determinismE0ES3_S7_N6hipcub16HIPCUB_304000_NS22TransformInputIteratorIbN2at6native8internal12_GLOBAL__N_110LoadBoolOpEPKhlEENS0_17constant_iteratorIjlEEPbPlSO_S6_NS0_8equal_toIbEEEE10hipError_tPvRmT2_T3_mT4_T5_T6_T7_T8_P12ihipStream_tbENKUlT_T0_E_clISt17integral_constantIbLb0EES17_IbLb1EEEEDaS13_S14_EUlS13_E_NS1_11comp_targetILNS1_3genE4ELNS1_11target_archE910ELNS1_3gpuE8ELNS1_3repE0EEENS1_30default_config_static_selectorELNS0_4arch9wavefront6targetE0EEEvT1_.num_agpr, 0
	.set _ZN7rocprim17ROCPRIM_400000_NS6detail17trampoline_kernelINS0_14default_configENS1_33run_length_encode_config_selectorIbjNS0_4plusIjEEEEZZNS1_33reduce_by_key_impl_wrapped_configILNS1_25lookback_scan_determinismE0ES3_S7_N6hipcub16HIPCUB_304000_NS22TransformInputIteratorIbN2at6native8internal12_GLOBAL__N_110LoadBoolOpEPKhlEENS0_17constant_iteratorIjlEEPbPlSO_S6_NS0_8equal_toIbEEEE10hipError_tPvRmT2_T3_mT4_T5_T6_T7_T8_P12ihipStream_tbENKUlT_T0_E_clISt17integral_constantIbLb0EES17_IbLb1EEEEDaS13_S14_EUlS13_E_NS1_11comp_targetILNS1_3genE4ELNS1_11target_archE910ELNS1_3gpuE8ELNS1_3repE0EEENS1_30default_config_static_selectorELNS0_4arch9wavefront6targetE0EEEvT1_.numbered_sgpr, 0
	.set _ZN7rocprim17ROCPRIM_400000_NS6detail17trampoline_kernelINS0_14default_configENS1_33run_length_encode_config_selectorIbjNS0_4plusIjEEEEZZNS1_33reduce_by_key_impl_wrapped_configILNS1_25lookback_scan_determinismE0ES3_S7_N6hipcub16HIPCUB_304000_NS22TransformInputIteratorIbN2at6native8internal12_GLOBAL__N_110LoadBoolOpEPKhlEENS0_17constant_iteratorIjlEEPbPlSO_S6_NS0_8equal_toIbEEEE10hipError_tPvRmT2_T3_mT4_T5_T6_T7_T8_P12ihipStream_tbENKUlT_T0_E_clISt17integral_constantIbLb0EES17_IbLb1EEEEDaS13_S14_EUlS13_E_NS1_11comp_targetILNS1_3genE4ELNS1_11target_archE910ELNS1_3gpuE8ELNS1_3repE0EEENS1_30default_config_static_selectorELNS0_4arch9wavefront6targetE0EEEvT1_.num_named_barrier, 0
	.set _ZN7rocprim17ROCPRIM_400000_NS6detail17trampoline_kernelINS0_14default_configENS1_33run_length_encode_config_selectorIbjNS0_4plusIjEEEEZZNS1_33reduce_by_key_impl_wrapped_configILNS1_25lookback_scan_determinismE0ES3_S7_N6hipcub16HIPCUB_304000_NS22TransformInputIteratorIbN2at6native8internal12_GLOBAL__N_110LoadBoolOpEPKhlEENS0_17constant_iteratorIjlEEPbPlSO_S6_NS0_8equal_toIbEEEE10hipError_tPvRmT2_T3_mT4_T5_T6_T7_T8_P12ihipStream_tbENKUlT_T0_E_clISt17integral_constantIbLb0EES17_IbLb1EEEEDaS13_S14_EUlS13_E_NS1_11comp_targetILNS1_3genE4ELNS1_11target_archE910ELNS1_3gpuE8ELNS1_3repE0EEENS1_30default_config_static_selectorELNS0_4arch9wavefront6targetE0EEEvT1_.private_seg_size, 0
	.set _ZN7rocprim17ROCPRIM_400000_NS6detail17trampoline_kernelINS0_14default_configENS1_33run_length_encode_config_selectorIbjNS0_4plusIjEEEEZZNS1_33reduce_by_key_impl_wrapped_configILNS1_25lookback_scan_determinismE0ES3_S7_N6hipcub16HIPCUB_304000_NS22TransformInputIteratorIbN2at6native8internal12_GLOBAL__N_110LoadBoolOpEPKhlEENS0_17constant_iteratorIjlEEPbPlSO_S6_NS0_8equal_toIbEEEE10hipError_tPvRmT2_T3_mT4_T5_T6_T7_T8_P12ihipStream_tbENKUlT_T0_E_clISt17integral_constantIbLb0EES17_IbLb1EEEEDaS13_S14_EUlS13_E_NS1_11comp_targetILNS1_3genE4ELNS1_11target_archE910ELNS1_3gpuE8ELNS1_3repE0EEENS1_30default_config_static_selectorELNS0_4arch9wavefront6targetE0EEEvT1_.uses_vcc, 0
	.set _ZN7rocprim17ROCPRIM_400000_NS6detail17trampoline_kernelINS0_14default_configENS1_33run_length_encode_config_selectorIbjNS0_4plusIjEEEEZZNS1_33reduce_by_key_impl_wrapped_configILNS1_25lookback_scan_determinismE0ES3_S7_N6hipcub16HIPCUB_304000_NS22TransformInputIteratorIbN2at6native8internal12_GLOBAL__N_110LoadBoolOpEPKhlEENS0_17constant_iteratorIjlEEPbPlSO_S6_NS0_8equal_toIbEEEE10hipError_tPvRmT2_T3_mT4_T5_T6_T7_T8_P12ihipStream_tbENKUlT_T0_E_clISt17integral_constantIbLb0EES17_IbLb1EEEEDaS13_S14_EUlS13_E_NS1_11comp_targetILNS1_3genE4ELNS1_11target_archE910ELNS1_3gpuE8ELNS1_3repE0EEENS1_30default_config_static_selectorELNS0_4arch9wavefront6targetE0EEEvT1_.uses_flat_scratch, 0
	.set _ZN7rocprim17ROCPRIM_400000_NS6detail17trampoline_kernelINS0_14default_configENS1_33run_length_encode_config_selectorIbjNS0_4plusIjEEEEZZNS1_33reduce_by_key_impl_wrapped_configILNS1_25lookback_scan_determinismE0ES3_S7_N6hipcub16HIPCUB_304000_NS22TransformInputIteratorIbN2at6native8internal12_GLOBAL__N_110LoadBoolOpEPKhlEENS0_17constant_iteratorIjlEEPbPlSO_S6_NS0_8equal_toIbEEEE10hipError_tPvRmT2_T3_mT4_T5_T6_T7_T8_P12ihipStream_tbENKUlT_T0_E_clISt17integral_constantIbLb0EES17_IbLb1EEEEDaS13_S14_EUlS13_E_NS1_11comp_targetILNS1_3genE4ELNS1_11target_archE910ELNS1_3gpuE8ELNS1_3repE0EEENS1_30default_config_static_selectorELNS0_4arch9wavefront6targetE0EEEvT1_.has_dyn_sized_stack, 0
	.set _ZN7rocprim17ROCPRIM_400000_NS6detail17trampoline_kernelINS0_14default_configENS1_33run_length_encode_config_selectorIbjNS0_4plusIjEEEEZZNS1_33reduce_by_key_impl_wrapped_configILNS1_25lookback_scan_determinismE0ES3_S7_N6hipcub16HIPCUB_304000_NS22TransformInputIteratorIbN2at6native8internal12_GLOBAL__N_110LoadBoolOpEPKhlEENS0_17constant_iteratorIjlEEPbPlSO_S6_NS0_8equal_toIbEEEE10hipError_tPvRmT2_T3_mT4_T5_T6_T7_T8_P12ihipStream_tbENKUlT_T0_E_clISt17integral_constantIbLb0EES17_IbLb1EEEEDaS13_S14_EUlS13_E_NS1_11comp_targetILNS1_3genE4ELNS1_11target_archE910ELNS1_3gpuE8ELNS1_3repE0EEENS1_30default_config_static_selectorELNS0_4arch9wavefront6targetE0EEEvT1_.has_recursion, 0
	.set _ZN7rocprim17ROCPRIM_400000_NS6detail17trampoline_kernelINS0_14default_configENS1_33run_length_encode_config_selectorIbjNS0_4plusIjEEEEZZNS1_33reduce_by_key_impl_wrapped_configILNS1_25lookback_scan_determinismE0ES3_S7_N6hipcub16HIPCUB_304000_NS22TransformInputIteratorIbN2at6native8internal12_GLOBAL__N_110LoadBoolOpEPKhlEENS0_17constant_iteratorIjlEEPbPlSO_S6_NS0_8equal_toIbEEEE10hipError_tPvRmT2_T3_mT4_T5_T6_T7_T8_P12ihipStream_tbENKUlT_T0_E_clISt17integral_constantIbLb0EES17_IbLb1EEEEDaS13_S14_EUlS13_E_NS1_11comp_targetILNS1_3genE4ELNS1_11target_archE910ELNS1_3gpuE8ELNS1_3repE0EEENS1_30default_config_static_selectorELNS0_4arch9wavefront6targetE0EEEvT1_.has_indirect_call, 0
	.section	.AMDGPU.csdata,"",@progbits
; Kernel info:
; codeLenInByte = 0
; TotalNumSgprs: 0
; NumVgprs: 0
; ScratchSize: 0
; MemoryBound: 0
; FloatMode: 240
; IeeeMode: 1
; LDSByteSize: 0 bytes/workgroup (compile time only)
; SGPRBlocks: 0
; VGPRBlocks: 0
; NumSGPRsForWavesPerEU: 1
; NumVGPRsForWavesPerEU: 1
; NamedBarCnt: 0
; Occupancy: 16
; WaveLimiterHint : 0
; COMPUTE_PGM_RSRC2:SCRATCH_EN: 0
; COMPUTE_PGM_RSRC2:USER_SGPR: 2
; COMPUTE_PGM_RSRC2:TRAP_HANDLER: 0
; COMPUTE_PGM_RSRC2:TGID_X_EN: 1
; COMPUTE_PGM_RSRC2:TGID_Y_EN: 0
; COMPUTE_PGM_RSRC2:TGID_Z_EN: 0
; COMPUTE_PGM_RSRC2:TIDIG_COMP_CNT: 0
	.section	.text._ZN7rocprim17ROCPRIM_400000_NS6detail17trampoline_kernelINS0_14default_configENS1_33run_length_encode_config_selectorIbjNS0_4plusIjEEEEZZNS1_33reduce_by_key_impl_wrapped_configILNS1_25lookback_scan_determinismE0ES3_S7_N6hipcub16HIPCUB_304000_NS22TransformInputIteratorIbN2at6native8internal12_GLOBAL__N_110LoadBoolOpEPKhlEENS0_17constant_iteratorIjlEEPbPlSO_S6_NS0_8equal_toIbEEEE10hipError_tPvRmT2_T3_mT4_T5_T6_T7_T8_P12ihipStream_tbENKUlT_T0_E_clISt17integral_constantIbLb0EES17_IbLb1EEEEDaS13_S14_EUlS13_E_NS1_11comp_targetILNS1_3genE3ELNS1_11target_archE908ELNS1_3gpuE7ELNS1_3repE0EEENS1_30default_config_static_selectorELNS0_4arch9wavefront6targetE0EEEvT1_,"axG",@progbits,_ZN7rocprim17ROCPRIM_400000_NS6detail17trampoline_kernelINS0_14default_configENS1_33run_length_encode_config_selectorIbjNS0_4plusIjEEEEZZNS1_33reduce_by_key_impl_wrapped_configILNS1_25lookback_scan_determinismE0ES3_S7_N6hipcub16HIPCUB_304000_NS22TransformInputIteratorIbN2at6native8internal12_GLOBAL__N_110LoadBoolOpEPKhlEENS0_17constant_iteratorIjlEEPbPlSO_S6_NS0_8equal_toIbEEEE10hipError_tPvRmT2_T3_mT4_T5_T6_T7_T8_P12ihipStream_tbENKUlT_T0_E_clISt17integral_constantIbLb0EES17_IbLb1EEEEDaS13_S14_EUlS13_E_NS1_11comp_targetILNS1_3genE3ELNS1_11target_archE908ELNS1_3gpuE7ELNS1_3repE0EEENS1_30default_config_static_selectorELNS0_4arch9wavefront6targetE0EEEvT1_,comdat
	.globl	_ZN7rocprim17ROCPRIM_400000_NS6detail17trampoline_kernelINS0_14default_configENS1_33run_length_encode_config_selectorIbjNS0_4plusIjEEEEZZNS1_33reduce_by_key_impl_wrapped_configILNS1_25lookback_scan_determinismE0ES3_S7_N6hipcub16HIPCUB_304000_NS22TransformInputIteratorIbN2at6native8internal12_GLOBAL__N_110LoadBoolOpEPKhlEENS0_17constant_iteratorIjlEEPbPlSO_S6_NS0_8equal_toIbEEEE10hipError_tPvRmT2_T3_mT4_T5_T6_T7_T8_P12ihipStream_tbENKUlT_T0_E_clISt17integral_constantIbLb0EES17_IbLb1EEEEDaS13_S14_EUlS13_E_NS1_11comp_targetILNS1_3genE3ELNS1_11target_archE908ELNS1_3gpuE7ELNS1_3repE0EEENS1_30default_config_static_selectorELNS0_4arch9wavefront6targetE0EEEvT1_ ; -- Begin function _ZN7rocprim17ROCPRIM_400000_NS6detail17trampoline_kernelINS0_14default_configENS1_33run_length_encode_config_selectorIbjNS0_4plusIjEEEEZZNS1_33reduce_by_key_impl_wrapped_configILNS1_25lookback_scan_determinismE0ES3_S7_N6hipcub16HIPCUB_304000_NS22TransformInputIteratorIbN2at6native8internal12_GLOBAL__N_110LoadBoolOpEPKhlEENS0_17constant_iteratorIjlEEPbPlSO_S6_NS0_8equal_toIbEEEE10hipError_tPvRmT2_T3_mT4_T5_T6_T7_T8_P12ihipStream_tbENKUlT_T0_E_clISt17integral_constantIbLb0EES17_IbLb1EEEEDaS13_S14_EUlS13_E_NS1_11comp_targetILNS1_3genE3ELNS1_11target_archE908ELNS1_3gpuE7ELNS1_3repE0EEENS1_30default_config_static_selectorELNS0_4arch9wavefront6targetE0EEEvT1_
	.p2align	8
	.type	_ZN7rocprim17ROCPRIM_400000_NS6detail17trampoline_kernelINS0_14default_configENS1_33run_length_encode_config_selectorIbjNS0_4plusIjEEEEZZNS1_33reduce_by_key_impl_wrapped_configILNS1_25lookback_scan_determinismE0ES3_S7_N6hipcub16HIPCUB_304000_NS22TransformInputIteratorIbN2at6native8internal12_GLOBAL__N_110LoadBoolOpEPKhlEENS0_17constant_iteratorIjlEEPbPlSO_S6_NS0_8equal_toIbEEEE10hipError_tPvRmT2_T3_mT4_T5_T6_T7_T8_P12ihipStream_tbENKUlT_T0_E_clISt17integral_constantIbLb0EES17_IbLb1EEEEDaS13_S14_EUlS13_E_NS1_11comp_targetILNS1_3genE3ELNS1_11target_archE908ELNS1_3gpuE7ELNS1_3repE0EEENS1_30default_config_static_selectorELNS0_4arch9wavefront6targetE0EEEvT1_,@function
_ZN7rocprim17ROCPRIM_400000_NS6detail17trampoline_kernelINS0_14default_configENS1_33run_length_encode_config_selectorIbjNS0_4plusIjEEEEZZNS1_33reduce_by_key_impl_wrapped_configILNS1_25lookback_scan_determinismE0ES3_S7_N6hipcub16HIPCUB_304000_NS22TransformInputIteratorIbN2at6native8internal12_GLOBAL__N_110LoadBoolOpEPKhlEENS0_17constant_iteratorIjlEEPbPlSO_S6_NS0_8equal_toIbEEEE10hipError_tPvRmT2_T3_mT4_T5_T6_T7_T8_P12ihipStream_tbENKUlT_T0_E_clISt17integral_constantIbLb0EES17_IbLb1EEEEDaS13_S14_EUlS13_E_NS1_11comp_targetILNS1_3genE3ELNS1_11target_archE908ELNS1_3gpuE7ELNS1_3repE0EEENS1_30default_config_static_selectorELNS0_4arch9wavefront6targetE0EEEvT1_: ; @_ZN7rocprim17ROCPRIM_400000_NS6detail17trampoline_kernelINS0_14default_configENS1_33run_length_encode_config_selectorIbjNS0_4plusIjEEEEZZNS1_33reduce_by_key_impl_wrapped_configILNS1_25lookback_scan_determinismE0ES3_S7_N6hipcub16HIPCUB_304000_NS22TransformInputIteratorIbN2at6native8internal12_GLOBAL__N_110LoadBoolOpEPKhlEENS0_17constant_iteratorIjlEEPbPlSO_S6_NS0_8equal_toIbEEEE10hipError_tPvRmT2_T3_mT4_T5_T6_T7_T8_P12ihipStream_tbENKUlT_T0_E_clISt17integral_constantIbLb0EES17_IbLb1EEEEDaS13_S14_EUlS13_E_NS1_11comp_targetILNS1_3genE3ELNS1_11target_archE908ELNS1_3gpuE7ELNS1_3repE0EEENS1_30default_config_static_selectorELNS0_4arch9wavefront6targetE0EEEvT1_
; %bb.0:
	.section	.rodata,"a",@progbits
	.p2align	6, 0x0
	.amdhsa_kernel _ZN7rocprim17ROCPRIM_400000_NS6detail17trampoline_kernelINS0_14default_configENS1_33run_length_encode_config_selectorIbjNS0_4plusIjEEEEZZNS1_33reduce_by_key_impl_wrapped_configILNS1_25lookback_scan_determinismE0ES3_S7_N6hipcub16HIPCUB_304000_NS22TransformInputIteratorIbN2at6native8internal12_GLOBAL__N_110LoadBoolOpEPKhlEENS0_17constant_iteratorIjlEEPbPlSO_S6_NS0_8equal_toIbEEEE10hipError_tPvRmT2_T3_mT4_T5_T6_T7_T8_P12ihipStream_tbENKUlT_T0_E_clISt17integral_constantIbLb0EES17_IbLb1EEEEDaS13_S14_EUlS13_E_NS1_11comp_targetILNS1_3genE3ELNS1_11target_archE908ELNS1_3gpuE7ELNS1_3repE0EEENS1_30default_config_static_selectorELNS0_4arch9wavefront6targetE0EEEvT1_
		.amdhsa_group_segment_fixed_size 0
		.amdhsa_private_segment_fixed_size 0
		.amdhsa_kernarg_size 136
		.amdhsa_user_sgpr_count 2
		.amdhsa_user_sgpr_dispatch_ptr 0
		.amdhsa_user_sgpr_queue_ptr 0
		.amdhsa_user_sgpr_kernarg_segment_ptr 1
		.amdhsa_user_sgpr_dispatch_id 0
		.amdhsa_user_sgpr_kernarg_preload_length 0
		.amdhsa_user_sgpr_kernarg_preload_offset 0
		.amdhsa_user_sgpr_private_segment_size 0
		.amdhsa_wavefront_size32 1
		.amdhsa_uses_dynamic_stack 0
		.amdhsa_enable_private_segment 0
		.amdhsa_system_sgpr_workgroup_id_x 1
		.amdhsa_system_sgpr_workgroup_id_y 0
		.amdhsa_system_sgpr_workgroup_id_z 0
		.amdhsa_system_sgpr_workgroup_info 0
		.amdhsa_system_vgpr_workitem_id 0
		.amdhsa_next_free_vgpr 1
		.amdhsa_next_free_sgpr 1
		.amdhsa_named_barrier_count 0
		.amdhsa_reserve_vcc 0
		.amdhsa_float_round_mode_32 0
		.amdhsa_float_round_mode_16_64 0
		.amdhsa_float_denorm_mode_32 3
		.amdhsa_float_denorm_mode_16_64 3
		.amdhsa_fp16_overflow 0
		.amdhsa_memory_ordered 1
		.amdhsa_forward_progress 1
		.amdhsa_inst_pref_size 0
		.amdhsa_round_robin_scheduling 0
		.amdhsa_exception_fp_ieee_invalid_op 0
		.amdhsa_exception_fp_denorm_src 0
		.amdhsa_exception_fp_ieee_div_zero 0
		.amdhsa_exception_fp_ieee_overflow 0
		.amdhsa_exception_fp_ieee_underflow 0
		.amdhsa_exception_fp_ieee_inexact 0
		.amdhsa_exception_int_div_zero 0
	.end_amdhsa_kernel
	.section	.text._ZN7rocprim17ROCPRIM_400000_NS6detail17trampoline_kernelINS0_14default_configENS1_33run_length_encode_config_selectorIbjNS0_4plusIjEEEEZZNS1_33reduce_by_key_impl_wrapped_configILNS1_25lookback_scan_determinismE0ES3_S7_N6hipcub16HIPCUB_304000_NS22TransformInputIteratorIbN2at6native8internal12_GLOBAL__N_110LoadBoolOpEPKhlEENS0_17constant_iteratorIjlEEPbPlSO_S6_NS0_8equal_toIbEEEE10hipError_tPvRmT2_T3_mT4_T5_T6_T7_T8_P12ihipStream_tbENKUlT_T0_E_clISt17integral_constantIbLb0EES17_IbLb1EEEEDaS13_S14_EUlS13_E_NS1_11comp_targetILNS1_3genE3ELNS1_11target_archE908ELNS1_3gpuE7ELNS1_3repE0EEENS1_30default_config_static_selectorELNS0_4arch9wavefront6targetE0EEEvT1_,"axG",@progbits,_ZN7rocprim17ROCPRIM_400000_NS6detail17trampoline_kernelINS0_14default_configENS1_33run_length_encode_config_selectorIbjNS0_4plusIjEEEEZZNS1_33reduce_by_key_impl_wrapped_configILNS1_25lookback_scan_determinismE0ES3_S7_N6hipcub16HIPCUB_304000_NS22TransformInputIteratorIbN2at6native8internal12_GLOBAL__N_110LoadBoolOpEPKhlEENS0_17constant_iteratorIjlEEPbPlSO_S6_NS0_8equal_toIbEEEE10hipError_tPvRmT2_T3_mT4_T5_T6_T7_T8_P12ihipStream_tbENKUlT_T0_E_clISt17integral_constantIbLb0EES17_IbLb1EEEEDaS13_S14_EUlS13_E_NS1_11comp_targetILNS1_3genE3ELNS1_11target_archE908ELNS1_3gpuE7ELNS1_3repE0EEENS1_30default_config_static_selectorELNS0_4arch9wavefront6targetE0EEEvT1_,comdat
.Lfunc_end91:
	.size	_ZN7rocprim17ROCPRIM_400000_NS6detail17trampoline_kernelINS0_14default_configENS1_33run_length_encode_config_selectorIbjNS0_4plusIjEEEEZZNS1_33reduce_by_key_impl_wrapped_configILNS1_25lookback_scan_determinismE0ES3_S7_N6hipcub16HIPCUB_304000_NS22TransformInputIteratorIbN2at6native8internal12_GLOBAL__N_110LoadBoolOpEPKhlEENS0_17constant_iteratorIjlEEPbPlSO_S6_NS0_8equal_toIbEEEE10hipError_tPvRmT2_T3_mT4_T5_T6_T7_T8_P12ihipStream_tbENKUlT_T0_E_clISt17integral_constantIbLb0EES17_IbLb1EEEEDaS13_S14_EUlS13_E_NS1_11comp_targetILNS1_3genE3ELNS1_11target_archE908ELNS1_3gpuE7ELNS1_3repE0EEENS1_30default_config_static_selectorELNS0_4arch9wavefront6targetE0EEEvT1_, .Lfunc_end91-_ZN7rocprim17ROCPRIM_400000_NS6detail17trampoline_kernelINS0_14default_configENS1_33run_length_encode_config_selectorIbjNS0_4plusIjEEEEZZNS1_33reduce_by_key_impl_wrapped_configILNS1_25lookback_scan_determinismE0ES3_S7_N6hipcub16HIPCUB_304000_NS22TransformInputIteratorIbN2at6native8internal12_GLOBAL__N_110LoadBoolOpEPKhlEENS0_17constant_iteratorIjlEEPbPlSO_S6_NS0_8equal_toIbEEEE10hipError_tPvRmT2_T3_mT4_T5_T6_T7_T8_P12ihipStream_tbENKUlT_T0_E_clISt17integral_constantIbLb0EES17_IbLb1EEEEDaS13_S14_EUlS13_E_NS1_11comp_targetILNS1_3genE3ELNS1_11target_archE908ELNS1_3gpuE7ELNS1_3repE0EEENS1_30default_config_static_selectorELNS0_4arch9wavefront6targetE0EEEvT1_
                                        ; -- End function
	.set _ZN7rocprim17ROCPRIM_400000_NS6detail17trampoline_kernelINS0_14default_configENS1_33run_length_encode_config_selectorIbjNS0_4plusIjEEEEZZNS1_33reduce_by_key_impl_wrapped_configILNS1_25lookback_scan_determinismE0ES3_S7_N6hipcub16HIPCUB_304000_NS22TransformInputIteratorIbN2at6native8internal12_GLOBAL__N_110LoadBoolOpEPKhlEENS0_17constant_iteratorIjlEEPbPlSO_S6_NS0_8equal_toIbEEEE10hipError_tPvRmT2_T3_mT4_T5_T6_T7_T8_P12ihipStream_tbENKUlT_T0_E_clISt17integral_constantIbLb0EES17_IbLb1EEEEDaS13_S14_EUlS13_E_NS1_11comp_targetILNS1_3genE3ELNS1_11target_archE908ELNS1_3gpuE7ELNS1_3repE0EEENS1_30default_config_static_selectorELNS0_4arch9wavefront6targetE0EEEvT1_.num_vgpr, 0
	.set _ZN7rocprim17ROCPRIM_400000_NS6detail17trampoline_kernelINS0_14default_configENS1_33run_length_encode_config_selectorIbjNS0_4plusIjEEEEZZNS1_33reduce_by_key_impl_wrapped_configILNS1_25lookback_scan_determinismE0ES3_S7_N6hipcub16HIPCUB_304000_NS22TransformInputIteratorIbN2at6native8internal12_GLOBAL__N_110LoadBoolOpEPKhlEENS0_17constant_iteratorIjlEEPbPlSO_S6_NS0_8equal_toIbEEEE10hipError_tPvRmT2_T3_mT4_T5_T6_T7_T8_P12ihipStream_tbENKUlT_T0_E_clISt17integral_constantIbLb0EES17_IbLb1EEEEDaS13_S14_EUlS13_E_NS1_11comp_targetILNS1_3genE3ELNS1_11target_archE908ELNS1_3gpuE7ELNS1_3repE0EEENS1_30default_config_static_selectorELNS0_4arch9wavefront6targetE0EEEvT1_.num_agpr, 0
	.set _ZN7rocprim17ROCPRIM_400000_NS6detail17trampoline_kernelINS0_14default_configENS1_33run_length_encode_config_selectorIbjNS0_4plusIjEEEEZZNS1_33reduce_by_key_impl_wrapped_configILNS1_25lookback_scan_determinismE0ES3_S7_N6hipcub16HIPCUB_304000_NS22TransformInputIteratorIbN2at6native8internal12_GLOBAL__N_110LoadBoolOpEPKhlEENS0_17constant_iteratorIjlEEPbPlSO_S6_NS0_8equal_toIbEEEE10hipError_tPvRmT2_T3_mT4_T5_T6_T7_T8_P12ihipStream_tbENKUlT_T0_E_clISt17integral_constantIbLb0EES17_IbLb1EEEEDaS13_S14_EUlS13_E_NS1_11comp_targetILNS1_3genE3ELNS1_11target_archE908ELNS1_3gpuE7ELNS1_3repE0EEENS1_30default_config_static_selectorELNS0_4arch9wavefront6targetE0EEEvT1_.numbered_sgpr, 0
	.set _ZN7rocprim17ROCPRIM_400000_NS6detail17trampoline_kernelINS0_14default_configENS1_33run_length_encode_config_selectorIbjNS0_4plusIjEEEEZZNS1_33reduce_by_key_impl_wrapped_configILNS1_25lookback_scan_determinismE0ES3_S7_N6hipcub16HIPCUB_304000_NS22TransformInputIteratorIbN2at6native8internal12_GLOBAL__N_110LoadBoolOpEPKhlEENS0_17constant_iteratorIjlEEPbPlSO_S6_NS0_8equal_toIbEEEE10hipError_tPvRmT2_T3_mT4_T5_T6_T7_T8_P12ihipStream_tbENKUlT_T0_E_clISt17integral_constantIbLb0EES17_IbLb1EEEEDaS13_S14_EUlS13_E_NS1_11comp_targetILNS1_3genE3ELNS1_11target_archE908ELNS1_3gpuE7ELNS1_3repE0EEENS1_30default_config_static_selectorELNS0_4arch9wavefront6targetE0EEEvT1_.num_named_barrier, 0
	.set _ZN7rocprim17ROCPRIM_400000_NS6detail17trampoline_kernelINS0_14default_configENS1_33run_length_encode_config_selectorIbjNS0_4plusIjEEEEZZNS1_33reduce_by_key_impl_wrapped_configILNS1_25lookback_scan_determinismE0ES3_S7_N6hipcub16HIPCUB_304000_NS22TransformInputIteratorIbN2at6native8internal12_GLOBAL__N_110LoadBoolOpEPKhlEENS0_17constant_iteratorIjlEEPbPlSO_S6_NS0_8equal_toIbEEEE10hipError_tPvRmT2_T3_mT4_T5_T6_T7_T8_P12ihipStream_tbENKUlT_T0_E_clISt17integral_constantIbLb0EES17_IbLb1EEEEDaS13_S14_EUlS13_E_NS1_11comp_targetILNS1_3genE3ELNS1_11target_archE908ELNS1_3gpuE7ELNS1_3repE0EEENS1_30default_config_static_selectorELNS0_4arch9wavefront6targetE0EEEvT1_.private_seg_size, 0
	.set _ZN7rocprim17ROCPRIM_400000_NS6detail17trampoline_kernelINS0_14default_configENS1_33run_length_encode_config_selectorIbjNS0_4plusIjEEEEZZNS1_33reduce_by_key_impl_wrapped_configILNS1_25lookback_scan_determinismE0ES3_S7_N6hipcub16HIPCUB_304000_NS22TransformInputIteratorIbN2at6native8internal12_GLOBAL__N_110LoadBoolOpEPKhlEENS0_17constant_iteratorIjlEEPbPlSO_S6_NS0_8equal_toIbEEEE10hipError_tPvRmT2_T3_mT4_T5_T6_T7_T8_P12ihipStream_tbENKUlT_T0_E_clISt17integral_constantIbLb0EES17_IbLb1EEEEDaS13_S14_EUlS13_E_NS1_11comp_targetILNS1_3genE3ELNS1_11target_archE908ELNS1_3gpuE7ELNS1_3repE0EEENS1_30default_config_static_selectorELNS0_4arch9wavefront6targetE0EEEvT1_.uses_vcc, 0
	.set _ZN7rocprim17ROCPRIM_400000_NS6detail17trampoline_kernelINS0_14default_configENS1_33run_length_encode_config_selectorIbjNS0_4plusIjEEEEZZNS1_33reduce_by_key_impl_wrapped_configILNS1_25lookback_scan_determinismE0ES3_S7_N6hipcub16HIPCUB_304000_NS22TransformInputIteratorIbN2at6native8internal12_GLOBAL__N_110LoadBoolOpEPKhlEENS0_17constant_iteratorIjlEEPbPlSO_S6_NS0_8equal_toIbEEEE10hipError_tPvRmT2_T3_mT4_T5_T6_T7_T8_P12ihipStream_tbENKUlT_T0_E_clISt17integral_constantIbLb0EES17_IbLb1EEEEDaS13_S14_EUlS13_E_NS1_11comp_targetILNS1_3genE3ELNS1_11target_archE908ELNS1_3gpuE7ELNS1_3repE0EEENS1_30default_config_static_selectorELNS0_4arch9wavefront6targetE0EEEvT1_.uses_flat_scratch, 0
	.set _ZN7rocprim17ROCPRIM_400000_NS6detail17trampoline_kernelINS0_14default_configENS1_33run_length_encode_config_selectorIbjNS0_4plusIjEEEEZZNS1_33reduce_by_key_impl_wrapped_configILNS1_25lookback_scan_determinismE0ES3_S7_N6hipcub16HIPCUB_304000_NS22TransformInputIteratorIbN2at6native8internal12_GLOBAL__N_110LoadBoolOpEPKhlEENS0_17constant_iteratorIjlEEPbPlSO_S6_NS0_8equal_toIbEEEE10hipError_tPvRmT2_T3_mT4_T5_T6_T7_T8_P12ihipStream_tbENKUlT_T0_E_clISt17integral_constantIbLb0EES17_IbLb1EEEEDaS13_S14_EUlS13_E_NS1_11comp_targetILNS1_3genE3ELNS1_11target_archE908ELNS1_3gpuE7ELNS1_3repE0EEENS1_30default_config_static_selectorELNS0_4arch9wavefront6targetE0EEEvT1_.has_dyn_sized_stack, 0
	.set _ZN7rocprim17ROCPRIM_400000_NS6detail17trampoline_kernelINS0_14default_configENS1_33run_length_encode_config_selectorIbjNS0_4plusIjEEEEZZNS1_33reduce_by_key_impl_wrapped_configILNS1_25lookback_scan_determinismE0ES3_S7_N6hipcub16HIPCUB_304000_NS22TransformInputIteratorIbN2at6native8internal12_GLOBAL__N_110LoadBoolOpEPKhlEENS0_17constant_iteratorIjlEEPbPlSO_S6_NS0_8equal_toIbEEEE10hipError_tPvRmT2_T3_mT4_T5_T6_T7_T8_P12ihipStream_tbENKUlT_T0_E_clISt17integral_constantIbLb0EES17_IbLb1EEEEDaS13_S14_EUlS13_E_NS1_11comp_targetILNS1_3genE3ELNS1_11target_archE908ELNS1_3gpuE7ELNS1_3repE0EEENS1_30default_config_static_selectorELNS0_4arch9wavefront6targetE0EEEvT1_.has_recursion, 0
	.set _ZN7rocprim17ROCPRIM_400000_NS6detail17trampoline_kernelINS0_14default_configENS1_33run_length_encode_config_selectorIbjNS0_4plusIjEEEEZZNS1_33reduce_by_key_impl_wrapped_configILNS1_25lookback_scan_determinismE0ES3_S7_N6hipcub16HIPCUB_304000_NS22TransformInputIteratorIbN2at6native8internal12_GLOBAL__N_110LoadBoolOpEPKhlEENS0_17constant_iteratorIjlEEPbPlSO_S6_NS0_8equal_toIbEEEE10hipError_tPvRmT2_T3_mT4_T5_T6_T7_T8_P12ihipStream_tbENKUlT_T0_E_clISt17integral_constantIbLb0EES17_IbLb1EEEEDaS13_S14_EUlS13_E_NS1_11comp_targetILNS1_3genE3ELNS1_11target_archE908ELNS1_3gpuE7ELNS1_3repE0EEENS1_30default_config_static_selectorELNS0_4arch9wavefront6targetE0EEEvT1_.has_indirect_call, 0
	.section	.AMDGPU.csdata,"",@progbits
; Kernel info:
; codeLenInByte = 0
; TotalNumSgprs: 0
; NumVgprs: 0
; ScratchSize: 0
; MemoryBound: 0
; FloatMode: 240
; IeeeMode: 1
; LDSByteSize: 0 bytes/workgroup (compile time only)
; SGPRBlocks: 0
; VGPRBlocks: 0
; NumSGPRsForWavesPerEU: 1
; NumVGPRsForWavesPerEU: 1
; NamedBarCnt: 0
; Occupancy: 16
; WaveLimiterHint : 0
; COMPUTE_PGM_RSRC2:SCRATCH_EN: 0
; COMPUTE_PGM_RSRC2:USER_SGPR: 2
; COMPUTE_PGM_RSRC2:TRAP_HANDLER: 0
; COMPUTE_PGM_RSRC2:TGID_X_EN: 1
; COMPUTE_PGM_RSRC2:TGID_Y_EN: 0
; COMPUTE_PGM_RSRC2:TGID_Z_EN: 0
; COMPUTE_PGM_RSRC2:TIDIG_COMP_CNT: 0
	.section	.text._ZN7rocprim17ROCPRIM_400000_NS6detail17trampoline_kernelINS0_14default_configENS1_33run_length_encode_config_selectorIbjNS0_4plusIjEEEEZZNS1_33reduce_by_key_impl_wrapped_configILNS1_25lookback_scan_determinismE0ES3_S7_N6hipcub16HIPCUB_304000_NS22TransformInputIteratorIbN2at6native8internal12_GLOBAL__N_110LoadBoolOpEPKhlEENS0_17constant_iteratorIjlEEPbPlSO_S6_NS0_8equal_toIbEEEE10hipError_tPvRmT2_T3_mT4_T5_T6_T7_T8_P12ihipStream_tbENKUlT_T0_E_clISt17integral_constantIbLb0EES17_IbLb1EEEEDaS13_S14_EUlS13_E_NS1_11comp_targetILNS1_3genE2ELNS1_11target_archE906ELNS1_3gpuE6ELNS1_3repE0EEENS1_30default_config_static_selectorELNS0_4arch9wavefront6targetE0EEEvT1_,"axG",@progbits,_ZN7rocprim17ROCPRIM_400000_NS6detail17trampoline_kernelINS0_14default_configENS1_33run_length_encode_config_selectorIbjNS0_4plusIjEEEEZZNS1_33reduce_by_key_impl_wrapped_configILNS1_25lookback_scan_determinismE0ES3_S7_N6hipcub16HIPCUB_304000_NS22TransformInputIteratorIbN2at6native8internal12_GLOBAL__N_110LoadBoolOpEPKhlEENS0_17constant_iteratorIjlEEPbPlSO_S6_NS0_8equal_toIbEEEE10hipError_tPvRmT2_T3_mT4_T5_T6_T7_T8_P12ihipStream_tbENKUlT_T0_E_clISt17integral_constantIbLb0EES17_IbLb1EEEEDaS13_S14_EUlS13_E_NS1_11comp_targetILNS1_3genE2ELNS1_11target_archE906ELNS1_3gpuE6ELNS1_3repE0EEENS1_30default_config_static_selectorELNS0_4arch9wavefront6targetE0EEEvT1_,comdat
	.globl	_ZN7rocprim17ROCPRIM_400000_NS6detail17trampoline_kernelINS0_14default_configENS1_33run_length_encode_config_selectorIbjNS0_4plusIjEEEEZZNS1_33reduce_by_key_impl_wrapped_configILNS1_25lookback_scan_determinismE0ES3_S7_N6hipcub16HIPCUB_304000_NS22TransformInputIteratorIbN2at6native8internal12_GLOBAL__N_110LoadBoolOpEPKhlEENS0_17constant_iteratorIjlEEPbPlSO_S6_NS0_8equal_toIbEEEE10hipError_tPvRmT2_T3_mT4_T5_T6_T7_T8_P12ihipStream_tbENKUlT_T0_E_clISt17integral_constantIbLb0EES17_IbLb1EEEEDaS13_S14_EUlS13_E_NS1_11comp_targetILNS1_3genE2ELNS1_11target_archE906ELNS1_3gpuE6ELNS1_3repE0EEENS1_30default_config_static_selectorELNS0_4arch9wavefront6targetE0EEEvT1_ ; -- Begin function _ZN7rocprim17ROCPRIM_400000_NS6detail17trampoline_kernelINS0_14default_configENS1_33run_length_encode_config_selectorIbjNS0_4plusIjEEEEZZNS1_33reduce_by_key_impl_wrapped_configILNS1_25lookback_scan_determinismE0ES3_S7_N6hipcub16HIPCUB_304000_NS22TransformInputIteratorIbN2at6native8internal12_GLOBAL__N_110LoadBoolOpEPKhlEENS0_17constant_iteratorIjlEEPbPlSO_S6_NS0_8equal_toIbEEEE10hipError_tPvRmT2_T3_mT4_T5_T6_T7_T8_P12ihipStream_tbENKUlT_T0_E_clISt17integral_constantIbLb0EES17_IbLb1EEEEDaS13_S14_EUlS13_E_NS1_11comp_targetILNS1_3genE2ELNS1_11target_archE906ELNS1_3gpuE6ELNS1_3repE0EEENS1_30default_config_static_selectorELNS0_4arch9wavefront6targetE0EEEvT1_
	.p2align	8
	.type	_ZN7rocprim17ROCPRIM_400000_NS6detail17trampoline_kernelINS0_14default_configENS1_33run_length_encode_config_selectorIbjNS0_4plusIjEEEEZZNS1_33reduce_by_key_impl_wrapped_configILNS1_25lookback_scan_determinismE0ES3_S7_N6hipcub16HIPCUB_304000_NS22TransformInputIteratorIbN2at6native8internal12_GLOBAL__N_110LoadBoolOpEPKhlEENS0_17constant_iteratorIjlEEPbPlSO_S6_NS0_8equal_toIbEEEE10hipError_tPvRmT2_T3_mT4_T5_T6_T7_T8_P12ihipStream_tbENKUlT_T0_E_clISt17integral_constantIbLb0EES17_IbLb1EEEEDaS13_S14_EUlS13_E_NS1_11comp_targetILNS1_3genE2ELNS1_11target_archE906ELNS1_3gpuE6ELNS1_3repE0EEENS1_30default_config_static_selectorELNS0_4arch9wavefront6targetE0EEEvT1_,@function
_ZN7rocprim17ROCPRIM_400000_NS6detail17trampoline_kernelINS0_14default_configENS1_33run_length_encode_config_selectorIbjNS0_4plusIjEEEEZZNS1_33reduce_by_key_impl_wrapped_configILNS1_25lookback_scan_determinismE0ES3_S7_N6hipcub16HIPCUB_304000_NS22TransformInputIteratorIbN2at6native8internal12_GLOBAL__N_110LoadBoolOpEPKhlEENS0_17constant_iteratorIjlEEPbPlSO_S6_NS0_8equal_toIbEEEE10hipError_tPvRmT2_T3_mT4_T5_T6_T7_T8_P12ihipStream_tbENKUlT_T0_E_clISt17integral_constantIbLb0EES17_IbLb1EEEEDaS13_S14_EUlS13_E_NS1_11comp_targetILNS1_3genE2ELNS1_11target_archE906ELNS1_3gpuE6ELNS1_3repE0EEENS1_30default_config_static_selectorELNS0_4arch9wavefront6targetE0EEEvT1_: ; @_ZN7rocprim17ROCPRIM_400000_NS6detail17trampoline_kernelINS0_14default_configENS1_33run_length_encode_config_selectorIbjNS0_4plusIjEEEEZZNS1_33reduce_by_key_impl_wrapped_configILNS1_25lookback_scan_determinismE0ES3_S7_N6hipcub16HIPCUB_304000_NS22TransformInputIteratorIbN2at6native8internal12_GLOBAL__N_110LoadBoolOpEPKhlEENS0_17constant_iteratorIjlEEPbPlSO_S6_NS0_8equal_toIbEEEE10hipError_tPvRmT2_T3_mT4_T5_T6_T7_T8_P12ihipStream_tbENKUlT_T0_E_clISt17integral_constantIbLb0EES17_IbLb1EEEEDaS13_S14_EUlS13_E_NS1_11comp_targetILNS1_3genE2ELNS1_11target_archE906ELNS1_3gpuE6ELNS1_3repE0EEENS1_30default_config_static_selectorELNS0_4arch9wavefront6targetE0EEEvT1_
; %bb.0:
	.section	.rodata,"a",@progbits
	.p2align	6, 0x0
	.amdhsa_kernel _ZN7rocprim17ROCPRIM_400000_NS6detail17trampoline_kernelINS0_14default_configENS1_33run_length_encode_config_selectorIbjNS0_4plusIjEEEEZZNS1_33reduce_by_key_impl_wrapped_configILNS1_25lookback_scan_determinismE0ES3_S7_N6hipcub16HIPCUB_304000_NS22TransformInputIteratorIbN2at6native8internal12_GLOBAL__N_110LoadBoolOpEPKhlEENS0_17constant_iteratorIjlEEPbPlSO_S6_NS0_8equal_toIbEEEE10hipError_tPvRmT2_T3_mT4_T5_T6_T7_T8_P12ihipStream_tbENKUlT_T0_E_clISt17integral_constantIbLb0EES17_IbLb1EEEEDaS13_S14_EUlS13_E_NS1_11comp_targetILNS1_3genE2ELNS1_11target_archE906ELNS1_3gpuE6ELNS1_3repE0EEENS1_30default_config_static_selectorELNS0_4arch9wavefront6targetE0EEEvT1_
		.amdhsa_group_segment_fixed_size 0
		.amdhsa_private_segment_fixed_size 0
		.amdhsa_kernarg_size 136
		.amdhsa_user_sgpr_count 2
		.amdhsa_user_sgpr_dispatch_ptr 0
		.amdhsa_user_sgpr_queue_ptr 0
		.amdhsa_user_sgpr_kernarg_segment_ptr 1
		.amdhsa_user_sgpr_dispatch_id 0
		.amdhsa_user_sgpr_kernarg_preload_length 0
		.amdhsa_user_sgpr_kernarg_preload_offset 0
		.amdhsa_user_sgpr_private_segment_size 0
		.amdhsa_wavefront_size32 1
		.amdhsa_uses_dynamic_stack 0
		.amdhsa_enable_private_segment 0
		.amdhsa_system_sgpr_workgroup_id_x 1
		.amdhsa_system_sgpr_workgroup_id_y 0
		.amdhsa_system_sgpr_workgroup_id_z 0
		.amdhsa_system_sgpr_workgroup_info 0
		.amdhsa_system_vgpr_workitem_id 0
		.amdhsa_next_free_vgpr 1
		.amdhsa_next_free_sgpr 1
		.amdhsa_named_barrier_count 0
		.amdhsa_reserve_vcc 0
		.amdhsa_float_round_mode_32 0
		.amdhsa_float_round_mode_16_64 0
		.amdhsa_float_denorm_mode_32 3
		.amdhsa_float_denorm_mode_16_64 3
		.amdhsa_fp16_overflow 0
		.amdhsa_memory_ordered 1
		.amdhsa_forward_progress 1
		.amdhsa_inst_pref_size 0
		.amdhsa_round_robin_scheduling 0
		.amdhsa_exception_fp_ieee_invalid_op 0
		.amdhsa_exception_fp_denorm_src 0
		.amdhsa_exception_fp_ieee_div_zero 0
		.amdhsa_exception_fp_ieee_overflow 0
		.amdhsa_exception_fp_ieee_underflow 0
		.amdhsa_exception_fp_ieee_inexact 0
		.amdhsa_exception_int_div_zero 0
	.end_amdhsa_kernel
	.section	.text._ZN7rocprim17ROCPRIM_400000_NS6detail17trampoline_kernelINS0_14default_configENS1_33run_length_encode_config_selectorIbjNS0_4plusIjEEEEZZNS1_33reduce_by_key_impl_wrapped_configILNS1_25lookback_scan_determinismE0ES3_S7_N6hipcub16HIPCUB_304000_NS22TransformInputIteratorIbN2at6native8internal12_GLOBAL__N_110LoadBoolOpEPKhlEENS0_17constant_iteratorIjlEEPbPlSO_S6_NS0_8equal_toIbEEEE10hipError_tPvRmT2_T3_mT4_T5_T6_T7_T8_P12ihipStream_tbENKUlT_T0_E_clISt17integral_constantIbLb0EES17_IbLb1EEEEDaS13_S14_EUlS13_E_NS1_11comp_targetILNS1_3genE2ELNS1_11target_archE906ELNS1_3gpuE6ELNS1_3repE0EEENS1_30default_config_static_selectorELNS0_4arch9wavefront6targetE0EEEvT1_,"axG",@progbits,_ZN7rocprim17ROCPRIM_400000_NS6detail17trampoline_kernelINS0_14default_configENS1_33run_length_encode_config_selectorIbjNS0_4plusIjEEEEZZNS1_33reduce_by_key_impl_wrapped_configILNS1_25lookback_scan_determinismE0ES3_S7_N6hipcub16HIPCUB_304000_NS22TransformInputIteratorIbN2at6native8internal12_GLOBAL__N_110LoadBoolOpEPKhlEENS0_17constant_iteratorIjlEEPbPlSO_S6_NS0_8equal_toIbEEEE10hipError_tPvRmT2_T3_mT4_T5_T6_T7_T8_P12ihipStream_tbENKUlT_T0_E_clISt17integral_constantIbLb0EES17_IbLb1EEEEDaS13_S14_EUlS13_E_NS1_11comp_targetILNS1_3genE2ELNS1_11target_archE906ELNS1_3gpuE6ELNS1_3repE0EEENS1_30default_config_static_selectorELNS0_4arch9wavefront6targetE0EEEvT1_,comdat
.Lfunc_end92:
	.size	_ZN7rocprim17ROCPRIM_400000_NS6detail17trampoline_kernelINS0_14default_configENS1_33run_length_encode_config_selectorIbjNS0_4plusIjEEEEZZNS1_33reduce_by_key_impl_wrapped_configILNS1_25lookback_scan_determinismE0ES3_S7_N6hipcub16HIPCUB_304000_NS22TransformInputIteratorIbN2at6native8internal12_GLOBAL__N_110LoadBoolOpEPKhlEENS0_17constant_iteratorIjlEEPbPlSO_S6_NS0_8equal_toIbEEEE10hipError_tPvRmT2_T3_mT4_T5_T6_T7_T8_P12ihipStream_tbENKUlT_T0_E_clISt17integral_constantIbLb0EES17_IbLb1EEEEDaS13_S14_EUlS13_E_NS1_11comp_targetILNS1_3genE2ELNS1_11target_archE906ELNS1_3gpuE6ELNS1_3repE0EEENS1_30default_config_static_selectorELNS0_4arch9wavefront6targetE0EEEvT1_, .Lfunc_end92-_ZN7rocprim17ROCPRIM_400000_NS6detail17trampoline_kernelINS0_14default_configENS1_33run_length_encode_config_selectorIbjNS0_4plusIjEEEEZZNS1_33reduce_by_key_impl_wrapped_configILNS1_25lookback_scan_determinismE0ES3_S7_N6hipcub16HIPCUB_304000_NS22TransformInputIteratorIbN2at6native8internal12_GLOBAL__N_110LoadBoolOpEPKhlEENS0_17constant_iteratorIjlEEPbPlSO_S6_NS0_8equal_toIbEEEE10hipError_tPvRmT2_T3_mT4_T5_T6_T7_T8_P12ihipStream_tbENKUlT_T0_E_clISt17integral_constantIbLb0EES17_IbLb1EEEEDaS13_S14_EUlS13_E_NS1_11comp_targetILNS1_3genE2ELNS1_11target_archE906ELNS1_3gpuE6ELNS1_3repE0EEENS1_30default_config_static_selectorELNS0_4arch9wavefront6targetE0EEEvT1_
                                        ; -- End function
	.set _ZN7rocprim17ROCPRIM_400000_NS6detail17trampoline_kernelINS0_14default_configENS1_33run_length_encode_config_selectorIbjNS0_4plusIjEEEEZZNS1_33reduce_by_key_impl_wrapped_configILNS1_25lookback_scan_determinismE0ES3_S7_N6hipcub16HIPCUB_304000_NS22TransformInputIteratorIbN2at6native8internal12_GLOBAL__N_110LoadBoolOpEPKhlEENS0_17constant_iteratorIjlEEPbPlSO_S6_NS0_8equal_toIbEEEE10hipError_tPvRmT2_T3_mT4_T5_T6_T7_T8_P12ihipStream_tbENKUlT_T0_E_clISt17integral_constantIbLb0EES17_IbLb1EEEEDaS13_S14_EUlS13_E_NS1_11comp_targetILNS1_3genE2ELNS1_11target_archE906ELNS1_3gpuE6ELNS1_3repE0EEENS1_30default_config_static_selectorELNS0_4arch9wavefront6targetE0EEEvT1_.num_vgpr, 0
	.set _ZN7rocprim17ROCPRIM_400000_NS6detail17trampoline_kernelINS0_14default_configENS1_33run_length_encode_config_selectorIbjNS0_4plusIjEEEEZZNS1_33reduce_by_key_impl_wrapped_configILNS1_25lookback_scan_determinismE0ES3_S7_N6hipcub16HIPCUB_304000_NS22TransformInputIteratorIbN2at6native8internal12_GLOBAL__N_110LoadBoolOpEPKhlEENS0_17constant_iteratorIjlEEPbPlSO_S6_NS0_8equal_toIbEEEE10hipError_tPvRmT2_T3_mT4_T5_T6_T7_T8_P12ihipStream_tbENKUlT_T0_E_clISt17integral_constantIbLb0EES17_IbLb1EEEEDaS13_S14_EUlS13_E_NS1_11comp_targetILNS1_3genE2ELNS1_11target_archE906ELNS1_3gpuE6ELNS1_3repE0EEENS1_30default_config_static_selectorELNS0_4arch9wavefront6targetE0EEEvT1_.num_agpr, 0
	.set _ZN7rocprim17ROCPRIM_400000_NS6detail17trampoline_kernelINS0_14default_configENS1_33run_length_encode_config_selectorIbjNS0_4plusIjEEEEZZNS1_33reduce_by_key_impl_wrapped_configILNS1_25lookback_scan_determinismE0ES3_S7_N6hipcub16HIPCUB_304000_NS22TransformInputIteratorIbN2at6native8internal12_GLOBAL__N_110LoadBoolOpEPKhlEENS0_17constant_iteratorIjlEEPbPlSO_S6_NS0_8equal_toIbEEEE10hipError_tPvRmT2_T3_mT4_T5_T6_T7_T8_P12ihipStream_tbENKUlT_T0_E_clISt17integral_constantIbLb0EES17_IbLb1EEEEDaS13_S14_EUlS13_E_NS1_11comp_targetILNS1_3genE2ELNS1_11target_archE906ELNS1_3gpuE6ELNS1_3repE0EEENS1_30default_config_static_selectorELNS0_4arch9wavefront6targetE0EEEvT1_.numbered_sgpr, 0
	.set _ZN7rocprim17ROCPRIM_400000_NS6detail17trampoline_kernelINS0_14default_configENS1_33run_length_encode_config_selectorIbjNS0_4plusIjEEEEZZNS1_33reduce_by_key_impl_wrapped_configILNS1_25lookback_scan_determinismE0ES3_S7_N6hipcub16HIPCUB_304000_NS22TransformInputIteratorIbN2at6native8internal12_GLOBAL__N_110LoadBoolOpEPKhlEENS0_17constant_iteratorIjlEEPbPlSO_S6_NS0_8equal_toIbEEEE10hipError_tPvRmT2_T3_mT4_T5_T6_T7_T8_P12ihipStream_tbENKUlT_T0_E_clISt17integral_constantIbLb0EES17_IbLb1EEEEDaS13_S14_EUlS13_E_NS1_11comp_targetILNS1_3genE2ELNS1_11target_archE906ELNS1_3gpuE6ELNS1_3repE0EEENS1_30default_config_static_selectorELNS0_4arch9wavefront6targetE0EEEvT1_.num_named_barrier, 0
	.set _ZN7rocprim17ROCPRIM_400000_NS6detail17trampoline_kernelINS0_14default_configENS1_33run_length_encode_config_selectorIbjNS0_4plusIjEEEEZZNS1_33reduce_by_key_impl_wrapped_configILNS1_25lookback_scan_determinismE0ES3_S7_N6hipcub16HIPCUB_304000_NS22TransformInputIteratorIbN2at6native8internal12_GLOBAL__N_110LoadBoolOpEPKhlEENS0_17constant_iteratorIjlEEPbPlSO_S6_NS0_8equal_toIbEEEE10hipError_tPvRmT2_T3_mT4_T5_T6_T7_T8_P12ihipStream_tbENKUlT_T0_E_clISt17integral_constantIbLb0EES17_IbLb1EEEEDaS13_S14_EUlS13_E_NS1_11comp_targetILNS1_3genE2ELNS1_11target_archE906ELNS1_3gpuE6ELNS1_3repE0EEENS1_30default_config_static_selectorELNS0_4arch9wavefront6targetE0EEEvT1_.private_seg_size, 0
	.set _ZN7rocprim17ROCPRIM_400000_NS6detail17trampoline_kernelINS0_14default_configENS1_33run_length_encode_config_selectorIbjNS0_4plusIjEEEEZZNS1_33reduce_by_key_impl_wrapped_configILNS1_25lookback_scan_determinismE0ES3_S7_N6hipcub16HIPCUB_304000_NS22TransformInputIteratorIbN2at6native8internal12_GLOBAL__N_110LoadBoolOpEPKhlEENS0_17constant_iteratorIjlEEPbPlSO_S6_NS0_8equal_toIbEEEE10hipError_tPvRmT2_T3_mT4_T5_T6_T7_T8_P12ihipStream_tbENKUlT_T0_E_clISt17integral_constantIbLb0EES17_IbLb1EEEEDaS13_S14_EUlS13_E_NS1_11comp_targetILNS1_3genE2ELNS1_11target_archE906ELNS1_3gpuE6ELNS1_3repE0EEENS1_30default_config_static_selectorELNS0_4arch9wavefront6targetE0EEEvT1_.uses_vcc, 0
	.set _ZN7rocprim17ROCPRIM_400000_NS6detail17trampoline_kernelINS0_14default_configENS1_33run_length_encode_config_selectorIbjNS0_4plusIjEEEEZZNS1_33reduce_by_key_impl_wrapped_configILNS1_25lookback_scan_determinismE0ES3_S7_N6hipcub16HIPCUB_304000_NS22TransformInputIteratorIbN2at6native8internal12_GLOBAL__N_110LoadBoolOpEPKhlEENS0_17constant_iteratorIjlEEPbPlSO_S6_NS0_8equal_toIbEEEE10hipError_tPvRmT2_T3_mT4_T5_T6_T7_T8_P12ihipStream_tbENKUlT_T0_E_clISt17integral_constantIbLb0EES17_IbLb1EEEEDaS13_S14_EUlS13_E_NS1_11comp_targetILNS1_3genE2ELNS1_11target_archE906ELNS1_3gpuE6ELNS1_3repE0EEENS1_30default_config_static_selectorELNS0_4arch9wavefront6targetE0EEEvT1_.uses_flat_scratch, 0
	.set _ZN7rocprim17ROCPRIM_400000_NS6detail17trampoline_kernelINS0_14default_configENS1_33run_length_encode_config_selectorIbjNS0_4plusIjEEEEZZNS1_33reduce_by_key_impl_wrapped_configILNS1_25lookback_scan_determinismE0ES3_S7_N6hipcub16HIPCUB_304000_NS22TransformInputIteratorIbN2at6native8internal12_GLOBAL__N_110LoadBoolOpEPKhlEENS0_17constant_iteratorIjlEEPbPlSO_S6_NS0_8equal_toIbEEEE10hipError_tPvRmT2_T3_mT4_T5_T6_T7_T8_P12ihipStream_tbENKUlT_T0_E_clISt17integral_constantIbLb0EES17_IbLb1EEEEDaS13_S14_EUlS13_E_NS1_11comp_targetILNS1_3genE2ELNS1_11target_archE906ELNS1_3gpuE6ELNS1_3repE0EEENS1_30default_config_static_selectorELNS0_4arch9wavefront6targetE0EEEvT1_.has_dyn_sized_stack, 0
	.set _ZN7rocprim17ROCPRIM_400000_NS6detail17trampoline_kernelINS0_14default_configENS1_33run_length_encode_config_selectorIbjNS0_4plusIjEEEEZZNS1_33reduce_by_key_impl_wrapped_configILNS1_25lookback_scan_determinismE0ES3_S7_N6hipcub16HIPCUB_304000_NS22TransformInputIteratorIbN2at6native8internal12_GLOBAL__N_110LoadBoolOpEPKhlEENS0_17constant_iteratorIjlEEPbPlSO_S6_NS0_8equal_toIbEEEE10hipError_tPvRmT2_T3_mT4_T5_T6_T7_T8_P12ihipStream_tbENKUlT_T0_E_clISt17integral_constantIbLb0EES17_IbLb1EEEEDaS13_S14_EUlS13_E_NS1_11comp_targetILNS1_3genE2ELNS1_11target_archE906ELNS1_3gpuE6ELNS1_3repE0EEENS1_30default_config_static_selectorELNS0_4arch9wavefront6targetE0EEEvT1_.has_recursion, 0
	.set _ZN7rocprim17ROCPRIM_400000_NS6detail17trampoline_kernelINS0_14default_configENS1_33run_length_encode_config_selectorIbjNS0_4plusIjEEEEZZNS1_33reduce_by_key_impl_wrapped_configILNS1_25lookback_scan_determinismE0ES3_S7_N6hipcub16HIPCUB_304000_NS22TransformInputIteratorIbN2at6native8internal12_GLOBAL__N_110LoadBoolOpEPKhlEENS0_17constant_iteratorIjlEEPbPlSO_S6_NS0_8equal_toIbEEEE10hipError_tPvRmT2_T3_mT4_T5_T6_T7_T8_P12ihipStream_tbENKUlT_T0_E_clISt17integral_constantIbLb0EES17_IbLb1EEEEDaS13_S14_EUlS13_E_NS1_11comp_targetILNS1_3genE2ELNS1_11target_archE906ELNS1_3gpuE6ELNS1_3repE0EEENS1_30default_config_static_selectorELNS0_4arch9wavefront6targetE0EEEvT1_.has_indirect_call, 0
	.section	.AMDGPU.csdata,"",@progbits
; Kernel info:
; codeLenInByte = 0
; TotalNumSgprs: 0
; NumVgprs: 0
; ScratchSize: 0
; MemoryBound: 0
; FloatMode: 240
; IeeeMode: 1
; LDSByteSize: 0 bytes/workgroup (compile time only)
; SGPRBlocks: 0
; VGPRBlocks: 0
; NumSGPRsForWavesPerEU: 1
; NumVGPRsForWavesPerEU: 1
; NamedBarCnt: 0
; Occupancy: 16
; WaveLimiterHint : 0
; COMPUTE_PGM_RSRC2:SCRATCH_EN: 0
; COMPUTE_PGM_RSRC2:USER_SGPR: 2
; COMPUTE_PGM_RSRC2:TRAP_HANDLER: 0
; COMPUTE_PGM_RSRC2:TGID_X_EN: 1
; COMPUTE_PGM_RSRC2:TGID_Y_EN: 0
; COMPUTE_PGM_RSRC2:TGID_Z_EN: 0
; COMPUTE_PGM_RSRC2:TIDIG_COMP_CNT: 0
	.section	.text._ZN7rocprim17ROCPRIM_400000_NS6detail17trampoline_kernelINS0_14default_configENS1_33run_length_encode_config_selectorIbjNS0_4plusIjEEEEZZNS1_33reduce_by_key_impl_wrapped_configILNS1_25lookback_scan_determinismE0ES3_S7_N6hipcub16HIPCUB_304000_NS22TransformInputIteratorIbN2at6native8internal12_GLOBAL__N_110LoadBoolOpEPKhlEENS0_17constant_iteratorIjlEEPbPlSO_S6_NS0_8equal_toIbEEEE10hipError_tPvRmT2_T3_mT4_T5_T6_T7_T8_P12ihipStream_tbENKUlT_T0_E_clISt17integral_constantIbLb0EES17_IbLb1EEEEDaS13_S14_EUlS13_E_NS1_11comp_targetILNS1_3genE10ELNS1_11target_archE1201ELNS1_3gpuE5ELNS1_3repE0EEENS1_30default_config_static_selectorELNS0_4arch9wavefront6targetE0EEEvT1_,"axG",@progbits,_ZN7rocprim17ROCPRIM_400000_NS6detail17trampoline_kernelINS0_14default_configENS1_33run_length_encode_config_selectorIbjNS0_4plusIjEEEEZZNS1_33reduce_by_key_impl_wrapped_configILNS1_25lookback_scan_determinismE0ES3_S7_N6hipcub16HIPCUB_304000_NS22TransformInputIteratorIbN2at6native8internal12_GLOBAL__N_110LoadBoolOpEPKhlEENS0_17constant_iteratorIjlEEPbPlSO_S6_NS0_8equal_toIbEEEE10hipError_tPvRmT2_T3_mT4_T5_T6_T7_T8_P12ihipStream_tbENKUlT_T0_E_clISt17integral_constantIbLb0EES17_IbLb1EEEEDaS13_S14_EUlS13_E_NS1_11comp_targetILNS1_3genE10ELNS1_11target_archE1201ELNS1_3gpuE5ELNS1_3repE0EEENS1_30default_config_static_selectorELNS0_4arch9wavefront6targetE0EEEvT1_,comdat
	.globl	_ZN7rocprim17ROCPRIM_400000_NS6detail17trampoline_kernelINS0_14default_configENS1_33run_length_encode_config_selectorIbjNS0_4plusIjEEEEZZNS1_33reduce_by_key_impl_wrapped_configILNS1_25lookback_scan_determinismE0ES3_S7_N6hipcub16HIPCUB_304000_NS22TransformInputIteratorIbN2at6native8internal12_GLOBAL__N_110LoadBoolOpEPKhlEENS0_17constant_iteratorIjlEEPbPlSO_S6_NS0_8equal_toIbEEEE10hipError_tPvRmT2_T3_mT4_T5_T6_T7_T8_P12ihipStream_tbENKUlT_T0_E_clISt17integral_constantIbLb0EES17_IbLb1EEEEDaS13_S14_EUlS13_E_NS1_11comp_targetILNS1_3genE10ELNS1_11target_archE1201ELNS1_3gpuE5ELNS1_3repE0EEENS1_30default_config_static_selectorELNS0_4arch9wavefront6targetE0EEEvT1_ ; -- Begin function _ZN7rocprim17ROCPRIM_400000_NS6detail17trampoline_kernelINS0_14default_configENS1_33run_length_encode_config_selectorIbjNS0_4plusIjEEEEZZNS1_33reduce_by_key_impl_wrapped_configILNS1_25lookback_scan_determinismE0ES3_S7_N6hipcub16HIPCUB_304000_NS22TransformInputIteratorIbN2at6native8internal12_GLOBAL__N_110LoadBoolOpEPKhlEENS0_17constant_iteratorIjlEEPbPlSO_S6_NS0_8equal_toIbEEEE10hipError_tPvRmT2_T3_mT4_T5_T6_T7_T8_P12ihipStream_tbENKUlT_T0_E_clISt17integral_constantIbLb0EES17_IbLb1EEEEDaS13_S14_EUlS13_E_NS1_11comp_targetILNS1_3genE10ELNS1_11target_archE1201ELNS1_3gpuE5ELNS1_3repE0EEENS1_30default_config_static_selectorELNS0_4arch9wavefront6targetE0EEEvT1_
	.p2align	8
	.type	_ZN7rocprim17ROCPRIM_400000_NS6detail17trampoline_kernelINS0_14default_configENS1_33run_length_encode_config_selectorIbjNS0_4plusIjEEEEZZNS1_33reduce_by_key_impl_wrapped_configILNS1_25lookback_scan_determinismE0ES3_S7_N6hipcub16HIPCUB_304000_NS22TransformInputIteratorIbN2at6native8internal12_GLOBAL__N_110LoadBoolOpEPKhlEENS0_17constant_iteratorIjlEEPbPlSO_S6_NS0_8equal_toIbEEEE10hipError_tPvRmT2_T3_mT4_T5_T6_T7_T8_P12ihipStream_tbENKUlT_T0_E_clISt17integral_constantIbLb0EES17_IbLb1EEEEDaS13_S14_EUlS13_E_NS1_11comp_targetILNS1_3genE10ELNS1_11target_archE1201ELNS1_3gpuE5ELNS1_3repE0EEENS1_30default_config_static_selectorELNS0_4arch9wavefront6targetE0EEEvT1_,@function
_ZN7rocprim17ROCPRIM_400000_NS6detail17trampoline_kernelINS0_14default_configENS1_33run_length_encode_config_selectorIbjNS0_4plusIjEEEEZZNS1_33reduce_by_key_impl_wrapped_configILNS1_25lookback_scan_determinismE0ES3_S7_N6hipcub16HIPCUB_304000_NS22TransformInputIteratorIbN2at6native8internal12_GLOBAL__N_110LoadBoolOpEPKhlEENS0_17constant_iteratorIjlEEPbPlSO_S6_NS0_8equal_toIbEEEE10hipError_tPvRmT2_T3_mT4_T5_T6_T7_T8_P12ihipStream_tbENKUlT_T0_E_clISt17integral_constantIbLb0EES17_IbLb1EEEEDaS13_S14_EUlS13_E_NS1_11comp_targetILNS1_3genE10ELNS1_11target_archE1201ELNS1_3gpuE5ELNS1_3repE0EEENS1_30default_config_static_selectorELNS0_4arch9wavefront6targetE0EEEvT1_: ; @_ZN7rocprim17ROCPRIM_400000_NS6detail17trampoline_kernelINS0_14default_configENS1_33run_length_encode_config_selectorIbjNS0_4plusIjEEEEZZNS1_33reduce_by_key_impl_wrapped_configILNS1_25lookback_scan_determinismE0ES3_S7_N6hipcub16HIPCUB_304000_NS22TransformInputIteratorIbN2at6native8internal12_GLOBAL__N_110LoadBoolOpEPKhlEENS0_17constant_iteratorIjlEEPbPlSO_S6_NS0_8equal_toIbEEEE10hipError_tPvRmT2_T3_mT4_T5_T6_T7_T8_P12ihipStream_tbENKUlT_T0_E_clISt17integral_constantIbLb0EES17_IbLb1EEEEDaS13_S14_EUlS13_E_NS1_11comp_targetILNS1_3genE10ELNS1_11target_archE1201ELNS1_3gpuE5ELNS1_3repE0EEENS1_30default_config_static_selectorELNS0_4arch9wavefront6targetE0EEEvT1_
; %bb.0:
	.section	.rodata,"a",@progbits
	.p2align	6, 0x0
	.amdhsa_kernel _ZN7rocprim17ROCPRIM_400000_NS6detail17trampoline_kernelINS0_14default_configENS1_33run_length_encode_config_selectorIbjNS0_4plusIjEEEEZZNS1_33reduce_by_key_impl_wrapped_configILNS1_25lookback_scan_determinismE0ES3_S7_N6hipcub16HIPCUB_304000_NS22TransformInputIteratorIbN2at6native8internal12_GLOBAL__N_110LoadBoolOpEPKhlEENS0_17constant_iteratorIjlEEPbPlSO_S6_NS0_8equal_toIbEEEE10hipError_tPvRmT2_T3_mT4_T5_T6_T7_T8_P12ihipStream_tbENKUlT_T0_E_clISt17integral_constantIbLb0EES17_IbLb1EEEEDaS13_S14_EUlS13_E_NS1_11comp_targetILNS1_3genE10ELNS1_11target_archE1201ELNS1_3gpuE5ELNS1_3repE0EEENS1_30default_config_static_selectorELNS0_4arch9wavefront6targetE0EEEvT1_
		.amdhsa_group_segment_fixed_size 0
		.amdhsa_private_segment_fixed_size 0
		.amdhsa_kernarg_size 136
		.amdhsa_user_sgpr_count 2
		.amdhsa_user_sgpr_dispatch_ptr 0
		.amdhsa_user_sgpr_queue_ptr 0
		.amdhsa_user_sgpr_kernarg_segment_ptr 1
		.amdhsa_user_sgpr_dispatch_id 0
		.amdhsa_user_sgpr_kernarg_preload_length 0
		.amdhsa_user_sgpr_kernarg_preload_offset 0
		.amdhsa_user_sgpr_private_segment_size 0
		.amdhsa_wavefront_size32 1
		.amdhsa_uses_dynamic_stack 0
		.amdhsa_enable_private_segment 0
		.amdhsa_system_sgpr_workgroup_id_x 1
		.amdhsa_system_sgpr_workgroup_id_y 0
		.amdhsa_system_sgpr_workgroup_id_z 0
		.amdhsa_system_sgpr_workgroup_info 0
		.amdhsa_system_vgpr_workitem_id 0
		.amdhsa_next_free_vgpr 1
		.amdhsa_next_free_sgpr 1
		.amdhsa_named_barrier_count 0
		.amdhsa_reserve_vcc 0
		.amdhsa_float_round_mode_32 0
		.amdhsa_float_round_mode_16_64 0
		.amdhsa_float_denorm_mode_32 3
		.amdhsa_float_denorm_mode_16_64 3
		.amdhsa_fp16_overflow 0
		.amdhsa_memory_ordered 1
		.amdhsa_forward_progress 1
		.amdhsa_inst_pref_size 0
		.amdhsa_round_robin_scheduling 0
		.amdhsa_exception_fp_ieee_invalid_op 0
		.amdhsa_exception_fp_denorm_src 0
		.amdhsa_exception_fp_ieee_div_zero 0
		.amdhsa_exception_fp_ieee_overflow 0
		.amdhsa_exception_fp_ieee_underflow 0
		.amdhsa_exception_fp_ieee_inexact 0
		.amdhsa_exception_int_div_zero 0
	.end_amdhsa_kernel
	.section	.text._ZN7rocprim17ROCPRIM_400000_NS6detail17trampoline_kernelINS0_14default_configENS1_33run_length_encode_config_selectorIbjNS0_4plusIjEEEEZZNS1_33reduce_by_key_impl_wrapped_configILNS1_25lookback_scan_determinismE0ES3_S7_N6hipcub16HIPCUB_304000_NS22TransformInputIteratorIbN2at6native8internal12_GLOBAL__N_110LoadBoolOpEPKhlEENS0_17constant_iteratorIjlEEPbPlSO_S6_NS0_8equal_toIbEEEE10hipError_tPvRmT2_T3_mT4_T5_T6_T7_T8_P12ihipStream_tbENKUlT_T0_E_clISt17integral_constantIbLb0EES17_IbLb1EEEEDaS13_S14_EUlS13_E_NS1_11comp_targetILNS1_3genE10ELNS1_11target_archE1201ELNS1_3gpuE5ELNS1_3repE0EEENS1_30default_config_static_selectorELNS0_4arch9wavefront6targetE0EEEvT1_,"axG",@progbits,_ZN7rocprim17ROCPRIM_400000_NS6detail17trampoline_kernelINS0_14default_configENS1_33run_length_encode_config_selectorIbjNS0_4plusIjEEEEZZNS1_33reduce_by_key_impl_wrapped_configILNS1_25lookback_scan_determinismE0ES3_S7_N6hipcub16HIPCUB_304000_NS22TransformInputIteratorIbN2at6native8internal12_GLOBAL__N_110LoadBoolOpEPKhlEENS0_17constant_iteratorIjlEEPbPlSO_S6_NS0_8equal_toIbEEEE10hipError_tPvRmT2_T3_mT4_T5_T6_T7_T8_P12ihipStream_tbENKUlT_T0_E_clISt17integral_constantIbLb0EES17_IbLb1EEEEDaS13_S14_EUlS13_E_NS1_11comp_targetILNS1_3genE10ELNS1_11target_archE1201ELNS1_3gpuE5ELNS1_3repE0EEENS1_30default_config_static_selectorELNS0_4arch9wavefront6targetE0EEEvT1_,comdat
.Lfunc_end93:
	.size	_ZN7rocprim17ROCPRIM_400000_NS6detail17trampoline_kernelINS0_14default_configENS1_33run_length_encode_config_selectorIbjNS0_4plusIjEEEEZZNS1_33reduce_by_key_impl_wrapped_configILNS1_25lookback_scan_determinismE0ES3_S7_N6hipcub16HIPCUB_304000_NS22TransformInputIteratorIbN2at6native8internal12_GLOBAL__N_110LoadBoolOpEPKhlEENS0_17constant_iteratorIjlEEPbPlSO_S6_NS0_8equal_toIbEEEE10hipError_tPvRmT2_T3_mT4_T5_T6_T7_T8_P12ihipStream_tbENKUlT_T0_E_clISt17integral_constantIbLb0EES17_IbLb1EEEEDaS13_S14_EUlS13_E_NS1_11comp_targetILNS1_3genE10ELNS1_11target_archE1201ELNS1_3gpuE5ELNS1_3repE0EEENS1_30default_config_static_selectorELNS0_4arch9wavefront6targetE0EEEvT1_, .Lfunc_end93-_ZN7rocprim17ROCPRIM_400000_NS6detail17trampoline_kernelINS0_14default_configENS1_33run_length_encode_config_selectorIbjNS0_4plusIjEEEEZZNS1_33reduce_by_key_impl_wrapped_configILNS1_25lookback_scan_determinismE0ES3_S7_N6hipcub16HIPCUB_304000_NS22TransformInputIteratorIbN2at6native8internal12_GLOBAL__N_110LoadBoolOpEPKhlEENS0_17constant_iteratorIjlEEPbPlSO_S6_NS0_8equal_toIbEEEE10hipError_tPvRmT2_T3_mT4_T5_T6_T7_T8_P12ihipStream_tbENKUlT_T0_E_clISt17integral_constantIbLb0EES17_IbLb1EEEEDaS13_S14_EUlS13_E_NS1_11comp_targetILNS1_3genE10ELNS1_11target_archE1201ELNS1_3gpuE5ELNS1_3repE0EEENS1_30default_config_static_selectorELNS0_4arch9wavefront6targetE0EEEvT1_
                                        ; -- End function
	.set _ZN7rocprim17ROCPRIM_400000_NS6detail17trampoline_kernelINS0_14default_configENS1_33run_length_encode_config_selectorIbjNS0_4plusIjEEEEZZNS1_33reduce_by_key_impl_wrapped_configILNS1_25lookback_scan_determinismE0ES3_S7_N6hipcub16HIPCUB_304000_NS22TransformInputIteratorIbN2at6native8internal12_GLOBAL__N_110LoadBoolOpEPKhlEENS0_17constant_iteratorIjlEEPbPlSO_S6_NS0_8equal_toIbEEEE10hipError_tPvRmT2_T3_mT4_T5_T6_T7_T8_P12ihipStream_tbENKUlT_T0_E_clISt17integral_constantIbLb0EES17_IbLb1EEEEDaS13_S14_EUlS13_E_NS1_11comp_targetILNS1_3genE10ELNS1_11target_archE1201ELNS1_3gpuE5ELNS1_3repE0EEENS1_30default_config_static_selectorELNS0_4arch9wavefront6targetE0EEEvT1_.num_vgpr, 0
	.set _ZN7rocprim17ROCPRIM_400000_NS6detail17trampoline_kernelINS0_14default_configENS1_33run_length_encode_config_selectorIbjNS0_4plusIjEEEEZZNS1_33reduce_by_key_impl_wrapped_configILNS1_25lookback_scan_determinismE0ES3_S7_N6hipcub16HIPCUB_304000_NS22TransformInputIteratorIbN2at6native8internal12_GLOBAL__N_110LoadBoolOpEPKhlEENS0_17constant_iteratorIjlEEPbPlSO_S6_NS0_8equal_toIbEEEE10hipError_tPvRmT2_T3_mT4_T5_T6_T7_T8_P12ihipStream_tbENKUlT_T0_E_clISt17integral_constantIbLb0EES17_IbLb1EEEEDaS13_S14_EUlS13_E_NS1_11comp_targetILNS1_3genE10ELNS1_11target_archE1201ELNS1_3gpuE5ELNS1_3repE0EEENS1_30default_config_static_selectorELNS0_4arch9wavefront6targetE0EEEvT1_.num_agpr, 0
	.set _ZN7rocprim17ROCPRIM_400000_NS6detail17trampoline_kernelINS0_14default_configENS1_33run_length_encode_config_selectorIbjNS0_4plusIjEEEEZZNS1_33reduce_by_key_impl_wrapped_configILNS1_25lookback_scan_determinismE0ES3_S7_N6hipcub16HIPCUB_304000_NS22TransformInputIteratorIbN2at6native8internal12_GLOBAL__N_110LoadBoolOpEPKhlEENS0_17constant_iteratorIjlEEPbPlSO_S6_NS0_8equal_toIbEEEE10hipError_tPvRmT2_T3_mT4_T5_T6_T7_T8_P12ihipStream_tbENKUlT_T0_E_clISt17integral_constantIbLb0EES17_IbLb1EEEEDaS13_S14_EUlS13_E_NS1_11comp_targetILNS1_3genE10ELNS1_11target_archE1201ELNS1_3gpuE5ELNS1_3repE0EEENS1_30default_config_static_selectorELNS0_4arch9wavefront6targetE0EEEvT1_.numbered_sgpr, 0
	.set _ZN7rocprim17ROCPRIM_400000_NS6detail17trampoline_kernelINS0_14default_configENS1_33run_length_encode_config_selectorIbjNS0_4plusIjEEEEZZNS1_33reduce_by_key_impl_wrapped_configILNS1_25lookback_scan_determinismE0ES3_S7_N6hipcub16HIPCUB_304000_NS22TransformInputIteratorIbN2at6native8internal12_GLOBAL__N_110LoadBoolOpEPKhlEENS0_17constant_iteratorIjlEEPbPlSO_S6_NS0_8equal_toIbEEEE10hipError_tPvRmT2_T3_mT4_T5_T6_T7_T8_P12ihipStream_tbENKUlT_T0_E_clISt17integral_constantIbLb0EES17_IbLb1EEEEDaS13_S14_EUlS13_E_NS1_11comp_targetILNS1_3genE10ELNS1_11target_archE1201ELNS1_3gpuE5ELNS1_3repE0EEENS1_30default_config_static_selectorELNS0_4arch9wavefront6targetE0EEEvT1_.num_named_barrier, 0
	.set _ZN7rocprim17ROCPRIM_400000_NS6detail17trampoline_kernelINS0_14default_configENS1_33run_length_encode_config_selectorIbjNS0_4plusIjEEEEZZNS1_33reduce_by_key_impl_wrapped_configILNS1_25lookback_scan_determinismE0ES3_S7_N6hipcub16HIPCUB_304000_NS22TransformInputIteratorIbN2at6native8internal12_GLOBAL__N_110LoadBoolOpEPKhlEENS0_17constant_iteratorIjlEEPbPlSO_S6_NS0_8equal_toIbEEEE10hipError_tPvRmT2_T3_mT4_T5_T6_T7_T8_P12ihipStream_tbENKUlT_T0_E_clISt17integral_constantIbLb0EES17_IbLb1EEEEDaS13_S14_EUlS13_E_NS1_11comp_targetILNS1_3genE10ELNS1_11target_archE1201ELNS1_3gpuE5ELNS1_3repE0EEENS1_30default_config_static_selectorELNS0_4arch9wavefront6targetE0EEEvT1_.private_seg_size, 0
	.set _ZN7rocprim17ROCPRIM_400000_NS6detail17trampoline_kernelINS0_14default_configENS1_33run_length_encode_config_selectorIbjNS0_4plusIjEEEEZZNS1_33reduce_by_key_impl_wrapped_configILNS1_25lookback_scan_determinismE0ES3_S7_N6hipcub16HIPCUB_304000_NS22TransformInputIteratorIbN2at6native8internal12_GLOBAL__N_110LoadBoolOpEPKhlEENS0_17constant_iteratorIjlEEPbPlSO_S6_NS0_8equal_toIbEEEE10hipError_tPvRmT2_T3_mT4_T5_T6_T7_T8_P12ihipStream_tbENKUlT_T0_E_clISt17integral_constantIbLb0EES17_IbLb1EEEEDaS13_S14_EUlS13_E_NS1_11comp_targetILNS1_3genE10ELNS1_11target_archE1201ELNS1_3gpuE5ELNS1_3repE0EEENS1_30default_config_static_selectorELNS0_4arch9wavefront6targetE0EEEvT1_.uses_vcc, 0
	.set _ZN7rocprim17ROCPRIM_400000_NS6detail17trampoline_kernelINS0_14default_configENS1_33run_length_encode_config_selectorIbjNS0_4plusIjEEEEZZNS1_33reduce_by_key_impl_wrapped_configILNS1_25lookback_scan_determinismE0ES3_S7_N6hipcub16HIPCUB_304000_NS22TransformInputIteratorIbN2at6native8internal12_GLOBAL__N_110LoadBoolOpEPKhlEENS0_17constant_iteratorIjlEEPbPlSO_S6_NS0_8equal_toIbEEEE10hipError_tPvRmT2_T3_mT4_T5_T6_T7_T8_P12ihipStream_tbENKUlT_T0_E_clISt17integral_constantIbLb0EES17_IbLb1EEEEDaS13_S14_EUlS13_E_NS1_11comp_targetILNS1_3genE10ELNS1_11target_archE1201ELNS1_3gpuE5ELNS1_3repE0EEENS1_30default_config_static_selectorELNS0_4arch9wavefront6targetE0EEEvT1_.uses_flat_scratch, 0
	.set _ZN7rocprim17ROCPRIM_400000_NS6detail17trampoline_kernelINS0_14default_configENS1_33run_length_encode_config_selectorIbjNS0_4plusIjEEEEZZNS1_33reduce_by_key_impl_wrapped_configILNS1_25lookback_scan_determinismE0ES3_S7_N6hipcub16HIPCUB_304000_NS22TransformInputIteratorIbN2at6native8internal12_GLOBAL__N_110LoadBoolOpEPKhlEENS0_17constant_iteratorIjlEEPbPlSO_S6_NS0_8equal_toIbEEEE10hipError_tPvRmT2_T3_mT4_T5_T6_T7_T8_P12ihipStream_tbENKUlT_T0_E_clISt17integral_constantIbLb0EES17_IbLb1EEEEDaS13_S14_EUlS13_E_NS1_11comp_targetILNS1_3genE10ELNS1_11target_archE1201ELNS1_3gpuE5ELNS1_3repE0EEENS1_30default_config_static_selectorELNS0_4arch9wavefront6targetE0EEEvT1_.has_dyn_sized_stack, 0
	.set _ZN7rocprim17ROCPRIM_400000_NS6detail17trampoline_kernelINS0_14default_configENS1_33run_length_encode_config_selectorIbjNS0_4plusIjEEEEZZNS1_33reduce_by_key_impl_wrapped_configILNS1_25lookback_scan_determinismE0ES3_S7_N6hipcub16HIPCUB_304000_NS22TransformInputIteratorIbN2at6native8internal12_GLOBAL__N_110LoadBoolOpEPKhlEENS0_17constant_iteratorIjlEEPbPlSO_S6_NS0_8equal_toIbEEEE10hipError_tPvRmT2_T3_mT4_T5_T6_T7_T8_P12ihipStream_tbENKUlT_T0_E_clISt17integral_constantIbLb0EES17_IbLb1EEEEDaS13_S14_EUlS13_E_NS1_11comp_targetILNS1_3genE10ELNS1_11target_archE1201ELNS1_3gpuE5ELNS1_3repE0EEENS1_30default_config_static_selectorELNS0_4arch9wavefront6targetE0EEEvT1_.has_recursion, 0
	.set _ZN7rocprim17ROCPRIM_400000_NS6detail17trampoline_kernelINS0_14default_configENS1_33run_length_encode_config_selectorIbjNS0_4plusIjEEEEZZNS1_33reduce_by_key_impl_wrapped_configILNS1_25lookback_scan_determinismE0ES3_S7_N6hipcub16HIPCUB_304000_NS22TransformInputIteratorIbN2at6native8internal12_GLOBAL__N_110LoadBoolOpEPKhlEENS0_17constant_iteratorIjlEEPbPlSO_S6_NS0_8equal_toIbEEEE10hipError_tPvRmT2_T3_mT4_T5_T6_T7_T8_P12ihipStream_tbENKUlT_T0_E_clISt17integral_constantIbLb0EES17_IbLb1EEEEDaS13_S14_EUlS13_E_NS1_11comp_targetILNS1_3genE10ELNS1_11target_archE1201ELNS1_3gpuE5ELNS1_3repE0EEENS1_30default_config_static_selectorELNS0_4arch9wavefront6targetE0EEEvT1_.has_indirect_call, 0
	.section	.AMDGPU.csdata,"",@progbits
; Kernel info:
; codeLenInByte = 0
; TotalNumSgprs: 0
; NumVgprs: 0
; ScratchSize: 0
; MemoryBound: 0
; FloatMode: 240
; IeeeMode: 1
; LDSByteSize: 0 bytes/workgroup (compile time only)
; SGPRBlocks: 0
; VGPRBlocks: 0
; NumSGPRsForWavesPerEU: 1
; NumVGPRsForWavesPerEU: 1
; NamedBarCnt: 0
; Occupancy: 16
; WaveLimiterHint : 0
; COMPUTE_PGM_RSRC2:SCRATCH_EN: 0
; COMPUTE_PGM_RSRC2:USER_SGPR: 2
; COMPUTE_PGM_RSRC2:TRAP_HANDLER: 0
; COMPUTE_PGM_RSRC2:TGID_X_EN: 1
; COMPUTE_PGM_RSRC2:TGID_Y_EN: 0
; COMPUTE_PGM_RSRC2:TGID_Z_EN: 0
; COMPUTE_PGM_RSRC2:TIDIG_COMP_CNT: 0
	.section	.text._ZN7rocprim17ROCPRIM_400000_NS6detail17trampoline_kernelINS0_14default_configENS1_33run_length_encode_config_selectorIbjNS0_4plusIjEEEEZZNS1_33reduce_by_key_impl_wrapped_configILNS1_25lookback_scan_determinismE0ES3_S7_N6hipcub16HIPCUB_304000_NS22TransformInputIteratorIbN2at6native8internal12_GLOBAL__N_110LoadBoolOpEPKhlEENS0_17constant_iteratorIjlEEPbPlSO_S6_NS0_8equal_toIbEEEE10hipError_tPvRmT2_T3_mT4_T5_T6_T7_T8_P12ihipStream_tbENKUlT_T0_E_clISt17integral_constantIbLb0EES17_IbLb1EEEEDaS13_S14_EUlS13_E_NS1_11comp_targetILNS1_3genE10ELNS1_11target_archE1200ELNS1_3gpuE4ELNS1_3repE0EEENS1_30default_config_static_selectorELNS0_4arch9wavefront6targetE0EEEvT1_,"axG",@progbits,_ZN7rocprim17ROCPRIM_400000_NS6detail17trampoline_kernelINS0_14default_configENS1_33run_length_encode_config_selectorIbjNS0_4plusIjEEEEZZNS1_33reduce_by_key_impl_wrapped_configILNS1_25lookback_scan_determinismE0ES3_S7_N6hipcub16HIPCUB_304000_NS22TransformInputIteratorIbN2at6native8internal12_GLOBAL__N_110LoadBoolOpEPKhlEENS0_17constant_iteratorIjlEEPbPlSO_S6_NS0_8equal_toIbEEEE10hipError_tPvRmT2_T3_mT4_T5_T6_T7_T8_P12ihipStream_tbENKUlT_T0_E_clISt17integral_constantIbLb0EES17_IbLb1EEEEDaS13_S14_EUlS13_E_NS1_11comp_targetILNS1_3genE10ELNS1_11target_archE1200ELNS1_3gpuE4ELNS1_3repE0EEENS1_30default_config_static_selectorELNS0_4arch9wavefront6targetE0EEEvT1_,comdat
	.globl	_ZN7rocprim17ROCPRIM_400000_NS6detail17trampoline_kernelINS0_14default_configENS1_33run_length_encode_config_selectorIbjNS0_4plusIjEEEEZZNS1_33reduce_by_key_impl_wrapped_configILNS1_25lookback_scan_determinismE0ES3_S7_N6hipcub16HIPCUB_304000_NS22TransformInputIteratorIbN2at6native8internal12_GLOBAL__N_110LoadBoolOpEPKhlEENS0_17constant_iteratorIjlEEPbPlSO_S6_NS0_8equal_toIbEEEE10hipError_tPvRmT2_T3_mT4_T5_T6_T7_T8_P12ihipStream_tbENKUlT_T0_E_clISt17integral_constantIbLb0EES17_IbLb1EEEEDaS13_S14_EUlS13_E_NS1_11comp_targetILNS1_3genE10ELNS1_11target_archE1200ELNS1_3gpuE4ELNS1_3repE0EEENS1_30default_config_static_selectorELNS0_4arch9wavefront6targetE0EEEvT1_ ; -- Begin function _ZN7rocprim17ROCPRIM_400000_NS6detail17trampoline_kernelINS0_14default_configENS1_33run_length_encode_config_selectorIbjNS0_4plusIjEEEEZZNS1_33reduce_by_key_impl_wrapped_configILNS1_25lookback_scan_determinismE0ES3_S7_N6hipcub16HIPCUB_304000_NS22TransformInputIteratorIbN2at6native8internal12_GLOBAL__N_110LoadBoolOpEPKhlEENS0_17constant_iteratorIjlEEPbPlSO_S6_NS0_8equal_toIbEEEE10hipError_tPvRmT2_T3_mT4_T5_T6_T7_T8_P12ihipStream_tbENKUlT_T0_E_clISt17integral_constantIbLb0EES17_IbLb1EEEEDaS13_S14_EUlS13_E_NS1_11comp_targetILNS1_3genE10ELNS1_11target_archE1200ELNS1_3gpuE4ELNS1_3repE0EEENS1_30default_config_static_selectorELNS0_4arch9wavefront6targetE0EEEvT1_
	.p2align	8
	.type	_ZN7rocprim17ROCPRIM_400000_NS6detail17trampoline_kernelINS0_14default_configENS1_33run_length_encode_config_selectorIbjNS0_4plusIjEEEEZZNS1_33reduce_by_key_impl_wrapped_configILNS1_25lookback_scan_determinismE0ES3_S7_N6hipcub16HIPCUB_304000_NS22TransformInputIteratorIbN2at6native8internal12_GLOBAL__N_110LoadBoolOpEPKhlEENS0_17constant_iteratorIjlEEPbPlSO_S6_NS0_8equal_toIbEEEE10hipError_tPvRmT2_T3_mT4_T5_T6_T7_T8_P12ihipStream_tbENKUlT_T0_E_clISt17integral_constantIbLb0EES17_IbLb1EEEEDaS13_S14_EUlS13_E_NS1_11comp_targetILNS1_3genE10ELNS1_11target_archE1200ELNS1_3gpuE4ELNS1_3repE0EEENS1_30default_config_static_selectorELNS0_4arch9wavefront6targetE0EEEvT1_,@function
_ZN7rocprim17ROCPRIM_400000_NS6detail17trampoline_kernelINS0_14default_configENS1_33run_length_encode_config_selectorIbjNS0_4plusIjEEEEZZNS1_33reduce_by_key_impl_wrapped_configILNS1_25lookback_scan_determinismE0ES3_S7_N6hipcub16HIPCUB_304000_NS22TransformInputIteratorIbN2at6native8internal12_GLOBAL__N_110LoadBoolOpEPKhlEENS0_17constant_iteratorIjlEEPbPlSO_S6_NS0_8equal_toIbEEEE10hipError_tPvRmT2_T3_mT4_T5_T6_T7_T8_P12ihipStream_tbENKUlT_T0_E_clISt17integral_constantIbLb0EES17_IbLb1EEEEDaS13_S14_EUlS13_E_NS1_11comp_targetILNS1_3genE10ELNS1_11target_archE1200ELNS1_3gpuE4ELNS1_3repE0EEENS1_30default_config_static_selectorELNS0_4arch9wavefront6targetE0EEEvT1_: ; @_ZN7rocprim17ROCPRIM_400000_NS6detail17trampoline_kernelINS0_14default_configENS1_33run_length_encode_config_selectorIbjNS0_4plusIjEEEEZZNS1_33reduce_by_key_impl_wrapped_configILNS1_25lookback_scan_determinismE0ES3_S7_N6hipcub16HIPCUB_304000_NS22TransformInputIteratorIbN2at6native8internal12_GLOBAL__N_110LoadBoolOpEPKhlEENS0_17constant_iteratorIjlEEPbPlSO_S6_NS0_8equal_toIbEEEE10hipError_tPvRmT2_T3_mT4_T5_T6_T7_T8_P12ihipStream_tbENKUlT_T0_E_clISt17integral_constantIbLb0EES17_IbLb1EEEEDaS13_S14_EUlS13_E_NS1_11comp_targetILNS1_3genE10ELNS1_11target_archE1200ELNS1_3gpuE4ELNS1_3repE0EEENS1_30default_config_static_selectorELNS0_4arch9wavefront6targetE0EEEvT1_
; %bb.0:
	.section	.rodata,"a",@progbits
	.p2align	6, 0x0
	.amdhsa_kernel _ZN7rocprim17ROCPRIM_400000_NS6detail17trampoline_kernelINS0_14default_configENS1_33run_length_encode_config_selectorIbjNS0_4plusIjEEEEZZNS1_33reduce_by_key_impl_wrapped_configILNS1_25lookback_scan_determinismE0ES3_S7_N6hipcub16HIPCUB_304000_NS22TransformInputIteratorIbN2at6native8internal12_GLOBAL__N_110LoadBoolOpEPKhlEENS0_17constant_iteratorIjlEEPbPlSO_S6_NS0_8equal_toIbEEEE10hipError_tPvRmT2_T3_mT4_T5_T6_T7_T8_P12ihipStream_tbENKUlT_T0_E_clISt17integral_constantIbLb0EES17_IbLb1EEEEDaS13_S14_EUlS13_E_NS1_11comp_targetILNS1_3genE10ELNS1_11target_archE1200ELNS1_3gpuE4ELNS1_3repE0EEENS1_30default_config_static_selectorELNS0_4arch9wavefront6targetE0EEEvT1_
		.amdhsa_group_segment_fixed_size 0
		.amdhsa_private_segment_fixed_size 0
		.amdhsa_kernarg_size 136
		.amdhsa_user_sgpr_count 2
		.amdhsa_user_sgpr_dispatch_ptr 0
		.amdhsa_user_sgpr_queue_ptr 0
		.amdhsa_user_sgpr_kernarg_segment_ptr 1
		.amdhsa_user_sgpr_dispatch_id 0
		.amdhsa_user_sgpr_kernarg_preload_length 0
		.amdhsa_user_sgpr_kernarg_preload_offset 0
		.amdhsa_user_sgpr_private_segment_size 0
		.amdhsa_wavefront_size32 1
		.amdhsa_uses_dynamic_stack 0
		.amdhsa_enable_private_segment 0
		.amdhsa_system_sgpr_workgroup_id_x 1
		.amdhsa_system_sgpr_workgroup_id_y 0
		.amdhsa_system_sgpr_workgroup_id_z 0
		.amdhsa_system_sgpr_workgroup_info 0
		.amdhsa_system_vgpr_workitem_id 0
		.amdhsa_next_free_vgpr 1
		.amdhsa_next_free_sgpr 1
		.amdhsa_named_barrier_count 0
		.amdhsa_reserve_vcc 0
		.amdhsa_float_round_mode_32 0
		.amdhsa_float_round_mode_16_64 0
		.amdhsa_float_denorm_mode_32 3
		.amdhsa_float_denorm_mode_16_64 3
		.amdhsa_fp16_overflow 0
		.amdhsa_memory_ordered 1
		.amdhsa_forward_progress 1
		.amdhsa_inst_pref_size 0
		.amdhsa_round_robin_scheduling 0
		.amdhsa_exception_fp_ieee_invalid_op 0
		.amdhsa_exception_fp_denorm_src 0
		.amdhsa_exception_fp_ieee_div_zero 0
		.amdhsa_exception_fp_ieee_overflow 0
		.amdhsa_exception_fp_ieee_underflow 0
		.amdhsa_exception_fp_ieee_inexact 0
		.amdhsa_exception_int_div_zero 0
	.end_amdhsa_kernel
	.section	.text._ZN7rocprim17ROCPRIM_400000_NS6detail17trampoline_kernelINS0_14default_configENS1_33run_length_encode_config_selectorIbjNS0_4plusIjEEEEZZNS1_33reduce_by_key_impl_wrapped_configILNS1_25lookback_scan_determinismE0ES3_S7_N6hipcub16HIPCUB_304000_NS22TransformInputIteratorIbN2at6native8internal12_GLOBAL__N_110LoadBoolOpEPKhlEENS0_17constant_iteratorIjlEEPbPlSO_S6_NS0_8equal_toIbEEEE10hipError_tPvRmT2_T3_mT4_T5_T6_T7_T8_P12ihipStream_tbENKUlT_T0_E_clISt17integral_constantIbLb0EES17_IbLb1EEEEDaS13_S14_EUlS13_E_NS1_11comp_targetILNS1_3genE10ELNS1_11target_archE1200ELNS1_3gpuE4ELNS1_3repE0EEENS1_30default_config_static_selectorELNS0_4arch9wavefront6targetE0EEEvT1_,"axG",@progbits,_ZN7rocprim17ROCPRIM_400000_NS6detail17trampoline_kernelINS0_14default_configENS1_33run_length_encode_config_selectorIbjNS0_4plusIjEEEEZZNS1_33reduce_by_key_impl_wrapped_configILNS1_25lookback_scan_determinismE0ES3_S7_N6hipcub16HIPCUB_304000_NS22TransformInputIteratorIbN2at6native8internal12_GLOBAL__N_110LoadBoolOpEPKhlEENS0_17constant_iteratorIjlEEPbPlSO_S6_NS0_8equal_toIbEEEE10hipError_tPvRmT2_T3_mT4_T5_T6_T7_T8_P12ihipStream_tbENKUlT_T0_E_clISt17integral_constantIbLb0EES17_IbLb1EEEEDaS13_S14_EUlS13_E_NS1_11comp_targetILNS1_3genE10ELNS1_11target_archE1200ELNS1_3gpuE4ELNS1_3repE0EEENS1_30default_config_static_selectorELNS0_4arch9wavefront6targetE0EEEvT1_,comdat
.Lfunc_end94:
	.size	_ZN7rocprim17ROCPRIM_400000_NS6detail17trampoline_kernelINS0_14default_configENS1_33run_length_encode_config_selectorIbjNS0_4plusIjEEEEZZNS1_33reduce_by_key_impl_wrapped_configILNS1_25lookback_scan_determinismE0ES3_S7_N6hipcub16HIPCUB_304000_NS22TransformInputIteratorIbN2at6native8internal12_GLOBAL__N_110LoadBoolOpEPKhlEENS0_17constant_iteratorIjlEEPbPlSO_S6_NS0_8equal_toIbEEEE10hipError_tPvRmT2_T3_mT4_T5_T6_T7_T8_P12ihipStream_tbENKUlT_T0_E_clISt17integral_constantIbLb0EES17_IbLb1EEEEDaS13_S14_EUlS13_E_NS1_11comp_targetILNS1_3genE10ELNS1_11target_archE1200ELNS1_3gpuE4ELNS1_3repE0EEENS1_30default_config_static_selectorELNS0_4arch9wavefront6targetE0EEEvT1_, .Lfunc_end94-_ZN7rocprim17ROCPRIM_400000_NS6detail17trampoline_kernelINS0_14default_configENS1_33run_length_encode_config_selectorIbjNS0_4plusIjEEEEZZNS1_33reduce_by_key_impl_wrapped_configILNS1_25lookback_scan_determinismE0ES3_S7_N6hipcub16HIPCUB_304000_NS22TransformInputIteratorIbN2at6native8internal12_GLOBAL__N_110LoadBoolOpEPKhlEENS0_17constant_iteratorIjlEEPbPlSO_S6_NS0_8equal_toIbEEEE10hipError_tPvRmT2_T3_mT4_T5_T6_T7_T8_P12ihipStream_tbENKUlT_T0_E_clISt17integral_constantIbLb0EES17_IbLb1EEEEDaS13_S14_EUlS13_E_NS1_11comp_targetILNS1_3genE10ELNS1_11target_archE1200ELNS1_3gpuE4ELNS1_3repE0EEENS1_30default_config_static_selectorELNS0_4arch9wavefront6targetE0EEEvT1_
                                        ; -- End function
	.set _ZN7rocprim17ROCPRIM_400000_NS6detail17trampoline_kernelINS0_14default_configENS1_33run_length_encode_config_selectorIbjNS0_4plusIjEEEEZZNS1_33reduce_by_key_impl_wrapped_configILNS1_25lookback_scan_determinismE0ES3_S7_N6hipcub16HIPCUB_304000_NS22TransformInputIteratorIbN2at6native8internal12_GLOBAL__N_110LoadBoolOpEPKhlEENS0_17constant_iteratorIjlEEPbPlSO_S6_NS0_8equal_toIbEEEE10hipError_tPvRmT2_T3_mT4_T5_T6_T7_T8_P12ihipStream_tbENKUlT_T0_E_clISt17integral_constantIbLb0EES17_IbLb1EEEEDaS13_S14_EUlS13_E_NS1_11comp_targetILNS1_3genE10ELNS1_11target_archE1200ELNS1_3gpuE4ELNS1_3repE0EEENS1_30default_config_static_selectorELNS0_4arch9wavefront6targetE0EEEvT1_.num_vgpr, 0
	.set _ZN7rocprim17ROCPRIM_400000_NS6detail17trampoline_kernelINS0_14default_configENS1_33run_length_encode_config_selectorIbjNS0_4plusIjEEEEZZNS1_33reduce_by_key_impl_wrapped_configILNS1_25lookback_scan_determinismE0ES3_S7_N6hipcub16HIPCUB_304000_NS22TransformInputIteratorIbN2at6native8internal12_GLOBAL__N_110LoadBoolOpEPKhlEENS0_17constant_iteratorIjlEEPbPlSO_S6_NS0_8equal_toIbEEEE10hipError_tPvRmT2_T3_mT4_T5_T6_T7_T8_P12ihipStream_tbENKUlT_T0_E_clISt17integral_constantIbLb0EES17_IbLb1EEEEDaS13_S14_EUlS13_E_NS1_11comp_targetILNS1_3genE10ELNS1_11target_archE1200ELNS1_3gpuE4ELNS1_3repE0EEENS1_30default_config_static_selectorELNS0_4arch9wavefront6targetE0EEEvT1_.num_agpr, 0
	.set _ZN7rocprim17ROCPRIM_400000_NS6detail17trampoline_kernelINS0_14default_configENS1_33run_length_encode_config_selectorIbjNS0_4plusIjEEEEZZNS1_33reduce_by_key_impl_wrapped_configILNS1_25lookback_scan_determinismE0ES3_S7_N6hipcub16HIPCUB_304000_NS22TransformInputIteratorIbN2at6native8internal12_GLOBAL__N_110LoadBoolOpEPKhlEENS0_17constant_iteratorIjlEEPbPlSO_S6_NS0_8equal_toIbEEEE10hipError_tPvRmT2_T3_mT4_T5_T6_T7_T8_P12ihipStream_tbENKUlT_T0_E_clISt17integral_constantIbLb0EES17_IbLb1EEEEDaS13_S14_EUlS13_E_NS1_11comp_targetILNS1_3genE10ELNS1_11target_archE1200ELNS1_3gpuE4ELNS1_3repE0EEENS1_30default_config_static_selectorELNS0_4arch9wavefront6targetE0EEEvT1_.numbered_sgpr, 0
	.set _ZN7rocprim17ROCPRIM_400000_NS6detail17trampoline_kernelINS0_14default_configENS1_33run_length_encode_config_selectorIbjNS0_4plusIjEEEEZZNS1_33reduce_by_key_impl_wrapped_configILNS1_25lookback_scan_determinismE0ES3_S7_N6hipcub16HIPCUB_304000_NS22TransformInputIteratorIbN2at6native8internal12_GLOBAL__N_110LoadBoolOpEPKhlEENS0_17constant_iteratorIjlEEPbPlSO_S6_NS0_8equal_toIbEEEE10hipError_tPvRmT2_T3_mT4_T5_T6_T7_T8_P12ihipStream_tbENKUlT_T0_E_clISt17integral_constantIbLb0EES17_IbLb1EEEEDaS13_S14_EUlS13_E_NS1_11comp_targetILNS1_3genE10ELNS1_11target_archE1200ELNS1_3gpuE4ELNS1_3repE0EEENS1_30default_config_static_selectorELNS0_4arch9wavefront6targetE0EEEvT1_.num_named_barrier, 0
	.set _ZN7rocprim17ROCPRIM_400000_NS6detail17trampoline_kernelINS0_14default_configENS1_33run_length_encode_config_selectorIbjNS0_4plusIjEEEEZZNS1_33reduce_by_key_impl_wrapped_configILNS1_25lookback_scan_determinismE0ES3_S7_N6hipcub16HIPCUB_304000_NS22TransformInputIteratorIbN2at6native8internal12_GLOBAL__N_110LoadBoolOpEPKhlEENS0_17constant_iteratorIjlEEPbPlSO_S6_NS0_8equal_toIbEEEE10hipError_tPvRmT2_T3_mT4_T5_T6_T7_T8_P12ihipStream_tbENKUlT_T0_E_clISt17integral_constantIbLb0EES17_IbLb1EEEEDaS13_S14_EUlS13_E_NS1_11comp_targetILNS1_3genE10ELNS1_11target_archE1200ELNS1_3gpuE4ELNS1_3repE0EEENS1_30default_config_static_selectorELNS0_4arch9wavefront6targetE0EEEvT1_.private_seg_size, 0
	.set _ZN7rocprim17ROCPRIM_400000_NS6detail17trampoline_kernelINS0_14default_configENS1_33run_length_encode_config_selectorIbjNS0_4plusIjEEEEZZNS1_33reduce_by_key_impl_wrapped_configILNS1_25lookback_scan_determinismE0ES3_S7_N6hipcub16HIPCUB_304000_NS22TransformInputIteratorIbN2at6native8internal12_GLOBAL__N_110LoadBoolOpEPKhlEENS0_17constant_iteratorIjlEEPbPlSO_S6_NS0_8equal_toIbEEEE10hipError_tPvRmT2_T3_mT4_T5_T6_T7_T8_P12ihipStream_tbENKUlT_T0_E_clISt17integral_constantIbLb0EES17_IbLb1EEEEDaS13_S14_EUlS13_E_NS1_11comp_targetILNS1_3genE10ELNS1_11target_archE1200ELNS1_3gpuE4ELNS1_3repE0EEENS1_30default_config_static_selectorELNS0_4arch9wavefront6targetE0EEEvT1_.uses_vcc, 0
	.set _ZN7rocprim17ROCPRIM_400000_NS6detail17trampoline_kernelINS0_14default_configENS1_33run_length_encode_config_selectorIbjNS0_4plusIjEEEEZZNS1_33reduce_by_key_impl_wrapped_configILNS1_25lookback_scan_determinismE0ES3_S7_N6hipcub16HIPCUB_304000_NS22TransformInputIteratorIbN2at6native8internal12_GLOBAL__N_110LoadBoolOpEPKhlEENS0_17constant_iteratorIjlEEPbPlSO_S6_NS0_8equal_toIbEEEE10hipError_tPvRmT2_T3_mT4_T5_T6_T7_T8_P12ihipStream_tbENKUlT_T0_E_clISt17integral_constantIbLb0EES17_IbLb1EEEEDaS13_S14_EUlS13_E_NS1_11comp_targetILNS1_3genE10ELNS1_11target_archE1200ELNS1_3gpuE4ELNS1_3repE0EEENS1_30default_config_static_selectorELNS0_4arch9wavefront6targetE0EEEvT1_.uses_flat_scratch, 0
	.set _ZN7rocprim17ROCPRIM_400000_NS6detail17trampoline_kernelINS0_14default_configENS1_33run_length_encode_config_selectorIbjNS0_4plusIjEEEEZZNS1_33reduce_by_key_impl_wrapped_configILNS1_25lookback_scan_determinismE0ES3_S7_N6hipcub16HIPCUB_304000_NS22TransformInputIteratorIbN2at6native8internal12_GLOBAL__N_110LoadBoolOpEPKhlEENS0_17constant_iteratorIjlEEPbPlSO_S6_NS0_8equal_toIbEEEE10hipError_tPvRmT2_T3_mT4_T5_T6_T7_T8_P12ihipStream_tbENKUlT_T0_E_clISt17integral_constantIbLb0EES17_IbLb1EEEEDaS13_S14_EUlS13_E_NS1_11comp_targetILNS1_3genE10ELNS1_11target_archE1200ELNS1_3gpuE4ELNS1_3repE0EEENS1_30default_config_static_selectorELNS0_4arch9wavefront6targetE0EEEvT1_.has_dyn_sized_stack, 0
	.set _ZN7rocprim17ROCPRIM_400000_NS6detail17trampoline_kernelINS0_14default_configENS1_33run_length_encode_config_selectorIbjNS0_4plusIjEEEEZZNS1_33reduce_by_key_impl_wrapped_configILNS1_25lookback_scan_determinismE0ES3_S7_N6hipcub16HIPCUB_304000_NS22TransformInputIteratorIbN2at6native8internal12_GLOBAL__N_110LoadBoolOpEPKhlEENS0_17constant_iteratorIjlEEPbPlSO_S6_NS0_8equal_toIbEEEE10hipError_tPvRmT2_T3_mT4_T5_T6_T7_T8_P12ihipStream_tbENKUlT_T0_E_clISt17integral_constantIbLb0EES17_IbLb1EEEEDaS13_S14_EUlS13_E_NS1_11comp_targetILNS1_3genE10ELNS1_11target_archE1200ELNS1_3gpuE4ELNS1_3repE0EEENS1_30default_config_static_selectorELNS0_4arch9wavefront6targetE0EEEvT1_.has_recursion, 0
	.set _ZN7rocprim17ROCPRIM_400000_NS6detail17trampoline_kernelINS0_14default_configENS1_33run_length_encode_config_selectorIbjNS0_4plusIjEEEEZZNS1_33reduce_by_key_impl_wrapped_configILNS1_25lookback_scan_determinismE0ES3_S7_N6hipcub16HIPCUB_304000_NS22TransformInputIteratorIbN2at6native8internal12_GLOBAL__N_110LoadBoolOpEPKhlEENS0_17constant_iteratorIjlEEPbPlSO_S6_NS0_8equal_toIbEEEE10hipError_tPvRmT2_T3_mT4_T5_T6_T7_T8_P12ihipStream_tbENKUlT_T0_E_clISt17integral_constantIbLb0EES17_IbLb1EEEEDaS13_S14_EUlS13_E_NS1_11comp_targetILNS1_3genE10ELNS1_11target_archE1200ELNS1_3gpuE4ELNS1_3repE0EEENS1_30default_config_static_selectorELNS0_4arch9wavefront6targetE0EEEvT1_.has_indirect_call, 0
	.section	.AMDGPU.csdata,"",@progbits
; Kernel info:
; codeLenInByte = 0
; TotalNumSgprs: 0
; NumVgprs: 0
; ScratchSize: 0
; MemoryBound: 0
; FloatMode: 240
; IeeeMode: 1
; LDSByteSize: 0 bytes/workgroup (compile time only)
; SGPRBlocks: 0
; VGPRBlocks: 0
; NumSGPRsForWavesPerEU: 1
; NumVGPRsForWavesPerEU: 1
; NamedBarCnt: 0
; Occupancy: 16
; WaveLimiterHint : 0
; COMPUTE_PGM_RSRC2:SCRATCH_EN: 0
; COMPUTE_PGM_RSRC2:USER_SGPR: 2
; COMPUTE_PGM_RSRC2:TRAP_HANDLER: 0
; COMPUTE_PGM_RSRC2:TGID_X_EN: 1
; COMPUTE_PGM_RSRC2:TGID_Y_EN: 0
; COMPUTE_PGM_RSRC2:TGID_Z_EN: 0
; COMPUTE_PGM_RSRC2:TIDIG_COMP_CNT: 0
	.section	.text._ZN7rocprim17ROCPRIM_400000_NS6detail17trampoline_kernelINS0_14default_configENS1_33run_length_encode_config_selectorIbjNS0_4plusIjEEEEZZNS1_33reduce_by_key_impl_wrapped_configILNS1_25lookback_scan_determinismE0ES3_S7_N6hipcub16HIPCUB_304000_NS22TransformInputIteratorIbN2at6native8internal12_GLOBAL__N_110LoadBoolOpEPKhlEENS0_17constant_iteratorIjlEEPbPlSO_S6_NS0_8equal_toIbEEEE10hipError_tPvRmT2_T3_mT4_T5_T6_T7_T8_P12ihipStream_tbENKUlT_T0_E_clISt17integral_constantIbLb0EES17_IbLb1EEEEDaS13_S14_EUlS13_E_NS1_11comp_targetILNS1_3genE9ELNS1_11target_archE1100ELNS1_3gpuE3ELNS1_3repE0EEENS1_30default_config_static_selectorELNS0_4arch9wavefront6targetE0EEEvT1_,"axG",@progbits,_ZN7rocprim17ROCPRIM_400000_NS6detail17trampoline_kernelINS0_14default_configENS1_33run_length_encode_config_selectorIbjNS0_4plusIjEEEEZZNS1_33reduce_by_key_impl_wrapped_configILNS1_25lookback_scan_determinismE0ES3_S7_N6hipcub16HIPCUB_304000_NS22TransformInputIteratorIbN2at6native8internal12_GLOBAL__N_110LoadBoolOpEPKhlEENS0_17constant_iteratorIjlEEPbPlSO_S6_NS0_8equal_toIbEEEE10hipError_tPvRmT2_T3_mT4_T5_T6_T7_T8_P12ihipStream_tbENKUlT_T0_E_clISt17integral_constantIbLb0EES17_IbLb1EEEEDaS13_S14_EUlS13_E_NS1_11comp_targetILNS1_3genE9ELNS1_11target_archE1100ELNS1_3gpuE3ELNS1_3repE0EEENS1_30default_config_static_selectorELNS0_4arch9wavefront6targetE0EEEvT1_,comdat
	.globl	_ZN7rocprim17ROCPRIM_400000_NS6detail17trampoline_kernelINS0_14default_configENS1_33run_length_encode_config_selectorIbjNS0_4plusIjEEEEZZNS1_33reduce_by_key_impl_wrapped_configILNS1_25lookback_scan_determinismE0ES3_S7_N6hipcub16HIPCUB_304000_NS22TransformInputIteratorIbN2at6native8internal12_GLOBAL__N_110LoadBoolOpEPKhlEENS0_17constant_iteratorIjlEEPbPlSO_S6_NS0_8equal_toIbEEEE10hipError_tPvRmT2_T3_mT4_T5_T6_T7_T8_P12ihipStream_tbENKUlT_T0_E_clISt17integral_constantIbLb0EES17_IbLb1EEEEDaS13_S14_EUlS13_E_NS1_11comp_targetILNS1_3genE9ELNS1_11target_archE1100ELNS1_3gpuE3ELNS1_3repE0EEENS1_30default_config_static_selectorELNS0_4arch9wavefront6targetE0EEEvT1_ ; -- Begin function _ZN7rocprim17ROCPRIM_400000_NS6detail17trampoline_kernelINS0_14default_configENS1_33run_length_encode_config_selectorIbjNS0_4plusIjEEEEZZNS1_33reduce_by_key_impl_wrapped_configILNS1_25lookback_scan_determinismE0ES3_S7_N6hipcub16HIPCUB_304000_NS22TransformInputIteratorIbN2at6native8internal12_GLOBAL__N_110LoadBoolOpEPKhlEENS0_17constant_iteratorIjlEEPbPlSO_S6_NS0_8equal_toIbEEEE10hipError_tPvRmT2_T3_mT4_T5_T6_T7_T8_P12ihipStream_tbENKUlT_T0_E_clISt17integral_constantIbLb0EES17_IbLb1EEEEDaS13_S14_EUlS13_E_NS1_11comp_targetILNS1_3genE9ELNS1_11target_archE1100ELNS1_3gpuE3ELNS1_3repE0EEENS1_30default_config_static_selectorELNS0_4arch9wavefront6targetE0EEEvT1_
	.p2align	8
	.type	_ZN7rocprim17ROCPRIM_400000_NS6detail17trampoline_kernelINS0_14default_configENS1_33run_length_encode_config_selectorIbjNS0_4plusIjEEEEZZNS1_33reduce_by_key_impl_wrapped_configILNS1_25lookback_scan_determinismE0ES3_S7_N6hipcub16HIPCUB_304000_NS22TransformInputIteratorIbN2at6native8internal12_GLOBAL__N_110LoadBoolOpEPKhlEENS0_17constant_iteratorIjlEEPbPlSO_S6_NS0_8equal_toIbEEEE10hipError_tPvRmT2_T3_mT4_T5_T6_T7_T8_P12ihipStream_tbENKUlT_T0_E_clISt17integral_constantIbLb0EES17_IbLb1EEEEDaS13_S14_EUlS13_E_NS1_11comp_targetILNS1_3genE9ELNS1_11target_archE1100ELNS1_3gpuE3ELNS1_3repE0EEENS1_30default_config_static_selectorELNS0_4arch9wavefront6targetE0EEEvT1_,@function
_ZN7rocprim17ROCPRIM_400000_NS6detail17trampoline_kernelINS0_14default_configENS1_33run_length_encode_config_selectorIbjNS0_4plusIjEEEEZZNS1_33reduce_by_key_impl_wrapped_configILNS1_25lookback_scan_determinismE0ES3_S7_N6hipcub16HIPCUB_304000_NS22TransformInputIteratorIbN2at6native8internal12_GLOBAL__N_110LoadBoolOpEPKhlEENS0_17constant_iteratorIjlEEPbPlSO_S6_NS0_8equal_toIbEEEE10hipError_tPvRmT2_T3_mT4_T5_T6_T7_T8_P12ihipStream_tbENKUlT_T0_E_clISt17integral_constantIbLb0EES17_IbLb1EEEEDaS13_S14_EUlS13_E_NS1_11comp_targetILNS1_3genE9ELNS1_11target_archE1100ELNS1_3gpuE3ELNS1_3repE0EEENS1_30default_config_static_selectorELNS0_4arch9wavefront6targetE0EEEvT1_: ; @_ZN7rocprim17ROCPRIM_400000_NS6detail17trampoline_kernelINS0_14default_configENS1_33run_length_encode_config_selectorIbjNS0_4plusIjEEEEZZNS1_33reduce_by_key_impl_wrapped_configILNS1_25lookback_scan_determinismE0ES3_S7_N6hipcub16HIPCUB_304000_NS22TransformInputIteratorIbN2at6native8internal12_GLOBAL__N_110LoadBoolOpEPKhlEENS0_17constant_iteratorIjlEEPbPlSO_S6_NS0_8equal_toIbEEEE10hipError_tPvRmT2_T3_mT4_T5_T6_T7_T8_P12ihipStream_tbENKUlT_T0_E_clISt17integral_constantIbLb0EES17_IbLb1EEEEDaS13_S14_EUlS13_E_NS1_11comp_targetILNS1_3genE9ELNS1_11target_archE1100ELNS1_3gpuE3ELNS1_3repE0EEENS1_30default_config_static_selectorELNS0_4arch9wavefront6targetE0EEEvT1_
; %bb.0:
	.section	.rodata,"a",@progbits
	.p2align	6, 0x0
	.amdhsa_kernel _ZN7rocprim17ROCPRIM_400000_NS6detail17trampoline_kernelINS0_14default_configENS1_33run_length_encode_config_selectorIbjNS0_4plusIjEEEEZZNS1_33reduce_by_key_impl_wrapped_configILNS1_25lookback_scan_determinismE0ES3_S7_N6hipcub16HIPCUB_304000_NS22TransformInputIteratorIbN2at6native8internal12_GLOBAL__N_110LoadBoolOpEPKhlEENS0_17constant_iteratorIjlEEPbPlSO_S6_NS0_8equal_toIbEEEE10hipError_tPvRmT2_T3_mT4_T5_T6_T7_T8_P12ihipStream_tbENKUlT_T0_E_clISt17integral_constantIbLb0EES17_IbLb1EEEEDaS13_S14_EUlS13_E_NS1_11comp_targetILNS1_3genE9ELNS1_11target_archE1100ELNS1_3gpuE3ELNS1_3repE0EEENS1_30default_config_static_selectorELNS0_4arch9wavefront6targetE0EEEvT1_
		.amdhsa_group_segment_fixed_size 0
		.amdhsa_private_segment_fixed_size 0
		.amdhsa_kernarg_size 136
		.amdhsa_user_sgpr_count 2
		.amdhsa_user_sgpr_dispatch_ptr 0
		.amdhsa_user_sgpr_queue_ptr 0
		.amdhsa_user_sgpr_kernarg_segment_ptr 1
		.amdhsa_user_sgpr_dispatch_id 0
		.amdhsa_user_sgpr_kernarg_preload_length 0
		.amdhsa_user_sgpr_kernarg_preload_offset 0
		.amdhsa_user_sgpr_private_segment_size 0
		.amdhsa_wavefront_size32 1
		.amdhsa_uses_dynamic_stack 0
		.amdhsa_enable_private_segment 0
		.amdhsa_system_sgpr_workgroup_id_x 1
		.amdhsa_system_sgpr_workgroup_id_y 0
		.amdhsa_system_sgpr_workgroup_id_z 0
		.amdhsa_system_sgpr_workgroup_info 0
		.amdhsa_system_vgpr_workitem_id 0
		.amdhsa_next_free_vgpr 1
		.amdhsa_next_free_sgpr 1
		.amdhsa_named_barrier_count 0
		.amdhsa_reserve_vcc 0
		.amdhsa_float_round_mode_32 0
		.amdhsa_float_round_mode_16_64 0
		.amdhsa_float_denorm_mode_32 3
		.amdhsa_float_denorm_mode_16_64 3
		.amdhsa_fp16_overflow 0
		.amdhsa_memory_ordered 1
		.amdhsa_forward_progress 1
		.amdhsa_inst_pref_size 0
		.amdhsa_round_robin_scheduling 0
		.amdhsa_exception_fp_ieee_invalid_op 0
		.amdhsa_exception_fp_denorm_src 0
		.amdhsa_exception_fp_ieee_div_zero 0
		.amdhsa_exception_fp_ieee_overflow 0
		.amdhsa_exception_fp_ieee_underflow 0
		.amdhsa_exception_fp_ieee_inexact 0
		.amdhsa_exception_int_div_zero 0
	.end_amdhsa_kernel
	.section	.text._ZN7rocprim17ROCPRIM_400000_NS6detail17trampoline_kernelINS0_14default_configENS1_33run_length_encode_config_selectorIbjNS0_4plusIjEEEEZZNS1_33reduce_by_key_impl_wrapped_configILNS1_25lookback_scan_determinismE0ES3_S7_N6hipcub16HIPCUB_304000_NS22TransformInputIteratorIbN2at6native8internal12_GLOBAL__N_110LoadBoolOpEPKhlEENS0_17constant_iteratorIjlEEPbPlSO_S6_NS0_8equal_toIbEEEE10hipError_tPvRmT2_T3_mT4_T5_T6_T7_T8_P12ihipStream_tbENKUlT_T0_E_clISt17integral_constantIbLb0EES17_IbLb1EEEEDaS13_S14_EUlS13_E_NS1_11comp_targetILNS1_3genE9ELNS1_11target_archE1100ELNS1_3gpuE3ELNS1_3repE0EEENS1_30default_config_static_selectorELNS0_4arch9wavefront6targetE0EEEvT1_,"axG",@progbits,_ZN7rocprim17ROCPRIM_400000_NS6detail17trampoline_kernelINS0_14default_configENS1_33run_length_encode_config_selectorIbjNS0_4plusIjEEEEZZNS1_33reduce_by_key_impl_wrapped_configILNS1_25lookback_scan_determinismE0ES3_S7_N6hipcub16HIPCUB_304000_NS22TransformInputIteratorIbN2at6native8internal12_GLOBAL__N_110LoadBoolOpEPKhlEENS0_17constant_iteratorIjlEEPbPlSO_S6_NS0_8equal_toIbEEEE10hipError_tPvRmT2_T3_mT4_T5_T6_T7_T8_P12ihipStream_tbENKUlT_T0_E_clISt17integral_constantIbLb0EES17_IbLb1EEEEDaS13_S14_EUlS13_E_NS1_11comp_targetILNS1_3genE9ELNS1_11target_archE1100ELNS1_3gpuE3ELNS1_3repE0EEENS1_30default_config_static_selectorELNS0_4arch9wavefront6targetE0EEEvT1_,comdat
.Lfunc_end95:
	.size	_ZN7rocprim17ROCPRIM_400000_NS6detail17trampoline_kernelINS0_14default_configENS1_33run_length_encode_config_selectorIbjNS0_4plusIjEEEEZZNS1_33reduce_by_key_impl_wrapped_configILNS1_25lookback_scan_determinismE0ES3_S7_N6hipcub16HIPCUB_304000_NS22TransformInputIteratorIbN2at6native8internal12_GLOBAL__N_110LoadBoolOpEPKhlEENS0_17constant_iteratorIjlEEPbPlSO_S6_NS0_8equal_toIbEEEE10hipError_tPvRmT2_T3_mT4_T5_T6_T7_T8_P12ihipStream_tbENKUlT_T0_E_clISt17integral_constantIbLb0EES17_IbLb1EEEEDaS13_S14_EUlS13_E_NS1_11comp_targetILNS1_3genE9ELNS1_11target_archE1100ELNS1_3gpuE3ELNS1_3repE0EEENS1_30default_config_static_selectorELNS0_4arch9wavefront6targetE0EEEvT1_, .Lfunc_end95-_ZN7rocprim17ROCPRIM_400000_NS6detail17trampoline_kernelINS0_14default_configENS1_33run_length_encode_config_selectorIbjNS0_4plusIjEEEEZZNS1_33reduce_by_key_impl_wrapped_configILNS1_25lookback_scan_determinismE0ES3_S7_N6hipcub16HIPCUB_304000_NS22TransformInputIteratorIbN2at6native8internal12_GLOBAL__N_110LoadBoolOpEPKhlEENS0_17constant_iteratorIjlEEPbPlSO_S6_NS0_8equal_toIbEEEE10hipError_tPvRmT2_T3_mT4_T5_T6_T7_T8_P12ihipStream_tbENKUlT_T0_E_clISt17integral_constantIbLb0EES17_IbLb1EEEEDaS13_S14_EUlS13_E_NS1_11comp_targetILNS1_3genE9ELNS1_11target_archE1100ELNS1_3gpuE3ELNS1_3repE0EEENS1_30default_config_static_selectorELNS0_4arch9wavefront6targetE0EEEvT1_
                                        ; -- End function
	.set _ZN7rocprim17ROCPRIM_400000_NS6detail17trampoline_kernelINS0_14default_configENS1_33run_length_encode_config_selectorIbjNS0_4plusIjEEEEZZNS1_33reduce_by_key_impl_wrapped_configILNS1_25lookback_scan_determinismE0ES3_S7_N6hipcub16HIPCUB_304000_NS22TransformInputIteratorIbN2at6native8internal12_GLOBAL__N_110LoadBoolOpEPKhlEENS0_17constant_iteratorIjlEEPbPlSO_S6_NS0_8equal_toIbEEEE10hipError_tPvRmT2_T3_mT4_T5_T6_T7_T8_P12ihipStream_tbENKUlT_T0_E_clISt17integral_constantIbLb0EES17_IbLb1EEEEDaS13_S14_EUlS13_E_NS1_11comp_targetILNS1_3genE9ELNS1_11target_archE1100ELNS1_3gpuE3ELNS1_3repE0EEENS1_30default_config_static_selectorELNS0_4arch9wavefront6targetE0EEEvT1_.num_vgpr, 0
	.set _ZN7rocprim17ROCPRIM_400000_NS6detail17trampoline_kernelINS0_14default_configENS1_33run_length_encode_config_selectorIbjNS0_4plusIjEEEEZZNS1_33reduce_by_key_impl_wrapped_configILNS1_25lookback_scan_determinismE0ES3_S7_N6hipcub16HIPCUB_304000_NS22TransformInputIteratorIbN2at6native8internal12_GLOBAL__N_110LoadBoolOpEPKhlEENS0_17constant_iteratorIjlEEPbPlSO_S6_NS0_8equal_toIbEEEE10hipError_tPvRmT2_T3_mT4_T5_T6_T7_T8_P12ihipStream_tbENKUlT_T0_E_clISt17integral_constantIbLb0EES17_IbLb1EEEEDaS13_S14_EUlS13_E_NS1_11comp_targetILNS1_3genE9ELNS1_11target_archE1100ELNS1_3gpuE3ELNS1_3repE0EEENS1_30default_config_static_selectorELNS0_4arch9wavefront6targetE0EEEvT1_.num_agpr, 0
	.set _ZN7rocprim17ROCPRIM_400000_NS6detail17trampoline_kernelINS0_14default_configENS1_33run_length_encode_config_selectorIbjNS0_4plusIjEEEEZZNS1_33reduce_by_key_impl_wrapped_configILNS1_25lookback_scan_determinismE0ES3_S7_N6hipcub16HIPCUB_304000_NS22TransformInputIteratorIbN2at6native8internal12_GLOBAL__N_110LoadBoolOpEPKhlEENS0_17constant_iteratorIjlEEPbPlSO_S6_NS0_8equal_toIbEEEE10hipError_tPvRmT2_T3_mT4_T5_T6_T7_T8_P12ihipStream_tbENKUlT_T0_E_clISt17integral_constantIbLb0EES17_IbLb1EEEEDaS13_S14_EUlS13_E_NS1_11comp_targetILNS1_3genE9ELNS1_11target_archE1100ELNS1_3gpuE3ELNS1_3repE0EEENS1_30default_config_static_selectorELNS0_4arch9wavefront6targetE0EEEvT1_.numbered_sgpr, 0
	.set _ZN7rocprim17ROCPRIM_400000_NS6detail17trampoline_kernelINS0_14default_configENS1_33run_length_encode_config_selectorIbjNS0_4plusIjEEEEZZNS1_33reduce_by_key_impl_wrapped_configILNS1_25lookback_scan_determinismE0ES3_S7_N6hipcub16HIPCUB_304000_NS22TransformInputIteratorIbN2at6native8internal12_GLOBAL__N_110LoadBoolOpEPKhlEENS0_17constant_iteratorIjlEEPbPlSO_S6_NS0_8equal_toIbEEEE10hipError_tPvRmT2_T3_mT4_T5_T6_T7_T8_P12ihipStream_tbENKUlT_T0_E_clISt17integral_constantIbLb0EES17_IbLb1EEEEDaS13_S14_EUlS13_E_NS1_11comp_targetILNS1_3genE9ELNS1_11target_archE1100ELNS1_3gpuE3ELNS1_3repE0EEENS1_30default_config_static_selectorELNS0_4arch9wavefront6targetE0EEEvT1_.num_named_barrier, 0
	.set _ZN7rocprim17ROCPRIM_400000_NS6detail17trampoline_kernelINS0_14default_configENS1_33run_length_encode_config_selectorIbjNS0_4plusIjEEEEZZNS1_33reduce_by_key_impl_wrapped_configILNS1_25lookback_scan_determinismE0ES3_S7_N6hipcub16HIPCUB_304000_NS22TransformInputIteratorIbN2at6native8internal12_GLOBAL__N_110LoadBoolOpEPKhlEENS0_17constant_iteratorIjlEEPbPlSO_S6_NS0_8equal_toIbEEEE10hipError_tPvRmT2_T3_mT4_T5_T6_T7_T8_P12ihipStream_tbENKUlT_T0_E_clISt17integral_constantIbLb0EES17_IbLb1EEEEDaS13_S14_EUlS13_E_NS1_11comp_targetILNS1_3genE9ELNS1_11target_archE1100ELNS1_3gpuE3ELNS1_3repE0EEENS1_30default_config_static_selectorELNS0_4arch9wavefront6targetE0EEEvT1_.private_seg_size, 0
	.set _ZN7rocprim17ROCPRIM_400000_NS6detail17trampoline_kernelINS0_14default_configENS1_33run_length_encode_config_selectorIbjNS0_4plusIjEEEEZZNS1_33reduce_by_key_impl_wrapped_configILNS1_25lookback_scan_determinismE0ES3_S7_N6hipcub16HIPCUB_304000_NS22TransformInputIteratorIbN2at6native8internal12_GLOBAL__N_110LoadBoolOpEPKhlEENS0_17constant_iteratorIjlEEPbPlSO_S6_NS0_8equal_toIbEEEE10hipError_tPvRmT2_T3_mT4_T5_T6_T7_T8_P12ihipStream_tbENKUlT_T0_E_clISt17integral_constantIbLb0EES17_IbLb1EEEEDaS13_S14_EUlS13_E_NS1_11comp_targetILNS1_3genE9ELNS1_11target_archE1100ELNS1_3gpuE3ELNS1_3repE0EEENS1_30default_config_static_selectorELNS0_4arch9wavefront6targetE0EEEvT1_.uses_vcc, 0
	.set _ZN7rocprim17ROCPRIM_400000_NS6detail17trampoline_kernelINS0_14default_configENS1_33run_length_encode_config_selectorIbjNS0_4plusIjEEEEZZNS1_33reduce_by_key_impl_wrapped_configILNS1_25lookback_scan_determinismE0ES3_S7_N6hipcub16HIPCUB_304000_NS22TransformInputIteratorIbN2at6native8internal12_GLOBAL__N_110LoadBoolOpEPKhlEENS0_17constant_iteratorIjlEEPbPlSO_S6_NS0_8equal_toIbEEEE10hipError_tPvRmT2_T3_mT4_T5_T6_T7_T8_P12ihipStream_tbENKUlT_T0_E_clISt17integral_constantIbLb0EES17_IbLb1EEEEDaS13_S14_EUlS13_E_NS1_11comp_targetILNS1_3genE9ELNS1_11target_archE1100ELNS1_3gpuE3ELNS1_3repE0EEENS1_30default_config_static_selectorELNS0_4arch9wavefront6targetE0EEEvT1_.uses_flat_scratch, 0
	.set _ZN7rocprim17ROCPRIM_400000_NS6detail17trampoline_kernelINS0_14default_configENS1_33run_length_encode_config_selectorIbjNS0_4plusIjEEEEZZNS1_33reduce_by_key_impl_wrapped_configILNS1_25lookback_scan_determinismE0ES3_S7_N6hipcub16HIPCUB_304000_NS22TransformInputIteratorIbN2at6native8internal12_GLOBAL__N_110LoadBoolOpEPKhlEENS0_17constant_iteratorIjlEEPbPlSO_S6_NS0_8equal_toIbEEEE10hipError_tPvRmT2_T3_mT4_T5_T6_T7_T8_P12ihipStream_tbENKUlT_T0_E_clISt17integral_constantIbLb0EES17_IbLb1EEEEDaS13_S14_EUlS13_E_NS1_11comp_targetILNS1_3genE9ELNS1_11target_archE1100ELNS1_3gpuE3ELNS1_3repE0EEENS1_30default_config_static_selectorELNS0_4arch9wavefront6targetE0EEEvT1_.has_dyn_sized_stack, 0
	.set _ZN7rocprim17ROCPRIM_400000_NS6detail17trampoline_kernelINS0_14default_configENS1_33run_length_encode_config_selectorIbjNS0_4plusIjEEEEZZNS1_33reduce_by_key_impl_wrapped_configILNS1_25lookback_scan_determinismE0ES3_S7_N6hipcub16HIPCUB_304000_NS22TransformInputIteratorIbN2at6native8internal12_GLOBAL__N_110LoadBoolOpEPKhlEENS0_17constant_iteratorIjlEEPbPlSO_S6_NS0_8equal_toIbEEEE10hipError_tPvRmT2_T3_mT4_T5_T6_T7_T8_P12ihipStream_tbENKUlT_T0_E_clISt17integral_constantIbLb0EES17_IbLb1EEEEDaS13_S14_EUlS13_E_NS1_11comp_targetILNS1_3genE9ELNS1_11target_archE1100ELNS1_3gpuE3ELNS1_3repE0EEENS1_30default_config_static_selectorELNS0_4arch9wavefront6targetE0EEEvT1_.has_recursion, 0
	.set _ZN7rocprim17ROCPRIM_400000_NS6detail17trampoline_kernelINS0_14default_configENS1_33run_length_encode_config_selectorIbjNS0_4plusIjEEEEZZNS1_33reduce_by_key_impl_wrapped_configILNS1_25lookback_scan_determinismE0ES3_S7_N6hipcub16HIPCUB_304000_NS22TransformInputIteratorIbN2at6native8internal12_GLOBAL__N_110LoadBoolOpEPKhlEENS0_17constant_iteratorIjlEEPbPlSO_S6_NS0_8equal_toIbEEEE10hipError_tPvRmT2_T3_mT4_T5_T6_T7_T8_P12ihipStream_tbENKUlT_T0_E_clISt17integral_constantIbLb0EES17_IbLb1EEEEDaS13_S14_EUlS13_E_NS1_11comp_targetILNS1_3genE9ELNS1_11target_archE1100ELNS1_3gpuE3ELNS1_3repE0EEENS1_30default_config_static_selectorELNS0_4arch9wavefront6targetE0EEEvT1_.has_indirect_call, 0
	.section	.AMDGPU.csdata,"",@progbits
; Kernel info:
; codeLenInByte = 0
; TotalNumSgprs: 0
; NumVgprs: 0
; ScratchSize: 0
; MemoryBound: 0
; FloatMode: 240
; IeeeMode: 1
; LDSByteSize: 0 bytes/workgroup (compile time only)
; SGPRBlocks: 0
; VGPRBlocks: 0
; NumSGPRsForWavesPerEU: 1
; NumVGPRsForWavesPerEU: 1
; NamedBarCnt: 0
; Occupancy: 16
; WaveLimiterHint : 0
; COMPUTE_PGM_RSRC2:SCRATCH_EN: 0
; COMPUTE_PGM_RSRC2:USER_SGPR: 2
; COMPUTE_PGM_RSRC2:TRAP_HANDLER: 0
; COMPUTE_PGM_RSRC2:TGID_X_EN: 1
; COMPUTE_PGM_RSRC2:TGID_Y_EN: 0
; COMPUTE_PGM_RSRC2:TGID_Z_EN: 0
; COMPUTE_PGM_RSRC2:TIDIG_COMP_CNT: 0
	.section	.text._ZN7rocprim17ROCPRIM_400000_NS6detail17trampoline_kernelINS0_14default_configENS1_33run_length_encode_config_selectorIbjNS0_4plusIjEEEEZZNS1_33reduce_by_key_impl_wrapped_configILNS1_25lookback_scan_determinismE0ES3_S7_N6hipcub16HIPCUB_304000_NS22TransformInputIteratorIbN2at6native8internal12_GLOBAL__N_110LoadBoolOpEPKhlEENS0_17constant_iteratorIjlEEPbPlSO_S6_NS0_8equal_toIbEEEE10hipError_tPvRmT2_T3_mT4_T5_T6_T7_T8_P12ihipStream_tbENKUlT_T0_E_clISt17integral_constantIbLb0EES17_IbLb1EEEEDaS13_S14_EUlS13_E_NS1_11comp_targetILNS1_3genE8ELNS1_11target_archE1030ELNS1_3gpuE2ELNS1_3repE0EEENS1_30default_config_static_selectorELNS0_4arch9wavefront6targetE0EEEvT1_,"axG",@progbits,_ZN7rocprim17ROCPRIM_400000_NS6detail17trampoline_kernelINS0_14default_configENS1_33run_length_encode_config_selectorIbjNS0_4plusIjEEEEZZNS1_33reduce_by_key_impl_wrapped_configILNS1_25lookback_scan_determinismE0ES3_S7_N6hipcub16HIPCUB_304000_NS22TransformInputIteratorIbN2at6native8internal12_GLOBAL__N_110LoadBoolOpEPKhlEENS0_17constant_iteratorIjlEEPbPlSO_S6_NS0_8equal_toIbEEEE10hipError_tPvRmT2_T3_mT4_T5_T6_T7_T8_P12ihipStream_tbENKUlT_T0_E_clISt17integral_constantIbLb0EES17_IbLb1EEEEDaS13_S14_EUlS13_E_NS1_11comp_targetILNS1_3genE8ELNS1_11target_archE1030ELNS1_3gpuE2ELNS1_3repE0EEENS1_30default_config_static_selectorELNS0_4arch9wavefront6targetE0EEEvT1_,comdat
	.globl	_ZN7rocprim17ROCPRIM_400000_NS6detail17trampoline_kernelINS0_14default_configENS1_33run_length_encode_config_selectorIbjNS0_4plusIjEEEEZZNS1_33reduce_by_key_impl_wrapped_configILNS1_25lookback_scan_determinismE0ES3_S7_N6hipcub16HIPCUB_304000_NS22TransformInputIteratorIbN2at6native8internal12_GLOBAL__N_110LoadBoolOpEPKhlEENS0_17constant_iteratorIjlEEPbPlSO_S6_NS0_8equal_toIbEEEE10hipError_tPvRmT2_T3_mT4_T5_T6_T7_T8_P12ihipStream_tbENKUlT_T0_E_clISt17integral_constantIbLb0EES17_IbLb1EEEEDaS13_S14_EUlS13_E_NS1_11comp_targetILNS1_3genE8ELNS1_11target_archE1030ELNS1_3gpuE2ELNS1_3repE0EEENS1_30default_config_static_selectorELNS0_4arch9wavefront6targetE0EEEvT1_ ; -- Begin function _ZN7rocprim17ROCPRIM_400000_NS6detail17trampoline_kernelINS0_14default_configENS1_33run_length_encode_config_selectorIbjNS0_4plusIjEEEEZZNS1_33reduce_by_key_impl_wrapped_configILNS1_25lookback_scan_determinismE0ES3_S7_N6hipcub16HIPCUB_304000_NS22TransformInputIteratorIbN2at6native8internal12_GLOBAL__N_110LoadBoolOpEPKhlEENS0_17constant_iteratorIjlEEPbPlSO_S6_NS0_8equal_toIbEEEE10hipError_tPvRmT2_T3_mT4_T5_T6_T7_T8_P12ihipStream_tbENKUlT_T0_E_clISt17integral_constantIbLb0EES17_IbLb1EEEEDaS13_S14_EUlS13_E_NS1_11comp_targetILNS1_3genE8ELNS1_11target_archE1030ELNS1_3gpuE2ELNS1_3repE0EEENS1_30default_config_static_selectorELNS0_4arch9wavefront6targetE0EEEvT1_
	.p2align	8
	.type	_ZN7rocprim17ROCPRIM_400000_NS6detail17trampoline_kernelINS0_14default_configENS1_33run_length_encode_config_selectorIbjNS0_4plusIjEEEEZZNS1_33reduce_by_key_impl_wrapped_configILNS1_25lookback_scan_determinismE0ES3_S7_N6hipcub16HIPCUB_304000_NS22TransformInputIteratorIbN2at6native8internal12_GLOBAL__N_110LoadBoolOpEPKhlEENS0_17constant_iteratorIjlEEPbPlSO_S6_NS0_8equal_toIbEEEE10hipError_tPvRmT2_T3_mT4_T5_T6_T7_T8_P12ihipStream_tbENKUlT_T0_E_clISt17integral_constantIbLb0EES17_IbLb1EEEEDaS13_S14_EUlS13_E_NS1_11comp_targetILNS1_3genE8ELNS1_11target_archE1030ELNS1_3gpuE2ELNS1_3repE0EEENS1_30default_config_static_selectorELNS0_4arch9wavefront6targetE0EEEvT1_,@function
_ZN7rocprim17ROCPRIM_400000_NS6detail17trampoline_kernelINS0_14default_configENS1_33run_length_encode_config_selectorIbjNS0_4plusIjEEEEZZNS1_33reduce_by_key_impl_wrapped_configILNS1_25lookback_scan_determinismE0ES3_S7_N6hipcub16HIPCUB_304000_NS22TransformInputIteratorIbN2at6native8internal12_GLOBAL__N_110LoadBoolOpEPKhlEENS0_17constant_iteratorIjlEEPbPlSO_S6_NS0_8equal_toIbEEEE10hipError_tPvRmT2_T3_mT4_T5_T6_T7_T8_P12ihipStream_tbENKUlT_T0_E_clISt17integral_constantIbLb0EES17_IbLb1EEEEDaS13_S14_EUlS13_E_NS1_11comp_targetILNS1_3genE8ELNS1_11target_archE1030ELNS1_3gpuE2ELNS1_3repE0EEENS1_30default_config_static_selectorELNS0_4arch9wavefront6targetE0EEEvT1_: ; @_ZN7rocprim17ROCPRIM_400000_NS6detail17trampoline_kernelINS0_14default_configENS1_33run_length_encode_config_selectorIbjNS0_4plusIjEEEEZZNS1_33reduce_by_key_impl_wrapped_configILNS1_25lookback_scan_determinismE0ES3_S7_N6hipcub16HIPCUB_304000_NS22TransformInputIteratorIbN2at6native8internal12_GLOBAL__N_110LoadBoolOpEPKhlEENS0_17constant_iteratorIjlEEPbPlSO_S6_NS0_8equal_toIbEEEE10hipError_tPvRmT2_T3_mT4_T5_T6_T7_T8_P12ihipStream_tbENKUlT_T0_E_clISt17integral_constantIbLb0EES17_IbLb1EEEEDaS13_S14_EUlS13_E_NS1_11comp_targetILNS1_3genE8ELNS1_11target_archE1030ELNS1_3gpuE2ELNS1_3repE0EEENS1_30default_config_static_selectorELNS0_4arch9wavefront6targetE0EEEvT1_
; %bb.0:
	.section	.rodata,"a",@progbits
	.p2align	6, 0x0
	.amdhsa_kernel _ZN7rocprim17ROCPRIM_400000_NS6detail17trampoline_kernelINS0_14default_configENS1_33run_length_encode_config_selectorIbjNS0_4plusIjEEEEZZNS1_33reduce_by_key_impl_wrapped_configILNS1_25lookback_scan_determinismE0ES3_S7_N6hipcub16HIPCUB_304000_NS22TransformInputIteratorIbN2at6native8internal12_GLOBAL__N_110LoadBoolOpEPKhlEENS0_17constant_iteratorIjlEEPbPlSO_S6_NS0_8equal_toIbEEEE10hipError_tPvRmT2_T3_mT4_T5_T6_T7_T8_P12ihipStream_tbENKUlT_T0_E_clISt17integral_constantIbLb0EES17_IbLb1EEEEDaS13_S14_EUlS13_E_NS1_11comp_targetILNS1_3genE8ELNS1_11target_archE1030ELNS1_3gpuE2ELNS1_3repE0EEENS1_30default_config_static_selectorELNS0_4arch9wavefront6targetE0EEEvT1_
		.amdhsa_group_segment_fixed_size 0
		.amdhsa_private_segment_fixed_size 0
		.amdhsa_kernarg_size 136
		.amdhsa_user_sgpr_count 2
		.amdhsa_user_sgpr_dispatch_ptr 0
		.amdhsa_user_sgpr_queue_ptr 0
		.amdhsa_user_sgpr_kernarg_segment_ptr 1
		.amdhsa_user_sgpr_dispatch_id 0
		.amdhsa_user_sgpr_kernarg_preload_length 0
		.amdhsa_user_sgpr_kernarg_preload_offset 0
		.amdhsa_user_sgpr_private_segment_size 0
		.amdhsa_wavefront_size32 1
		.amdhsa_uses_dynamic_stack 0
		.amdhsa_enable_private_segment 0
		.amdhsa_system_sgpr_workgroup_id_x 1
		.amdhsa_system_sgpr_workgroup_id_y 0
		.amdhsa_system_sgpr_workgroup_id_z 0
		.amdhsa_system_sgpr_workgroup_info 0
		.amdhsa_system_vgpr_workitem_id 0
		.amdhsa_next_free_vgpr 1
		.amdhsa_next_free_sgpr 1
		.amdhsa_named_barrier_count 0
		.amdhsa_reserve_vcc 0
		.amdhsa_float_round_mode_32 0
		.amdhsa_float_round_mode_16_64 0
		.amdhsa_float_denorm_mode_32 3
		.amdhsa_float_denorm_mode_16_64 3
		.amdhsa_fp16_overflow 0
		.amdhsa_memory_ordered 1
		.amdhsa_forward_progress 1
		.amdhsa_inst_pref_size 0
		.amdhsa_round_robin_scheduling 0
		.amdhsa_exception_fp_ieee_invalid_op 0
		.amdhsa_exception_fp_denorm_src 0
		.amdhsa_exception_fp_ieee_div_zero 0
		.amdhsa_exception_fp_ieee_overflow 0
		.amdhsa_exception_fp_ieee_underflow 0
		.amdhsa_exception_fp_ieee_inexact 0
		.amdhsa_exception_int_div_zero 0
	.end_amdhsa_kernel
	.section	.text._ZN7rocprim17ROCPRIM_400000_NS6detail17trampoline_kernelINS0_14default_configENS1_33run_length_encode_config_selectorIbjNS0_4plusIjEEEEZZNS1_33reduce_by_key_impl_wrapped_configILNS1_25lookback_scan_determinismE0ES3_S7_N6hipcub16HIPCUB_304000_NS22TransformInputIteratorIbN2at6native8internal12_GLOBAL__N_110LoadBoolOpEPKhlEENS0_17constant_iteratorIjlEEPbPlSO_S6_NS0_8equal_toIbEEEE10hipError_tPvRmT2_T3_mT4_T5_T6_T7_T8_P12ihipStream_tbENKUlT_T0_E_clISt17integral_constantIbLb0EES17_IbLb1EEEEDaS13_S14_EUlS13_E_NS1_11comp_targetILNS1_3genE8ELNS1_11target_archE1030ELNS1_3gpuE2ELNS1_3repE0EEENS1_30default_config_static_selectorELNS0_4arch9wavefront6targetE0EEEvT1_,"axG",@progbits,_ZN7rocprim17ROCPRIM_400000_NS6detail17trampoline_kernelINS0_14default_configENS1_33run_length_encode_config_selectorIbjNS0_4plusIjEEEEZZNS1_33reduce_by_key_impl_wrapped_configILNS1_25lookback_scan_determinismE0ES3_S7_N6hipcub16HIPCUB_304000_NS22TransformInputIteratorIbN2at6native8internal12_GLOBAL__N_110LoadBoolOpEPKhlEENS0_17constant_iteratorIjlEEPbPlSO_S6_NS0_8equal_toIbEEEE10hipError_tPvRmT2_T3_mT4_T5_T6_T7_T8_P12ihipStream_tbENKUlT_T0_E_clISt17integral_constantIbLb0EES17_IbLb1EEEEDaS13_S14_EUlS13_E_NS1_11comp_targetILNS1_3genE8ELNS1_11target_archE1030ELNS1_3gpuE2ELNS1_3repE0EEENS1_30default_config_static_selectorELNS0_4arch9wavefront6targetE0EEEvT1_,comdat
.Lfunc_end96:
	.size	_ZN7rocprim17ROCPRIM_400000_NS6detail17trampoline_kernelINS0_14default_configENS1_33run_length_encode_config_selectorIbjNS0_4plusIjEEEEZZNS1_33reduce_by_key_impl_wrapped_configILNS1_25lookback_scan_determinismE0ES3_S7_N6hipcub16HIPCUB_304000_NS22TransformInputIteratorIbN2at6native8internal12_GLOBAL__N_110LoadBoolOpEPKhlEENS0_17constant_iteratorIjlEEPbPlSO_S6_NS0_8equal_toIbEEEE10hipError_tPvRmT2_T3_mT4_T5_T6_T7_T8_P12ihipStream_tbENKUlT_T0_E_clISt17integral_constantIbLb0EES17_IbLb1EEEEDaS13_S14_EUlS13_E_NS1_11comp_targetILNS1_3genE8ELNS1_11target_archE1030ELNS1_3gpuE2ELNS1_3repE0EEENS1_30default_config_static_selectorELNS0_4arch9wavefront6targetE0EEEvT1_, .Lfunc_end96-_ZN7rocprim17ROCPRIM_400000_NS6detail17trampoline_kernelINS0_14default_configENS1_33run_length_encode_config_selectorIbjNS0_4plusIjEEEEZZNS1_33reduce_by_key_impl_wrapped_configILNS1_25lookback_scan_determinismE0ES3_S7_N6hipcub16HIPCUB_304000_NS22TransformInputIteratorIbN2at6native8internal12_GLOBAL__N_110LoadBoolOpEPKhlEENS0_17constant_iteratorIjlEEPbPlSO_S6_NS0_8equal_toIbEEEE10hipError_tPvRmT2_T3_mT4_T5_T6_T7_T8_P12ihipStream_tbENKUlT_T0_E_clISt17integral_constantIbLb0EES17_IbLb1EEEEDaS13_S14_EUlS13_E_NS1_11comp_targetILNS1_3genE8ELNS1_11target_archE1030ELNS1_3gpuE2ELNS1_3repE0EEENS1_30default_config_static_selectorELNS0_4arch9wavefront6targetE0EEEvT1_
                                        ; -- End function
	.set _ZN7rocprim17ROCPRIM_400000_NS6detail17trampoline_kernelINS0_14default_configENS1_33run_length_encode_config_selectorIbjNS0_4plusIjEEEEZZNS1_33reduce_by_key_impl_wrapped_configILNS1_25lookback_scan_determinismE0ES3_S7_N6hipcub16HIPCUB_304000_NS22TransformInputIteratorIbN2at6native8internal12_GLOBAL__N_110LoadBoolOpEPKhlEENS0_17constant_iteratorIjlEEPbPlSO_S6_NS0_8equal_toIbEEEE10hipError_tPvRmT2_T3_mT4_T5_T6_T7_T8_P12ihipStream_tbENKUlT_T0_E_clISt17integral_constantIbLb0EES17_IbLb1EEEEDaS13_S14_EUlS13_E_NS1_11comp_targetILNS1_3genE8ELNS1_11target_archE1030ELNS1_3gpuE2ELNS1_3repE0EEENS1_30default_config_static_selectorELNS0_4arch9wavefront6targetE0EEEvT1_.num_vgpr, 0
	.set _ZN7rocprim17ROCPRIM_400000_NS6detail17trampoline_kernelINS0_14default_configENS1_33run_length_encode_config_selectorIbjNS0_4plusIjEEEEZZNS1_33reduce_by_key_impl_wrapped_configILNS1_25lookback_scan_determinismE0ES3_S7_N6hipcub16HIPCUB_304000_NS22TransformInputIteratorIbN2at6native8internal12_GLOBAL__N_110LoadBoolOpEPKhlEENS0_17constant_iteratorIjlEEPbPlSO_S6_NS0_8equal_toIbEEEE10hipError_tPvRmT2_T3_mT4_T5_T6_T7_T8_P12ihipStream_tbENKUlT_T0_E_clISt17integral_constantIbLb0EES17_IbLb1EEEEDaS13_S14_EUlS13_E_NS1_11comp_targetILNS1_3genE8ELNS1_11target_archE1030ELNS1_3gpuE2ELNS1_3repE0EEENS1_30default_config_static_selectorELNS0_4arch9wavefront6targetE0EEEvT1_.num_agpr, 0
	.set _ZN7rocprim17ROCPRIM_400000_NS6detail17trampoline_kernelINS0_14default_configENS1_33run_length_encode_config_selectorIbjNS0_4plusIjEEEEZZNS1_33reduce_by_key_impl_wrapped_configILNS1_25lookback_scan_determinismE0ES3_S7_N6hipcub16HIPCUB_304000_NS22TransformInputIteratorIbN2at6native8internal12_GLOBAL__N_110LoadBoolOpEPKhlEENS0_17constant_iteratorIjlEEPbPlSO_S6_NS0_8equal_toIbEEEE10hipError_tPvRmT2_T3_mT4_T5_T6_T7_T8_P12ihipStream_tbENKUlT_T0_E_clISt17integral_constantIbLb0EES17_IbLb1EEEEDaS13_S14_EUlS13_E_NS1_11comp_targetILNS1_3genE8ELNS1_11target_archE1030ELNS1_3gpuE2ELNS1_3repE0EEENS1_30default_config_static_selectorELNS0_4arch9wavefront6targetE0EEEvT1_.numbered_sgpr, 0
	.set _ZN7rocprim17ROCPRIM_400000_NS6detail17trampoline_kernelINS0_14default_configENS1_33run_length_encode_config_selectorIbjNS0_4plusIjEEEEZZNS1_33reduce_by_key_impl_wrapped_configILNS1_25lookback_scan_determinismE0ES3_S7_N6hipcub16HIPCUB_304000_NS22TransformInputIteratorIbN2at6native8internal12_GLOBAL__N_110LoadBoolOpEPKhlEENS0_17constant_iteratorIjlEEPbPlSO_S6_NS0_8equal_toIbEEEE10hipError_tPvRmT2_T3_mT4_T5_T6_T7_T8_P12ihipStream_tbENKUlT_T0_E_clISt17integral_constantIbLb0EES17_IbLb1EEEEDaS13_S14_EUlS13_E_NS1_11comp_targetILNS1_3genE8ELNS1_11target_archE1030ELNS1_3gpuE2ELNS1_3repE0EEENS1_30default_config_static_selectorELNS0_4arch9wavefront6targetE0EEEvT1_.num_named_barrier, 0
	.set _ZN7rocprim17ROCPRIM_400000_NS6detail17trampoline_kernelINS0_14default_configENS1_33run_length_encode_config_selectorIbjNS0_4plusIjEEEEZZNS1_33reduce_by_key_impl_wrapped_configILNS1_25lookback_scan_determinismE0ES3_S7_N6hipcub16HIPCUB_304000_NS22TransformInputIteratorIbN2at6native8internal12_GLOBAL__N_110LoadBoolOpEPKhlEENS0_17constant_iteratorIjlEEPbPlSO_S6_NS0_8equal_toIbEEEE10hipError_tPvRmT2_T3_mT4_T5_T6_T7_T8_P12ihipStream_tbENKUlT_T0_E_clISt17integral_constantIbLb0EES17_IbLb1EEEEDaS13_S14_EUlS13_E_NS1_11comp_targetILNS1_3genE8ELNS1_11target_archE1030ELNS1_3gpuE2ELNS1_3repE0EEENS1_30default_config_static_selectorELNS0_4arch9wavefront6targetE0EEEvT1_.private_seg_size, 0
	.set _ZN7rocprim17ROCPRIM_400000_NS6detail17trampoline_kernelINS0_14default_configENS1_33run_length_encode_config_selectorIbjNS0_4plusIjEEEEZZNS1_33reduce_by_key_impl_wrapped_configILNS1_25lookback_scan_determinismE0ES3_S7_N6hipcub16HIPCUB_304000_NS22TransformInputIteratorIbN2at6native8internal12_GLOBAL__N_110LoadBoolOpEPKhlEENS0_17constant_iteratorIjlEEPbPlSO_S6_NS0_8equal_toIbEEEE10hipError_tPvRmT2_T3_mT4_T5_T6_T7_T8_P12ihipStream_tbENKUlT_T0_E_clISt17integral_constantIbLb0EES17_IbLb1EEEEDaS13_S14_EUlS13_E_NS1_11comp_targetILNS1_3genE8ELNS1_11target_archE1030ELNS1_3gpuE2ELNS1_3repE0EEENS1_30default_config_static_selectorELNS0_4arch9wavefront6targetE0EEEvT1_.uses_vcc, 0
	.set _ZN7rocprim17ROCPRIM_400000_NS6detail17trampoline_kernelINS0_14default_configENS1_33run_length_encode_config_selectorIbjNS0_4plusIjEEEEZZNS1_33reduce_by_key_impl_wrapped_configILNS1_25lookback_scan_determinismE0ES3_S7_N6hipcub16HIPCUB_304000_NS22TransformInputIteratorIbN2at6native8internal12_GLOBAL__N_110LoadBoolOpEPKhlEENS0_17constant_iteratorIjlEEPbPlSO_S6_NS0_8equal_toIbEEEE10hipError_tPvRmT2_T3_mT4_T5_T6_T7_T8_P12ihipStream_tbENKUlT_T0_E_clISt17integral_constantIbLb0EES17_IbLb1EEEEDaS13_S14_EUlS13_E_NS1_11comp_targetILNS1_3genE8ELNS1_11target_archE1030ELNS1_3gpuE2ELNS1_3repE0EEENS1_30default_config_static_selectorELNS0_4arch9wavefront6targetE0EEEvT1_.uses_flat_scratch, 0
	.set _ZN7rocprim17ROCPRIM_400000_NS6detail17trampoline_kernelINS0_14default_configENS1_33run_length_encode_config_selectorIbjNS0_4plusIjEEEEZZNS1_33reduce_by_key_impl_wrapped_configILNS1_25lookback_scan_determinismE0ES3_S7_N6hipcub16HIPCUB_304000_NS22TransformInputIteratorIbN2at6native8internal12_GLOBAL__N_110LoadBoolOpEPKhlEENS0_17constant_iteratorIjlEEPbPlSO_S6_NS0_8equal_toIbEEEE10hipError_tPvRmT2_T3_mT4_T5_T6_T7_T8_P12ihipStream_tbENKUlT_T0_E_clISt17integral_constantIbLb0EES17_IbLb1EEEEDaS13_S14_EUlS13_E_NS1_11comp_targetILNS1_3genE8ELNS1_11target_archE1030ELNS1_3gpuE2ELNS1_3repE0EEENS1_30default_config_static_selectorELNS0_4arch9wavefront6targetE0EEEvT1_.has_dyn_sized_stack, 0
	.set _ZN7rocprim17ROCPRIM_400000_NS6detail17trampoline_kernelINS0_14default_configENS1_33run_length_encode_config_selectorIbjNS0_4plusIjEEEEZZNS1_33reduce_by_key_impl_wrapped_configILNS1_25lookback_scan_determinismE0ES3_S7_N6hipcub16HIPCUB_304000_NS22TransformInputIteratorIbN2at6native8internal12_GLOBAL__N_110LoadBoolOpEPKhlEENS0_17constant_iteratorIjlEEPbPlSO_S6_NS0_8equal_toIbEEEE10hipError_tPvRmT2_T3_mT4_T5_T6_T7_T8_P12ihipStream_tbENKUlT_T0_E_clISt17integral_constantIbLb0EES17_IbLb1EEEEDaS13_S14_EUlS13_E_NS1_11comp_targetILNS1_3genE8ELNS1_11target_archE1030ELNS1_3gpuE2ELNS1_3repE0EEENS1_30default_config_static_selectorELNS0_4arch9wavefront6targetE0EEEvT1_.has_recursion, 0
	.set _ZN7rocprim17ROCPRIM_400000_NS6detail17trampoline_kernelINS0_14default_configENS1_33run_length_encode_config_selectorIbjNS0_4plusIjEEEEZZNS1_33reduce_by_key_impl_wrapped_configILNS1_25lookback_scan_determinismE0ES3_S7_N6hipcub16HIPCUB_304000_NS22TransformInputIteratorIbN2at6native8internal12_GLOBAL__N_110LoadBoolOpEPKhlEENS0_17constant_iteratorIjlEEPbPlSO_S6_NS0_8equal_toIbEEEE10hipError_tPvRmT2_T3_mT4_T5_T6_T7_T8_P12ihipStream_tbENKUlT_T0_E_clISt17integral_constantIbLb0EES17_IbLb1EEEEDaS13_S14_EUlS13_E_NS1_11comp_targetILNS1_3genE8ELNS1_11target_archE1030ELNS1_3gpuE2ELNS1_3repE0EEENS1_30default_config_static_selectorELNS0_4arch9wavefront6targetE0EEEvT1_.has_indirect_call, 0
	.section	.AMDGPU.csdata,"",@progbits
; Kernel info:
; codeLenInByte = 0
; TotalNumSgprs: 0
; NumVgprs: 0
; ScratchSize: 0
; MemoryBound: 0
; FloatMode: 240
; IeeeMode: 1
; LDSByteSize: 0 bytes/workgroup (compile time only)
; SGPRBlocks: 0
; VGPRBlocks: 0
; NumSGPRsForWavesPerEU: 1
; NumVGPRsForWavesPerEU: 1
; NamedBarCnt: 0
; Occupancy: 16
; WaveLimiterHint : 0
; COMPUTE_PGM_RSRC2:SCRATCH_EN: 0
; COMPUTE_PGM_RSRC2:USER_SGPR: 2
; COMPUTE_PGM_RSRC2:TRAP_HANDLER: 0
; COMPUTE_PGM_RSRC2:TGID_X_EN: 1
; COMPUTE_PGM_RSRC2:TGID_Y_EN: 0
; COMPUTE_PGM_RSRC2:TGID_Z_EN: 0
; COMPUTE_PGM_RSRC2:TIDIG_COMP_CNT: 0
	.section	.text._ZN7rocprim17ROCPRIM_400000_NS6detail17trampoline_kernelINS0_14default_configENS1_22reduce_config_selectorIiEEZNS1_11reduce_implILb1ES3_PiS7_iN6hipcub16HIPCUB_304000_NS6detail34convert_binary_result_type_wrapperISt4plusIvENS9_22TransformInputIteratorIiN2at6native8internal21MapNumberOfTrueValuesEPKhlEEiEEEE10hipError_tPvRmT1_T2_T3_mT4_P12ihipStream_tbEUlT_E0_NS1_11comp_targetILNS1_3genE0ELNS1_11target_archE4294967295ELNS1_3gpuE0ELNS1_3repE0EEENS1_30default_config_static_selectorELNS0_4arch9wavefront6targetE0EEEvSQ_,"axG",@progbits,_ZN7rocprim17ROCPRIM_400000_NS6detail17trampoline_kernelINS0_14default_configENS1_22reduce_config_selectorIiEEZNS1_11reduce_implILb1ES3_PiS7_iN6hipcub16HIPCUB_304000_NS6detail34convert_binary_result_type_wrapperISt4plusIvENS9_22TransformInputIteratorIiN2at6native8internal21MapNumberOfTrueValuesEPKhlEEiEEEE10hipError_tPvRmT1_T2_T3_mT4_P12ihipStream_tbEUlT_E0_NS1_11comp_targetILNS1_3genE0ELNS1_11target_archE4294967295ELNS1_3gpuE0ELNS1_3repE0EEENS1_30default_config_static_selectorELNS0_4arch9wavefront6targetE0EEEvSQ_,comdat
	.protected	_ZN7rocprim17ROCPRIM_400000_NS6detail17trampoline_kernelINS0_14default_configENS1_22reduce_config_selectorIiEEZNS1_11reduce_implILb1ES3_PiS7_iN6hipcub16HIPCUB_304000_NS6detail34convert_binary_result_type_wrapperISt4plusIvENS9_22TransformInputIteratorIiN2at6native8internal21MapNumberOfTrueValuesEPKhlEEiEEEE10hipError_tPvRmT1_T2_T3_mT4_P12ihipStream_tbEUlT_E0_NS1_11comp_targetILNS1_3genE0ELNS1_11target_archE4294967295ELNS1_3gpuE0ELNS1_3repE0EEENS1_30default_config_static_selectorELNS0_4arch9wavefront6targetE0EEEvSQ_ ; -- Begin function _ZN7rocprim17ROCPRIM_400000_NS6detail17trampoline_kernelINS0_14default_configENS1_22reduce_config_selectorIiEEZNS1_11reduce_implILb1ES3_PiS7_iN6hipcub16HIPCUB_304000_NS6detail34convert_binary_result_type_wrapperISt4plusIvENS9_22TransformInputIteratorIiN2at6native8internal21MapNumberOfTrueValuesEPKhlEEiEEEE10hipError_tPvRmT1_T2_T3_mT4_P12ihipStream_tbEUlT_E0_NS1_11comp_targetILNS1_3genE0ELNS1_11target_archE4294967295ELNS1_3gpuE0ELNS1_3repE0EEENS1_30default_config_static_selectorELNS0_4arch9wavefront6targetE0EEEvSQ_
	.globl	_ZN7rocprim17ROCPRIM_400000_NS6detail17trampoline_kernelINS0_14default_configENS1_22reduce_config_selectorIiEEZNS1_11reduce_implILb1ES3_PiS7_iN6hipcub16HIPCUB_304000_NS6detail34convert_binary_result_type_wrapperISt4plusIvENS9_22TransformInputIteratorIiN2at6native8internal21MapNumberOfTrueValuesEPKhlEEiEEEE10hipError_tPvRmT1_T2_T3_mT4_P12ihipStream_tbEUlT_E0_NS1_11comp_targetILNS1_3genE0ELNS1_11target_archE4294967295ELNS1_3gpuE0ELNS1_3repE0EEENS1_30default_config_static_selectorELNS0_4arch9wavefront6targetE0EEEvSQ_
	.p2align	8
	.type	_ZN7rocprim17ROCPRIM_400000_NS6detail17trampoline_kernelINS0_14default_configENS1_22reduce_config_selectorIiEEZNS1_11reduce_implILb1ES3_PiS7_iN6hipcub16HIPCUB_304000_NS6detail34convert_binary_result_type_wrapperISt4plusIvENS9_22TransformInputIteratorIiN2at6native8internal21MapNumberOfTrueValuesEPKhlEEiEEEE10hipError_tPvRmT1_T2_T3_mT4_P12ihipStream_tbEUlT_E0_NS1_11comp_targetILNS1_3genE0ELNS1_11target_archE4294967295ELNS1_3gpuE0ELNS1_3repE0EEENS1_30default_config_static_selectorELNS0_4arch9wavefront6targetE0EEEvSQ_,@function
_ZN7rocprim17ROCPRIM_400000_NS6detail17trampoline_kernelINS0_14default_configENS1_22reduce_config_selectorIiEEZNS1_11reduce_implILb1ES3_PiS7_iN6hipcub16HIPCUB_304000_NS6detail34convert_binary_result_type_wrapperISt4plusIvENS9_22TransformInputIteratorIiN2at6native8internal21MapNumberOfTrueValuesEPKhlEEiEEEE10hipError_tPvRmT1_T2_T3_mT4_P12ihipStream_tbEUlT_E0_NS1_11comp_targetILNS1_3genE0ELNS1_11target_archE4294967295ELNS1_3gpuE0ELNS1_3repE0EEENS1_30default_config_static_selectorELNS0_4arch9wavefront6targetE0EEEvSQ_: ; @_ZN7rocprim17ROCPRIM_400000_NS6detail17trampoline_kernelINS0_14default_configENS1_22reduce_config_selectorIiEEZNS1_11reduce_implILb1ES3_PiS7_iN6hipcub16HIPCUB_304000_NS6detail34convert_binary_result_type_wrapperISt4plusIvENS9_22TransformInputIteratorIiN2at6native8internal21MapNumberOfTrueValuesEPKhlEEiEEEE10hipError_tPvRmT1_T2_T3_mT4_P12ihipStream_tbEUlT_E0_NS1_11comp_targetILNS1_3genE0ELNS1_11target_archE4294967295ELNS1_3gpuE0ELNS1_3repE0EEENS1_30default_config_static_selectorELNS0_4arch9wavefront6targetE0EEEvSQ_
; %bb.0:
	s_clause 0x1
	s_load_b256 s[4:11], s[0:1], 0x0
	s_load_b128 s[12:15], s[0:1], 0x20
	s_bfe_u32 s2, ttmp6, 0x4000c
	s_and_b32 s16, ttmp6, 15
	s_add_co_i32 s2, s2, 1
	s_getreg_b32 s18, hwreg(HW_REG_IB_STS2, 6, 4)
	s_mul_i32 s2, ttmp9, s2
	s_mov_b32 s3, 0
	s_add_co_i32 s2, s16, s2
	v_mbcnt_lo_u32_b32 v1, -1, 0
	s_wait_kmcnt 0x0
	s_lshl_b64 s[16:17], s[6:7], 2
	s_cmp_eq_u32 s18, 0
	s_mov_b32 s7, s3
	s_cselect_b32 s6, ttmp9, s2
	s_add_nc_u64 s[4:5], s[4:5], s[16:17]
	s_lshl_b32 s2, s6, 10
	s_lshr_b64 s[16:17], s[8:9], 10
	s_lshl_b64 s[18:19], s[2:3], 2
	s_cmp_lg_u64 s[16:17], s[6:7]
	s_add_nc_u64 s[4:5], s[4:5], s[18:19]
	s_cbranch_scc0 .LBB97_6
; %bb.1:
	s_clause 0x3
	global_load_b32 v2, v0, s[4:5] scale_offset
	global_load_b32 v3, v0, s[4:5] offset:1024 scale_offset
	global_load_b32 v4, v0, s[4:5] offset:2048 scale_offset
	;; [unrolled: 1-line block ×3, first 2 shown]
	s_mov_b32 s3, exec_lo
	s_wait_loadcnt 0x2
	v_add_nc_u32_e32 v2, v3, v2
	s_wait_loadcnt 0x0
	s_delay_alu instid0(VALU_DEP_1) | instskip(NEXT) | instid1(VALU_DEP_1)
	v_add3_u32 v2, v2, v4, v5
	v_mov_b32_dpp v3, v2 quad_perm:[1,0,3,2] row_mask:0xf bank_mask:0xf
	s_delay_alu instid0(VALU_DEP_1) | instskip(NEXT) | instid1(VALU_DEP_1)
	v_add_nc_u32_e32 v2, v3, v2
	v_mov_b32_dpp v3, v2 quad_perm:[2,3,0,1] row_mask:0xf bank_mask:0xf
	s_delay_alu instid0(VALU_DEP_1) | instskip(NEXT) | instid1(VALU_DEP_1)
	v_add_nc_u32_e32 v2, v2, v3
	v_mov_b32_dpp v3, v2 row_ror:4 row_mask:0xf bank_mask:0xf
	s_delay_alu instid0(VALU_DEP_1) | instskip(NEXT) | instid1(VALU_DEP_1)
	v_add_nc_u32_e32 v2, v2, v3
	v_mov_b32_dpp v3, v2 row_ror:8 row_mask:0xf bank_mask:0xf
	s_delay_alu instid0(VALU_DEP_1)
	v_add_nc_u32_e32 v2, v2, v3
	ds_swizzle_b32 v3, v2 offset:swizzle(BROADCAST,32,15)
	s_wait_dscnt 0x0
	v_dual_mov_b32 v3, 0 :: v_dual_add_nc_u32 v2, v2, v3
	ds_bpermute_b32 v2, v3, v2 offset:124
	v_cmpx_eq_u32_e32 0, v1
	s_cbranch_execz .LBB97_3
; %bb.2:
	v_lshrrev_b32_e32 v3, 3, v0
	s_delay_alu instid0(VALU_DEP_1)
	v_and_b32_e32 v3, 28, v3
	s_wait_dscnt 0x0
	ds_store_b32 v3, v2
.LBB97_3:
	s_or_b32 exec_lo, exec_lo, s3
	s_delay_alu instid0(SALU_CYCLE_1)
	s_mov_b32 s3, exec_lo
	s_wait_dscnt 0x0
	s_barrier_signal -1
	s_barrier_wait -1
	v_cmpx_gt_u32_e32 32, v0
	s_cbranch_execz .LBB97_5
; %bb.4:
	v_and_b32_e32 v2, 7, v1
	s_delay_alu instid0(VALU_DEP_1) | instskip(SKIP_1) | instid1(VALU_DEP_1)
	v_cmp_ne_u32_e32 vcc_lo, 7, v2
	v_add_co_ci_u32_e64 v4, null, 0, v1, vcc_lo
	v_dual_lshlrev_b32 v4, 2, v4 :: v_dual_lshlrev_b32 v3, 2, v2
	v_cmp_gt_u32_e32 vcc_lo, 6, v2
	ds_load_b32 v3, v3
	v_cndmask_b32_e64 v2, 0, 2, vcc_lo
	s_delay_alu instid0(VALU_DEP_1)
	v_add_lshl_u32 v2, v2, v1, 2
	s_wait_dscnt 0x0
	ds_bpermute_b32 v4, v4, v3
	s_wait_dscnt 0x0
	v_dual_add_nc_u32 v3, v4, v3 :: v_dual_lshlrev_b32 v4, 2, v1
	ds_bpermute_b32 v2, v2, v3
	s_wait_dscnt 0x0
	v_dual_add_nc_u32 v2, v2, v3 :: v_dual_bitop2_b32 v3, 16, v4 bitop3:0x54
	ds_bpermute_b32 v3, v3, v2
	s_wait_dscnt 0x0
	v_add_nc_u32_e32 v2, v3, v2
.LBB97_5:
	s_or_b32 exec_lo, exec_lo, s3
	s_branch .LBB97_20
.LBB97_6:
                                        ; implicit-def: $vgpr2
	s_cbranch_execz .LBB97_20
; %bb.7:
	v_mov_b32_e32 v2, 0
	s_sub_co_i32 s16, s8, s2
	s_mov_b32 s2, exec_lo
	s_delay_alu instid0(VALU_DEP_1)
	v_dual_mov_b32 v3, v2 :: v_dual_mov_b32 v4, v2
	v_mov_b32_e32 v5, v2
	v_cmpx_gt_u32_e64 s16, v0
	s_cbranch_execz .LBB97_9
; %bb.8:
	global_load_b32 v4, v0, s[4:5] scale_offset
	v_dual_mov_b32 v5, v2 :: v_dual_mov_b32 v6, v2
	v_mov_b32_e32 v7, v2
	s_wait_loadcnt 0x0
	s_delay_alu instid0(VALU_DEP_2) | instskip(NEXT) | instid1(VALU_DEP_2)
	v_mov_b64_e32 v[2:3], v[4:5]
	v_mov_b64_e32 v[4:5], v[6:7]
.LBB97_9:
	s_or_b32 exec_lo, exec_lo, s2
	v_or_b32_e32 v6, 0x100, v0
	s_delay_alu instid0(VALU_DEP_1)
	v_cmp_gt_u32_e32 vcc_lo, s16, v6
	s_and_saveexec_b32 s2, vcc_lo
	s_cbranch_execz .LBB97_11
; %bb.10:
	global_load_b32 v3, v0, s[4:5] offset:1024 scale_offset
.LBB97_11:
	s_wait_xcnt 0x0
	s_or_b32 exec_lo, exec_lo, s2
	v_or_b32_e32 v6, 0x200, v0
	s_delay_alu instid0(VALU_DEP_1)
	v_cmp_gt_u32_e64 s2, s16, v6
	s_and_saveexec_b32 s3, s2
	s_cbranch_execz .LBB97_13
; %bb.12:
	global_load_b32 v4, v0, s[4:5] offset:2048 scale_offset
.LBB97_13:
	s_wait_xcnt 0x0
	s_or_b32 exec_lo, exec_lo, s3
	v_or_b32_e32 v6, 0x300, v0
	s_delay_alu instid0(VALU_DEP_1)
	v_cmp_gt_u32_e64 s3, s16, v6
	s_and_saveexec_b32 s17, s3
	s_cbranch_execz .LBB97_15
; %bb.14:
	global_load_b32 v5, v0, s[4:5] offset:3072 scale_offset
.LBB97_15:
	s_wait_xcnt 0x0
	s_or_b32 exec_lo, exec_lo, s17
	s_wait_loadcnt 0x0
	v_dual_cndmask_b32 v3, 0, v3, vcc_lo :: v_dual_cndmask_b32 v4, 0, v4, s2
	v_cmp_ne_u32_e32 vcc_lo, 31, v1
	v_cndmask_b32_e64 v5, 0, v5, s3
	s_min_u32 s2, s16, 0x100
	s_delay_alu instid0(VALU_DEP_3) | instskip(SKIP_3) | instid1(VALU_DEP_3)
	v_add_nc_u32_e32 v2, v3, v2
	s_mov_b32 s3, exec_lo
	v_add_co_ci_u32_e64 v6, null, 0, v1, vcc_lo
	v_cmp_gt_u32_e32 vcc_lo, 30, v1
	v_add3_u32 v2, v2, v4, v5
	s_delay_alu instid0(VALU_DEP_3) | instskip(SKIP_4) | instid1(VALU_DEP_1)
	v_dual_add_nc_u32 v5, 1, v1 :: v_dual_lshlrev_b32 v3, 2, v6
	v_and_b32_e32 v4, 0xe0, v0
	v_cndmask_b32_e64 v6, 0, 2, vcc_lo
	ds_bpermute_b32 v3, v3, v2
	v_sub_nc_u32_e64 v4, s2, v4 clamp
	v_cmp_lt_u32_e32 vcc_lo, v5, v4
	v_add_lshl_u32 v5, v6, v1, 2
	s_wait_dscnt 0x0
	v_cndmask_b32_e32 v3, 0, v3, vcc_lo
	v_cmp_gt_u32_e32 vcc_lo, 28, v1
	s_delay_alu instid0(VALU_DEP_2) | instskip(SKIP_3) | instid1(VALU_DEP_1)
	v_add_nc_u32_e32 v2, v3, v2
	v_cndmask_b32_e64 v6, 0, 4, vcc_lo
	ds_bpermute_b32 v3, v5, v2
	v_add_nc_u32_e32 v5, 2, v1
	v_cmp_lt_u32_e32 vcc_lo, v5, v4
	v_add_lshl_u32 v5, v6, v1, 2
	s_wait_dscnt 0x0
	v_cndmask_b32_e32 v3, 0, v3, vcc_lo
	v_cmp_gt_u32_e32 vcc_lo, 24, v1
	s_delay_alu instid0(VALU_DEP_2) | instskip(SKIP_3) | instid1(VALU_DEP_1)
	v_add_nc_u32_e32 v2, v2, v3
	v_cndmask_b32_e64 v6, 0, 8, vcc_lo
	ds_bpermute_b32 v3, v5, v2
	v_add_nc_u32_e32 v5, 4, v1
	v_cmp_lt_u32_e32 vcc_lo, v5, v4
	v_add_lshl_u32 v5, v6, v1, 2
	s_wait_dscnt 0x0
	v_dual_cndmask_b32 v3, 0, v3 :: v_dual_add_nc_u32 v6, 8, v1
	s_delay_alu instid0(VALU_DEP_1) | instskip(NEXT) | instid1(VALU_DEP_2)
	v_cmp_lt_u32_e32 vcc_lo, v6, v4
	v_dual_add_nc_u32 v2, v2, v3 :: v_dual_lshlrev_b32 v3, 2, v1
	ds_bpermute_b32 v5, v5, v2
	s_wait_dscnt 0x0
	v_dual_cndmask_b32 v5, 0, v5, vcc_lo :: v_dual_bitop2_b32 v6, 64, v3 bitop3:0x54
	s_delay_alu instid0(VALU_DEP_1) | instskip(SKIP_2) | instid1(VALU_DEP_1)
	v_add_nc_u32_e32 v2, v2, v5
	ds_bpermute_b32 v5, v6, v2
	v_add_nc_u32_e32 v6, 16, v1
	v_cmp_lt_u32_e32 vcc_lo, v6, v4
	s_wait_dscnt 0x0
	v_cndmask_b32_e32 v4, 0, v5, vcc_lo
	s_delay_alu instid0(VALU_DEP_1)
	v_add_nc_u32_e32 v2, v2, v4
	v_cmpx_eq_u32_e32 0, v1
; %bb.16:
	v_lshrrev_b32_e32 v4, 3, v0
	s_delay_alu instid0(VALU_DEP_1)
	v_and_b32_e32 v4, 28, v4
	ds_store_b32 v4, v2 offset:32
; %bb.17:
	s_or_b32 exec_lo, exec_lo, s3
	s_delay_alu instid0(SALU_CYCLE_1)
	s_mov_b32 s3, exec_lo
	s_wait_dscnt 0x0
	s_barrier_signal -1
	s_barrier_wait -1
	v_cmpx_gt_u32_e32 8, v0
	s_cbranch_execz .LBB97_19
; %bb.18:
	ds_load_b32 v2, v3 offset:32
	v_and_b32_e32 v4, 7, v1
	s_add_co_i32 s2, s2, 31
	s_delay_alu instid0(SALU_CYCLE_1) | instskip(NEXT) | instid1(VALU_DEP_1)
	s_lshr_b32 s2, s2, 5
	v_cmp_ne_u32_e32 vcc_lo, 7, v4
	v_add_nc_u32_e32 v6, 1, v4
	v_add_co_ci_u32_e64 v5, null, 0, v1, vcc_lo
	v_cmp_gt_u32_e32 vcc_lo, 6, v4
	s_delay_alu instid0(VALU_DEP_2)
	v_lshlrev_b32_e32 v5, 2, v5
	v_cndmask_b32_e64 v7, 0, 2, vcc_lo
	v_cmp_gt_u32_e32 vcc_lo, s2, v6
	s_wait_dscnt 0x0
	ds_bpermute_b32 v5, v5, v2
	v_add_lshl_u32 v1, v7, v1, 2
	s_wait_dscnt 0x0
	v_cndmask_b32_e32 v5, 0, v5, vcc_lo
	s_delay_alu instid0(VALU_DEP_1) | instskip(SKIP_2) | instid1(VALU_DEP_1)
	v_add_nc_u32_e32 v2, v5, v2
	ds_bpermute_b32 v1, v1, v2
	v_add_nc_u32_e32 v5, 2, v4
	v_cmp_gt_u32_e32 vcc_lo, s2, v5
	s_wait_dscnt 0x0
	v_cndmask_b32_e32 v1, 0, v1, vcc_lo
	s_delay_alu instid0(VALU_DEP_1)
	v_dual_add_nc_u32 v1, v2, v1 :: v_dual_bitop2_b32 v2, 16, v3 bitop3:0x54
	v_add_nc_u32_e32 v3, 4, v4
	ds_bpermute_b32 v2, v2, v1
	v_cmp_gt_u32_e32 vcc_lo, s2, v3
	s_wait_dscnt 0x0
	v_cndmask_b32_e32 v2, 0, v2, vcc_lo
	s_delay_alu instid0(VALU_DEP_1)
	v_add_nc_u32_e32 v2, v1, v2
.LBB97_19:
	s_or_b32 exec_lo, exec_lo, s3
.LBB97_20:
	s_load_b32 s0, s[0:1], 0x30
	s_wait_xcnt 0x0
	s_mov_b32 s1, exec_lo
	v_cmpx_eq_u32_e32 0, v0
	s_cbranch_execz .LBB97_22
; %bb.21:
	s_mul_u64 s[2:3], s[14:15], s[12:13]
	v_mov_b32_e32 v1, 0
	s_lshl_b64 s[2:3], s[2:3], 2
	s_cmp_eq_u64 s[8:9], 0
	s_add_nc_u64 s[2:3], s[10:11], s[2:3]
	s_cselect_b32 s1, -1, 0
	s_wait_kmcnt 0x0
	v_cndmask_b32_e64 v0, v2, s0, s1
	s_lshl_b64 s[0:1], s[6:7], 2
	s_delay_alu instid0(SALU_CYCLE_1)
	s_add_nc_u64 s[0:1], s[2:3], s[0:1]
	global_store_b32 v1, v0, s[0:1]
.LBB97_22:
	s_endpgm
	.section	.rodata,"a",@progbits
	.p2align	6, 0x0
	.amdhsa_kernel _ZN7rocprim17ROCPRIM_400000_NS6detail17trampoline_kernelINS0_14default_configENS1_22reduce_config_selectorIiEEZNS1_11reduce_implILb1ES3_PiS7_iN6hipcub16HIPCUB_304000_NS6detail34convert_binary_result_type_wrapperISt4plusIvENS9_22TransformInputIteratorIiN2at6native8internal21MapNumberOfTrueValuesEPKhlEEiEEEE10hipError_tPvRmT1_T2_T3_mT4_P12ihipStream_tbEUlT_E0_NS1_11comp_targetILNS1_3genE0ELNS1_11target_archE4294967295ELNS1_3gpuE0ELNS1_3repE0EEENS1_30default_config_static_selectorELNS0_4arch9wavefront6targetE0EEEvSQ_
		.amdhsa_group_segment_fixed_size 64
		.amdhsa_private_segment_fixed_size 0
		.amdhsa_kernarg_size 56
		.amdhsa_user_sgpr_count 2
		.amdhsa_user_sgpr_dispatch_ptr 0
		.amdhsa_user_sgpr_queue_ptr 0
		.amdhsa_user_sgpr_kernarg_segment_ptr 1
		.amdhsa_user_sgpr_dispatch_id 0
		.amdhsa_user_sgpr_kernarg_preload_length 0
		.amdhsa_user_sgpr_kernarg_preload_offset 0
		.amdhsa_user_sgpr_private_segment_size 0
		.amdhsa_wavefront_size32 1
		.amdhsa_uses_dynamic_stack 0
		.amdhsa_enable_private_segment 0
		.amdhsa_system_sgpr_workgroup_id_x 1
		.amdhsa_system_sgpr_workgroup_id_y 0
		.amdhsa_system_sgpr_workgroup_id_z 0
		.amdhsa_system_sgpr_workgroup_info 0
		.amdhsa_system_vgpr_workitem_id 0
		.amdhsa_next_free_vgpr 8
		.amdhsa_next_free_sgpr 20
		.amdhsa_named_barrier_count 0
		.amdhsa_reserve_vcc 1
		.amdhsa_float_round_mode_32 0
		.amdhsa_float_round_mode_16_64 0
		.amdhsa_float_denorm_mode_32 3
		.amdhsa_float_denorm_mode_16_64 3
		.amdhsa_fp16_overflow 0
		.amdhsa_memory_ordered 1
		.amdhsa_forward_progress 1
		.amdhsa_inst_pref_size 11
		.amdhsa_round_robin_scheduling 0
		.amdhsa_exception_fp_ieee_invalid_op 0
		.amdhsa_exception_fp_denorm_src 0
		.amdhsa_exception_fp_ieee_div_zero 0
		.amdhsa_exception_fp_ieee_overflow 0
		.amdhsa_exception_fp_ieee_underflow 0
		.amdhsa_exception_fp_ieee_inexact 0
		.amdhsa_exception_int_div_zero 0
	.end_amdhsa_kernel
	.section	.text._ZN7rocprim17ROCPRIM_400000_NS6detail17trampoline_kernelINS0_14default_configENS1_22reduce_config_selectorIiEEZNS1_11reduce_implILb1ES3_PiS7_iN6hipcub16HIPCUB_304000_NS6detail34convert_binary_result_type_wrapperISt4plusIvENS9_22TransformInputIteratorIiN2at6native8internal21MapNumberOfTrueValuesEPKhlEEiEEEE10hipError_tPvRmT1_T2_T3_mT4_P12ihipStream_tbEUlT_E0_NS1_11comp_targetILNS1_3genE0ELNS1_11target_archE4294967295ELNS1_3gpuE0ELNS1_3repE0EEENS1_30default_config_static_selectorELNS0_4arch9wavefront6targetE0EEEvSQ_,"axG",@progbits,_ZN7rocprim17ROCPRIM_400000_NS6detail17trampoline_kernelINS0_14default_configENS1_22reduce_config_selectorIiEEZNS1_11reduce_implILb1ES3_PiS7_iN6hipcub16HIPCUB_304000_NS6detail34convert_binary_result_type_wrapperISt4plusIvENS9_22TransformInputIteratorIiN2at6native8internal21MapNumberOfTrueValuesEPKhlEEiEEEE10hipError_tPvRmT1_T2_T3_mT4_P12ihipStream_tbEUlT_E0_NS1_11comp_targetILNS1_3genE0ELNS1_11target_archE4294967295ELNS1_3gpuE0ELNS1_3repE0EEENS1_30default_config_static_selectorELNS0_4arch9wavefront6targetE0EEEvSQ_,comdat
.Lfunc_end97:
	.size	_ZN7rocprim17ROCPRIM_400000_NS6detail17trampoline_kernelINS0_14default_configENS1_22reduce_config_selectorIiEEZNS1_11reduce_implILb1ES3_PiS7_iN6hipcub16HIPCUB_304000_NS6detail34convert_binary_result_type_wrapperISt4plusIvENS9_22TransformInputIteratorIiN2at6native8internal21MapNumberOfTrueValuesEPKhlEEiEEEE10hipError_tPvRmT1_T2_T3_mT4_P12ihipStream_tbEUlT_E0_NS1_11comp_targetILNS1_3genE0ELNS1_11target_archE4294967295ELNS1_3gpuE0ELNS1_3repE0EEENS1_30default_config_static_selectorELNS0_4arch9wavefront6targetE0EEEvSQ_, .Lfunc_end97-_ZN7rocprim17ROCPRIM_400000_NS6detail17trampoline_kernelINS0_14default_configENS1_22reduce_config_selectorIiEEZNS1_11reduce_implILb1ES3_PiS7_iN6hipcub16HIPCUB_304000_NS6detail34convert_binary_result_type_wrapperISt4plusIvENS9_22TransformInputIteratorIiN2at6native8internal21MapNumberOfTrueValuesEPKhlEEiEEEE10hipError_tPvRmT1_T2_T3_mT4_P12ihipStream_tbEUlT_E0_NS1_11comp_targetILNS1_3genE0ELNS1_11target_archE4294967295ELNS1_3gpuE0ELNS1_3repE0EEENS1_30default_config_static_selectorELNS0_4arch9wavefront6targetE0EEEvSQ_
                                        ; -- End function
	.set _ZN7rocprim17ROCPRIM_400000_NS6detail17trampoline_kernelINS0_14default_configENS1_22reduce_config_selectorIiEEZNS1_11reduce_implILb1ES3_PiS7_iN6hipcub16HIPCUB_304000_NS6detail34convert_binary_result_type_wrapperISt4plusIvENS9_22TransformInputIteratorIiN2at6native8internal21MapNumberOfTrueValuesEPKhlEEiEEEE10hipError_tPvRmT1_T2_T3_mT4_P12ihipStream_tbEUlT_E0_NS1_11comp_targetILNS1_3genE0ELNS1_11target_archE4294967295ELNS1_3gpuE0ELNS1_3repE0EEENS1_30default_config_static_selectorELNS0_4arch9wavefront6targetE0EEEvSQ_.num_vgpr, 8
	.set _ZN7rocprim17ROCPRIM_400000_NS6detail17trampoline_kernelINS0_14default_configENS1_22reduce_config_selectorIiEEZNS1_11reduce_implILb1ES3_PiS7_iN6hipcub16HIPCUB_304000_NS6detail34convert_binary_result_type_wrapperISt4plusIvENS9_22TransformInputIteratorIiN2at6native8internal21MapNumberOfTrueValuesEPKhlEEiEEEE10hipError_tPvRmT1_T2_T3_mT4_P12ihipStream_tbEUlT_E0_NS1_11comp_targetILNS1_3genE0ELNS1_11target_archE4294967295ELNS1_3gpuE0ELNS1_3repE0EEENS1_30default_config_static_selectorELNS0_4arch9wavefront6targetE0EEEvSQ_.num_agpr, 0
	.set _ZN7rocprim17ROCPRIM_400000_NS6detail17trampoline_kernelINS0_14default_configENS1_22reduce_config_selectorIiEEZNS1_11reduce_implILb1ES3_PiS7_iN6hipcub16HIPCUB_304000_NS6detail34convert_binary_result_type_wrapperISt4plusIvENS9_22TransformInputIteratorIiN2at6native8internal21MapNumberOfTrueValuesEPKhlEEiEEEE10hipError_tPvRmT1_T2_T3_mT4_P12ihipStream_tbEUlT_E0_NS1_11comp_targetILNS1_3genE0ELNS1_11target_archE4294967295ELNS1_3gpuE0ELNS1_3repE0EEENS1_30default_config_static_selectorELNS0_4arch9wavefront6targetE0EEEvSQ_.numbered_sgpr, 20
	.set _ZN7rocprim17ROCPRIM_400000_NS6detail17trampoline_kernelINS0_14default_configENS1_22reduce_config_selectorIiEEZNS1_11reduce_implILb1ES3_PiS7_iN6hipcub16HIPCUB_304000_NS6detail34convert_binary_result_type_wrapperISt4plusIvENS9_22TransformInputIteratorIiN2at6native8internal21MapNumberOfTrueValuesEPKhlEEiEEEE10hipError_tPvRmT1_T2_T3_mT4_P12ihipStream_tbEUlT_E0_NS1_11comp_targetILNS1_3genE0ELNS1_11target_archE4294967295ELNS1_3gpuE0ELNS1_3repE0EEENS1_30default_config_static_selectorELNS0_4arch9wavefront6targetE0EEEvSQ_.num_named_barrier, 0
	.set _ZN7rocprim17ROCPRIM_400000_NS6detail17trampoline_kernelINS0_14default_configENS1_22reduce_config_selectorIiEEZNS1_11reduce_implILb1ES3_PiS7_iN6hipcub16HIPCUB_304000_NS6detail34convert_binary_result_type_wrapperISt4plusIvENS9_22TransformInputIteratorIiN2at6native8internal21MapNumberOfTrueValuesEPKhlEEiEEEE10hipError_tPvRmT1_T2_T3_mT4_P12ihipStream_tbEUlT_E0_NS1_11comp_targetILNS1_3genE0ELNS1_11target_archE4294967295ELNS1_3gpuE0ELNS1_3repE0EEENS1_30default_config_static_selectorELNS0_4arch9wavefront6targetE0EEEvSQ_.private_seg_size, 0
	.set _ZN7rocprim17ROCPRIM_400000_NS6detail17trampoline_kernelINS0_14default_configENS1_22reduce_config_selectorIiEEZNS1_11reduce_implILb1ES3_PiS7_iN6hipcub16HIPCUB_304000_NS6detail34convert_binary_result_type_wrapperISt4plusIvENS9_22TransformInputIteratorIiN2at6native8internal21MapNumberOfTrueValuesEPKhlEEiEEEE10hipError_tPvRmT1_T2_T3_mT4_P12ihipStream_tbEUlT_E0_NS1_11comp_targetILNS1_3genE0ELNS1_11target_archE4294967295ELNS1_3gpuE0ELNS1_3repE0EEENS1_30default_config_static_selectorELNS0_4arch9wavefront6targetE0EEEvSQ_.uses_vcc, 1
	.set _ZN7rocprim17ROCPRIM_400000_NS6detail17trampoline_kernelINS0_14default_configENS1_22reduce_config_selectorIiEEZNS1_11reduce_implILb1ES3_PiS7_iN6hipcub16HIPCUB_304000_NS6detail34convert_binary_result_type_wrapperISt4plusIvENS9_22TransformInputIteratorIiN2at6native8internal21MapNumberOfTrueValuesEPKhlEEiEEEE10hipError_tPvRmT1_T2_T3_mT4_P12ihipStream_tbEUlT_E0_NS1_11comp_targetILNS1_3genE0ELNS1_11target_archE4294967295ELNS1_3gpuE0ELNS1_3repE0EEENS1_30default_config_static_selectorELNS0_4arch9wavefront6targetE0EEEvSQ_.uses_flat_scratch, 0
	.set _ZN7rocprim17ROCPRIM_400000_NS6detail17trampoline_kernelINS0_14default_configENS1_22reduce_config_selectorIiEEZNS1_11reduce_implILb1ES3_PiS7_iN6hipcub16HIPCUB_304000_NS6detail34convert_binary_result_type_wrapperISt4plusIvENS9_22TransformInputIteratorIiN2at6native8internal21MapNumberOfTrueValuesEPKhlEEiEEEE10hipError_tPvRmT1_T2_T3_mT4_P12ihipStream_tbEUlT_E0_NS1_11comp_targetILNS1_3genE0ELNS1_11target_archE4294967295ELNS1_3gpuE0ELNS1_3repE0EEENS1_30default_config_static_selectorELNS0_4arch9wavefront6targetE0EEEvSQ_.has_dyn_sized_stack, 0
	.set _ZN7rocprim17ROCPRIM_400000_NS6detail17trampoline_kernelINS0_14default_configENS1_22reduce_config_selectorIiEEZNS1_11reduce_implILb1ES3_PiS7_iN6hipcub16HIPCUB_304000_NS6detail34convert_binary_result_type_wrapperISt4plusIvENS9_22TransformInputIteratorIiN2at6native8internal21MapNumberOfTrueValuesEPKhlEEiEEEE10hipError_tPvRmT1_T2_T3_mT4_P12ihipStream_tbEUlT_E0_NS1_11comp_targetILNS1_3genE0ELNS1_11target_archE4294967295ELNS1_3gpuE0ELNS1_3repE0EEENS1_30default_config_static_selectorELNS0_4arch9wavefront6targetE0EEEvSQ_.has_recursion, 0
	.set _ZN7rocprim17ROCPRIM_400000_NS6detail17trampoline_kernelINS0_14default_configENS1_22reduce_config_selectorIiEEZNS1_11reduce_implILb1ES3_PiS7_iN6hipcub16HIPCUB_304000_NS6detail34convert_binary_result_type_wrapperISt4plusIvENS9_22TransformInputIteratorIiN2at6native8internal21MapNumberOfTrueValuesEPKhlEEiEEEE10hipError_tPvRmT1_T2_T3_mT4_P12ihipStream_tbEUlT_E0_NS1_11comp_targetILNS1_3genE0ELNS1_11target_archE4294967295ELNS1_3gpuE0ELNS1_3repE0EEENS1_30default_config_static_selectorELNS0_4arch9wavefront6targetE0EEEvSQ_.has_indirect_call, 0
	.section	.AMDGPU.csdata,"",@progbits
; Kernel info:
; codeLenInByte = 1360
; TotalNumSgprs: 22
; NumVgprs: 8
; ScratchSize: 0
; MemoryBound: 0
; FloatMode: 240
; IeeeMode: 1
; LDSByteSize: 64 bytes/workgroup (compile time only)
; SGPRBlocks: 0
; VGPRBlocks: 0
; NumSGPRsForWavesPerEU: 22
; NumVGPRsForWavesPerEU: 8
; NamedBarCnt: 0
; Occupancy: 16
; WaveLimiterHint : 1
; COMPUTE_PGM_RSRC2:SCRATCH_EN: 0
; COMPUTE_PGM_RSRC2:USER_SGPR: 2
; COMPUTE_PGM_RSRC2:TRAP_HANDLER: 0
; COMPUTE_PGM_RSRC2:TGID_X_EN: 1
; COMPUTE_PGM_RSRC2:TGID_Y_EN: 0
; COMPUTE_PGM_RSRC2:TGID_Z_EN: 0
; COMPUTE_PGM_RSRC2:TIDIG_COMP_CNT: 0
	.section	.text._ZN7rocprim17ROCPRIM_400000_NS6detail17trampoline_kernelINS0_14default_configENS1_22reduce_config_selectorIiEEZNS1_11reduce_implILb1ES3_PiS7_iN6hipcub16HIPCUB_304000_NS6detail34convert_binary_result_type_wrapperISt4plusIvENS9_22TransformInputIteratorIiN2at6native8internal21MapNumberOfTrueValuesEPKhlEEiEEEE10hipError_tPvRmT1_T2_T3_mT4_P12ihipStream_tbEUlT_E0_NS1_11comp_targetILNS1_3genE5ELNS1_11target_archE942ELNS1_3gpuE9ELNS1_3repE0EEENS1_30default_config_static_selectorELNS0_4arch9wavefront6targetE0EEEvSQ_,"axG",@progbits,_ZN7rocprim17ROCPRIM_400000_NS6detail17trampoline_kernelINS0_14default_configENS1_22reduce_config_selectorIiEEZNS1_11reduce_implILb1ES3_PiS7_iN6hipcub16HIPCUB_304000_NS6detail34convert_binary_result_type_wrapperISt4plusIvENS9_22TransformInputIteratorIiN2at6native8internal21MapNumberOfTrueValuesEPKhlEEiEEEE10hipError_tPvRmT1_T2_T3_mT4_P12ihipStream_tbEUlT_E0_NS1_11comp_targetILNS1_3genE5ELNS1_11target_archE942ELNS1_3gpuE9ELNS1_3repE0EEENS1_30default_config_static_selectorELNS0_4arch9wavefront6targetE0EEEvSQ_,comdat
	.protected	_ZN7rocprim17ROCPRIM_400000_NS6detail17trampoline_kernelINS0_14default_configENS1_22reduce_config_selectorIiEEZNS1_11reduce_implILb1ES3_PiS7_iN6hipcub16HIPCUB_304000_NS6detail34convert_binary_result_type_wrapperISt4plusIvENS9_22TransformInputIteratorIiN2at6native8internal21MapNumberOfTrueValuesEPKhlEEiEEEE10hipError_tPvRmT1_T2_T3_mT4_P12ihipStream_tbEUlT_E0_NS1_11comp_targetILNS1_3genE5ELNS1_11target_archE942ELNS1_3gpuE9ELNS1_3repE0EEENS1_30default_config_static_selectorELNS0_4arch9wavefront6targetE0EEEvSQ_ ; -- Begin function _ZN7rocprim17ROCPRIM_400000_NS6detail17trampoline_kernelINS0_14default_configENS1_22reduce_config_selectorIiEEZNS1_11reduce_implILb1ES3_PiS7_iN6hipcub16HIPCUB_304000_NS6detail34convert_binary_result_type_wrapperISt4plusIvENS9_22TransformInputIteratorIiN2at6native8internal21MapNumberOfTrueValuesEPKhlEEiEEEE10hipError_tPvRmT1_T2_T3_mT4_P12ihipStream_tbEUlT_E0_NS1_11comp_targetILNS1_3genE5ELNS1_11target_archE942ELNS1_3gpuE9ELNS1_3repE0EEENS1_30default_config_static_selectorELNS0_4arch9wavefront6targetE0EEEvSQ_
	.globl	_ZN7rocprim17ROCPRIM_400000_NS6detail17trampoline_kernelINS0_14default_configENS1_22reduce_config_selectorIiEEZNS1_11reduce_implILb1ES3_PiS7_iN6hipcub16HIPCUB_304000_NS6detail34convert_binary_result_type_wrapperISt4plusIvENS9_22TransformInputIteratorIiN2at6native8internal21MapNumberOfTrueValuesEPKhlEEiEEEE10hipError_tPvRmT1_T2_T3_mT4_P12ihipStream_tbEUlT_E0_NS1_11comp_targetILNS1_3genE5ELNS1_11target_archE942ELNS1_3gpuE9ELNS1_3repE0EEENS1_30default_config_static_selectorELNS0_4arch9wavefront6targetE0EEEvSQ_
	.p2align	8
	.type	_ZN7rocprim17ROCPRIM_400000_NS6detail17trampoline_kernelINS0_14default_configENS1_22reduce_config_selectorIiEEZNS1_11reduce_implILb1ES3_PiS7_iN6hipcub16HIPCUB_304000_NS6detail34convert_binary_result_type_wrapperISt4plusIvENS9_22TransformInputIteratorIiN2at6native8internal21MapNumberOfTrueValuesEPKhlEEiEEEE10hipError_tPvRmT1_T2_T3_mT4_P12ihipStream_tbEUlT_E0_NS1_11comp_targetILNS1_3genE5ELNS1_11target_archE942ELNS1_3gpuE9ELNS1_3repE0EEENS1_30default_config_static_selectorELNS0_4arch9wavefront6targetE0EEEvSQ_,@function
_ZN7rocprim17ROCPRIM_400000_NS6detail17trampoline_kernelINS0_14default_configENS1_22reduce_config_selectorIiEEZNS1_11reduce_implILb1ES3_PiS7_iN6hipcub16HIPCUB_304000_NS6detail34convert_binary_result_type_wrapperISt4plusIvENS9_22TransformInputIteratorIiN2at6native8internal21MapNumberOfTrueValuesEPKhlEEiEEEE10hipError_tPvRmT1_T2_T3_mT4_P12ihipStream_tbEUlT_E0_NS1_11comp_targetILNS1_3genE5ELNS1_11target_archE942ELNS1_3gpuE9ELNS1_3repE0EEENS1_30default_config_static_selectorELNS0_4arch9wavefront6targetE0EEEvSQ_: ; @_ZN7rocprim17ROCPRIM_400000_NS6detail17trampoline_kernelINS0_14default_configENS1_22reduce_config_selectorIiEEZNS1_11reduce_implILb1ES3_PiS7_iN6hipcub16HIPCUB_304000_NS6detail34convert_binary_result_type_wrapperISt4plusIvENS9_22TransformInputIteratorIiN2at6native8internal21MapNumberOfTrueValuesEPKhlEEiEEEE10hipError_tPvRmT1_T2_T3_mT4_P12ihipStream_tbEUlT_E0_NS1_11comp_targetILNS1_3genE5ELNS1_11target_archE942ELNS1_3gpuE9ELNS1_3repE0EEENS1_30default_config_static_selectorELNS0_4arch9wavefront6targetE0EEEvSQ_
; %bb.0:
	.section	.rodata,"a",@progbits
	.p2align	6, 0x0
	.amdhsa_kernel _ZN7rocprim17ROCPRIM_400000_NS6detail17trampoline_kernelINS0_14default_configENS1_22reduce_config_selectorIiEEZNS1_11reduce_implILb1ES3_PiS7_iN6hipcub16HIPCUB_304000_NS6detail34convert_binary_result_type_wrapperISt4plusIvENS9_22TransformInputIteratorIiN2at6native8internal21MapNumberOfTrueValuesEPKhlEEiEEEE10hipError_tPvRmT1_T2_T3_mT4_P12ihipStream_tbEUlT_E0_NS1_11comp_targetILNS1_3genE5ELNS1_11target_archE942ELNS1_3gpuE9ELNS1_3repE0EEENS1_30default_config_static_selectorELNS0_4arch9wavefront6targetE0EEEvSQ_
		.amdhsa_group_segment_fixed_size 0
		.amdhsa_private_segment_fixed_size 0
		.amdhsa_kernarg_size 56
		.amdhsa_user_sgpr_count 2
		.amdhsa_user_sgpr_dispatch_ptr 0
		.amdhsa_user_sgpr_queue_ptr 0
		.amdhsa_user_sgpr_kernarg_segment_ptr 1
		.amdhsa_user_sgpr_dispatch_id 0
		.amdhsa_user_sgpr_kernarg_preload_length 0
		.amdhsa_user_sgpr_kernarg_preload_offset 0
		.amdhsa_user_sgpr_private_segment_size 0
		.amdhsa_wavefront_size32 1
		.amdhsa_uses_dynamic_stack 0
		.amdhsa_enable_private_segment 0
		.amdhsa_system_sgpr_workgroup_id_x 1
		.amdhsa_system_sgpr_workgroup_id_y 0
		.amdhsa_system_sgpr_workgroup_id_z 0
		.amdhsa_system_sgpr_workgroup_info 0
		.amdhsa_system_vgpr_workitem_id 0
		.amdhsa_next_free_vgpr 1
		.amdhsa_next_free_sgpr 1
		.amdhsa_named_barrier_count 0
		.amdhsa_reserve_vcc 0
		.amdhsa_float_round_mode_32 0
		.amdhsa_float_round_mode_16_64 0
		.amdhsa_float_denorm_mode_32 3
		.amdhsa_float_denorm_mode_16_64 3
		.amdhsa_fp16_overflow 0
		.amdhsa_memory_ordered 1
		.amdhsa_forward_progress 1
		.amdhsa_inst_pref_size 0
		.amdhsa_round_robin_scheduling 0
		.amdhsa_exception_fp_ieee_invalid_op 0
		.amdhsa_exception_fp_denorm_src 0
		.amdhsa_exception_fp_ieee_div_zero 0
		.amdhsa_exception_fp_ieee_overflow 0
		.amdhsa_exception_fp_ieee_underflow 0
		.amdhsa_exception_fp_ieee_inexact 0
		.amdhsa_exception_int_div_zero 0
	.end_amdhsa_kernel
	.section	.text._ZN7rocprim17ROCPRIM_400000_NS6detail17trampoline_kernelINS0_14default_configENS1_22reduce_config_selectorIiEEZNS1_11reduce_implILb1ES3_PiS7_iN6hipcub16HIPCUB_304000_NS6detail34convert_binary_result_type_wrapperISt4plusIvENS9_22TransformInputIteratorIiN2at6native8internal21MapNumberOfTrueValuesEPKhlEEiEEEE10hipError_tPvRmT1_T2_T3_mT4_P12ihipStream_tbEUlT_E0_NS1_11comp_targetILNS1_3genE5ELNS1_11target_archE942ELNS1_3gpuE9ELNS1_3repE0EEENS1_30default_config_static_selectorELNS0_4arch9wavefront6targetE0EEEvSQ_,"axG",@progbits,_ZN7rocprim17ROCPRIM_400000_NS6detail17trampoline_kernelINS0_14default_configENS1_22reduce_config_selectorIiEEZNS1_11reduce_implILb1ES3_PiS7_iN6hipcub16HIPCUB_304000_NS6detail34convert_binary_result_type_wrapperISt4plusIvENS9_22TransformInputIteratorIiN2at6native8internal21MapNumberOfTrueValuesEPKhlEEiEEEE10hipError_tPvRmT1_T2_T3_mT4_P12ihipStream_tbEUlT_E0_NS1_11comp_targetILNS1_3genE5ELNS1_11target_archE942ELNS1_3gpuE9ELNS1_3repE0EEENS1_30default_config_static_selectorELNS0_4arch9wavefront6targetE0EEEvSQ_,comdat
.Lfunc_end98:
	.size	_ZN7rocprim17ROCPRIM_400000_NS6detail17trampoline_kernelINS0_14default_configENS1_22reduce_config_selectorIiEEZNS1_11reduce_implILb1ES3_PiS7_iN6hipcub16HIPCUB_304000_NS6detail34convert_binary_result_type_wrapperISt4plusIvENS9_22TransformInputIteratorIiN2at6native8internal21MapNumberOfTrueValuesEPKhlEEiEEEE10hipError_tPvRmT1_T2_T3_mT4_P12ihipStream_tbEUlT_E0_NS1_11comp_targetILNS1_3genE5ELNS1_11target_archE942ELNS1_3gpuE9ELNS1_3repE0EEENS1_30default_config_static_selectorELNS0_4arch9wavefront6targetE0EEEvSQ_, .Lfunc_end98-_ZN7rocprim17ROCPRIM_400000_NS6detail17trampoline_kernelINS0_14default_configENS1_22reduce_config_selectorIiEEZNS1_11reduce_implILb1ES3_PiS7_iN6hipcub16HIPCUB_304000_NS6detail34convert_binary_result_type_wrapperISt4plusIvENS9_22TransformInputIteratorIiN2at6native8internal21MapNumberOfTrueValuesEPKhlEEiEEEE10hipError_tPvRmT1_T2_T3_mT4_P12ihipStream_tbEUlT_E0_NS1_11comp_targetILNS1_3genE5ELNS1_11target_archE942ELNS1_3gpuE9ELNS1_3repE0EEENS1_30default_config_static_selectorELNS0_4arch9wavefront6targetE0EEEvSQ_
                                        ; -- End function
	.set _ZN7rocprim17ROCPRIM_400000_NS6detail17trampoline_kernelINS0_14default_configENS1_22reduce_config_selectorIiEEZNS1_11reduce_implILb1ES3_PiS7_iN6hipcub16HIPCUB_304000_NS6detail34convert_binary_result_type_wrapperISt4plusIvENS9_22TransformInputIteratorIiN2at6native8internal21MapNumberOfTrueValuesEPKhlEEiEEEE10hipError_tPvRmT1_T2_T3_mT4_P12ihipStream_tbEUlT_E0_NS1_11comp_targetILNS1_3genE5ELNS1_11target_archE942ELNS1_3gpuE9ELNS1_3repE0EEENS1_30default_config_static_selectorELNS0_4arch9wavefront6targetE0EEEvSQ_.num_vgpr, 0
	.set _ZN7rocprim17ROCPRIM_400000_NS6detail17trampoline_kernelINS0_14default_configENS1_22reduce_config_selectorIiEEZNS1_11reduce_implILb1ES3_PiS7_iN6hipcub16HIPCUB_304000_NS6detail34convert_binary_result_type_wrapperISt4plusIvENS9_22TransformInputIteratorIiN2at6native8internal21MapNumberOfTrueValuesEPKhlEEiEEEE10hipError_tPvRmT1_T2_T3_mT4_P12ihipStream_tbEUlT_E0_NS1_11comp_targetILNS1_3genE5ELNS1_11target_archE942ELNS1_3gpuE9ELNS1_3repE0EEENS1_30default_config_static_selectorELNS0_4arch9wavefront6targetE0EEEvSQ_.num_agpr, 0
	.set _ZN7rocprim17ROCPRIM_400000_NS6detail17trampoline_kernelINS0_14default_configENS1_22reduce_config_selectorIiEEZNS1_11reduce_implILb1ES3_PiS7_iN6hipcub16HIPCUB_304000_NS6detail34convert_binary_result_type_wrapperISt4plusIvENS9_22TransformInputIteratorIiN2at6native8internal21MapNumberOfTrueValuesEPKhlEEiEEEE10hipError_tPvRmT1_T2_T3_mT4_P12ihipStream_tbEUlT_E0_NS1_11comp_targetILNS1_3genE5ELNS1_11target_archE942ELNS1_3gpuE9ELNS1_3repE0EEENS1_30default_config_static_selectorELNS0_4arch9wavefront6targetE0EEEvSQ_.numbered_sgpr, 0
	.set _ZN7rocprim17ROCPRIM_400000_NS6detail17trampoline_kernelINS0_14default_configENS1_22reduce_config_selectorIiEEZNS1_11reduce_implILb1ES3_PiS7_iN6hipcub16HIPCUB_304000_NS6detail34convert_binary_result_type_wrapperISt4plusIvENS9_22TransformInputIteratorIiN2at6native8internal21MapNumberOfTrueValuesEPKhlEEiEEEE10hipError_tPvRmT1_T2_T3_mT4_P12ihipStream_tbEUlT_E0_NS1_11comp_targetILNS1_3genE5ELNS1_11target_archE942ELNS1_3gpuE9ELNS1_3repE0EEENS1_30default_config_static_selectorELNS0_4arch9wavefront6targetE0EEEvSQ_.num_named_barrier, 0
	.set _ZN7rocprim17ROCPRIM_400000_NS6detail17trampoline_kernelINS0_14default_configENS1_22reduce_config_selectorIiEEZNS1_11reduce_implILb1ES3_PiS7_iN6hipcub16HIPCUB_304000_NS6detail34convert_binary_result_type_wrapperISt4plusIvENS9_22TransformInputIteratorIiN2at6native8internal21MapNumberOfTrueValuesEPKhlEEiEEEE10hipError_tPvRmT1_T2_T3_mT4_P12ihipStream_tbEUlT_E0_NS1_11comp_targetILNS1_3genE5ELNS1_11target_archE942ELNS1_3gpuE9ELNS1_3repE0EEENS1_30default_config_static_selectorELNS0_4arch9wavefront6targetE0EEEvSQ_.private_seg_size, 0
	.set _ZN7rocprim17ROCPRIM_400000_NS6detail17trampoline_kernelINS0_14default_configENS1_22reduce_config_selectorIiEEZNS1_11reduce_implILb1ES3_PiS7_iN6hipcub16HIPCUB_304000_NS6detail34convert_binary_result_type_wrapperISt4plusIvENS9_22TransformInputIteratorIiN2at6native8internal21MapNumberOfTrueValuesEPKhlEEiEEEE10hipError_tPvRmT1_T2_T3_mT4_P12ihipStream_tbEUlT_E0_NS1_11comp_targetILNS1_3genE5ELNS1_11target_archE942ELNS1_3gpuE9ELNS1_3repE0EEENS1_30default_config_static_selectorELNS0_4arch9wavefront6targetE0EEEvSQ_.uses_vcc, 0
	.set _ZN7rocprim17ROCPRIM_400000_NS6detail17trampoline_kernelINS0_14default_configENS1_22reduce_config_selectorIiEEZNS1_11reduce_implILb1ES3_PiS7_iN6hipcub16HIPCUB_304000_NS6detail34convert_binary_result_type_wrapperISt4plusIvENS9_22TransformInputIteratorIiN2at6native8internal21MapNumberOfTrueValuesEPKhlEEiEEEE10hipError_tPvRmT1_T2_T3_mT4_P12ihipStream_tbEUlT_E0_NS1_11comp_targetILNS1_3genE5ELNS1_11target_archE942ELNS1_3gpuE9ELNS1_3repE0EEENS1_30default_config_static_selectorELNS0_4arch9wavefront6targetE0EEEvSQ_.uses_flat_scratch, 0
	.set _ZN7rocprim17ROCPRIM_400000_NS6detail17trampoline_kernelINS0_14default_configENS1_22reduce_config_selectorIiEEZNS1_11reduce_implILb1ES3_PiS7_iN6hipcub16HIPCUB_304000_NS6detail34convert_binary_result_type_wrapperISt4plusIvENS9_22TransformInputIteratorIiN2at6native8internal21MapNumberOfTrueValuesEPKhlEEiEEEE10hipError_tPvRmT1_T2_T3_mT4_P12ihipStream_tbEUlT_E0_NS1_11comp_targetILNS1_3genE5ELNS1_11target_archE942ELNS1_3gpuE9ELNS1_3repE0EEENS1_30default_config_static_selectorELNS0_4arch9wavefront6targetE0EEEvSQ_.has_dyn_sized_stack, 0
	.set _ZN7rocprim17ROCPRIM_400000_NS6detail17trampoline_kernelINS0_14default_configENS1_22reduce_config_selectorIiEEZNS1_11reduce_implILb1ES3_PiS7_iN6hipcub16HIPCUB_304000_NS6detail34convert_binary_result_type_wrapperISt4plusIvENS9_22TransformInputIteratorIiN2at6native8internal21MapNumberOfTrueValuesEPKhlEEiEEEE10hipError_tPvRmT1_T2_T3_mT4_P12ihipStream_tbEUlT_E0_NS1_11comp_targetILNS1_3genE5ELNS1_11target_archE942ELNS1_3gpuE9ELNS1_3repE0EEENS1_30default_config_static_selectorELNS0_4arch9wavefront6targetE0EEEvSQ_.has_recursion, 0
	.set _ZN7rocprim17ROCPRIM_400000_NS6detail17trampoline_kernelINS0_14default_configENS1_22reduce_config_selectorIiEEZNS1_11reduce_implILb1ES3_PiS7_iN6hipcub16HIPCUB_304000_NS6detail34convert_binary_result_type_wrapperISt4plusIvENS9_22TransformInputIteratorIiN2at6native8internal21MapNumberOfTrueValuesEPKhlEEiEEEE10hipError_tPvRmT1_T2_T3_mT4_P12ihipStream_tbEUlT_E0_NS1_11comp_targetILNS1_3genE5ELNS1_11target_archE942ELNS1_3gpuE9ELNS1_3repE0EEENS1_30default_config_static_selectorELNS0_4arch9wavefront6targetE0EEEvSQ_.has_indirect_call, 0
	.section	.AMDGPU.csdata,"",@progbits
; Kernel info:
; codeLenInByte = 0
; TotalNumSgprs: 0
; NumVgprs: 0
; ScratchSize: 0
; MemoryBound: 0
; FloatMode: 240
; IeeeMode: 1
; LDSByteSize: 0 bytes/workgroup (compile time only)
; SGPRBlocks: 0
; VGPRBlocks: 0
; NumSGPRsForWavesPerEU: 1
; NumVGPRsForWavesPerEU: 1
; NamedBarCnt: 0
; Occupancy: 16
; WaveLimiterHint : 0
; COMPUTE_PGM_RSRC2:SCRATCH_EN: 0
; COMPUTE_PGM_RSRC2:USER_SGPR: 2
; COMPUTE_PGM_RSRC2:TRAP_HANDLER: 0
; COMPUTE_PGM_RSRC2:TGID_X_EN: 1
; COMPUTE_PGM_RSRC2:TGID_Y_EN: 0
; COMPUTE_PGM_RSRC2:TGID_Z_EN: 0
; COMPUTE_PGM_RSRC2:TIDIG_COMP_CNT: 0
	.section	.text._ZN7rocprim17ROCPRIM_400000_NS6detail17trampoline_kernelINS0_14default_configENS1_22reduce_config_selectorIiEEZNS1_11reduce_implILb1ES3_PiS7_iN6hipcub16HIPCUB_304000_NS6detail34convert_binary_result_type_wrapperISt4plusIvENS9_22TransformInputIteratorIiN2at6native8internal21MapNumberOfTrueValuesEPKhlEEiEEEE10hipError_tPvRmT1_T2_T3_mT4_P12ihipStream_tbEUlT_E0_NS1_11comp_targetILNS1_3genE4ELNS1_11target_archE910ELNS1_3gpuE8ELNS1_3repE0EEENS1_30default_config_static_selectorELNS0_4arch9wavefront6targetE0EEEvSQ_,"axG",@progbits,_ZN7rocprim17ROCPRIM_400000_NS6detail17trampoline_kernelINS0_14default_configENS1_22reduce_config_selectorIiEEZNS1_11reduce_implILb1ES3_PiS7_iN6hipcub16HIPCUB_304000_NS6detail34convert_binary_result_type_wrapperISt4plusIvENS9_22TransformInputIteratorIiN2at6native8internal21MapNumberOfTrueValuesEPKhlEEiEEEE10hipError_tPvRmT1_T2_T3_mT4_P12ihipStream_tbEUlT_E0_NS1_11comp_targetILNS1_3genE4ELNS1_11target_archE910ELNS1_3gpuE8ELNS1_3repE0EEENS1_30default_config_static_selectorELNS0_4arch9wavefront6targetE0EEEvSQ_,comdat
	.protected	_ZN7rocprim17ROCPRIM_400000_NS6detail17trampoline_kernelINS0_14default_configENS1_22reduce_config_selectorIiEEZNS1_11reduce_implILb1ES3_PiS7_iN6hipcub16HIPCUB_304000_NS6detail34convert_binary_result_type_wrapperISt4plusIvENS9_22TransformInputIteratorIiN2at6native8internal21MapNumberOfTrueValuesEPKhlEEiEEEE10hipError_tPvRmT1_T2_T3_mT4_P12ihipStream_tbEUlT_E0_NS1_11comp_targetILNS1_3genE4ELNS1_11target_archE910ELNS1_3gpuE8ELNS1_3repE0EEENS1_30default_config_static_selectorELNS0_4arch9wavefront6targetE0EEEvSQ_ ; -- Begin function _ZN7rocprim17ROCPRIM_400000_NS6detail17trampoline_kernelINS0_14default_configENS1_22reduce_config_selectorIiEEZNS1_11reduce_implILb1ES3_PiS7_iN6hipcub16HIPCUB_304000_NS6detail34convert_binary_result_type_wrapperISt4plusIvENS9_22TransformInputIteratorIiN2at6native8internal21MapNumberOfTrueValuesEPKhlEEiEEEE10hipError_tPvRmT1_T2_T3_mT4_P12ihipStream_tbEUlT_E0_NS1_11comp_targetILNS1_3genE4ELNS1_11target_archE910ELNS1_3gpuE8ELNS1_3repE0EEENS1_30default_config_static_selectorELNS0_4arch9wavefront6targetE0EEEvSQ_
	.globl	_ZN7rocprim17ROCPRIM_400000_NS6detail17trampoline_kernelINS0_14default_configENS1_22reduce_config_selectorIiEEZNS1_11reduce_implILb1ES3_PiS7_iN6hipcub16HIPCUB_304000_NS6detail34convert_binary_result_type_wrapperISt4plusIvENS9_22TransformInputIteratorIiN2at6native8internal21MapNumberOfTrueValuesEPKhlEEiEEEE10hipError_tPvRmT1_T2_T3_mT4_P12ihipStream_tbEUlT_E0_NS1_11comp_targetILNS1_3genE4ELNS1_11target_archE910ELNS1_3gpuE8ELNS1_3repE0EEENS1_30default_config_static_selectorELNS0_4arch9wavefront6targetE0EEEvSQ_
	.p2align	8
	.type	_ZN7rocprim17ROCPRIM_400000_NS6detail17trampoline_kernelINS0_14default_configENS1_22reduce_config_selectorIiEEZNS1_11reduce_implILb1ES3_PiS7_iN6hipcub16HIPCUB_304000_NS6detail34convert_binary_result_type_wrapperISt4plusIvENS9_22TransformInputIteratorIiN2at6native8internal21MapNumberOfTrueValuesEPKhlEEiEEEE10hipError_tPvRmT1_T2_T3_mT4_P12ihipStream_tbEUlT_E0_NS1_11comp_targetILNS1_3genE4ELNS1_11target_archE910ELNS1_3gpuE8ELNS1_3repE0EEENS1_30default_config_static_selectorELNS0_4arch9wavefront6targetE0EEEvSQ_,@function
_ZN7rocprim17ROCPRIM_400000_NS6detail17trampoline_kernelINS0_14default_configENS1_22reduce_config_selectorIiEEZNS1_11reduce_implILb1ES3_PiS7_iN6hipcub16HIPCUB_304000_NS6detail34convert_binary_result_type_wrapperISt4plusIvENS9_22TransformInputIteratorIiN2at6native8internal21MapNumberOfTrueValuesEPKhlEEiEEEE10hipError_tPvRmT1_T2_T3_mT4_P12ihipStream_tbEUlT_E0_NS1_11comp_targetILNS1_3genE4ELNS1_11target_archE910ELNS1_3gpuE8ELNS1_3repE0EEENS1_30default_config_static_selectorELNS0_4arch9wavefront6targetE0EEEvSQ_: ; @_ZN7rocprim17ROCPRIM_400000_NS6detail17trampoline_kernelINS0_14default_configENS1_22reduce_config_selectorIiEEZNS1_11reduce_implILb1ES3_PiS7_iN6hipcub16HIPCUB_304000_NS6detail34convert_binary_result_type_wrapperISt4plusIvENS9_22TransformInputIteratorIiN2at6native8internal21MapNumberOfTrueValuesEPKhlEEiEEEE10hipError_tPvRmT1_T2_T3_mT4_P12ihipStream_tbEUlT_E0_NS1_11comp_targetILNS1_3genE4ELNS1_11target_archE910ELNS1_3gpuE8ELNS1_3repE0EEENS1_30default_config_static_selectorELNS0_4arch9wavefront6targetE0EEEvSQ_
; %bb.0:
	.section	.rodata,"a",@progbits
	.p2align	6, 0x0
	.amdhsa_kernel _ZN7rocprim17ROCPRIM_400000_NS6detail17trampoline_kernelINS0_14default_configENS1_22reduce_config_selectorIiEEZNS1_11reduce_implILb1ES3_PiS7_iN6hipcub16HIPCUB_304000_NS6detail34convert_binary_result_type_wrapperISt4plusIvENS9_22TransformInputIteratorIiN2at6native8internal21MapNumberOfTrueValuesEPKhlEEiEEEE10hipError_tPvRmT1_T2_T3_mT4_P12ihipStream_tbEUlT_E0_NS1_11comp_targetILNS1_3genE4ELNS1_11target_archE910ELNS1_3gpuE8ELNS1_3repE0EEENS1_30default_config_static_selectorELNS0_4arch9wavefront6targetE0EEEvSQ_
		.amdhsa_group_segment_fixed_size 0
		.amdhsa_private_segment_fixed_size 0
		.amdhsa_kernarg_size 56
		.amdhsa_user_sgpr_count 2
		.amdhsa_user_sgpr_dispatch_ptr 0
		.amdhsa_user_sgpr_queue_ptr 0
		.amdhsa_user_sgpr_kernarg_segment_ptr 1
		.amdhsa_user_sgpr_dispatch_id 0
		.amdhsa_user_sgpr_kernarg_preload_length 0
		.amdhsa_user_sgpr_kernarg_preload_offset 0
		.amdhsa_user_sgpr_private_segment_size 0
		.amdhsa_wavefront_size32 1
		.amdhsa_uses_dynamic_stack 0
		.amdhsa_enable_private_segment 0
		.amdhsa_system_sgpr_workgroup_id_x 1
		.amdhsa_system_sgpr_workgroup_id_y 0
		.amdhsa_system_sgpr_workgroup_id_z 0
		.amdhsa_system_sgpr_workgroup_info 0
		.amdhsa_system_vgpr_workitem_id 0
		.amdhsa_next_free_vgpr 1
		.amdhsa_next_free_sgpr 1
		.amdhsa_named_barrier_count 0
		.amdhsa_reserve_vcc 0
		.amdhsa_float_round_mode_32 0
		.amdhsa_float_round_mode_16_64 0
		.amdhsa_float_denorm_mode_32 3
		.amdhsa_float_denorm_mode_16_64 3
		.amdhsa_fp16_overflow 0
		.amdhsa_memory_ordered 1
		.amdhsa_forward_progress 1
		.amdhsa_inst_pref_size 0
		.amdhsa_round_robin_scheduling 0
		.amdhsa_exception_fp_ieee_invalid_op 0
		.amdhsa_exception_fp_denorm_src 0
		.amdhsa_exception_fp_ieee_div_zero 0
		.amdhsa_exception_fp_ieee_overflow 0
		.amdhsa_exception_fp_ieee_underflow 0
		.amdhsa_exception_fp_ieee_inexact 0
		.amdhsa_exception_int_div_zero 0
	.end_amdhsa_kernel
	.section	.text._ZN7rocprim17ROCPRIM_400000_NS6detail17trampoline_kernelINS0_14default_configENS1_22reduce_config_selectorIiEEZNS1_11reduce_implILb1ES3_PiS7_iN6hipcub16HIPCUB_304000_NS6detail34convert_binary_result_type_wrapperISt4plusIvENS9_22TransformInputIteratorIiN2at6native8internal21MapNumberOfTrueValuesEPKhlEEiEEEE10hipError_tPvRmT1_T2_T3_mT4_P12ihipStream_tbEUlT_E0_NS1_11comp_targetILNS1_3genE4ELNS1_11target_archE910ELNS1_3gpuE8ELNS1_3repE0EEENS1_30default_config_static_selectorELNS0_4arch9wavefront6targetE0EEEvSQ_,"axG",@progbits,_ZN7rocprim17ROCPRIM_400000_NS6detail17trampoline_kernelINS0_14default_configENS1_22reduce_config_selectorIiEEZNS1_11reduce_implILb1ES3_PiS7_iN6hipcub16HIPCUB_304000_NS6detail34convert_binary_result_type_wrapperISt4plusIvENS9_22TransformInputIteratorIiN2at6native8internal21MapNumberOfTrueValuesEPKhlEEiEEEE10hipError_tPvRmT1_T2_T3_mT4_P12ihipStream_tbEUlT_E0_NS1_11comp_targetILNS1_3genE4ELNS1_11target_archE910ELNS1_3gpuE8ELNS1_3repE0EEENS1_30default_config_static_selectorELNS0_4arch9wavefront6targetE0EEEvSQ_,comdat
.Lfunc_end99:
	.size	_ZN7rocprim17ROCPRIM_400000_NS6detail17trampoline_kernelINS0_14default_configENS1_22reduce_config_selectorIiEEZNS1_11reduce_implILb1ES3_PiS7_iN6hipcub16HIPCUB_304000_NS6detail34convert_binary_result_type_wrapperISt4plusIvENS9_22TransformInputIteratorIiN2at6native8internal21MapNumberOfTrueValuesEPKhlEEiEEEE10hipError_tPvRmT1_T2_T3_mT4_P12ihipStream_tbEUlT_E0_NS1_11comp_targetILNS1_3genE4ELNS1_11target_archE910ELNS1_3gpuE8ELNS1_3repE0EEENS1_30default_config_static_selectorELNS0_4arch9wavefront6targetE0EEEvSQ_, .Lfunc_end99-_ZN7rocprim17ROCPRIM_400000_NS6detail17trampoline_kernelINS0_14default_configENS1_22reduce_config_selectorIiEEZNS1_11reduce_implILb1ES3_PiS7_iN6hipcub16HIPCUB_304000_NS6detail34convert_binary_result_type_wrapperISt4plusIvENS9_22TransformInputIteratorIiN2at6native8internal21MapNumberOfTrueValuesEPKhlEEiEEEE10hipError_tPvRmT1_T2_T3_mT4_P12ihipStream_tbEUlT_E0_NS1_11comp_targetILNS1_3genE4ELNS1_11target_archE910ELNS1_3gpuE8ELNS1_3repE0EEENS1_30default_config_static_selectorELNS0_4arch9wavefront6targetE0EEEvSQ_
                                        ; -- End function
	.set _ZN7rocprim17ROCPRIM_400000_NS6detail17trampoline_kernelINS0_14default_configENS1_22reduce_config_selectorIiEEZNS1_11reduce_implILb1ES3_PiS7_iN6hipcub16HIPCUB_304000_NS6detail34convert_binary_result_type_wrapperISt4plusIvENS9_22TransformInputIteratorIiN2at6native8internal21MapNumberOfTrueValuesEPKhlEEiEEEE10hipError_tPvRmT1_T2_T3_mT4_P12ihipStream_tbEUlT_E0_NS1_11comp_targetILNS1_3genE4ELNS1_11target_archE910ELNS1_3gpuE8ELNS1_3repE0EEENS1_30default_config_static_selectorELNS0_4arch9wavefront6targetE0EEEvSQ_.num_vgpr, 0
	.set _ZN7rocprim17ROCPRIM_400000_NS6detail17trampoline_kernelINS0_14default_configENS1_22reduce_config_selectorIiEEZNS1_11reduce_implILb1ES3_PiS7_iN6hipcub16HIPCUB_304000_NS6detail34convert_binary_result_type_wrapperISt4plusIvENS9_22TransformInputIteratorIiN2at6native8internal21MapNumberOfTrueValuesEPKhlEEiEEEE10hipError_tPvRmT1_T2_T3_mT4_P12ihipStream_tbEUlT_E0_NS1_11comp_targetILNS1_3genE4ELNS1_11target_archE910ELNS1_3gpuE8ELNS1_3repE0EEENS1_30default_config_static_selectorELNS0_4arch9wavefront6targetE0EEEvSQ_.num_agpr, 0
	.set _ZN7rocprim17ROCPRIM_400000_NS6detail17trampoline_kernelINS0_14default_configENS1_22reduce_config_selectorIiEEZNS1_11reduce_implILb1ES3_PiS7_iN6hipcub16HIPCUB_304000_NS6detail34convert_binary_result_type_wrapperISt4plusIvENS9_22TransformInputIteratorIiN2at6native8internal21MapNumberOfTrueValuesEPKhlEEiEEEE10hipError_tPvRmT1_T2_T3_mT4_P12ihipStream_tbEUlT_E0_NS1_11comp_targetILNS1_3genE4ELNS1_11target_archE910ELNS1_3gpuE8ELNS1_3repE0EEENS1_30default_config_static_selectorELNS0_4arch9wavefront6targetE0EEEvSQ_.numbered_sgpr, 0
	.set _ZN7rocprim17ROCPRIM_400000_NS6detail17trampoline_kernelINS0_14default_configENS1_22reduce_config_selectorIiEEZNS1_11reduce_implILb1ES3_PiS7_iN6hipcub16HIPCUB_304000_NS6detail34convert_binary_result_type_wrapperISt4plusIvENS9_22TransformInputIteratorIiN2at6native8internal21MapNumberOfTrueValuesEPKhlEEiEEEE10hipError_tPvRmT1_T2_T3_mT4_P12ihipStream_tbEUlT_E0_NS1_11comp_targetILNS1_3genE4ELNS1_11target_archE910ELNS1_3gpuE8ELNS1_3repE0EEENS1_30default_config_static_selectorELNS0_4arch9wavefront6targetE0EEEvSQ_.num_named_barrier, 0
	.set _ZN7rocprim17ROCPRIM_400000_NS6detail17trampoline_kernelINS0_14default_configENS1_22reduce_config_selectorIiEEZNS1_11reduce_implILb1ES3_PiS7_iN6hipcub16HIPCUB_304000_NS6detail34convert_binary_result_type_wrapperISt4plusIvENS9_22TransformInputIteratorIiN2at6native8internal21MapNumberOfTrueValuesEPKhlEEiEEEE10hipError_tPvRmT1_T2_T3_mT4_P12ihipStream_tbEUlT_E0_NS1_11comp_targetILNS1_3genE4ELNS1_11target_archE910ELNS1_3gpuE8ELNS1_3repE0EEENS1_30default_config_static_selectorELNS0_4arch9wavefront6targetE0EEEvSQ_.private_seg_size, 0
	.set _ZN7rocprim17ROCPRIM_400000_NS6detail17trampoline_kernelINS0_14default_configENS1_22reduce_config_selectorIiEEZNS1_11reduce_implILb1ES3_PiS7_iN6hipcub16HIPCUB_304000_NS6detail34convert_binary_result_type_wrapperISt4plusIvENS9_22TransformInputIteratorIiN2at6native8internal21MapNumberOfTrueValuesEPKhlEEiEEEE10hipError_tPvRmT1_T2_T3_mT4_P12ihipStream_tbEUlT_E0_NS1_11comp_targetILNS1_3genE4ELNS1_11target_archE910ELNS1_3gpuE8ELNS1_3repE0EEENS1_30default_config_static_selectorELNS0_4arch9wavefront6targetE0EEEvSQ_.uses_vcc, 0
	.set _ZN7rocprim17ROCPRIM_400000_NS6detail17trampoline_kernelINS0_14default_configENS1_22reduce_config_selectorIiEEZNS1_11reduce_implILb1ES3_PiS7_iN6hipcub16HIPCUB_304000_NS6detail34convert_binary_result_type_wrapperISt4plusIvENS9_22TransformInputIteratorIiN2at6native8internal21MapNumberOfTrueValuesEPKhlEEiEEEE10hipError_tPvRmT1_T2_T3_mT4_P12ihipStream_tbEUlT_E0_NS1_11comp_targetILNS1_3genE4ELNS1_11target_archE910ELNS1_3gpuE8ELNS1_3repE0EEENS1_30default_config_static_selectorELNS0_4arch9wavefront6targetE0EEEvSQ_.uses_flat_scratch, 0
	.set _ZN7rocprim17ROCPRIM_400000_NS6detail17trampoline_kernelINS0_14default_configENS1_22reduce_config_selectorIiEEZNS1_11reduce_implILb1ES3_PiS7_iN6hipcub16HIPCUB_304000_NS6detail34convert_binary_result_type_wrapperISt4plusIvENS9_22TransformInputIteratorIiN2at6native8internal21MapNumberOfTrueValuesEPKhlEEiEEEE10hipError_tPvRmT1_T2_T3_mT4_P12ihipStream_tbEUlT_E0_NS1_11comp_targetILNS1_3genE4ELNS1_11target_archE910ELNS1_3gpuE8ELNS1_3repE0EEENS1_30default_config_static_selectorELNS0_4arch9wavefront6targetE0EEEvSQ_.has_dyn_sized_stack, 0
	.set _ZN7rocprim17ROCPRIM_400000_NS6detail17trampoline_kernelINS0_14default_configENS1_22reduce_config_selectorIiEEZNS1_11reduce_implILb1ES3_PiS7_iN6hipcub16HIPCUB_304000_NS6detail34convert_binary_result_type_wrapperISt4plusIvENS9_22TransformInputIteratorIiN2at6native8internal21MapNumberOfTrueValuesEPKhlEEiEEEE10hipError_tPvRmT1_T2_T3_mT4_P12ihipStream_tbEUlT_E0_NS1_11comp_targetILNS1_3genE4ELNS1_11target_archE910ELNS1_3gpuE8ELNS1_3repE0EEENS1_30default_config_static_selectorELNS0_4arch9wavefront6targetE0EEEvSQ_.has_recursion, 0
	.set _ZN7rocprim17ROCPRIM_400000_NS6detail17trampoline_kernelINS0_14default_configENS1_22reduce_config_selectorIiEEZNS1_11reduce_implILb1ES3_PiS7_iN6hipcub16HIPCUB_304000_NS6detail34convert_binary_result_type_wrapperISt4plusIvENS9_22TransformInputIteratorIiN2at6native8internal21MapNumberOfTrueValuesEPKhlEEiEEEE10hipError_tPvRmT1_T2_T3_mT4_P12ihipStream_tbEUlT_E0_NS1_11comp_targetILNS1_3genE4ELNS1_11target_archE910ELNS1_3gpuE8ELNS1_3repE0EEENS1_30default_config_static_selectorELNS0_4arch9wavefront6targetE0EEEvSQ_.has_indirect_call, 0
	.section	.AMDGPU.csdata,"",@progbits
; Kernel info:
; codeLenInByte = 0
; TotalNumSgprs: 0
; NumVgprs: 0
; ScratchSize: 0
; MemoryBound: 0
; FloatMode: 240
; IeeeMode: 1
; LDSByteSize: 0 bytes/workgroup (compile time only)
; SGPRBlocks: 0
; VGPRBlocks: 0
; NumSGPRsForWavesPerEU: 1
; NumVGPRsForWavesPerEU: 1
; NamedBarCnt: 0
; Occupancy: 16
; WaveLimiterHint : 0
; COMPUTE_PGM_RSRC2:SCRATCH_EN: 0
; COMPUTE_PGM_RSRC2:USER_SGPR: 2
; COMPUTE_PGM_RSRC2:TRAP_HANDLER: 0
; COMPUTE_PGM_RSRC2:TGID_X_EN: 1
; COMPUTE_PGM_RSRC2:TGID_Y_EN: 0
; COMPUTE_PGM_RSRC2:TGID_Z_EN: 0
; COMPUTE_PGM_RSRC2:TIDIG_COMP_CNT: 0
	.section	.text._ZN7rocprim17ROCPRIM_400000_NS6detail17trampoline_kernelINS0_14default_configENS1_22reduce_config_selectorIiEEZNS1_11reduce_implILb1ES3_PiS7_iN6hipcub16HIPCUB_304000_NS6detail34convert_binary_result_type_wrapperISt4plusIvENS9_22TransformInputIteratorIiN2at6native8internal21MapNumberOfTrueValuesEPKhlEEiEEEE10hipError_tPvRmT1_T2_T3_mT4_P12ihipStream_tbEUlT_E0_NS1_11comp_targetILNS1_3genE3ELNS1_11target_archE908ELNS1_3gpuE7ELNS1_3repE0EEENS1_30default_config_static_selectorELNS0_4arch9wavefront6targetE0EEEvSQ_,"axG",@progbits,_ZN7rocprim17ROCPRIM_400000_NS6detail17trampoline_kernelINS0_14default_configENS1_22reduce_config_selectorIiEEZNS1_11reduce_implILb1ES3_PiS7_iN6hipcub16HIPCUB_304000_NS6detail34convert_binary_result_type_wrapperISt4plusIvENS9_22TransformInputIteratorIiN2at6native8internal21MapNumberOfTrueValuesEPKhlEEiEEEE10hipError_tPvRmT1_T2_T3_mT4_P12ihipStream_tbEUlT_E0_NS1_11comp_targetILNS1_3genE3ELNS1_11target_archE908ELNS1_3gpuE7ELNS1_3repE0EEENS1_30default_config_static_selectorELNS0_4arch9wavefront6targetE0EEEvSQ_,comdat
	.protected	_ZN7rocprim17ROCPRIM_400000_NS6detail17trampoline_kernelINS0_14default_configENS1_22reduce_config_selectorIiEEZNS1_11reduce_implILb1ES3_PiS7_iN6hipcub16HIPCUB_304000_NS6detail34convert_binary_result_type_wrapperISt4plusIvENS9_22TransformInputIteratorIiN2at6native8internal21MapNumberOfTrueValuesEPKhlEEiEEEE10hipError_tPvRmT1_T2_T3_mT4_P12ihipStream_tbEUlT_E0_NS1_11comp_targetILNS1_3genE3ELNS1_11target_archE908ELNS1_3gpuE7ELNS1_3repE0EEENS1_30default_config_static_selectorELNS0_4arch9wavefront6targetE0EEEvSQ_ ; -- Begin function _ZN7rocprim17ROCPRIM_400000_NS6detail17trampoline_kernelINS0_14default_configENS1_22reduce_config_selectorIiEEZNS1_11reduce_implILb1ES3_PiS7_iN6hipcub16HIPCUB_304000_NS6detail34convert_binary_result_type_wrapperISt4plusIvENS9_22TransformInputIteratorIiN2at6native8internal21MapNumberOfTrueValuesEPKhlEEiEEEE10hipError_tPvRmT1_T2_T3_mT4_P12ihipStream_tbEUlT_E0_NS1_11comp_targetILNS1_3genE3ELNS1_11target_archE908ELNS1_3gpuE7ELNS1_3repE0EEENS1_30default_config_static_selectorELNS0_4arch9wavefront6targetE0EEEvSQ_
	.globl	_ZN7rocprim17ROCPRIM_400000_NS6detail17trampoline_kernelINS0_14default_configENS1_22reduce_config_selectorIiEEZNS1_11reduce_implILb1ES3_PiS7_iN6hipcub16HIPCUB_304000_NS6detail34convert_binary_result_type_wrapperISt4plusIvENS9_22TransformInputIteratorIiN2at6native8internal21MapNumberOfTrueValuesEPKhlEEiEEEE10hipError_tPvRmT1_T2_T3_mT4_P12ihipStream_tbEUlT_E0_NS1_11comp_targetILNS1_3genE3ELNS1_11target_archE908ELNS1_3gpuE7ELNS1_3repE0EEENS1_30default_config_static_selectorELNS0_4arch9wavefront6targetE0EEEvSQ_
	.p2align	8
	.type	_ZN7rocprim17ROCPRIM_400000_NS6detail17trampoline_kernelINS0_14default_configENS1_22reduce_config_selectorIiEEZNS1_11reduce_implILb1ES3_PiS7_iN6hipcub16HIPCUB_304000_NS6detail34convert_binary_result_type_wrapperISt4plusIvENS9_22TransformInputIteratorIiN2at6native8internal21MapNumberOfTrueValuesEPKhlEEiEEEE10hipError_tPvRmT1_T2_T3_mT4_P12ihipStream_tbEUlT_E0_NS1_11comp_targetILNS1_3genE3ELNS1_11target_archE908ELNS1_3gpuE7ELNS1_3repE0EEENS1_30default_config_static_selectorELNS0_4arch9wavefront6targetE0EEEvSQ_,@function
_ZN7rocprim17ROCPRIM_400000_NS6detail17trampoline_kernelINS0_14default_configENS1_22reduce_config_selectorIiEEZNS1_11reduce_implILb1ES3_PiS7_iN6hipcub16HIPCUB_304000_NS6detail34convert_binary_result_type_wrapperISt4plusIvENS9_22TransformInputIteratorIiN2at6native8internal21MapNumberOfTrueValuesEPKhlEEiEEEE10hipError_tPvRmT1_T2_T3_mT4_P12ihipStream_tbEUlT_E0_NS1_11comp_targetILNS1_3genE3ELNS1_11target_archE908ELNS1_3gpuE7ELNS1_3repE0EEENS1_30default_config_static_selectorELNS0_4arch9wavefront6targetE0EEEvSQ_: ; @_ZN7rocprim17ROCPRIM_400000_NS6detail17trampoline_kernelINS0_14default_configENS1_22reduce_config_selectorIiEEZNS1_11reduce_implILb1ES3_PiS7_iN6hipcub16HIPCUB_304000_NS6detail34convert_binary_result_type_wrapperISt4plusIvENS9_22TransformInputIteratorIiN2at6native8internal21MapNumberOfTrueValuesEPKhlEEiEEEE10hipError_tPvRmT1_T2_T3_mT4_P12ihipStream_tbEUlT_E0_NS1_11comp_targetILNS1_3genE3ELNS1_11target_archE908ELNS1_3gpuE7ELNS1_3repE0EEENS1_30default_config_static_selectorELNS0_4arch9wavefront6targetE0EEEvSQ_
; %bb.0:
	.section	.rodata,"a",@progbits
	.p2align	6, 0x0
	.amdhsa_kernel _ZN7rocprim17ROCPRIM_400000_NS6detail17trampoline_kernelINS0_14default_configENS1_22reduce_config_selectorIiEEZNS1_11reduce_implILb1ES3_PiS7_iN6hipcub16HIPCUB_304000_NS6detail34convert_binary_result_type_wrapperISt4plusIvENS9_22TransformInputIteratorIiN2at6native8internal21MapNumberOfTrueValuesEPKhlEEiEEEE10hipError_tPvRmT1_T2_T3_mT4_P12ihipStream_tbEUlT_E0_NS1_11comp_targetILNS1_3genE3ELNS1_11target_archE908ELNS1_3gpuE7ELNS1_3repE0EEENS1_30default_config_static_selectorELNS0_4arch9wavefront6targetE0EEEvSQ_
		.amdhsa_group_segment_fixed_size 0
		.amdhsa_private_segment_fixed_size 0
		.amdhsa_kernarg_size 56
		.amdhsa_user_sgpr_count 2
		.amdhsa_user_sgpr_dispatch_ptr 0
		.amdhsa_user_sgpr_queue_ptr 0
		.amdhsa_user_sgpr_kernarg_segment_ptr 1
		.amdhsa_user_sgpr_dispatch_id 0
		.amdhsa_user_sgpr_kernarg_preload_length 0
		.amdhsa_user_sgpr_kernarg_preload_offset 0
		.amdhsa_user_sgpr_private_segment_size 0
		.amdhsa_wavefront_size32 1
		.amdhsa_uses_dynamic_stack 0
		.amdhsa_enable_private_segment 0
		.amdhsa_system_sgpr_workgroup_id_x 1
		.amdhsa_system_sgpr_workgroup_id_y 0
		.amdhsa_system_sgpr_workgroup_id_z 0
		.amdhsa_system_sgpr_workgroup_info 0
		.amdhsa_system_vgpr_workitem_id 0
		.amdhsa_next_free_vgpr 1
		.amdhsa_next_free_sgpr 1
		.amdhsa_named_barrier_count 0
		.amdhsa_reserve_vcc 0
		.amdhsa_float_round_mode_32 0
		.amdhsa_float_round_mode_16_64 0
		.amdhsa_float_denorm_mode_32 3
		.amdhsa_float_denorm_mode_16_64 3
		.amdhsa_fp16_overflow 0
		.amdhsa_memory_ordered 1
		.amdhsa_forward_progress 1
		.amdhsa_inst_pref_size 0
		.amdhsa_round_robin_scheduling 0
		.amdhsa_exception_fp_ieee_invalid_op 0
		.amdhsa_exception_fp_denorm_src 0
		.amdhsa_exception_fp_ieee_div_zero 0
		.amdhsa_exception_fp_ieee_overflow 0
		.amdhsa_exception_fp_ieee_underflow 0
		.amdhsa_exception_fp_ieee_inexact 0
		.amdhsa_exception_int_div_zero 0
	.end_amdhsa_kernel
	.section	.text._ZN7rocprim17ROCPRIM_400000_NS6detail17trampoline_kernelINS0_14default_configENS1_22reduce_config_selectorIiEEZNS1_11reduce_implILb1ES3_PiS7_iN6hipcub16HIPCUB_304000_NS6detail34convert_binary_result_type_wrapperISt4plusIvENS9_22TransformInputIteratorIiN2at6native8internal21MapNumberOfTrueValuesEPKhlEEiEEEE10hipError_tPvRmT1_T2_T3_mT4_P12ihipStream_tbEUlT_E0_NS1_11comp_targetILNS1_3genE3ELNS1_11target_archE908ELNS1_3gpuE7ELNS1_3repE0EEENS1_30default_config_static_selectorELNS0_4arch9wavefront6targetE0EEEvSQ_,"axG",@progbits,_ZN7rocprim17ROCPRIM_400000_NS6detail17trampoline_kernelINS0_14default_configENS1_22reduce_config_selectorIiEEZNS1_11reduce_implILb1ES3_PiS7_iN6hipcub16HIPCUB_304000_NS6detail34convert_binary_result_type_wrapperISt4plusIvENS9_22TransformInputIteratorIiN2at6native8internal21MapNumberOfTrueValuesEPKhlEEiEEEE10hipError_tPvRmT1_T2_T3_mT4_P12ihipStream_tbEUlT_E0_NS1_11comp_targetILNS1_3genE3ELNS1_11target_archE908ELNS1_3gpuE7ELNS1_3repE0EEENS1_30default_config_static_selectorELNS0_4arch9wavefront6targetE0EEEvSQ_,comdat
.Lfunc_end100:
	.size	_ZN7rocprim17ROCPRIM_400000_NS6detail17trampoline_kernelINS0_14default_configENS1_22reduce_config_selectorIiEEZNS1_11reduce_implILb1ES3_PiS7_iN6hipcub16HIPCUB_304000_NS6detail34convert_binary_result_type_wrapperISt4plusIvENS9_22TransformInputIteratorIiN2at6native8internal21MapNumberOfTrueValuesEPKhlEEiEEEE10hipError_tPvRmT1_T2_T3_mT4_P12ihipStream_tbEUlT_E0_NS1_11comp_targetILNS1_3genE3ELNS1_11target_archE908ELNS1_3gpuE7ELNS1_3repE0EEENS1_30default_config_static_selectorELNS0_4arch9wavefront6targetE0EEEvSQ_, .Lfunc_end100-_ZN7rocprim17ROCPRIM_400000_NS6detail17trampoline_kernelINS0_14default_configENS1_22reduce_config_selectorIiEEZNS1_11reduce_implILb1ES3_PiS7_iN6hipcub16HIPCUB_304000_NS6detail34convert_binary_result_type_wrapperISt4plusIvENS9_22TransformInputIteratorIiN2at6native8internal21MapNumberOfTrueValuesEPKhlEEiEEEE10hipError_tPvRmT1_T2_T3_mT4_P12ihipStream_tbEUlT_E0_NS1_11comp_targetILNS1_3genE3ELNS1_11target_archE908ELNS1_3gpuE7ELNS1_3repE0EEENS1_30default_config_static_selectorELNS0_4arch9wavefront6targetE0EEEvSQ_
                                        ; -- End function
	.set _ZN7rocprim17ROCPRIM_400000_NS6detail17trampoline_kernelINS0_14default_configENS1_22reduce_config_selectorIiEEZNS1_11reduce_implILb1ES3_PiS7_iN6hipcub16HIPCUB_304000_NS6detail34convert_binary_result_type_wrapperISt4plusIvENS9_22TransformInputIteratorIiN2at6native8internal21MapNumberOfTrueValuesEPKhlEEiEEEE10hipError_tPvRmT1_T2_T3_mT4_P12ihipStream_tbEUlT_E0_NS1_11comp_targetILNS1_3genE3ELNS1_11target_archE908ELNS1_3gpuE7ELNS1_3repE0EEENS1_30default_config_static_selectorELNS0_4arch9wavefront6targetE0EEEvSQ_.num_vgpr, 0
	.set _ZN7rocprim17ROCPRIM_400000_NS6detail17trampoline_kernelINS0_14default_configENS1_22reduce_config_selectorIiEEZNS1_11reduce_implILb1ES3_PiS7_iN6hipcub16HIPCUB_304000_NS6detail34convert_binary_result_type_wrapperISt4plusIvENS9_22TransformInputIteratorIiN2at6native8internal21MapNumberOfTrueValuesEPKhlEEiEEEE10hipError_tPvRmT1_T2_T3_mT4_P12ihipStream_tbEUlT_E0_NS1_11comp_targetILNS1_3genE3ELNS1_11target_archE908ELNS1_3gpuE7ELNS1_3repE0EEENS1_30default_config_static_selectorELNS0_4arch9wavefront6targetE0EEEvSQ_.num_agpr, 0
	.set _ZN7rocprim17ROCPRIM_400000_NS6detail17trampoline_kernelINS0_14default_configENS1_22reduce_config_selectorIiEEZNS1_11reduce_implILb1ES3_PiS7_iN6hipcub16HIPCUB_304000_NS6detail34convert_binary_result_type_wrapperISt4plusIvENS9_22TransformInputIteratorIiN2at6native8internal21MapNumberOfTrueValuesEPKhlEEiEEEE10hipError_tPvRmT1_T2_T3_mT4_P12ihipStream_tbEUlT_E0_NS1_11comp_targetILNS1_3genE3ELNS1_11target_archE908ELNS1_3gpuE7ELNS1_3repE0EEENS1_30default_config_static_selectorELNS0_4arch9wavefront6targetE0EEEvSQ_.numbered_sgpr, 0
	.set _ZN7rocprim17ROCPRIM_400000_NS6detail17trampoline_kernelINS0_14default_configENS1_22reduce_config_selectorIiEEZNS1_11reduce_implILb1ES3_PiS7_iN6hipcub16HIPCUB_304000_NS6detail34convert_binary_result_type_wrapperISt4plusIvENS9_22TransformInputIteratorIiN2at6native8internal21MapNumberOfTrueValuesEPKhlEEiEEEE10hipError_tPvRmT1_T2_T3_mT4_P12ihipStream_tbEUlT_E0_NS1_11comp_targetILNS1_3genE3ELNS1_11target_archE908ELNS1_3gpuE7ELNS1_3repE0EEENS1_30default_config_static_selectorELNS0_4arch9wavefront6targetE0EEEvSQ_.num_named_barrier, 0
	.set _ZN7rocprim17ROCPRIM_400000_NS6detail17trampoline_kernelINS0_14default_configENS1_22reduce_config_selectorIiEEZNS1_11reduce_implILb1ES3_PiS7_iN6hipcub16HIPCUB_304000_NS6detail34convert_binary_result_type_wrapperISt4plusIvENS9_22TransformInputIteratorIiN2at6native8internal21MapNumberOfTrueValuesEPKhlEEiEEEE10hipError_tPvRmT1_T2_T3_mT4_P12ihipStream_tbEUlT_E0_NS1_11comp_targetILNS1_3genE3ELNS1_11target_archE908ELNS1_3gpuE7ELNS1_3repE0EEENS1_30default_config_static_selectorELNS0_4arch9wavefront6targetE0EEEvSQ_.private_seg_size, 0
	.set _ZN7rocprim17ROCPRIM_400000_NS6detail17trampoline_kernelINS0_14default_configENS1_22reduce_config_selectorIiEEZNS1_11reduce_implILb1ES3_PiS7_iN6hipcub16HIPCUB_304000_NS6detail34convert_binary_result_type_wrapperISt4plusIvENS9_22TransformInputIteratorIiN2at6native8internal21MapNumberOfTrueValuesEPKhlEEiEEEE10hipError_tPvRmT1_T2_T3_mT4_P12ihipStream_tbEUlT_E0_NS1_11comp_targetILNS1_3genE3ELNS1_11target_archE908ELNS1_3gpuE7ELNS1_3repE0EEENS1_30default_config_static_selectorELNS0_4arch9wavefront6targetE0EEEvSQ_.uses_vcc, 0
	.set _ZN7rocprim17ROCPRIM_400000_NS6detail17trampoline_kernelINS0_14default_configENS1_22reduce_config_selectorIiEEZNS1_11reduce_implILb1ES3_PiS7_iN6hipcub16HIPCUB_304000_NS6detail34convert_binary_result_type_wrapperISt4plusIvENS9_22TransformInputIteratorIiN2at6native8internal21MapNumberOfTrueValuesEPKhlEEiEEEE10hipError_tPvRmT1_T2_T3_mT4_P12ihipStream_tbEUlT_E0_NS1_11comp_targetILNS1_3genE3ELNS1_11target_archE908ELNS1_3gpuE7ELNS1_3repE0EEENS1_30default_config_static_selectorELNS0_4arch9wavefront6targetE0EEEvSQ_.uses_flat_scratch, 0
	.set _ZN7rocprim17ROCPRIM_400000_NS6detail17trampoline_kernelINS0_14default_configENS1_22reduce_config_selectorIiEEZNS1_11reduce_implILb1ES3_PiS7_iN6hipcub16HIPCUB_304000_NS6detail34convert_binary_result_type_wrapperISt4plusIvENS9_22TransformInputIteratorIiN2at6native8internal21MapNumberOfTrueValuesEPKhlEEiEEEE10hipError_tPvRmT1_T2_T3_mT4_P12ihipStream_tbEUlT_E0_NS1_11comp_targetILNS1_3genE3ELNS1_11target_archE908ELNS1_3gpuE7ELNS1_3repE0EEENS1_30default_config_static_selectorELNS0_4arch9wavefront6targetE0EEEvSQ_.has_dyn_sized_stack, 0
	.set _ZN7rocprim17ROCPRIM_400000_NS6detail17trampoline_kernelINS0_14default_configENS1_22reduce_config_selectorIiEEZNS1_11reduce_implILb1ES3_PiS7_iN6hipcub16HIPCUB_304000_NS6detail34convert_binary_result_type_wrapperISt4plusIvENS9_22TransformInputIteratorIiN2at6native8internal21MapNumberOfTrueValuesEPKhlEEiEEEE10hipError_tPvRmT1_T2_T3_mT4_P12ihipStream_tbEUlT_E0_NS1_11comp_targetILNS1_3genE3ELNS1_11target_archE908ELNS1_3gpuE7ELNS1_3repE0EEENS1_30default_config_static_selectorELNS0_4arch9wavefront6targetE0EEEvSQ_.has_recursion, 0
	.set _ZN7rocprim17ROCPRIM_400000_NS6detail17trampoline_kernelINS0_14default_configENS1_22reduce_config_selectorIiEEZNS1_11reduce_implILb1ES3_PiS7_iN6hipcub16HIPCUB_304000_NS6detail34convert_binary_result_type_wrapperISt4plusIvENS9_22TransformInputIteratorIiN2at6native8internal21MapNumberOfTrueValuesEPKhlEEiEEEE10hipError_tPvRmT1_T2_T3_mT4_P12ihipStream_tbEUlT_E0_NS1_11comp_targetILNS1_3genE3ELNS1_11target_archE908ELNS1_3gpuE7ELNS1_3repE0EEENS1_30default_config_static_selectorELNS0_4arch9wavefront6targetE0EEEvSQ_.has_indirect_call, 0
	.section	.AMDGPU.csdata,"",@progbits
; Kernel info:
; codeLenInByte = 0
; TotalNumSgprs: 0
; NumVgprs: 0
; ScratchSize: 0
; MemoryBound: 0
; FloatMode: 240
; IeeeMode: 1
; LDSByteSize: 0 bytes/workgroup (compile time only)
; SGPRBlocks: 0
; VGPRBlocks: 0
; NumSGPRsForWavesPerEU: 1
; NumVGPRsForWavesPerEU: 1
; NamedBarCnt: 0
; Occupancy: 16
; WaveLimiterHint : 0
; COMPUTE_PGM_RSRC2:SCRATCH_EN: 0
; COMPUTE_PGM_RSRC2:USER_SGPR: 2
; COMPUTE_PGM_RSRC2:TRAP_HANDLER: 0
; COMPUTE_PGM_RSRC2:TGID_X_EN: 1
; COMPUTE_PGM_RSRC2:TGID_Y_EN: 0
; COMPUTE_PGM_RSRC2:TGID_Z_EN: 0
; COMPUTE_PGM_RSRC2:TIDIG_COMP_CNT: 0
	.section	.text._ZN7rocprim17ROCPRIM_400000_NS6detail17trampoline_kernelINS0_14default_configENS1_22reduce_config_selectorIiEEZNS1_11reduce_implILb1ES3_PiS7_iN6hipcub16HIPCUB_304000_NS6detail34convert_binary_result_type_wrapperISt4plusIvENS9_22TransformInputIteratorIiN2at6native8internal21MapNumberOfTrueValuesEPKhlEEiEEEE10hipError_tPvRmT1_T2_T3_mT4_P12ihipStream_tbEUlT_E0_NS1_11comp_targetILNS1_3genE2ELNS1_11target_archE906ELNS1_3gpuE6ELNS1_3repE0EEENS1_30default_config_static_selectorELNS0_4arch9wavefront6targetE0EEEvSQ_,"axG",@progbits,_ZN7rocprim17ROCPRIM_400000_NS6detail17trampoline_kernelINS0_14default_configENS1_22reduce_config_selectorIiEEZNS1_11reduce_implILb1ES3_PiS7_iN6hipcub16HIPCUB_304000_NS6detail34convert_binary_result_type_wrapperISt4plusIvENS9_22TransformInputIteratorIiN2at6native8internal21MapNumberOfTrueValuesEPKhlEEiEEEE10hipError_tPvRmT1_T2_T3_mT4_P12ihipStream_tbEUlT_E0_NS1_11comp_targetILNS1_3genE2ELNS1_11target_archE906ELNS1_3gpuE6ELNS1_3repE0EEENS1_30default_config_static_selectorELNS0_4arch9wavefront6targetE0EEEvSQ_,comdat
	.protected	_ZN7rocprim17ROCPRIM_400000_NS6detail17trampoline_kernelINS0_14default_configENS1_22reduce_config_selectorIiEEZNS1_11reduce_implILb1ES3_PiS7_iN6hipcub16HIPCUB_304000_NS6detail34convert_binary_result_type_wrapperISt4plusIvENS9_22TransformInputIteratorIiN2at6native8internal21MapNumberOfTrueValuesEPKhlEEiEEEE10hipError_tPvRmT1_T2_T3_mT4_P12ihipStream_tbEUlT_E0_NS1_11comp_targetILNS1_3genE2ELNS1_11target_archE906ELNS1_3gpuE6ELNS1_3repE0EEENS1_30default_config_static_selectorELNS0_4arch9wavefront6targetE0EEEvSQ_ ; -- Begin function _ZN7rocprim17ROCPRIM_400000_NS6detail17trampoline_kernelINS0_14default_configENS1_22reduce_config_selectorIiEEZNS1_11reduce_implILb1ES3_PiS7_iN6hipcub16HIPCUB_304000_NS6detail34convert_binary_result_type_wrapperISt4plusIvENS9_22TransformInputIteratorIiN2at6native8internal21MapNumberOfTrueValuesEPKhlEEiEEEE10hipError_tPvRmT1_T2_T3_mT4_P12ihipStream_tbEUlT_E0_NS1_11comp_targetILNS1_3genE2ELNS1_11target_archE906ELNS1_3gpuE6ELNS1_3repE0EEENS1_30default_config_static_selectorELNS0_4arch9wavefront6targetE0EEEvSQ_
	.globl	_ZN7rocprim17ROCPRIM_400000_NS6detail17trampoline_kernelINS0_14default_configENS1_22reduce_config_selectorIiEEZNS1_11reduce_implILb1ES3_PiS7_iN6hipcub16HIPCUB_304000_NS6detail34convert_binary_result_type_wrapperISt4plusIvENS9_22TransformInputIteratorIiN2at6native8internal21MapNumberOfTrueValuesEPKhlEEiEEEE10hipError_tPvRmT1_T2_T3_mT4_P12ihipStream_tbEUlT_E0_NS1_11comp_targetILNS1_3genE2ELNS1_11target_archE906ELNS1_3gpuE6ELNS1_3repE0EEENS1_30default_config_static_selectorELNS0_4arch9wavefront6targetE0EEEvSQ_
	.p2align	8
	.type	_ZN7rocprim17ROCPRIM_400000_NS6detail17trampoline_kernelINS0_14default_configENS1_22reduce_config_selectorIiEEZNS1_11reduce_implILb1ES3_PiS7_iN6hipcub16HIPCUB_304000_NS6detail34convert_binary_result_type_wrapperISt4plusIvENS9_22TransformInputIteratorIiN2at6native8internal21MapNumberOfTrueValuesEPKhlEEiEEEE10hipError_tPvRmT1_T2_T3_mT4_P12ihipStream_tbEUlT_E0_NS1_11comp_targetILNS1_3genE2ELNS1_11target_archE906ELNS1_3gpuE6ELNS1_3repE0EEENS1_30default_config_static_selectorELNS0_4arch9wavefront6targetE0EEEvSQ_,@function
_ZN7rocprim17ROCPRIM_400000_NS6detail17trampoline_kernelINS0_14default_configENS1_22reduce_config_selectorIiEEZNS1_11reduce_implILb1ES3_PiS7_iN6hipcub16HIPCUB_304000_NS6detail34convert_binary_result_type_wrapperISt4plusIvENS9_22TransformInputIteratorIiN2at6native8internal21MapNumberOfTrueValuesEPKhlEEiEEEE10hipError_tPvRmT1_T2_T3_mT4_P12ihipStream_tbEUlT_E0_NS1_11comp_targetILNS1_3genE2ELNS1_11target_archE906ELNS1_3gpuE6ELNS1_3repE0EEENS1_30default_config_static_selectorELNS0_4arch9wavefront6targetE0EEEvSQ_: ; @_ZN7rocprim17ROCPRIM_400000_NS6detail17trampoline_kernelINS0_14default_configENS1_22reduce_config_selectorIiEEZNS1_11reduce_implILb1ES3_PiS7_iN6hipcub16HIPCUB_304000_NS6detail34convert_binary_result_type_wrapperISt4plusIvENS9_22TransformInputIteratorIiN2at6native8internal21MapNumberOfTrueValuesEPKhlEEiEEEE10hipError_tPvRmT1_T2_T3_mT4_P12ihipStream_tbEUlT_E0_NS1_11comp_targetILNS1_3genE2ELNS1_11target_archE906ELNS1_3gpuE6ELNS1_3repE0EEENS1_30default_config_static_selectorELNS0_4arch9wavefront6targetE0EEEvSQ_
; %bb.0:
	.section	.rodata,"a",@progbits
	.p2align	6, 0x0
	.amdhsa_kernel _ZN7rocprim17ROCPRIM_400000_NS6detail17trampoline_kernelINS0_14default_configENS1_22reduce_config_selectorIiEEZNS1_11reduce_implILb1ES3_PiS7_iN6hipcub16HIPCUB_304000_NS6detail34convert_binary_result_type_wrapperISt4plusIvENS9_22TransformInputIteratorIiN2at6native8internal21MapNumberOfTrueValuesEPKhlEEiEEEE10hipError_tPvRmT1_T2_T3_mT4_P12ihipStream_tbEUlT_E0_NS1_11comp_targetILNS1_3genE2ELNS1_11target_archE906ELNS1_3gpuE6ELNS1_3repE0EEENS1_30default_config_static_selectorELNS0_4arch9wavefront6targetE0EEEvSQ_
		.amdhsa_group_segment_fixed_size 0
		.amdhsa_private_segment_fixed_size 0
		.amdhsa_kernarg_size 56
		.amdhsa_user_sgpr_count 2
		.amdhsa_user_sgpr_dispatch_ptr 0
		.amdhsa_user_sgpr_queue_ptr 0
		.amdhsa_user_sgpr_kernarg_segment_ptr 1
		.amdhsa_user_sgpr_dispatch_id 0
		.amdhsa_user_sgpr_kernarg_preload_length 0
		.amdhsa_user_sgpr_kernarg_preload_offset 0
		.amdhsa_user_sgpr_private_segment_size 0
		.amdhsa_wavefront_size32 1
		.amdhsa_uses_dynamic_stack 0
		.amdhsa_enable_private_segment 0
		.amdhsa_system_sgpr_workgroup_id_x 1
		.amdhsa_system_sgpr_workgroup_id_y 0
		.amdhsa_system_sgpr_workgroup_id_z 0
		.amdhsa_system_sgpr_workgroup_info 0
		.amdhsa_system_vgpr_workitem_id 0
		.amdhsa_next_free_vgpr 1
		.amdhsa_next_free_sgpr 1
		.amdhsa_named_barrier_count 0
		.amdhsa_reserve_vcc 0
		.amdhsa_float_round_mode_32 0
		.amdhsa_float_round_mode_16_64 0
		.amdhsa_float_denorm_mode_32 3
		.amdhsa_float_denorm_mode_16_64 3
		.amdhsa_fp16_overflow 0
		.amdhsa_memory_ordered 1
		.amdhsa_forward_progress 1
		.amdhsa_inst_pref_size 0
		.amdhsa_round_robin_scheduling 0
		.amdhsa_exception_fp_ieee_invalid_op 0
		.amdhsa_exception_fp_denorm_src 0
		.amdhsa_exception_fp_ieee_div_zero 0
		.amdhsa_exception_fp_ieee_overflow 0
		.amdhsa_exception_fp_ieee_underflow 0
		.amdhsa_exception_fp_ieee_inexact 0
		.amdhsa_exception_int_div_zero 0
	.end_amdhsa_kernel
	.section	.text._ZN7rocprim17ROCPRIM_400000_NS6detail17trampoline_kernelINS0_14default_configENS1_22reduce_config_selectorIiEEZNS1_11reduce_implILb1ES3_PiS7_iN6hipcub16HIPCUB_304000_NS6detail34convert_binary_result_type_wrapperISt4plusIvENS9_22TransformInputIteratorIiN2at6native8internal21MapNumberOfTrueValuesEPKhlEEiEEEE10hipError_tPvRmT1_T2_T3_mT4_P12ihipStream_tbEUlT_E0_NS1_11comp_targetILNS1_3genE2ELNS1_11target_archE906ELNS1_3gpuE6ELNS1_3repE0EEENS1_30default_config_static_selectorELNS0_4arch9wavefront6targetE0EEEvSQ_,"axG",@progbits,_ZN7rocprim17ROCPRIM_400000_NS6detail17trampoline_kernelINS0_14default_configENS1_22reduce_config_selectorIiEEZNS1_11reduce_implILb1ES3_PiS7_iN6hipcub16HIPCUB_304000_NS6detail34convert_binary_result_type_wrapperISt4plusIvENS9_22TransformInputIteratorIiN2at6native8internal21MapNumberOfTrueValuesEPKhlEEiEEEE10hipError_tPvRmT1_T2_T3_mT4_P12ihipStream_tbEUlT_E0_NS1_11comp_targetILNS1_3genE2ELNS1_11target_archE906ELNS1_3gpuE6ELNS1_3repE0EEENS1_30default_config_static_selectorELNS0_4arch9wavefront6targetE0EEEvSQ_,comdat
.Lfunc_end101:
	.size	_ZN7rocprim17ROCPRIM_400000_NS6detail17trampoline_kernelINS0_14default_configENS1_22reduce_config_selectorIiEEZNS1_11reduce_implILb1ES3_PiS7_iN6hipcub16HIPCUB_304000_NS6detail34convert_binary_result_type_wrapperISt4plusIvENS9_22TransformInputIteratorIiN2at6native8internal21MapNumberOfTrueValuesEPKhlEEiEEEE10hipError_tPvRmT1_T2_T3_mT4_P12ihipStream_tbEUlT_E0_NS1_11comp_targetILNS1_3genE2ELNS1_11target_archE906ELNS1_3gpuE6ELNS1_3repE0EEENS1_30default_config_static_selectorELNS0_4arch9wavefront6targetE0EEEvSQ_, .Lfunc_end101-_ZN7rocprim17ROCPRIM_400000_NS6detail17trampoline_kernelINS0_14default_configENS1_22reduce_config_selectorIiEEZNS1_11reduce_implILb1ES3_PiS7_iN6hipcub16HIPCUB_304000_NS6detail34convert_binary_result_type_wrapperISt4plusIvENS9_22TransformInputIteratorIiN2at6native8internal21MapNumberOfTrueValuesEPKhlEEiEEEE10hipError_tPvRmT1_T2_T3_mT4_P12ihipStream_tbEUlT_E0_NS1_11comp_targetILNS1_3genE2ELNS1_11target_archE906ELNS1_3gpuE6ELNS1_3repE0EEENS1_30default_config_static_selectorELNS0_4arch9wavefront6targetE0EEEvSQ_
                                        ; -- End function
	.set _ZN7rocprim17ROCPRIM_400000_NS6detail17trampoline_kernelINS0_14default_configENS1_22reduce_config_selectorIiEEZNS1_11reduce_implILb1ES3_PiS7_iN6hipcub16HIPCUB_304000_NS6detail34convert_binary_result_type_wrapperISt4plusIvENS9_22TransformInputIteratorIiN2at6native8internal21MapNumberOfTrueValuesEPKhlEEiEEEE10hipError_tPvRmT1_T2_T3_mT4_P12ihipStream_tbEUlT_E0_NS1_11comp_targetILNS1_3genE2ELNS1_11target_archE906ELNS1_3gpuE6ELNS1_3repE0EEENS1_30default_config_static_selectorELNS0_4arch9wavefront6targetE0EEEvSQ_.num_vgpr, 0
	.set _ZN7rocprim17ROCPRIM_400000_NS6detail17trampoline_kernelINS0_14default_configENS1_22reduce_config_selectorIiEEZNS1_11reduce_implILb1ES3_PiS7_iN6hipcub16HIPCUB_304000_NS6detail34convert_binary_result_type_wrapperISt4plusIvENS9_22TransformInputIteratorIiN2at6native8internal21MapNumberOfTrueValuesEPKhlEEiEEEE10hipError_tPvRmT1_T2_T3_mT4_P12ihipStream_tbEUlT_E0_NS1_11comp_targetILNS1_3genE2ELNS1_11target_archE906ELNS1_3gpuE6ELNS1_3repE0EEENS1_30default_config_static_selectorELNS0_4arch9wavefront6targetE0EEEvSQ_.num_agpr, 0
	.set _ZN7rocprim17ROCPRIM_400000_NS6detail17trampoline_kernelINS0_14default_configENS1_22reduce_config_selectorIiEEZNS1_11reduce_implILb1ES3_PiS7_iN6hipcub16HIPCUB_304000_NS6detail34convert_binary_result_type_wrapperISt4plusIvENS9_22TransformInputIteratorIiN2at6native8internal21MapNumberOfTrueValuesEPKhlEEiEEEE10hipError_tPvRmT1_T2_T3_mT4_P12ihipStream_tbEUlT_E0_NS1_11comp_targetILNS1_3genE2ELNS1_11target_archE906ELNS1_3gpuE6ELNS1_3repE0EEENS1_30default_config_static_selectorELNS0_4arch9wavefront6targetE0EEEvSQ_.numbered_sgpr, 0
	.set _ZN7rocprim17ROCPRIM_400000_NS6detail17trampoline_kernelINS0_14default_configENS1_22reduce_config_selectorIiEEZNS1_11reduce_implILb1ES3_PiS7_iN6hipcub16HIPCUB_304000_NS6detail34convert_binary_result_type_wrapperISt4plusIvENS9_22TransformInputIteratorIiN2at6native8internal21MapNumberOfTrueValuesEPKhlEEiEEEE10hipError_tPvRmT1_T2_T3_mT4_P12ihipStream_tbEUlT_E0_NS1_11comp_targetILNS1_3genE2ELNS1_11target_archE906ELNS1_3gpuE6ELNS1_3repE0EEENS1_30default_config_static_selectorELNS0_4arch9wavefront6targetE0EEEvSQ_.num_named_barrier, 0
	.set _ZN7rocprim17ROCPRIM_400000_NS6detail17trampoline_kernelINS0_14default_configENS1_22reduce_config_selectorIiEEZNS1_11reduce_implILb1ES3_PiS7_iN6hipcub16HIPCUB_304000_NS6detail34convert_binary_result_type_wrapperISt4plusIvENS9_22TransformInputIteratorIiN2at6native8internal21MapNumberOfTrueValuesEPKhlEEiEEEE10hipError_tPvRmT1_T2_T3_mT4_P12ihipStream_tbEUlT_E0_NS1_11comp_targetILNS1_3genE2ELNS1_11target_archE906ELNS1_3gpuE6ELNS1_3repE0EEENS1_30default_config_static_selectorELNS0_4arch9wavefront6targetE0EEEvSQ_.private_seg_size, 0
	.set _ZN7rocprim17ROCPRIM_400000_NS6detail17trampoline_kernelINS0_14default_configENS1_22reduce_config_selectorIiEEZNS1_11reduce_implILb1ES3_PiS7_iN6hipcub16HIPCUB_304000_NS6detail34convert_binary_result_type_wrapperISt4plusIvENS9_22TransformInputIteratorIiN2at6native8internal21MapNumberOfTrueValuesEPKhlEEiEEEE10hipError_tPvRmT1_T2_T3_mT4_P12ihipStream_tbEUlT_E0_NS1_11comp_targetILNS1_3genE2ELNS1_11target_archE906ELNS1_3gpuE6ELNS1_3repE0EEENS1_30default_config_static_selectorELNS0_4arch9wavefront6targetE0EEEvSQ_.uses_vcc, 0
	.set _ZN7rocprim17ROCPRIM_400000_NS6detail17trampoline_kernelINS0_14default_configENS1_22reduce_config_selectorIiEEZNS1_11reduce_implILb1ES3_PiS7_iN6hipcub16HIPCUB_304000_NS6detail34convert_binary_result_type_wrapperISt4plusIvENS9_22TransformInputIteratorIiN2at6native8internal21MapNumberOfTrueValuesEPKhlEEiEEEE10hipError_tPvRmT1_T2_T3_mT4_P12ihipStream_tbEUlT_E0_NS1_11comp_targetILNS1_3genE2ELNS1_11target_archE906ELNS1_3gpuE6ELNS1_3repE0EEENS1_30default_config_static_selectorELNS0_4arch9wavefront6targetE0EEEvSQ_.uses_flat_scratch, 0
	.set _ZN7rocprim17ROCPRIM_400000_NS6detail17trampoline_kernelINS0_14default_configENS1_22reduce_config_selectorIiEEZNS1_11reduce_implILb1ES3_PiS7_iN6hipcub16HIPCUB_304000_NS6detail34convert_binary_result_type_wrapperISt4plusIvENS9_22TransformInputIteratorIiN2at6native8internal21MapNumberOfTrueValuesEPKhlEEiEEEE10hipError_tPvRmT1_T2_T3_mT4_P12ihipStream_tbEUlT_E0_NS1_11comp_targetILNS1_3genE2ELNS1_11target_archE906ELNS1_3gpuE6ELNS1_3repE0EEENS1_30default_config_static_selectorELNS0_4arch9wavefront6targetE0EEEvSQ_.has_dyn_sized_stack, 0
	.set _ZN7rocprim17ROCPRIM_400000_NS6detail17trampoline_kernelINS0_14default_configENS1_22reduce_config_selectorIiEEZNS1_11reduce_implILb1ES3_PiS7_iN6hipcub16HIPCUB_304000_NS6detail34convert_binary_result_type_wrapperISt4plusIvENS9_22TransformInputIteratorIiN2at6native8internal21MapNumberOfTrueValuesEPKhlEEiEEEE10hipError_tPvRmT1_T2_T3_mT4_P12ihipStream_tbEUlT_E0_NS1_11comp_targetILNS1_3genE2ELNS1_11target_archE906ELNS1_3gpuE6ELNS1_3repE0EEENS1_30default_config_static_selectorELNS0_4arch9wavefront6targetE0EEEvSQ_.has_recursion, 0
	.set _ZN7rocprim17ROCPRIM_400000_NS6detail17trampoline_kernelINS0_14default_configENS1_22reduce_config_selectorIiEEZNS1_11reduce_implILb1ES3_PiS7_iN6hipcub16HIPCUB_304000_NS6detail34convert_binary_result_type_wrapperISt4plusIvENS9_22TransformInputIteratorIiN2at6native8internal21MapNumberOfTrueValuesEPKhlEEiEEEE10hipError_tPvRmT1_T2_T3_mT4_P12ihipStream_tbEUlT_E0_NS1_11comp_targetILNS1_3genE2ELNS1_11target_archE906ELNS1_3gpuE6ELNS1_3repE0EEENS1_30default_config_static_selectorELNS0_4arch9wavefront6targetE0EEEvSQ_.has_indirect_call, 0
	.section	.AMDGPU.csdata,"",@progbits
; Kernel info:
; codeLenInByte = 0
; TotalNumSgprs: 0
; NumVgprs: 0
; ScratchSize: 0
; MemoryBound: 0
; FloatMode: 240
; IeeeMode: 1
; LDSByteSize: 0 bytes/workgroup (compile time only)
; SGPRBlocks: 0
; VGPRBlocks: 0
; NumSGPRsForWavesPerEU: 1
; NumVGPRsForWavesPerEU: 1
; NamedBarCnt: 0
; Occupancy: 16
; WaveLimiterHint : 0
; COMPUTE_PGM_RSRC2:SCRATCH_EN: 0
; COMPUTE_PGM_RSRC2:USER_SGPR: 2
; COMPUTE_PGM_RSRC2:TRAP_HANDLER: 0
; COMPUTE_PGM_RSRC2:TGID_X_EN: 1
; COMPUTE_PGM_RSRC2:TGID_Y_EN: 0
; COMPUTE_PGM_RSRC2:TGID_Z_EN: 0
; COMPUTE_PGM_RSRC2:TIDIG_COMP_CNT: 0
	.section	.text._ZN7rocprim17ROCPRIM_400000_NS6detail17trampoline_kernelINS0_14default_configENS1_22reduce_config_selectorIiEEZNS1_11reduce_implILb1ES3_PiS7_iN6hipcub16HIPCUB_304000_NS6detail34convert_binary_result_type_wrapperISt4plusIvENS9_22TransformInputIteratorIiN2at6native8internal21MapNumberOfTrueValuesEPKhlEEiEEEE10hipError_tPvRmT1_T2_T3_mT4_P12ihipStream_tbEUlT_E0_NS1_11comp_targetILNS1_3genE10ELNS1_11target_archE1201ELNS1_3gpuE5ELNS1_3repE0EEENS1_30default_config_static_selectorELNS0_4arch9wavefront6targetE0EEEvSQ_,"axG",@progbits,_ZN7rocprim17ROCPRIM_400000_NS6detail17trampoline_kernelINS0_14default_configENS1_22reduce_config_selectorIiEEZNS1_11reduce_implILb1ES3_PiS7_iN6hipcub16HIPCUB_304000_NS6detail34convert_binary_result_type_wrapperISt4plusIvENS9_22TransformInputIteratorIiN2at6native8internal21MapNumberOfTrueValuesEPKhlEEiEEEE10hipError_tPvRmT1_T2_T3_mT4_P12ihipStream_tbEUlT_E0_NS1_11comp_targetILNS1_3genE10ELNS1_11target_archE1201ELNS1_3gpuE5ELNS1_3repE0EEENS1_30default_config_static_selectorELNS0_4arch9wavefront6targetE0EEEvSQ_,comdat
	.protected	_ZN7rocprim17ROCPRIM_400000_NS6detail17trampoline_kernelINS0_14default_configENS1_22reduce_config_selectorIiEEZNS1_11reduce_implILb1ES3_PiS7_iN6hipcub16HIPCUB_304000_NS6detail34convert_binary_result_type_wrapperISt4plusIvENS9_22TransformInputIteratorIiN2at6native8internal21MapNumberOfTrueValuesEPKhlEEiEEEE10hipError_tPvRmT1_T2_T3_mT4_P12ihipStream_tbEUlT_E0_NS1_11comp_targetILNS1_3genE10ELNS1_11target_archE1201ELNS1_3gpuE5ELNS1_3repE0EEENS1_30default_config_static_selectorELNS0_4arch9wavefront6targetE0EEEvSQ_ ; -- Begin function _ZN7rocprim17ROCPRIM_400000_NS6detail17trampoline_kernelINS0_14default_configENS1_22reduce_config_selectorIiEEZNS1_11reduce_implILb1ES3_PiS7_iN6hipcub16HIPCUB_304000_NS6detail34convert_binary_result_type_wrapperISt4plusIvENS9_22TransformInputIteratorIiN2at6native8internal21MapNumberOfTrueValuesEPKhlEEiEEEE10hipError_tPvRmT1_T2_T3_mT4_P12ihipStream_tbEUlT_E0_NS1_11comp_targetILNS1_3genE10ELNS1_11target_archE1201ELNS1_3gpuE5ELNS1_3repE0EEENS1_30default_config_static_selectorELNS0_4arch9wavefront6targetE0EEEvSQ_
	.globl	_ZN7rocprim17ROCPRIM_400000_NS6detail17trampoline_kernelINS0_14default_configENS1_22reduce_config_selectorIiEEZNS1_11reduce_implILb1ES3_PiS7_iN6hipcub16HIPCUB_304000_NS6detail34convert_binary_result_type_wrapperISt4plusIvENS9_22TransformInputIteratorIiN2at6native8internal21MapNumberOfTrueValuesEPKhlEEiEEEE10hipError_tPvRmT1_T2_T3_mT4_P12ihipStream_tbEUlT_E0_NS1_11comp_targetILNS1_3genE10ELNS1_11target_archE1201ELNS1_3gpuE5ELNS1_3repE0EEENS1_30default_config_static_selectorELNS0_4arch9wavefront6targetE0EEEvSQ_
	.p2align	8
	.type	_ZN7rocprim17ROCPRIM_400000_NS6detail17trampoline_kernelINS0_14default_configENS1_22reduce_config_selectorIiEEZNS1_11reduce_implILb1ES3_PiS7_iN6hipcub16HIPCUB_304000_NS6detail34convert_binary_result_type_wrapperISt4plusIvENS9_22TransformInputIteratorIiN2at6native8internal21MapNumberOfTrueValuesEPKhlEEiEEEE10hipError_tPvRmT1_T2_T3_mT4_P12ihipStream_tbEUlT_E0_NS1_11comp_targetILNS1_3genE10ELNS1_11target_archE1201ELNS1_3gpuE5ELNS1_3repE0EEENS1_30default_config_static_selectorELNS0_4arch9wavefront6targetE0EEEvSQ_,@function
_ZN7rocprim17ROCPRIM_400000_NS6detail17trampoline_kernelINS0_14default_configENS1_22reduce_config_selectorIiEEZNS1_11reduce_implILb1ES3_PiS7_iN6hipcub16HIPCUB_304000_NS6detail34convert_binary_result_type_wrapperISt4plusIvENS9_22TransformInputIteratorIiN2at6native8internal21MapNumberOfTrueValuesEPKhlEEiEEEE10hipError_tPvRmT1_T2_T3_mT4_P12ihipStream_tbEUlT_E0_NS1_11comp_targetILNS1_3genE10ELNS1_11target_archE1201ELNS1_3gpuE5ELNS1_3repE0EEENS1_30default_config_static_selectorELNS0_4arch9wavefront6targetE0EEEvSQ_: ; @_ZN7rocprim17ROCPRIM_400000_NS6detail17trampoline_kernelINS0_14default_configENS1_22reduce_config_selectorIiEEZNS1_11reduce_implILb1ES3_PiS7_iN6hipcub16HIPCUB_304000_NS6detail34convert_binary_result_type_wrapperISt4plusIvENS9_22TransformInputIteratorIiN2at6native8internal21MapNumberOfTrueValuesEPKhlEEiEEEE10hipError_tPvRmT1_T2_T3_mT4_P12ihipStream_tbEUlT_E0_NS1_11comp_targetILNS1_3genE10ELNS1_11target_archE1201ELNS1_3gpuE5ELNS1_3repE0EEENS1_30default_config_static_selectorELNS0_4arch9wavefront6targetE0EEEvSQ_
; %bb.0:
	.section	.rodata,"a",@progbits
	.p2align	6, 0x0
	.amdhsa_kernel _ZN7rocprim17ROCPRIM_400000_NS6detail17trampoline_kernelINS0_14default_configENS1_22reduce_config_selectorIiEEZNS1_11reduce_implILb1ES3_PiS7_iN6hipcub16HIPCUB_304000_NS6detail34convert_binary_result_type_wrapperISt4plusIvENS9_22TransformInputIteratorIiN2at6native8internal21MapNumberOfTrueValuesEPKhlEEiEEEE10hipError_tPvRmT1_T2_T3_mT4_P12ihipStream_tbEUlT_E0_NS1_11comp_targetILNS1_3genE10ELNS1_11target_archE1201ELNS1_3gpuE5ELNS1_3repE0EEENS1_30default_config_static_selectorELNS0_4arch9wavefront6targetE0EEEvSQ_
		.amdhsa_group_segment_fixed_size 0
		.amdhsa_private_segment_fixed_size 0
		.amdhsa_kernarg_size 56
		.amdhsa_user_sgpr_count 2
		.amdhsa_user_sgpr_dispatch_ptr 0
		.amdhsa_user_sgpr_queue_ptr 0
		.amdhsa_user_sgpr_kernarg_segment_ptr 1
		.amdhsa_user_sgpr_dispatch_id 0
		.amdhsa_user_sgpr_kernarg_preload_length 0
		.amdhsa_user_sgpr_kernarg_preload_offset 0
		.amdhsa_user_sgpr_private_segment_size 0
		.amdhsa_wavefront_size32 1
		.amdhsa_uses_dynamic_stack 0
		.amdhsa_enable_private_segment 0
		.amdhsa_system_sgpr_workgroup_id_x 1
		.amdhsa_system_sgpr_workgroup_id_y 0
		.amdhsa_system_sgpr_workgroup_id_z 0
		.amdhsa_system_sgpr_workgroup_info 0
		.amdhsa_system_vgpr_workitem_id 0
		.amdhsa_next_free_vgpr 1
		.amdhsa_next_free_sgpr 1
		.amdhsa_named_barrier_count 0
		.amdhsa_reserve_vcc 0
		.amdhsa_float_round_mode_32 0
		.amdhsa_float_round_mode_16_64 0
		.amdhsa_float_denorm_mode_32 3
		.amdhsa_float_denorm_mode_16_64 3
		.amdhsa_fp16_overflow 0
		.amdhsa_memory_ordered 1
		.amdhsa_forward_progress 1
		.amdhsa_inst_pref_size 0
		.amdhsa_round_robin_scheduling 0
		.amdhsa_exception_fp_ieee_invalid_op 0
		.amdhsa_exception_fp_denorm_src 0
		.amdhsa_exception_fp_ieee_div_zero 0
		.amdhsa_exception_fp_ieee_overflow 0
		.amdhsa_exception_fp_ieee_underflow 0
		.amdhsa_exception_fp_ieee_inexact 0
		.amdhsa_exception_int_div_zero 0
	.end_amdhsa_kernel
	.section	.text._ZN7rocprim17ROCPRIM_400000_NS6detail17trampoline_kernelINS0_14default_configENS1_22reduce_config_selectorIiEEZNS1_11reduce_implILb1ES3_PiS7_iN6hipcub16HIPCUB_304000_NS6detail34convert_binary_result_type_wrapperISt4plusIvENS9_22TransformInputIteratorIiN2at6native8internal21MapNumberOfTrueValuesEPKhlEEiEEEE10hipError_tPvRmT1_T2_T3_mT4_P12ihipStream_tbEUlT_E0_NS1_11comp_targetILNS1_3genE10ELNS1_11target_archE1201ELNS1_3gpuE5ELNS1_3repE0EEENS1_30default_config_static_selectorELNS0_4arch9wavefront6targetE0EEEvSQ_,"axG",@progbits,_ZN7rocprim17ROCPRIM_400000_NS6detail17trampoline_kernelINS0_14default_configENS1_22reduce_config_selectorIiEEZNS1_11reduce_implILb1ES3_PiS7_iN6hipcub16HIPCUB_304000_NS6detail34convert_binary_result_type_wrapperISt4plusIvENS9_22TransformInputIteratorIiN2at6native8internal21MapNumberOfTrueValuesEPKhlEEiEEEE10hipError_tPvRmT1_T2_T3_mT4_P12ihipStream_tbEUlT_E0_NS1_11comp_targetILNS1_3genE10ELNS1_11target_archE1201ELNS1_3gpuE5ELNS1_3repE0EEENS1_30default_config_static_selectorELNS0_4arch9wavefront6targetE0EEEvSQ_,comdat
.Lfunc_end102:
	.size	_ZN7rocprim17ROCPRIM_400000_NS6detail17trampoline_kernelINS0_14default_configENS1_22reduce_config_selectorIiEEZNS1_11reduce_implILb1ES3_PiS7_iN6hipcub16HIPCUB_304000_NS6detail34convert_binary_result_type_wrapperISt4plusIvENS9_22TransformInputIteratorIiN2at6native8internal21MapNumberOfTrueValuesEPKhlEEiEEEE10hipError_tPvRmT1_T2_T3_mT4_P12ihipStream_tbEUlT_E0_NS1_11comp_targetILNS1_3genE10ELNS1_11target_archE1201ELNS1_3gpuE5ELNS1_3repE0EEENS1_30default_config_static_selectorELNS0_4arch9wavefront6targetE0EEEvSQ_, .Lfunc_end102-_ZN7rocprim17ROCPRIM_400000_NS6detail17trampoline_kernelINS0_14default_configENS1_22reduce_config_selectorIiEEZNS1_11reduce_implILb1ES3_PiS7_iN6hipcub16HIPCUB_304000_NS6detail34convert_binary_result_type_wrapperISt4plusIvENS9_22TransformInputIteratorIiN2at6native8internal21MapNumberOfTrueValuesEPKhlEEiEEEE10hipError_tPvRmT1_T2_T3_mT4_P12ihipStream_tbEUlT_E0_NS1_11comp_targetILNS1_3genE10ELNS1_11target_archE1201ELNS1_3gpuE5ELNS1_3repE0EEENS1_30default_config_static_selectorELNS0_4arch9wavefront6targetE0EEEvSQ_
                                        ; -- End function
	.set _ZN7rocprim17ROCPRIM_400000_NS6detail17trampoline_kernelINS0_14default_configENS1_22reduce_config_selectorIiEEZNS1_11reduce_implILb1ES3_PiS7_iN6hipcub16HIPCUB_304000_NS6detail34convert_binary_result_type_wrapperISt4plusIvENS9_22TransformInputIteratorIiN2at6native8internal21MapNumberOfTrueValuesEPKhlEEiEEEE10hipError_tPvRmT1_T2_T3_mT4_P12ihipStream_tbEUlT_E0_NS1_11comp_targetILNS1_3genE10ELNS1_11target_archE1201ELNS1_3gpuE5ELNS1_3repE0EEENS1_30default_config_static_selectorELNS0_4arch9wavefront6targetE0EEEvSQ_.num_vgpr, 0
	.set _ZN7rocprim17ROCPRIM_400000_NS6detail17trampoline_kernelINS0_14default_configENS1_22reduce_config_selectorIiEEZNS1_11reduce_implILb1ES3_PiS7_iN6hipcub16HIPCUB_304000_NS6detail34convert_binary_result_type_wrapperISt4plusIvENS9_22TransformInputIteratorIiN2at6native8internal21MapNumberOfTrueValuesEPKhlEEiEEEE10hipError_tPvRmT1_T2_T3_mT4_P12ihipStream_tbEUlT_E0_NS1_11comp_targetILNS1_3genE10ELNS1_11target_archE1201ELNS1_3gpuE5ELNS1_3repE0EEENS1_30default_config_static_selectorELNS0_4arch9wavefront6targetE0EEEvSQ_.num_agpr, 0
	.set _ZN7rocprim17ROCPRIM_400000_NS6detail17trampoline_kernelINS0_14default_configENS1_22reduce_config_selectorIiEEZNS1_11reduce_implILb1ES3_PiS7_iN6hipcub16HIPCUB_304000_NS6detail34convert_binary_result_type_wrapperISt4plusIvENS9_22TransformInputIteratorIiN2at6native8internal21MapNumberOfTrueValuesEPKhlEEiEEEE10hipError_tPvRmT1_T2_T3_mT4_P12ihipStream_tbEUlT_E0_NS1_11comp_targetILNS1_3genE10ELNS1_11target_archE1201ELNS1_3gpuE5ELNS1_3repE0EEENS1_30default_config_static_selectorELNS0_4arch9wavefront6targetE0EEEvSQ_.numbered_sgpr, 0
	.set _ZN7rocprim17ROCPRIM_400000_NS6detail17trampoline_kernelINS0_14default_configENS1_22reduce_config_selectorIiEEZNS1_11reduce_implILb1ES3_PiS7_iN6hipcub16HIPCUB_304000_NS6detail34convert_binary_result_type_wrapperISt4plusIvENS9_22TransformInputIteratorIiN2at6native8internal21MapNumberOfTrueValuesEPKhlEEiEEEE10hipError_tPvRmT1_T2_T3_mT4_P12ihipStream_tbEUlT_E0_NS1_11comp_targetILNS1_3genE10ELNS1_11target_archE1201ELNS1_3gpuE5ELNS1_3repE0EEENS1_30default_config_static_selectorELNS0_4arch9wavefront6targetE0EEEvSQ_.num_named_barrier, 0
	.set _ZN7rocprim17ROCPRIM_400000_NS6detail17trampoline_kernelINS0_14default_configENS1_22reduce_config_selectorIiEEZNS1_11reduce_implILb1ES3_PiS7_iN6hipcub16HIPCUB_304000_NS6detail34convert_binary_result_type_wrapperISt4plusIvENS9_22TransformInputIteratorIiN2at6native8internal21MapNumberOfTrueValuesEPKhlEEiEEEE10hipError_tPvRmT1_T2_T3_mT4_P12ihipStream_tbEUlT_E0_NS1_11comp_targetILNS1_3genE10ELNS1_11target_archE1201ELNS1_3gpuE5ELNS1_3repE0EEENS1_30default_config_static_selectorELNS0_4arch9wavefront6targetE0EEEvSQ_.private_seg_size, 0
	.set _ZN7rocprim17ROCPRIM_400000_NS6detail17trampoline_kernelINS0_14default_configENS1_22reduce_config_selectorIiEEZNS1_11reduce_implILb1ES3_PiS7_iN6hipcub16HIPCUB_304000_NS6detail34convert_binary_result_type_wrapperISt4plusIvENS9_22TransformInputIteratorIiN2at6native8internal21MapNumberOfTrueValuesEPKhlEEiEEEE10hipError_tPvRmT1_T2_T3_mT4_P12ihipStream_tbEUlT_E0_NS1_11comp_targetILNS1_3genE10ELNS1_11target_archE1201ELNS1_3gpuE5ELNS1_3repE0EEENS1_30default_config_static_selectorELNS0_4arch9wavefront6targetE0EEEvSQ_.uses_vcc, 0
	.set _ZN7rocprim17ROCPRIM_400000_NS6detail17trampoline_kernelINS0_14default_configENS1_22reduce_config_selectorIiEEZNS1_11reduce_implILb1ES3_PiS7_iN6hipcub16HIPCUB_304000_NS6detail34convert_binary_result_type_wrapperISt4plusIvENS9_22TransformInputIteratorIiN2at6native8internal21MapNumberOfTrueValuesEPKhlEEiEEEE10hipError_tPvRmT1_T2_T3_mT4_P12ihipStream_tbEUlT_E0_NS1_11comp_targetILNS1_3genE10ELNS1_11target_archE1201ELNS1_3gpuE5ELNS1_3repE0EEENS1_30default_config_static_selectorELNS0_4arch9wavefront6targetE0EEEvSQ_.uses_flat_scratch, 0
	.set _ZN7rocprim17ROCPRIM_400000_NS6detail17trampoline_kernelINS0_14default_configENS1_22reduce_config_selectorIiEEZNS1_11reduce_implILb1ES3_PiS7_iN6hipcub16HIPCUB_304000_NS6detail34convert_binary_result_type_wrapperISt4plusIvENS9_22TransformInputIteratorIiN2at6native8internal21MapNumberOfTrueValuesEPKhlEEiEEEE10hipError_tPvRmT1_T2_T3_mT4_P12ihipStream_tbEUlT_E0_NS1_11comp_targetILNS1_3genE10ELNS1_11target_archE1201ELNS1_3gpuE5ELNS1_3repE0EEENS1_30default_config_static_selectorELNS0_4arch9wavefront6targetE0EEEvSQ_.has_dyn_sized_stack, 0
	.set _ZN7rocprim17ROCPRIM_400000_NS6detail17trampoline_kernelINS0_14default_configENS1_22reduce_config_selectorIiEEZNS1_11reduce_implILb1ES3_PiS7_iN6hipcub16HIPCUB_304000_NS6detail34convert_binary_result_type_wrapperISt4plusIvENS9_22TransformInputIteratorIiN2at6native8internal21MapNumberOfTrueValuesEPKhlEEiEEEE10hipError_tPvRmT1_T2_T3_mT4_P12ihipStream_tbEUlT_E0_NS1_11comp_targetILNS1_3genE10ELNS1_11target_archE1201ELNS1_3gpuE5ELNS1_3repE0EEENS1_30default_config_static_selectorELNS0_4arch9wavefront6targetE0EEEvSQ_.has_recursion, 0
	.set _ZN7rocprim17ROCPRIM_400000_NS6detail17trampoline_kernelINS0_14default_configENS1_22reduce_config_selectorIiEEZNS1_11reduce_implILb1ES3_PiS7_iN6hipcub16HIPCUB_304000_NS6detail34convert_binary_result_type_wrapperISt4plusIvENS9_22TransformInputIteratorIiN2at6native8internal21MapNumberOfTrueValuesEPKhlEEiEEEE10hipError_tPvRmT1_T2_T3_mT4_P12ihipStream_tbEUlT_E0_NS1_11comp_targetILNS1_3genE10ELNS1_11target_archE1201ELNS1_3gpuE5ELNS1_3repE0EEENS1_30default_config_static_selectorELNS0_4arch9wavefront6targetE0EEEvSQ_.has_indirect_call, 0
	.section	.AMDGPU.csdata,"",@progbits
; Kernel info:
; codeLenInByte = 0
; TotalNumSgprs: 0
; NumVgprs: 0
; ScratchSize: 0
; MemoryBound: 0
; FloatMode: 240
; IeeeMode: 1
; LDSByteSize: 0 bytes/workgroup (compile time only)
; SGPRBlocks: 0
; VGPRBlocks: 0
; NumSGPRsForWavesPerEU: 1
; NumVGPRsForWavesPerEU: 1
; NamedBarCnt: 0
; Occupancy: 16
; WaveLimiterHint : 0
; COMPUTE_PGM_RSRC2:SCRATCH_EN: 0
; COMPUTE_PGM_RSRC2:USER_SGPR: 2
; COMPUTE_PGM_RSRC2:TRAP_HANDLER: 0
; COMPUTE_PGM_RSRC2:TGID_X_EN: 1
; COMPUTE_PGM_RSRC2:TGID_Y_EN: 0
; COMPUTE_PGM_RSRC2:TGID_Z_EN: 0
; COMPUTE_PGM_RSRC2:TIDIG_COMP_CNT: 0
	.section	.text._ZN7rocprim17ROCPRIM_400000_NS6detail17trampoline_kernelINS0_14default_configENS1_22reduce_config_selectorIiEEZNS1_11reduce_implILb1ES3_PiS7_iN6hipcub16HIPCUB_304000_NS6detail34convert_binary_result_type_wrapperISt4plusIvENS9_22TransformInputIteratorIiN2at6native8internal21MapNumberOfTrueValuesEPKhlEEiEEEE10hipError_tPvRmT1_T2_T3_mT4_P12ihipStream_tbEUlT_E0_NS1_11comp_targetILNS1_3genE10ELNS1_11target_archE1200ELNS1_3gpuE4ELNS1_3repE0EEENS1_30default_config_static_selectorELNS0_4arch9wavefront6targetE0EEEvSQ_,"axG",@progbits,_ZN7rocprim17ROCPRIM_400000_NS6detail17trampoline_kernelINS0_14default_configENS1_22reduce_config_selectorIiEEZNS1_11reduce_implILb1ES3_PiS7_iN6hipcub16HIPCUB_304000_NS6detail34convert_binary_result_type_wrapperISt4plusIvENS9_22TransformInputIteratorIiN2at6native8internal21MapNumberOfTrueValuesEPKhlEEiEEEE10hipError_tPvRmT1_T2_T3_mT4_P12ihipStream_tbEUlT_E0_NS1_11comp_targetILNS1_3genE10ELNS1_11target_archE1200ELNS1_3gpuE4ELNS1_3repE0EEENS1_30default_config_static_selectorELNS0_4arch9wavefront6targetE0EEEvSQ_,comdat
	.protected	_ZN7rocprim17ROCPRIM_400000_NS6detail17trampoline_kernelINS0_14default_configENS1_22reduce_config_selectorIiEEZNS1_11reduce_implILb1ES3_PiS7_iN6hipcub16HIPCUB_304000_NS6detail34convert_binary_result_type_wrapperISt4plusIvENS9_22TransformInputIteratorIiN2at6native8internal21MapNumberOfTrueValuesEPKhlEEiEEEE10hipError_tPvRmT1_T2_T3_mT4_P12ihipStream_tbEUlT_E0_NS1_11comp_targetILNS1_3genE10ELNS1_11target_archE1200ELNS1_3gpuE4ELNS1_3repE0EEENS1_30default_config_static_selectorELNS0_4arch9wavefront6targetE0EEEvSQ_ ; -- Begin function _ZN7rocprim17ROCPRIM_400000_NS6detail17trampoline_kernelINS0_14default_configENS1_22reduce_config_selectorIiEEZNS1_11reduce_implILb1ES3_PiS7_iN6hipcub16HIPCUB_304000_NS6detail34convert_binary_result_type_wrapperISt4plusIvENS9_22TransformInputIteratorIiN2at6native8internal21MapNumberOfTrueValuesEPKhlEEiEEEE10hipError_tPvRmT1_T2_T3_mT4_P12ihipStream_tbEUlT_E0_NS1_11comp_targetILNS1_3genE10ELNS1_11target_archE1200ELNS1_3gpuE4ELNS1_3repE0EEENS1_30default_config_static_selectorELNS0_4arch9wavefront6targetE0EEEvSQ_
	.globl	_ZN7rocprim17ROCPRIM_400000_NS6detail17trampoline_kernelINS0_14default_configENS1_22reduce_config_selectorIiEEZNS1_11reduce_implILb1ES3_PiS7_iN6hipcub16HIPCUB_304000_NS6detail34convert_binary_result_type_wrapperISt4plusIvENS9_22TransformInputIteratorIiN2at6native8internal21MapNumberOfTrueValuesEPKhlEEiEEEE10hipError_tPvRmT1_T2_T3_mT4_P12ihipStream_tbEUlT_E0_NS1_11comp_targetILNS1_3genE10ELNS1_11target_archE1200ELNS1_3gpuE4ELNS1_3repE0EEENS1_30default_config_static_selectorELNS0_4arch9wavefront6targetE0EEEvSQ_
	.p2align	8
	.type	_ZN7rocprim17ROCPRIM_400000_NS6detail17trampoline_kernelINS0_14default_configENS1_22reduce_config_selectorIiEEZNS1_11reduce_implILb1ES3_PiS7_iN6hipcub16HIPCUB_304000_NS6detail34convert_binary_result_type_wrapperISt4plusIvENS9_22TransformInputIteratorIiN2at6native8internal21MapNumberOfTrueValuesEPKhlEEiEEEE10hipError_tPvRmT1_T2_T3_mT4_P12ihipStream_tbEUlT_E0_NS1_11comp_targetILNS1_3genE10ELNS1_11target_archE1200ELNS1_3gpuE4ELNS1_3repE0EEENS1_30default_config_static_selectorELNS0_4arch9wavefront6targetE0EEEvSQ_,@function
_ZN7rocprim17ROCPRIM_400000_NS6detail17trampoline_kernelINS0_14default_configENS1_22reduce_config_selectorIiEEZNS1_11reduce_implILb1ES3_PiS7_iN6hipcub16HIPCUB_304000_NS6detail34convert_binary_result_type_wrapperISt4plusIvENS9_22TransformInputIteratorIiN2at6native8internal21MapNumberOfTrueValuesEPKhlEEiEEEE10hipError_tPvRmT1_T2_T3_mT4_P12ihipStream_tbEUlT_E0_NS1_11comp_targetILNS1_3genE10ELNS1_11target_archE1200ELNS1_3gpuE4ELNS1_3repE0EEENS1_30default_config_static_selectorELNS0_4arch9wavefront6targetE0EEEvSQ_: ; @_ZN7rocprim17ROCPRIM_400000_NS6detail17trampoline_kernelINS0_14default_configENS1_22reduce_config_selectorIiEEZNS1_11reduce_implILb1ES3_PiS7_iN6hipcub16HIPCUB_304000_NS6detail34convert_binary_result_type_wrapperISt4plusIvENS9_22TransformInputIteratorIiN2at6native8internal21MapNumberOfTrueValuesEPKhlEEiEEEE10hipError_tPvRmT1_T2_T3_mT4_P12ihipStream_tbEUlT_E0_NS1_11comp_targetILNS1_3genE10ELNS1_11target_archE1200ELNS1_3gpuE4ELNS1_3repE0EEENS1_30default_config_static_selectorELNS0_4arch9wavefront6targetE0EEEvSQ_
; %bb.0:
	.section	.rodata,"a",@progbits
	.p2align	6, 0x0
	.amdhsa_kernel _ZN7rocprim17ROCPRIM_400000_NS6detail17trampoline_kernelINS0_14default_configENS1_22reduce_config_selectorIiEEZNS1_11reduce_implILb1ES3_PiS7_iN6hipcub16HIPCUB_304000_NS6detail34convert_binary_result_type_wrapperISt4plusIvENS9_22TransformInputIteratorIiN2at6native8internal21MapNumberOfTrueValuesEPKhlEEiEEEE10hipError_tPvRmT1_T2_T3_mT4_P12ihipStream_tbEUlT_E0_NS1_11comp_targetILNS1_3genE10ELNS1_11target_archE1200ELNS1_3gpuE4ELNS1_3repE0EEENS1_30default_config_static_selectorELNS0_4arch9wavefront6targetE0EEEvSQ_
		.amdhsa_group_segment_fixed_size 0
		.amdhsa_private_segment_fixed_size 0
		.amdhsa_kernarg_size 56
		.amdhsa_user_sgpr_count 2
		.amdhsa_user_sgpr_dispatch_ptr 0
		.amdhsa_user_sgpr_queue_ptr 0
		.amdhsa_user_sgpr_kernarg_segment_ptr 1
		.amdhsa_user_sgpr_dispatch_id 0
		.amdhsa_user_sgpr_kernarg_preload_length 0
		.amdhsa_user_sgpr_kernarg_preload_offset 0
		.amdhsa_user_sgpr_private_segment_size 0
		.amdhsa_wavefront_size32 1
		.amdhsa_uses_dynamic_stack 0
		.amdhsa_enable_private_segment 0
		.amdhsa_system_sgpr_workgroup_id_x 1
		.amdhsa_system_sgpr_workgroup_id_y 0
		.amdhsa_system_sgpr_workgroup_id_z 0
		.amdhsa_system_sgpr_workgroup_info 0
		.amdhsa_system_vgpr_workitem_id 0
		.amdhsa_next_free_vgpr 1
		.amdhsa_next_free_sgpr 1
		.amdhsa_named_barrier_count 0
		.amdhsa_reserve_vcc 0
		.amdhsa_float_round_mode_32 0
		.amdhsa_float_round_mode_16_64 0
		.amdhsa_float_denorm_mode_32 3
		.amdhsa_float_denorm_mode_16_64 3
		.amdhsa_fp16_overflow 0
		.amdhsa_memory_ordered 1
		.amdhsa_forward_progress 1
		.amdhsa_inst_pref_size 0
		.amdhsa_round_robin_scheduling 0
		.amdhsa_exception_fp_ieee_invalid_op 0
		.amdhsa_exception_fp_denorm_src 0
		.amdhsa_exception_fp_ieee_div_zero 0
		.amdhsa_exception_fp_ieee_overflow 0
		.amdhsa_exception_fp_ieee_underflow 0
		.amdhsa_exception_fp_ieee_inexact 0
		.amdhsa_exception_int_div_zero 0
	.end_amdhsa_kernel
	.section	.text._ZN7rocprim17ROCPRIM_400000_NS6detail17trampoline_kernelINS0_14default_configENS1_22reduce_config_selectorIiEEZNS1_11reduce_implILb1ES3_PiS7_iN6hipcub16HIPCUB_304000_NS6detail34convert_binary_result_type_wrapperISt4plusIvENS9_22TransformInputIteratorIiN2at6native8internal21MapNumberOfTrueValuesEPKhlEEiEEEE10hipError_tPvRmT1_T2_T3_mT4_P12ihipStream_tbEUlT_E0_NS1_11comp_targetILNS1_3genE10ELNS1_11target_archE1200ELNS1_3gpuE4ELNS1_3repE0EEENS1_30default_config_static_selectorELNS0_4arch9wavefront6targetE0EEEvSQ_,"axG",@progbits,_ZN7rocprim17ROCPRIM_400000_NS6detail17trampoline_kernelINS0_14default_configENS1_22reduce_config_selectorIiEEZNS1_11reduce_implILb1ES3_PiS7_iN6hipcub16HIPCUB_304000_NS6detail34convert_binary_result_type_wrapperISt4plusIvENS9_22TransformInputIteratorIiN2at6native8internal21MapNumberOfTrueValuesEPKhlEEiEEEE10hipError_tPvRmT1_T2_T3_mT4_P12ihipStream_tbEUlT_E0_NS1_11comp_targetILNS1_3genE10ELNS1_11target_archE1200ELNS1_3gpuE4ELNS1_3repE0EEENS1_30default_config_static_selectorELNS0_4arch9wavefront6targetE0EEEvSQ_,comdat
.Lfunc_end103:
	.size	_ZN7rocprim17ROCPRIM_400000_NS6detail17trampoline_kernelINS0_14default_configENS1_22reduce_config_selectorIiEEZNS1_11reduce_implILb1ES3_PiS7_iN6hipcub16HIPCUB_304000_NS6detail34convert_binary_result_type_wrapperISt4plusIvENS9_22TransformInputIteratorIiN2at6native8internal21MapNumberOfTrueValuesEPKhlEEiEEEE10hipError_tPvRmT1_T2_T3_mT4_P12ihipStream_tbEUlT_E0_NS1_11comp_targetILNS1_3genE10ELNS1_11target_archE1200ELNS1_3gpuE4ELNS1_3repE0EEENS1_30default_config_static_selectorELNS0_4arch9wavefront6targetE0EEEvSQ_, .Lfunc_end103-_ZN7rocprim17ROCPRIM_400000_NS6detail17trampoline_kernelINS0_14default_configENS1_22reduce_config_selectorIiEEZNS1_11reduce_implILb1ES3_PiS7_iN6hipcub16HIPCUB_304000_NS6detail34convert_binary_result_type_wrapperISt4plusIvENS9_22TransformInputIteratorIiN2at6native8internal21MapNumberOfTrueValuesEPKhlEEiEEEE10hipError_tPvRmT1_T2_T3_mT4_P12ihipStream_tbEUlT_E0_NS1_11comp_targetILNS1_3genE10ELNS1_11target_archE1200ELNS1_3gpuE4ELNS1_3repE0EEENS1_30default_config_static_selectorELNS0_4arch9wavefront6targetE0EEEvSQ_
                                        ; -- End function
	.set _ZN7rocprim17ROCPRIM_400000_NS6detail17trampoline_kernelINS0_14default_configENS1_22reduce_config_selectorIiEEZNS1_11reduce_implILb1ES3_PiS7_iN6hipcub16HIPCUB_304000_NS6detail34convert_binary_result_type_wrapperISt4plusIvENS9_22TransformInputIteratorIiN2at6native8internal21MapNumberOfTrueValuesEPKhlEEiEEEE10hipError_tPvRmT1_T2_T3_mT4_P12ihipStream_tbEUlT_E0_NS1_11comp_targetILNS1_3genE10ELNS1_11target_archE1200ELNS1_3gpuE4ELNS1_3repE0EEENS1_30default_config_static_selectorELNS0_4arch9wavefront6targetE0EEEvSQ_.num_vgpr, 0
	.set _ZN7rocprim17ROCPRIM_400000_NS6detail17trampoline_kernelINS0_14default_configENS1_22reduce_config_selectorIiEEZNS1_11reduce_implILb1ES3_PiS7_iN6hipcub16HIPCUB_304000_NS6detail34convert_binary_result_type_wrapperISt4plusIvENS9_22TransformInputIteratorIiN2at6native8internal21MapNumberOfTrueValuesEPKhlEEiEEEE10hipError_tPvRmT1_T2_T3_mT4_P12ihipStream_tbEUlT_E0_NS1_11comp_targetILNS1_3genE10ELNS1_11target_archE1200ELNS1_3gpuE4ELNS1_3repE0EEENS1_30default_config_static_selectorELNS0_4arch9wavefront6targetE0EEEvSQ_.num_agpr, 0
	.set _ZN7rocprim17ROCPRIM_400000_NS6detail17trampoline_kernelINS0_14default_configENS1_22reduce_config_selectorIiEEZNS1_11reduce_implILb1ES3_PiS7_iN6hipcub16HIPCUB_304000_NS6detail34convert_binary_result_type_wrapperISt4plusIvENS9_22TransformInputIteratorIiN2at6native8internal21MapNumberOfTrueValuesEPKhlEEiEEEE10hipError_tPvRmT1_T2_T3_mT4_P12ihipStream_tbEUlT_E0_NS1_11comp_targetILNS1_3genE10ELNS1_11target_archE1200ELNS1_3gpuE4ELNS1_3repE0EEENS1_30default_config_static_selectorELNS0_4arch9wavefront6targetE0EEEvSQ_.numbered_sgpr, 0
	.set _ZN7rocprim17ROCPRIM_400000_NS6detail17trampoline_kernelINS0_14default_configENS1_22reduce_config_selectorIiEEZNS1_11reduce_implILb1ES3_PiS7_iN6hipcub16HIPCUB_304000_NS6detail34convert_binary_result_type_wrapperISt4plusIvENS9_22TransformInputIteratorIiN2at6native8internal21MapNumberOfTrueValuesEPKhlEEiEEEE10hipError_tPvRmT1_T2_T3_mT4_P12ihipStream_tbEUlT_E0_NS1_11comp_targetILNS1_3genE10ELNS1_11target_archE1200ELNS1_3gpuE4ELNS1_3repE0EEENS1_30default_config_static_selectorELNS0_4arch9wavefront6targetE0EEEvSQ_.num_named_barrier, 0
	.set _ZN7rocprim17ROCPRIM_400000_NS6detail17trampoline_kernelINS0_14default_configENS1_22reduce_config_selectorIiEEZNS1_11reduce_implILb1ES3_PiS7_iN6hipcub16HIPCUB_304000_NS6detail34convert_binary_result_type_wrapperISt4plusIvENS9_22TransformInputIteratorIiN2at6native8internal21MapNumberOfTrueValuesEPKhlEEiEEEE10hipError_tPvRmT1_T2_T3_mT4_P12ihipStream_tbEUlT_E0_NS1_11comp_targetILNS1_3genE10ELNS1_11target_archE1200ELNS1_3gpuE4ELNS1_3repE0EEENS1_30default_config_static_selectorELNS0_4arch9wavefront6targetE0EEEvSQ_.private_seg_size, 0
	.set _ZN7rocprim17ROCPRIM_400000_NS6detail17trampoline_kernelINS0_14default_configENS1_22reduce_config_selectorIiEEZNS1_11reduce_implILb1ES3_PiS7_iN6hipcub16HIPCUB_304000_NS6detail34convert_binary_result_type_wrapperISt4plusIvENS9_22TransformInputIteratorIiN2at6native8internal21MapNumberOfTrueValuesEPKhlEEiEEEE10hipError_tPvRmT1_T2_T3_mT4_P12ihipStream_tbEUlT_E0_NS1_11comp_targetILNS1_3genE10ELNS1_11target_archE1200ELNS1_3gpuE4ELNS1_3repE0EEENS1_30default_config_static_selectorELNS0_4arch9wavefront6targetE0EEEvSQ_.uses_vcc, 0
	.set _ZN7rocprim17ROCPRIM_400000_NS6detail17trampoline_kernelINS0_14default_configENS1_22reduce_config_selectorIiEEZNS1_11reduce_implILb1ES3_PiS7_iN6hipcub16HIPCUB_304000_NS6detail34convert_binary_result_type_wrapperISt4plusIvENS9_22TransformInputIteratorIiN2at6native8internal21MapNumberOfTrueValuesEPKhlEEiEEEE10hipError_tPvRmT1_T2_T3_mT4_P12ihipStream_tbEUlT_E0_NS1_11comp_targetILNS1_3genE10ELNS1_11target_archE1200ELNS1_3gpuE4ELNS1_3repE0EEENS1_30default_config_static_selectorELNS0_4arch9wavefront6targetE0EEEvSQ_.uses_flat_scratch, 0
	.set _ZN7rocprim17ROCPRIM_400000_NS6detail17trampoline_kernelINS0_14default_configENS1_22reduce_config_selectorIiEEZNS1_11reduce_implILb1ES3_PiS7_iN6hipcub16HIPCUB_304000_NS6detail34convert_binary_result_type_wrapperISt4plusIvENS9_22TransformInputIteratorIiN2at6native8internal21MapNumberOfTrueValuesEPKhlEEiEEEE10hipError_tPvRmT1_T2_T3_mT4_P12ihipStream_tbEUlT_E0_NS1_11comp_targetILNS1_3genE10ELNS1_11target_archE1200ELNS1_3gpuE4ELNS1_3repE0EEENS1_30default_config_static_selectorELNS0_4arch9wavefront6targetE0EEEvSQ_.has_dyn_sized_stack, 0
	.set _ZN7rocprim17ROCPRIM_400000_NS6detail17trampoline_kernelINS0_14default_configENS1_22reduce_config_selectorIiEEZNS1_11reduce_implILb1ES3_PiS7_iN6hipcub16HIPCUB_304000_NS6detail34convert_binary_result_type_wrapperISt4plusIvENS9_22TransformInputIteratorIiN2at6native8internal21MapNumberOfTrueValuesEPKhlEEiEEEE10hipError_tPvRmT1_T2_T3_mT4_P12ihipStream_tbEUlT_E0_NS1_11comp_targetILNS1_3genE10ELNS1_11target_archE1200ELNS1_3gpuE4ELNS1_3repE0EEENS1_30default_config_static_selectorELNS0_4arch9wavefront6targetE0EEEvSQ_.has_recursion, 0
	.set _ZN7rocprim17ROCPRIM_400000_NS6detail17trampoline_kernelINS0_14default_configENS1_22reduce_config_selectorIiEEZNS1_11reduce_implILb1ES3_PiS7_iN6hipcub16HIPCUB_304000_NS6detail34convert_binary_result_type_wrapperISt4plusIvENS9_22TransformInputIteratorIiN2at6native8internal21MapNumberOfTrueValuesEPKhlEEiEEEE10hipError_tPvRmT1_T2_T3_mT4_P12ihipStream_tbEUlT_E0_NS1_11comp_targetILNS1_3genE10ELNS1_11target_archE1200ELNS1_3gpuE4ELNS1_3repE0EEENS1_30default_config_static_selectorELNS0_4arch9wavefront6targetE0EEEvSQ_.has_indirect_call, 0
	.section	.AMDGPU.csdata,"",@progbits
; Kernel info:
; codeLenInByte = 0
; TotalNumSgprs: 0
; NumVgprs: 0
; ScratchSize: 0
; MemoryBound: 0
; FloatMode: 240
; IeeeMode: 1
; LDSByteSize: 0 bytes/workgroup (compile time only)
; SGPRBlocks: 0
; VGPRBlocks: 0
; NumSGPRsForWavesPerEU: 1
; NumVGPRsForWavesPerEU: 1
; NamedBarCnt: 0
; Occupancy: 16
; WaveLimiterHint : 0
; COMPUTE_PGM_RSRC2:SCRATCH_EN: 0
; COMPUTE_PGM_RSRC2:USER_SGPR: 2
; COMPUTE_PGM_RSRC2:TRAP_HANDLER: 0
; COMPUTE_PGM_RSRC2:TGID_X_EN: 1
; COMPUTE_PGM_RSRC2:TGID_Y_EN: 0
; COMPUTE_PGM_RSRC2:TGID_Z_EN: 0
; COMPUTE_PGM_RSRC2:TIDIG_COMP_CNT: 0
	.section	.text._ZN7rocprim17ROCPRIM_400000_NS6detail17trampoline_kernelINS0_14default_configENS1_22reduce_config_selectorIiEEZNS1_11reduce_implILb1ES3_PiS7_iN6hipcub16HIPCUB_304000_NS6detail34convert_binary_result_type_wrapperISt4plusIvENS9_22TransformInputIteratorIiN2at6native8internal21MapNumberOfTrueValuesEPKhlEEiEEEE10hipError_tPvRmT1_T2_T3_mT4_P12ihipStream_tbEUlT_E0_NS1_11comp_targetILNS1_3genE9ELNS1_11target_archE1100ELNS1_3gpuE3ELNS1_3repE0EEENS1_30default_config_static_selectorELNS0_4arch9wavefront6targetE0EEEvSQ_,"axG",@progbits,_ZN7rocprim17ROCPRIM_400000_NS6detail17trampoline_kernelINS0_14default_configENS1_22reduce_config_selectorIiEEZNS1_11reduce_implILb1ES3_PiS7_iN6hipcub16HIPCUB_304000_NS6detail34convert_binary_result_type_wrapperISt4plusIvENS9_22TransformInputIteratorIiN2at6native8internal21MapNumberOfTrueValuesEPKhlEEiEEEE10hipError_tPvRmT1_T2_T3_mT4_P12ihipStream_tbEUlT_E0_NS1_11comp_targetILNS1_3genE9ELNS1_11target_archE1100ELNS1_3gpuE3ELNS1_3repE0EEENS1_30default_config_static_selectorELNS0_4arch9wavefront6targetE0EEEvSQ_,comdat
	.protected	_ZN7rocprim17ROCPRIM_400000_NS6detail17trampoline_kernelINS0_14default_configENS1_22reduce_config_selectorIiEEZNS1_11reduce_implILb1ES3_PiS7_iN6hipcub16HIPCUB_304000_NS6detail34convert_binary_result_type_wrapperISt4plusIvENS9_22TransformInputIteratorIiN2at6native8internal21MapNumberOfTrueValuesEPKhlEEiEEEE10hipError_tPvRmT1_T2_T3_mT4_P12ihipStream_tbEUlT_E0_NS1_11comp_targetILNS1_3genE9ELNS1_11target_archE1100ELNS1_3gpuE3ELNS1_3repE0EEENS1_30default_config_static_selectorELNS0_4arch9wavefront6targetE0EEEvSQ_ ; -- Begin function _ZN7rocprim17ROCPRIM_400000_NS6detail17trampoline_kernelINS0_14default_configENS1_22reduce_config_selectorIiEEZNS1_11reduce_implILb1ES3_PiS7_iN6hipcub16HIPCUB_304000_NS6detail34convert_binary_result_type_wrapperISt4plusIvENS9_22TransformInputIteratorIiN2at6native8internal21MapNumberOfTrueValuesEPKhlEEiEEEE10hipError_tPvRmT1_T2_T3_mT4_P12ihipStream_tbEUlT_E0_NS1_11comp_targetILNS1_3genE9ELNS1_11target_archE1100ELNS1_3gpuE3ELNS1_3repE0EEENS1_30default_config_static_selectorELNS0_4arch9wavefront6targetE0EEEvSQ_
	.globl	_ZN7rocprim17ROCPRIM_400000_NS6detail17trampoline_kernelINS0_14default_configENS1_22reduce_config_selectorIiEEZNS1_11reduce_implILb1ES3_PiS7_iN6hipcub16HIPCUB_304000_NS6detail34convert_binary_result_type_wrapperISt4plusIvENS9_22TransformInputIteratorIiN2at6native8internal21MapNumberOfTrueValuesEPKhlEEiEEEE10hipError_tPvRmT1_T2_T3_mT4_P12ihipStream_tbEUlT_E0_NS1_11comp_targetILNS1_3genE9ELNS1_11target_archE1100ELNS1_3gpuE3ELNS1_3repE0EEENS1_30default_config_static_selectorELNS0_4arch9wavefront6targetE0EEEvSQ_
	.p2align	8
	.type	_ZN7rocprim17ROCPRIM_400000_NS6detail17trampoline_kernelINS0_14default_configENS1_22reduce_config_selectorIiEEZNS1_11reduce_implILb1ES3_PiS7_iN6hipcub16HIPCUB_304000_NS6detail34convert_binary_result_type_wrapperISt4plusIvENS9_22TransformInputIteratorIiN2at6native8internal21MapNumberOfTrueValuesEPKhlEEiEEEE10hipError_tPvRmT1_T2_T3_mT4_P12ihipStream_tbEUlT_E0_NS1_11comp_targetILNS1_3genE9ELNS1_11target_archE1100ELNS1_3gpuE3ELNS1_3repE0EEENS1_30default_config_static_selectorELNS0_4arch9wavefront6targetE0EEEvSQ_,@function
_ZN7rocprim17ROCPRIM_400000_NS6detail17trampoline_kernelINS0_14default_configENS1_22reduce_config_selectorIiEEZNS1_11reduce_implILb1ES3_PiS7_iN6hipcub16HIPCUB_304000_NS6detail34convert_binary_result_type_wrapperISt4plusIvENS9_22TransformInputIteratorIiN2at6native8internal21MapNumberOfTrueValuesEPKhlEEiEEEE10hipError_tPvRmT1_T2_T3_mT4_P12ihipStream_tbEUlT_E0_NS1_11comp_targetILNS1_3genE9ELNS1_11target_archE1100ELNS1_3gpuE3ELNS1_3repE0EEENS1_30default_config_static_selectorELNS0_4arch9wavefront6targetE0EEEvSQ_: ; @_ZN7rocprim17ROCPRIM_400000_NS6detail17trampoline_kernelINS0_14default_configENS1_22reduce_config_selectorIiEEZNS1_11reduce_implILb1ES3_PiS7_iN6hipcub16HIPCUB_304000_NS6detail34convert_binary_result_type_wrapperISt4plusIvENS9_22TransformInputIteratorIiN2at6native8internal21MapNumberOfTrueValuesEPKhlEEiEEEE10hipError_tPvRmT1_T2_T3_mT4_P12ihipStream_tbEUlT_E0_NS1_11comp_targetILNS1_3genE9ELNS1_11target_archE1100ELNS1_3gpuE3ELNS1_3repE0EEENS1_30default_config_static_selectorELNS0_4arch9wavefront6targetE0EEEvSQ_
; %bb.0:
	.section	.rodata,"a",@progbits
	.p2align	6, 0x0
	.amdhsa_kernel _ZN7rocprim17ROCPRIM_400000_NS6detail17trampoline_kernelINS0_14default_configENS1_22reduce_config_selectorIiEEZNS1_11reduce_implILb1ES3_PiS7_iN6hipcub16HIPCUB_304000_NS6detail34convert_binary_result_type_wrapperISt4plusIvENS9_22TransformInputIteratorIiN2at6native8internal21MapNumberOfTrueValuesEPKhlEEiEEEE10hipError_tPvRmT1_T2_T3_mT4_P12ihipStream_tbEUlT_E0_NS1_11comp_targetILNS1_3genE9ELNS1_11target_archE1100ELNS1_3gpuE3ELNS1_3repE0EEENS1_30default_config_static_selectorELNS0_4arch9wavefront6targetE0EEEvSQ_
		.amdhsa_group_segment_fixed_size 0
		.amdhsa_private_segment_fixed_size 0
		.amdhsa_kernarg_size 56
		.amdhsa_user_sgpr_count 2
		.amdhsa_user_sgpr_dispatch_ptr 0
		.amdhsa_user_sgpr_queue_ptr 0
		.amdhsa_user_sgpr_kernarg_segment_ptr 1
		.amdhsa_user_sgpr_dispatch_id 0
		.amdhsa_user_sgpr_kernarg_preload_length 0
		.amdhsa_user_sgpr_kernarg_preload_offset 0
		.amdhsa_user_sgpr_private_segment_size 0
		.amdhsa_wavefront_size32 1
		.amdhsa_uses_dynamic_stack 0
		.amdhsa_enable_private_segment 0
		.amdhsa_system_sgpr_workgroup_id_x 1
		.amdhsa_system_sgpr_workgroup_id_y 0
		.amdhsa_system_sgpr_workgroup_id_z 0
		.amdhsa_system_sgpr_workgroup_info 0
		.amdhsa_system_vgpr_workitem_id 0
		.amdhsa_next_free_vgpr 1
		.amdhsa_next_free_sgpr 1
		.amdhsa_named_barrier_count 0
		.amdhsa_reserve_vcc 0
		.amdhsa_float_round_mode_32 0
		.amdhsa_float_round_mode_16_64 0
		.amdhsa_float_denorm_mode_32 3
		.amdhsa_float_denorm_mode_16_64 3
		.amdhsa_fp16_overflow 0
		.amdhsa_memory_ordered 1
		.amdhsa_forward_progress 1
		.amdhsa_inst_pref_size 0
		.amdhsa_round_robin_scheduling 0
		.amdhsa_exception_fp_ieee_invalid_op 0
		.amdhsa_exception_fp_denorm_src 0
		.amdhsa_exception_fp_ieee_div_zero 0
		.amdhsa_exception_fp_ieee_overflow 0
		.amdhsa_exception_fp_ieee_underflow 0
		.amdhsa_exception_fp_ieee_inexact 0
		.amdhsa_exception_int_div_zero 0
	.end_amdhsa_kernel
	.section	.text._ZN7rocprim17ROCPRIM_400000_NS6detail17trampoline_kernelINS0_14default_configENS1_22reduce_config_selectorIiEEZNS1_11reduce_implILb1ES3_PiS7_iN6hipcub16HIPCUB_304000_NS6detail34convert_binary_result_type_wrapperISt4plusIvENS9_22TransformInputIteratorIiN2at6native8internal21MapNumberOfTrueValuesEPKhlEEiEEEE10hipError_tPvRmT1_T2_T3_mT4_P12ihipStream_tbEUlT_E0_NS1_11comp_targetILNS1_3genE9ELNS1_11target_archE1100ELNS1_3gpuE3ELNS1_3repE0EEENS1_30default_config_static_selectorELNS0_4arch9wavefront6targetE0EEEvSQ_,"axG",@progbits,_ZN7rocprim17ROCPRIM_400000_NS6detail17trampoline_kernelINS0_14default_configENS1_22reduce_config_selectorIiEEZNS1_11reduce_implILb1ES3_PiS7_iN6hipcub16HIPCUB_304000_NS6detail34convert_binary_result_type_wrapperISt4plusIvENS9_22TransformInputIteratorIiN2at6native8internal21MapNumberOfTrueValuesEPKhlEEiEEEE10hipError_tPvRmT1_T2_T3_mT4_P12ihipStream_tbEUlT_E0_NS1_11comp_targetILNS1_3genE9ELNS1_11target_archE1100ELNS1_3gpuE3ELNS1_3repE0EEENS1_30default_config_static_selectorELNS0_4arch9wavefront6targetE0EEEvSQ_,comdat
.Lfunc_end104:
	.size	_ZN7rocprim17ROCPRIM_400000_NS6detail17trampoline_kernelINS0_14default_configENS1_22reduce_config_selectorIiEEZNS1_11reduce_implILb1ES3_PiS7_iN6hipcub16HIPCUB_304000_NS6detail34convert_binary_result_type_wrapperISt4plusIvENS9_22TransformInputIteratorIiN2at6native8internal21MapNumberOfTrueValuesEPKhlEEiEEEE10hipError_tPvRmT1_T2_T3_mT4_P12ihipStream_tbEUlT_E0_NS1_11comp_targetILNS1_3genE9ELNS1_11target_archE1100ELNS1_3gpuE3ELNS1_3repE0EEENS1_30default_config_static_selectorELNS0_4arch9wavefront6targetE0EEEvSQ_, .Lfunc_end104-_ZN7rocprim17ROCPRIM_400000_NS6detail17trampoline_kernelINS0_14default_configENS1_22reduce_config_selectorIiEEZNS1_11reduce_implILb1ES3_PiS7_iN6hipcub16HIPCUB_304000_NS6detail34convert_binary_result_type_wrapperISt4plusIvENS9_22TransformInputIteratorIiN2at6native8internal21MapNumberOfTrueValuesEPKhlEEiEEEE10hipError_tPvRmT1_T2_T3_mT4_P12ihipStream_tbEUlT_E0_NS1_11comp_targetILNS1_3genE9ELNS1_11target_archE1100ELNS1_3gpuE3ELNS1_3repE0EEENS1_30default_config_static_selectorELNS0_4arch9wavefront6targetE0EEEvSQ_
                                        ; -- End function
	.set _ZN7rocprim17ROCPRIM_400000_NS6detail17trampoline_kernelINS0_14default_configENS1_22reduce_config_selectorIiEEZNS1_11reduce_implILb1ES3_PiS7_iN6hipcub16HIPCUB_304000_NS6detail34convert_binary_result_type_wrapperISt4plusIvENS9_22TransformInputIteratorIiN2at6native8internal21MapNumberOfTrueValuesEPKhlEEiEEEE10hipError_tPvRmT1_T2_T3_mT4_P12ihipStream_tbEUlT_E0_NS1_11comp_targetILNS1_3genE9ELNS1_11target_archE1100ELNS1_3gpuE3ELNS1_3repE0EEENS1_30default_config_static_selectorELNS0_4arch9wavefront6targetE0EEEvSQ_.num_vgpr, 0
	.set _ZN7rocprim17ROCPRIM_400000_NS6detail17trampoline_kernelINS0_14default_configENS1_22reduce_config_selectorIiEEZNS1_11reduce_implILb1ES3_PiS7_iN6hipcub16HIPCUB_304000_NS6detail34convert_binary_result_type_wrapperISt4plusIvENS9_22TransformInputIteratorIiN2at6native8internal21MapNumberOfTrueValuesEPKhlEEiEEEE10hipError_tPvRmT1_T2_T3_mT4_P12ihipStream_tbEUlT_E0_NS1_11comp_targetILNS1_3genE9ELNS1_11target_archE1100ELNS1_3gpuE3ELNS1_3repE0EEENS1_30default_config_static_selectorELNS0_4arch9wavefront6targetE0EEEvSQ_.num_agpr, 0
	.set _ZN7rocprim17ROCPRIM_400000_NS6detail17trampoline_kernelINS0_14default_configENS1_22reduce_config_selectorIiEEZNS1_11reduce_implILb1ES3_PiS7_iN6hipcub16HIPCUB_304000_NS6detail34convert_binary_result_type_wrapperISt4plusIvENS9_22TransformInputIteratorIiN2at6native8internal21MapNumberOfTrueValuesEPKhlEEiEEEE10hipError_tPvRmT1_T2_T3_mT4_P12ihipStream_tbEUlT_E0_NS1_11comp_targetILNS1_3genE9ELNS1_11target_archE1100ELNS1_3gpuE3ELNS1_3repE0EEENS1_30default_config_static_selectorELNS0_4arch9wavefront6targetE0EEEvSQ_.numbered_sgpr, 0
	.set _ZN7rocprim17ROCPRIM_400000_NS6detail17trampoline_kernelINS0_14default_configENS1_22reduce_config_selectorIiEEZNS1_11reduce_implILb1ES3_PiS7_iN6hipcub16HIPCUB_304000_NS6detail34convert_binary_result_type_wrapperISt4plusIvENS9_22TransformInputIteratorIiN2at6native8internal21MapNumberOfTrueValuesEPKhlEEiEEEE10hipError_tPvRmT1_T2_T3_mT4_P12ihipStream_tbEUlT_E0_NS1_11comp_targetILNS1_3genE9ELNS1_11target_archE1100ELNS1_3gpuE3ELNS1_3repE0EEENS1_30default_config_static_selectorELNS0_4arch9wavefront6targetE0EEEvSQ_.num_named_barrier, 0
	.set _ZN7rocprim17ROCPRIM_400000_NS6detail17trampoline_kernelINS0_14default_configENS1_22reduce_config_selectorIiEEZNS1_11reduce_implILb1ES3_PiS7_iN6hipcub16HIPCUB_304000_NS6detail34convert_binary_result_type_wrapperISt4plusIvENS9_22TransformInputIteratorIiN2at6native8internal21MapNumberOfTrueValuesEPKhlEEiEEEE10hipError_tPvRmT1_T2_T3_mT4_P12ihipStream_tbEUlT_E0_NS1_11comp_targetILNS1_3genE9ELNS1_11target_archE1100ELNS1_3gpuE3ELNS1_3repE0EEENS1_30default_config_static_selectorELNS0_4arch9wavefront6targetE0EEEvSQ_.private_seg_size, 0
	.set _ZN7rocprim17ROCPRIM_400000_NS6detail17trampoline_kernelINS0_14default_configENS1_22reduce_config_selectorIiEEZNS1_11reduce_implILb1ES3_PiS7_iN6hipcub16HIPCUB_304000_NS6detail34convert_binary_result_type_wrapperISt4plusIvENS9_22TransformInputIteratorIiN2at6native8internal21MapNumberOfTrueValuesEPKhlEEiEEEE10hipError_tPvRmT1_T2_T3_mT4_P12ihipStream_tbEUlT_E0_NS1_11comp_targetILNS1_3genE9ELNS1_11target_archE1100ELNS1_3gpuE3ELNS1_3repE0EEENS1_30default_config_static_selectorELNS0_4arch9wavefront6targetE0EEEvSQ_.uses_vcc, 0
	.set _ZN7rocprim17ROCPRIM_400000_NS6detail17trampoline_kernelINS0_14default_configENS1_22reduce_config_selectorIiEEZNS1_11reduce_implILb1ES3_PiS7_iN6hipcub16HIPCUB_304000_NS6detail34convert_binary_result_type_wrapperISt4plusIvENS9_22TransformInputIteratorIiN2at6native8internal21MapNumberOfTrueValuesEPKhlEEiEEEE10hipError_tPvRmT1_T2_T3_mT4_P12ihipStream_tbEUlT_E0_NS1_11comp_targetILNS1_3genE9ELNS1_11target_archE1100ELNS1_3gpuE3ELNS1_3repE0EEENS1_30default_config_static_selectorELNS0_4arch9wavefront6targetE0EEEvSQ_.uses_flat_scratch, 0
	.set _ZN7rocprim17ROCPRIM_400000_NS6detail17trampoline_kernelINS0_14default_configENS1_22reduce_config_selectorIiEEZNS1_11reduce_implILb1ES3_PiS7_iN6hipcub16HIPCUB_304000_NS6detail34convert_binary_result_type_wrapperISt4plusIvENS9_22TransformInputIteratorIiN2at6native8internal21MapNumberOfTrueValuesEPKhlEEiEEEE10hipError_tPvRmT1_T2_T3_mT4_P12ihipStream_tbEUlT_E0_NS1_11comp_targetILNS1_3genE9ELNS1_11target_archE1100ELNS1_3gpuE3ELNS1_3repE0EEENS1_30default_config_static_selectorELNS0_4arch9wavefront6targetE0EEEvSQ_.has_dyn_sized_stack, 0
	.set _ZN7rocprim17ROCPRIM_400000_NS6detail17trampoline_kernelINS0_14default_configENS1_22reduce_config_selectorIiEEZNS1_11reduce_implILb1ES3_PiS7_iN6hipcub16HIPCUB_304000_NS6detail34convert_binary_result_type_wrapperISt4plusIvENS9_22TransformInputIteratorIiN2at6native8internal21MapNumberOfTrueValuesEPKhlEEiEEEE10hipError_tPvRmT1_T2_T3_mT4_P12ihipStream_tbEUlT_E0_NS1_11comp_targetILNS1_3genE9ELNS1_11target_archE1100ELNS1_3gpuE3ELNS1_3repE0EEENS1_30default_config_static_selectorELNS0_4arch9wavefront6targetE0EEEvSQ_.has_recursion, 0
	.set _ZN7rocprim17ROCPRIM_400000_NS6detail17trampoline_kernelINS0_14default_configENS1_22reduce_config_selectorIiEEZNS1_11reduce_implILb1ES3_PiS7_iN6hipcub16HIPCUB_304000_NS6detail34convert_binary_result_type_wrapperISt4plusIvENS9_22TransformInputIteratorIiN2at6native8internal21MapNumberOfTrueValuesEPKhlEEiEEEE10hipError_tPvRmT1_T2_T3_mT4_P12ihipStream_tbEUlT_E0_NS1_11comp_targetILNS1_3genE9ELNS1_11target_archE1100ELNS1_3gpuE3ELNS1_3repE0EEENS1_30default_config_static_selectorELNS0_4arch9wavefront6targetE0EEEvSQ_.has_indirect_call, 0
	.section	.AMDGPU.csdata,"",@progbits
; Kernel info:
; codeLenInByte = 0
; TotalNumSgprs: 0
; NumVgprs: 0
; ScratchSize: 0
; MemoryBound: 0
; FloatMode: 240
; IeeeMode: 1
; LDSByteSize: 0 bytes/workgroup (compile time only)
; SGPRBlocks: 0
; VGPRBlocks: 0
; NumSGPRsForWavesPerEU: 1
; NumVGPRsForWavesPerEU: 1
; NamedBarCnt: 0
; Occupancy: 16
; WaveLimiterHint : 0
; COMPUTE_PGM_RSRC2:SCRATCH_EN: 0
; COMPUTE_PGM_RSRC2:USER_SGPR: 2
; COMPUTE_PGM_RSRC2:TRAP_HANDLER: 0
; COMPUTE_PGM_RSRC2:TGID_X_EN: 1
; COMPUTE_PGM_RSRC2:TGID_Y_EN: 0
; COMPUTE_PGM_RSRC2:TGID_Z_EN: 0
; COMPUTE_PGM_RSRC2:TIDIG_COMP_CNT: 0
	.section	.text._ZN7rocprim17ROCPRIM_400000_NS6detail17trampoline_kernelINS0_14default_configENS1_22reduce_config_selectorIiEEZNS1_11reduce_implILb1ES3_PiS7_iN6hipcub16HIPCUB_304000_NS6detail34convert_binary_result_type_wrapperISt4plusIvENS9_22TransformInputIteratorIiN2at6native8internal21MapNumberOfTrueValuesEPKhlEEiEEEE10hipError_tPvRmT1_T2_T3_mT4_P12ihipStream_tbEUlT_E0_NS1_11comp_targetILNS1_3genE8ELNS1_11target_archE1030ELNS1_3gpuE2ELNS1_3repE0EEENS1_30default_config_static_selectorELNS0_4arch9wavefront6targetE0EEEvSQ_,"axG",@progbits,_ZN7rocprim17ROCPRIM_400000_NS6detail17trampoline_kernelINS0_14default_configENS1_22reduce_config_selectorIiEEZNS1_11reduce_implILb1ES3_PiS7_iN6hipcub16HIPCUB_304000_NS6detail34convert_binary_result_type_wrapperISt4plusIvENS9_22TransformInputIteratorIiN2at6native8internal21MapNumberOfTrueValuesEPKhlEEiEEEE10hipError_tPvRmT1_T2_T3_mT4_P12ihipStream_tbEUlT_E0_NS1_11comp_targetILNS1_3genE8ELNS1_11target_archE1030ELNS1_3gpuE2ELNS1_3repE0EEENS1_30default_config_static_selectorELNS0_4arch9wavefront6targetE0EEEvSQ_,comdat
	.protected	_ZN7rocprim17ROCPRIM_400000_NS6detail17trampoline_kernelINS0_14default_configENS1_22reduce_config_selectorIiEEZNS1_11reduce_implILb1ES3_PiS7_iN6hipcub16HIPCUB_304000_NS6detail34convert_binary_result_type_wrapperISt4plusIvENS9_22TransformInputIteratorIiN2at6native8internal21MapNumberOfTrueValuesEPKhlEEiEEEE10hipError_tPvRmT1_T2_T3_mT4_P12ihipStream_tbEUlT_E0_NS1_11comp_targetILNS1_3genE8ELNS1_11target_archE1030ELNS1_3gpuE2ELNS1_3repE0EEENS1_30default_config_static_selectorELNS0_4arch9wavefront6targetE0EEEvSQ_ ; -- Begin function _ZN7rocprim17ROCPRIM_400000_NS6detail17trampoline_kernelINS0_14default_configENS1_22reduce_config_selectorIiEEZNS1_11reduce_implILb1ES3_PiS7_iN6hipcub16HIPCUB_304000_NS6detail34convert_binary_result_type_wrapperISt4plusIvENS9_22TransformInputIteratorIiN2at6native8internal21MapNumberOfTrueValuesEPKhlEEiEEEE10hipError_tPvRmT1_T2_T3_mT4_P12ihipStream_tbEUlT_E0_NS1_11comp_targetILNS1_3genE8ELNS1_11target_archE1030ELNS1_3gpuE2ELNS1_3repE0EEENS1_30default_config_static_selectorELNS0_4arch9wavefront6targetE0EEEvSQ_
	.globl	_ZN7rocprim17ROCPRIM_400000_NS6detail17trampoline_kernelINS0_14default_configENS1_22reduce_config_selectorIiEEZNS1_11reduce_implILb1ES3_PiS7_iN6hipcub16HIPCUB_304000_NS6detail34convert_binary_result_type_wrapperISt4plusIvENS9_22TransformInputIteratorIiN2at6native8internal21MapNumberOfTrueValuesEPKhlEEiEEEE10hipError_tPvRmT1_T2_T3_mT4_P12ihipStream_tbEUlT_E0_NS1_11comp_targetILNS1_3genE8ELNS1_11target_archE1030ELNS1_3gpuE2ELNS1_3repE0EEENS1_30default_config_static_selectorELNS0_4arch9wavefront6targetE0EEEvSQ_
	.p2align	8
	.type	_ZN7rocprim17ROCPRIM_400000_NS6detail17trampoline_kernelINS0_14default_configENS1_22reduce_config_selectorIiEEZNS1_11reduce_implILb1ES3_PiS7_iN6hipcub16HIPCUB_304000_NS6detail34convert_binary_result_type_wrapperISt4plusIvENS9_22TransformInputIteratorIiN2at6native8internal21MapNumberOfTrueValuesEPKhlEEiEEEE10hipError_tPvRmT1_T2_T3_mT4_P12ihipStream_tbEUlT_E0_NS1_11comp_targetILNS1_3genE8ELNS1_11target_archE1030ELNS1_3gpuE2ELNS1_3repE0EEENS1_30default_config_static_selectorELNS0_4arch9wavefront6targetE0EEEvSQ_,@function
_ZN7rocprim17ROCPRIM_400000_NS6detail17trampoline_kernelINS0_14default_configENS1_22reduce_config_selectorIiEEZNS1_11reduce_implILb1ES3_PiS7_iN6hipcub16HIPCUB_304000_NS6detail34convert_binary_result_type_wrapperISt4plusIvENS9_22TransformInputIteratorIiN2at6native8internal21MapNumberOfTrueValuesEPKhlEEiEEEE10hipError_tPvRmT1_T2_T3_mT4_P12ihipStream_tbEUlT_E0_NS1_11comp_targetILNS1_3genE8ELNS1_11target_archE1030ELNS1_3gpuE2ELNS1_3repE0EEENS1_30default_config_static_selectorELNS0_4arch9wavefront6targetE0EEEvSQ_: ; @_ZN7rocprim17ROCPRIM_400000_NS6detail17trampoline_kernelINS0_14default_configENS1_22reduce_config_selectorIiEEZNS1_11reduce_implILb1ES3_PiS7_iN6hipcub16HIPCUB_304000_NS6detail34convert_binary_result_type_wrapperISt4plusIvENS9_22TransformInputIteratorIiN2at6native8internal21MapNumberOfTrueValuesEPKhlEEiEEEE10hipError_tPvRmT1_T2_T3_mT4_P12ihipStream_tbEUlT_E0_NS1_11comp_targetILNS1_3genE8ELNS1_11target_archE1030ELNS1_3gpuE2ELNS1_3repE0EEENS1_30default_config_static_selectorELNS0_4arch9wavefront6targetE0EEEvSQ_
; %bb.0:
	.section	.rodata,"a",@progbits
	.p2align	6, 0x0
	.amdhsa_kernel _ZN7rocprim17ROCPRIM_400000_NS6detail17trampoline_kernelINS0_14default_configENS1_22reduce_config_selectorIiEEZNS1_11reduce_implILb1ES3_PiS7_iN6hipcub16HIPCUB_304000_NS6detail34convert_binary_result_type_wrapperISt4plusIvENS9_22TransformInputIteratorIiN2at6native8internal21MapNumberOfTrueValuesEPKhlEEiEEEE10hipError_tPvRmT1_T2_T3_mT4_P12ihipStream_tbEUlT_E0_NS1_11comp_targetILNS1_3genE8ELNS1_11target_archE1030ELNS1_3gpuE2ELNS1_3repE0EEENS1_30default_config_static_selectorELNS0_4arch9wavefront6targetE0EEEvSQ_
		.amdhsa_group_segment_fixed_size 0
		.amdhsa_private_segment_fixed_size 0
		.amdhsa_kernarg_size 56
		.amdhsa_user_sgpr_count 2
		.amdhsa_user_sgpr_dispatch_ptr 0
		.amdhsa_user_sgpr_queue_ptr 0
		.amdhsa_user_sgpr_kernarg_segment_ptr 1
		.amdhsa_user_sgpr_dispatch_id 0
		.amdhsa_user_sgpr_kernarg_preload_length 0
		.amdhsa_user_sgpr_kernarg_preload_offset 0
		.amdhsa_user_sgpr_private_segment_size 0
		.amdhsa_wavefront_size32 1
		.amdhsa_uses_dynamic_stack 0
		.amdhsa_enable_private_segment 0
		.amdhsa_system_sgpr_workgroup_id_x 1
		.amdhsa_system_sgpr_workgroup_id_y 0
		.amdhsa_system_sgpr_workgroup_id_z 0
		.amdhsa_system_sgpr_workgroup_info 0
		.amdhsa_system_vgpr_workitem_id 0
		.amdhsa_next_free_vgpr 1
		.amdhsa_next_free_sgpr 1
		.amdhsa_named_barrier_count 0
		.amdhsa_reserve_vcc 0
		.amdhsa_float_round_mode_32 0
		.amdhsa_float_round_mode_16_64 0
		.amdhsa_float_denorm_mode_32 3
		.amdhsa_float_denorm_mode_16_64 3
		.amdhsa_fp16_overflow 0
		.amdhsa_memory_ordered 1
		.amdhsa_forward_progress 1
		.amdhsa_inst_pref_size 0
		.amdhsa_round_robin_scheduling 0
		.amdhsa_exception_fp_ieee_invalid_op 0
		.amdhsa_exception_fp_denorm_src 0
		.amdhsa_exception_fp_ieee_div_zero 0
		.amdhsa_exception_fp_ieee_overflow 0
		.amdhsa_exception_fp_ieee_underflow 0
		.amdhsa_exception_fp_ieee_inexact 0
		.amdhsa_exception_int_div_zero 0
	.end_amdhsa_kernel
	.section	.text._ZN7rocprim17ROCPRIM_400000_NS6detail17trampoline_kernelINS0_14default_configENS1_22reduce_config_selectorIiEEZNS1_11reduce_implILb1ES3_PiS7_iN6hipcub16HIPCUB_304000_NS6detail34convert_binary_result_type_wrapperISt4plusIvENS9_22TransformInputIteratorIiN2at6native8internal21MapNumberOfTrueValuesEPKhlEEiEEEE10hipError_tPvRmT1_T2_T3_mT4_P12ihipStream_tbEUlT_E0_NS1_11comp_targetILNS1_3genE8ELNS1_11target_archE1030ELNS1_3gpuE2ELNS1_3repE0EEENS1_30default_config_static_selectorELNS0_4arch9wavefront6targetE0EEEvSQ_,"axG",@progbits,_ZN7rocprim17ROCPRIM_400000_NS6detail17trampoline_kernelINS0_14default_configENS1_22reduce_config_selectorIiEEZNS1_11reduce_implILb1ES3_PiS7_iN6hipcub16HIPCUB_304000_NS6detail34convert_binary_result_type_wrapperISt4plusIvENS9_22TransformInputIteratorIiN2at6native8internal21MapNumberOfTrueValuesEPKhlEEiEEEE10hipError_tPvRmT1_T2_T3_mT4_P12ihipStream_tbEUlT_E0_NS1_11comp_targetILNS1_3genE8ELNS1_11target_archE1030ELNS1_3gpuE2ELNS1_3repE0EEENS1_30default_config_static_selectorELNS0_4arch9wavefront6targetE0EEEvSQ_,comdat
.Lfunc_end105:
	.size	_ZN7rocprim17ROCPRIM_400000_NS6detail17trampoline_kernelINS0_14default_configENS1_22reduce_config_selectorIiEEZNS1_11reduce_implILb1ES3_PiS7_iN6hipcub16HIPCUB_304000_NS6detail34convert_binary_result_type_wrapperISt4plusIvENS9_22TransformInputIteratorIiN2at6native8internal21MapNumberOfTrueValuesEPKhlEEiEEEE10hipError_tPvRmT1_T2_T3_mT4_P12ihipStream_tbEUlT_E0_NS1_11comp_targetILNS1_3genE8ELNS1_11target_archE1030ELNS1_3gpuE2ELNS1_3repE0EEENS1_30default_config_static_selectorELNS0_4arch9wavefront6targetE0EEEvSQ_, .Lfunc_end105-_ZN7rocprim17ROCPRIM_400000_NS6detail17trampoline_kernelINS0_14default_configENS1_22reduce_config_selectorIiEEZNS1_11reduce_implILb1ES3_PiS7_iN6hipcub16HIPCUB_304000_NS6detail34convert_binary_result_type_wrapperISt4plusIvENS9_22TransformInputIteratorIiN2at6native8internal21MapNumberOfTrueValuesEPKhlEEiEEEE10hipError_tPvRmT1_T2_T3_mT4_P12ihipStream_tbEUlT_E0_NS1_11comp_targetILNS1_3genE8ELNS1_11target_archE1030ELNS1_3gpuE2ELNS1_3repE0EEENS1_30default_config_static_selectorELNS0_4arch9wavefront6targetE0EEEvSQ_
                                        ; -- End function
	.set _ZN7rocprim17ROCPRIM_400000_NS6detail17trampoline_kernelINS0_14default_configENS1_22reduce_config_selectorIiEEZNS1_11reduce_implILb1ES3_PiS7_iN6hipcub16HIPCUB_304000_NS6detail34convert_binary_result_type_wrapperISt4plusIvENS9_22TransformInputIteratorIiN2at6native8internal21MapNumberOfTrueValuesEPKhlEEiEEEE10hipError_tPvRmT1_T2_T3_mT4_P12ihipStream_tbEUlT_E0_NS1_11comp_targetILNS1_3genE8ELNS1_11target_archE1030ELNS1_3gpuE2ELNS1_3repE0EEENS1_30default_config_static_selectorELNS0_4arch9wavefront6targetE0EEEvSQ_.num_vgpr, 0
	.set _ZN7rocprim17ROCPRIM_400000_NS6detail17trampoline_kernelINS0_14default_configENS1_22reduce_config_selectorIiEEZNS1_11reduce_implILb1ES3_PiS7_iN6hipcub16HIPCUB_304000_NS6detail34convert_binary_result_type_wrapperISt4plusIvENS9_22TransformInputIteratorIiN2at6native8internal21MapNumberOfTrueValuesEPKhlEEiEEEE10hipError_tPvRmT1_T2_T3_mT4_P12ihipStream_tbEUlT_E0_NS1_11comp_targetILNS1_3genE8ELNS1_11target_archE1030ELNS1_3gpuE2ELNS1_3repE0EEENS1_30default_config_static_selectorELNS0_4arch9wavefront6targetE0EEEvSQ_.num_agpr, 0
	.set _ZN7rocprim17ROCPRIM_400000_NS6detail17trampoline_kernelINS0_14default_configENS1_22reduce_config_selectorIiEEZNS1_11reduce_implILb1ES3_PiS7_iN6hipcub16HIPCUB_304000_NS6detail34convert_binary_result_type_wrapperISt4plusIvENS9_22TransformInputIteratorIiN2at6native8internal21MapNumberOfTrueValuesEPKhlEEiEEEE10hipError_tPvRmT1_T2_T3_mT4_P12ihipStream_tbEUlT_E0_NS1_11comp_targetILNS1_3genE8ELNS1_11target_archE1030ELNS1_3gpuE2ELNS1_3repE0EEENS1_30default_config_static_selectorELNS0_4arch9wavefront6targetE0EEEvSQ_.numbered_sgpr, 0
	.set _ZN7rocprim17ROCPRIM_400000_NS6detail17trampoline_kernelINS0_14default_configENS1_22reduce_config_selectorIiEEZNS1_11reduce_implILb1ES3_PiS7_iN6hipcub16HIPCUB_304000_NS6detail34convert_binary_result_type_wrapperISt4plusIvENS9_22TransformInputIteratorIiN2at6native8internal21MapNumberOfTrueValuesEPKhlEEiEEEE10hipError_tPvRmT1_T2_T3_mT4_P12ihipStream_tbEUlT_E0_NS1_11comp_targetILNS1_3genE8ELNS1_11target_archE1030ELNS1_3gpuE2ELNS1_3repE0EEENS1_30default_config_static_selectorELNS0_4arch9wavefront6targetE0EEEvSQ_.num_named_barrier, 0
	.set _ZN7rocprim17ROCPRIM_400000_NS6detail17trampoline_kernelINS0_14default_configENS1_22reduce_config_selectorIiEEZNS1_11reduce_implILb1ES3_PiS7_iN6hipcub16HIPCUB_304000_NS6detail34convert_binary_result_type_wrapperISt4plusIvENS9_22TransformInputIteratorIiN2at6native8internal21MapNumberOfTrueValuesEPKhlEEiEEEE10hipError_tPvRmT1_T2_T3_mT4_P12ihipStream_tbEUlT_E0_NS1_11comp_targetILNS1_3genE8ELNS1_11target_archE1030ELNS1_3gpuE2ELNS1_3repE0EEENS1_30default_config_static_selectorELNS0_4arch9wavefront6targetE0EEEvSQ_.private_seg_size, 0
	.set _ZN7rocprim17ROCPRIM_400000_NS6detail17trampoline_kernelINS0_14default_configENS1_22reduce_config_selectorIiEEZNS1_11reduce_implILb1ES3_PiS7_iN6hipcub16HIPCUB_304000_NS6detail34convert_binary_result_type_wrapperISt4plusIvENS9_22TransformInputIteratorIiN2at6native8internal21MapNumberOfTrueValuesEPKhlEEiEEEE10hipError_tPvRmT1_T2_T3_mT4_P12ihipStream_tbEUlT_E0_NS1_11comp_targetILNS1_3genE8ELNS1_11target_archE1030ELNS1_3gpuE2ELNS1_3repE0EEENS1_30default_config_static_selectorELNS0_4arch9wavefront6targetE0EEEvSQ_.uses_vcc, 0
	.set _ZN7rocprim17ROCPRIM_400000_NS6detail17trampoline_kernelINS0_14default_configENS1_22reduce_config_selectorIiEEZNS1_11reduce_implILb1ES3_PiS7_iN6hipcub16HIPCUB_304000_NS6detail34convert_binary_result_type_wrapperISt4plusIvENS9_22TransformInputIteratorIiN2at6native8internal21MapNumberOfTrueValuesEPKhlEEiEEEE10hipError_tPvRmT1_T2_T3_mT4_P12ihipStream_tbEUlT_E0_NS1_11comp_targetILNS1_3genE8ELNS1_11target_archE1030ELNS1_3gpuE2ELNS1_3repE0EEENS1_30default_config_static_selectorELNS0_4arch9wavefront6targetE0EEEvSQ_.uses_flat_scratch, 0
	.set _ZN7rocprim17ROCPRIM_400000_NS6detail17trampoline_kernelINS0_14default_configENS1_22reduce_config_selectorIiEEZNS1_11reduce_implILb1ES3_PiS7_iN6hipcub16HIPCUB_304000_NS6detail34convert_binary_result_type_wrapperISt4plusIvENS9_22TransformInputIteratorIiN2at6native8internal21MapNumberOfTrueValuesEPKhlEEiEEEE10hipError_tPvRmT1_T2_T3_mT4_P12ihipStream_tbEUlT_E0_NS1_11comp_targetILNS1_3genE8ELNS1_11target_archE1030ELNS1_3gpuE2ELNS1_3repE0EEENS1_30default_config_static_selectorELNS0_4arch9wavefront6targetE0EEEvSQ_.has_dyn_sized_stack, 0
	.set _ZN7rocprim17ROCPRIM_400000_NS6detail17trampoline_kernelINS0_14default_configENS1_22reduce_config_selectorIiEEZNS1_11reduce_implILb1ES3_PiS7_iN6hipcub16HIPCUB_304000_NS6detail34convert_binary_result_type_wrapperISt4plusIvENS9_22TransformInputIteratorIiN2at6native8internal21MapNumberOfTrueValuesEPKhlEEiEEEE10hipError_tPvRmT1_T2_T3_mT4_P12ihipStream_tbEUlT_E0_NS1_11comp_targetILNS1_3genE8ELNS1_11target_archE1030ELNS1_3gpuE2ELNS1_3repE0EEENS1_30default_config_static_selectorELNS0_4arch9wavefront6targetE0EEEvSQ_.has_recursion, 0
	.set _ZN7rocprim17ROCPRIM_400000_NS6detail17trampoline_kernelINS0_14default_configENS1_22reduce_config_selectorIiEEZNS1_11reduce_implILb1ES3_PiS7_iN6hipcub16HIPCUB_304000_NS6detail34convert_binary_result_type_wrapperISt4plusIvENS9_22TransformInputIteratorIiN2at6native8internal21MapNumberOfTrueValuesEPKhlEEiEEEE10hipError_tPvRmT1_T2_T3_mT4_P12ihipStream_tbEUlT_E0_NS1_11comp_targetILNS1_3genE8ELNS1_11target_archE1030ELNS1_3gpuE2ELNS1_3repE0EEENS1_30default_config_static_selectorELNS0_4arch9wavefront6targetE0EEEvSQ_.has_indirect_call, 0
	.section	.AMDGPU.csdata,"",@progbits
; Kernel info:
; codeLenInByte = 0
; TotalNumSgprs: 0
; NumVgprs: 0
; ScratchSize: 0
; MemoryBound: 0
; FloatMode: 240
; IeeeMode: 1
; LDSByteSize: 0 bytes/workgroup (compile time only)
; SGPRBlocks: 0
; VGPRBlocks: 0
; NumSGPRsForWavesPerEU: 1
; NumVGPRsForWavesPerEU: 1
; NamedBarCnt: 0
; Occupancy: 16
; WaveLimiterHint : 0
; COMPUTE_PGM_RSRC2:SCRATCH_EN: 0
; COMPUTE_PGM_RSRC2:USER_SGPR: 2
; COMPUTE_PGM_RSRC2:TRAP_HANDLER: 0
; COMPUTE_PGM_RSRC2:TGID_X_EN: 1
; COMPUTE_PGM_RSRC2:TGID_Y_EN: 0
; COMPUTE_PGM_RSRC2:TGID_Z_EN: 0
; COMPUTE_PGM_RSRC2:TIDIG_COMP_CNT: 0
	.section	.text._ZN7rocprim17ROCPRIM_400000_NS6detail17trampoline_kernelINS0_14default_configENS1_22reduce_config_selectorIiEEZNS1_11reduce_implILb1ES3_PiS7_iN6hipcub16HIPCUB_304000_NS6detail34convert_binary_result_type_wrapperISt4plusIvENS9_22TransformInputIteratorIiN2at6native8internal21MapNumberOfTrueValuesEPKhlEEiEEEE10hipError_tPvRmT1_T2_T3_mT4_P12ihipStream_tbEUlT_E1_NS1_11comp_targetILNS1_3genE0ELNS1_11target_archE4294967295ELNS1_3gpuE0ELNS1_3repE0EEENS1_30default_config_static_selectorELNS0_4arch9wavefront6targetE0EEEvSQ_,"axG",@progbits,_ZN7rocprim17ROCPRIM_400000_NS6detail17trampoline_kernelINS0_14default_configENS1_22reduce_config_selectorIiEEZNS1_11reduce_implILb1ES3_PiS7_iN6hipcub16HIPCUB_304000_NS6detail34convert_binary_result_type_wrapperISt4plusIvENS9_22TransformInputIteratorIiN2at6native8internal21MapNumberOfTrueValuesEPKhlEEiEEEE10hipError_tPvRmT1_T2_T3_mT4_P12ihipStream_tbEUlT_E1_NS1_11comp_targetILNS1_3genE0ELNS1_11target_archE4294967295ELNS1_3gpuE0ELNS1_3repE0EEENS1_30default_config_static_selectorELNS0_4arch9wavefront6targetE0EEEvSQ_,comdat
	.protected	_ZN7rocprim17ROCPRIM_400000_NS6detail17trampoline_kernelINS0_14default_configENS1_22reduce_config_selectorIiEEZNS1_11reduce_implILb1ES3_PiS7_iN6hipcub16HIPCUB_304000_NS6detail34convert_binary_result_type_wrapperISt4plusIvENS9_22TransformInputIteratorIiN2at6native8internal21MapNumberOfTrueValuesEPKhlEEiEEEE10hipError_tPvRmT1_T2_T3_mT4_P12ihipStream_tbEUlT_E1_NS1_11comp_targetILNS1_3genE0ELNS1_11target_archE4294967295ELNS1_3gpuE0ELNS1_3repE0EEENS1_30default_config_static_selectorELNS0_4arch9wavefront6targetE0EEEvSQ_ ; -- Begin function _ZN7rocprim17ROCPRIM_400000_NS6detail17trampoline_kernelINS0_14default_configENS1_22reduce_config_selectorIiEEZNS1_11reduce_implILb1ES3_PiS7_iN6hipcub16HIPCUB_304000_NS6detail34convert_binary_result_type_wrapperISt4plusIvENS9_22TransformInputIteratorIiN2at6native8internal21MapNumberOfTrueValuesEPKhlEEiEEEE10hipError_tPvRmT1_T2_T3_mT4_P12ihipStream_tbEUlT_E1_NS1_11comp_targetILNS1_3genE0ELNS1_11target_archE4294967295ELNS1_3gpuE0ELNS1_3repE0EEENS1_30default_config_static_selectorELNS0_4arch9wavefront6targetE0EEEvSQ_
	.globl	_ZN7rocprim17ROCPRIM_400000_NS6detail17trampoline_kernelINS0_14default_configENS1_22reduce_config_selectorIiEEZNS1_11reduce_implILb1ES3_PiS7_iN6hipcub16HIPCUB_304000_NS6detail34convert_binary_result_type_wrapperISt4plusIvENS9_22TransformInputIteratorIiN2at6native8internal21MapNumberOfTrueValuesEPKhlEEiEEEE10hipError_tPvRmT1_T2_T3_mT4_P12ihipStream_tbEUlT_E1_NS1_11comp_targetILNS1_3genE0ELNS1_11target_archE4294967295ELNS1_3gpuE0ELNS1_3repE0EEENS1_30default_config_static_selectorELNS0_4arch9wavefront6targetE0EEEvSQ_
	.p2align	8
	.type	_ZN7rocprim17ROCPRIM_400000_NS6detail17trampoline_kernelINS0_14default_configENS1_22reduce_config_selectorIiEEZNS1_11reduce_implILb1ES3_PiS7_iN6hipcub16HIPCUB_304000_NS6detail34convert_binary_result_type_wrapperISt4plusIvENS9_22TransformInputIteratorIiN2at6native8internal21MapNumberOfTrueValuesEPKhlEEiEEEE10hipError_tPvRmT1_T2_T3_mT4_P12ihipStream_tbEUlT_E1_NS1_11comp_targetILNS1_3genE0ELNS1_11target_archE4294967295ELNS1_3gpuE0ELNS1_3repE0EEENS1_30default_config_static_selectorELNS0_4arch9wavefront6targetE0EEEvSQ_,@function
_ZN7rocprim17ROCPRIM_400000_NS6detail17trampoline_kernelINS0_14default_configENS1_22reduce_config_selectorIiEEZNS1_11reduce_implILb1ES3_PiS7_iN6hipcub16HIPCUB_304000_NS6detail34convert_binary_result_type_wrapperISt4plusIvENS9_22TransformInputIteratorIiN2at6native8internal21MapNumberOfTrueValuesEPKhlEEiEEEE10hipError_tPvRmT1_T2_T3_mT4_P12ihipStream_tbEUlT_E1_NS1_11comp_targetILNS1_3genE0ELNS1_11target_archE4294967295ELNS1_3gpuE0ELNS1_3repE0EEENS1_30default_config_static_selectorELNS0_4arch9wavefront6targetE0EEEvSQ_: ; @_ZN7rocprim17ROCPRIM_400000_NS6detail17trampoline_kernelINS0_14default_configENS1_22reduce_config_selectorIiEEZNS1_11reduce_implILb1ES3_PiS7_iN6hipcub16HIPCUB_304000_NS6detail34convert_binary_result_type_wrapperISt4plusIvENS9_22TransformInputIteratorIiN2at6native8internal21MapNumberOfTrueValuesEPKhlEEiEEEE10hipError_tPvRmT1_T2_T3_mT4_P12ihipStream_tbEUlT_E1_NS1_11comp_targetILNS1_3genE0ELNS1_11target_archE4294967295ELNS1_3gpuE0ELNS1_3repE0EEENS1_30default_config_static_selectorELNS0_4arch9wavefront6targetE0EEEvSQ_
; %bb.0:
	s_clause 0x1
	s_load_b32 s33, s[0:1], 0x4
	s_load_b128 s[36:39], s[0:1], 0x8
	s_wait_kmcnt 0x0
	s_cmp_lt_i32 s33, 8
	s_cbranch_scc1 .LBB106_11
; %bb.1:
	s_cmp_gt_i32 s33, 15
	s_cbranch_scc0 .LBB106_12
; %bb.2:
	s_cmp_gt_i32 s33, 31
	s_cbranch_scc0 .LBB106_13
; %bb.3:
	s_cmp_eq_u32 s33, 32
	s_mov_b32 s42, 0
	s_cbranch_scc0 .LBB106_14
; %bb.4:
	s_bfe_u32 s2, ttmp6, 0x4000c
	s_and_b32 s3, ttmp6, 15
	s_add_co_i32 s2, s2, 1
	s_getreg_b32 s4, hwreg(HW_REG_IB_STS2, 6, 4)
	s_mul_i32 s2, ttmp9, s2
	s_mov_b32 s35, 0
	s_add_co_i32 s3, s3, s2
	s_cmp_eq_u32 s4, 0
	s_cselect_b32 s34, ttmp9, s3
	s_mov_b32 s3, s35
	s_lshl_b32 s2, s34, 13
	s_lshr_b64 s[4:5], s[38:39], 13
	s_lshl_b64 s[6:7], s[2:3], 2
	s_cmp_lg_u64 s[4:5], s[34:35]
	s_add_nc_u64 s[40:41], s[36:37], s[6:7]
	s_cbranch_scc0 .LBB106_23
; %bb.5:
	s_clause 0x1f
	global_load_b32 v1, v0, s[40:41] scale_offset
	global_load_b32 v2, v0, s[40:41] offset:1024 scale_offset
	global_load_b32 v3, v0, s[40:41] offset:2048 scale_offset
	;; [unrolled: 1-line block ×31, first 2 shown]
	s_mov_b32 s3, exec_lo
	s_wait_loadcnt 0x1e
	v_add_nc_u32_e32 v1, v2, v1
	s_wait_loadcnt 0x1c
	s_delay_alu instid0(VALU_DEP_1) | instskip(SKIP_1) | instid1(VALU_DEP_1)
	v_add3_u32 v1, v1, v3, v4
	s_wait_loadcnt 0x1a
	v_add3_u32 v1, v1, v5, v6
	s_wait_loadcnt 0x18
	s_delay_alu instid0(VALU_DEP_1) | instskip(SKIP_1) | instid1(VALU_DEP_1)
	v_add3_u32 v1, v1, v7, v8
	s_wait_loadcnt 0x16
	v_add3_u32 v1, v1, v9, v10
	;; [unrolled: 5-line block ×7, first 2 shown]
	s_wait_loadcnt 0x0
	s_delay_alu instid0(VALU_DEP_1) | instskip(NEXT) | instid1(VALU_DEP_1)
	v_add3_u32 v1, v1, v31, v32
	v_mov_b32_dpp v2, v1 quad_perm:[1,0,3,2] row_mask:0xf bank_mask:0xf
	s_delay_alu instid0(VALU_DEP_1) | instskip(NEXT) | instid1(VALU_DEP_1)
	v_add_nc_u32_e32 v1, v2, v1
	v_mov_b32_dpp v2, v1 quad_perm:[2,3,0,1] row_mask:0xf bank_mask:0xf
	s_delay_alu instid0(VALU_DEP_1) | instskip(NEXT) | instid1(VALU_DEP_1)
	v_add_nc_u32_e32 v1, v1, v2
	v_mov_b32_dpp v2, v1 row_ror:4 row_mask:0xf bank_mask:0xf
	s_delay_alu instid0(VALU_DEP_1) | instskip(NEXT) | instid1(VALU_DEP_1)
	v_add_nc_u32_e32 v1, v1, v2
	v_mov_b32_dpp v2, v1 row_ror:8 row_mask:0xf bank_mask:0xf
	s_delay_alu instid0(VALU_DEP_1)
	v_add_nc_u32_e32 v1, v1, v2
	ds_swizzle_b32 v2, v1 offset:swizzle(BROADCAST,32,15)
	s_wait_dscnt 0x0
	v_dual_mov_b32 v2, 0 :: v_dual_add_nc_u32 v1, v1, v2
	ds_bpermute_b32 v1, v2, v1 offset:124
	v_mbcnt_lo_u32_b32 v2, -1, 0
	s_delay_alu instid0(VALU_DEP_1)
	v_cmpx_eq_u32_e32 0, v2
	s_cbranch_execz .LBB106_7
; %bb.6:
	v_lshrrev_b32_e32 v3, 3, v0
	s_delay_alu instid0(VALU_DEP_1)
	v_and_b32_e32 v3, 28, v3
	s_wait_dscnt 0x0
	ds_store_b32 v3, v1 offset:96
.LBB106_7:
	s_or_b32 exec_lo, exec_lo, s3
	s_delay_alu instid0(SALU_CYCLE_1)
	s_mov_b32 s3, exec_lo
	s_wait_dscnt 0x0
	s_barrier_signal -1
	s_barrier_wait -1
	v_cmpx_gt_u32_e32 32, v0
	s_cbranch_execz .LBB106_9
; %bb.8:
	v_lshl_or_b32 v1, v2, 2, 0x60
	v_and_b32_e32 v3, 7, v2
	ds_load_b32 v1, v1
	v_cmp_ne_u32_e32 vcc_lo, 7, v3
	v_add_co_ci_u32_e64 v4, null, 0, v2, vcc_lo
	s_delay_alu instid0(VALU_DEP_1)
	v_lshlrev_b32_e32 v4, 2, v4
	v_cmp_gt_u32_e32 vcc_lo, 6, v3
	v_cndmask_b32_e64 v3, 0, 2, vcc_lo
	s_wait_dscnt 0x0
	ds_bpermute_b32 v4, v4, v1
	v_add_lshl_u32 v3, v3, v2, 2
	v_lshlrev_b32_e32 v2, 2, v2
	s_wait_dscnt 0x0
	s_delay_alu instid0(VALU_DEP_1)
	v_dual_add_nc_u32 v1, v4, v1 :: v_dual_bitop2_b32 v2, 16, v2 bitop3:0x54
	ds_bpermute_b32 v3, v3, v1
	s_wait_dscnt 0x0
	v_add_nc_u32_e32 v1, v3, v1
	ds_bpermute_b32 v2, v2, v1
	s_wait_dscnt 0x0
	v_add_nc_u32_e32 v1, v2, v1
.LBB106_9:
	s_or_b32 exec_lo, exec_lo, s3
.LBB106_10:
	v_cmp_eq_u32_e64 s2, 0, v0
	s_and_b32 vcc_lo, exec_lo, s42
	s_cbranch_vccnz .LBB106_15
	s_branch .LBB106_93
.LBB106_11:
	s_mov_b32 s2, 0
                                        ; implicit-def: $vgpr1
                                        ; implicit-def: $sgpr34_sgpr35
	s_cbranch_execnz .LBB106_166
	s_branch .LBB106_224
.LBB106_12:
	s_mov_b32 s2, 0
                                        ; implicit-def: $vgpr1
                                        ; implicit-def: $sgpr34_sgpr35
	s_cbranch_execnz .LBB106_134
	s_branch .LBB106_142
.LBB106_13:
	s_mov_b32 s42, -1
.LBB106_14:
	s_mov_b32 s2, 0
                                        ; implicit-def: $vgpr1
                                        ; implicit-def: $sgpr34_sgpr35
	s_and_b32 vcc_lo, exec_lo, s42
	s_cbranch_vccz .LBB106_93
.LBB106_15:
	s_cmp_eq_u32 s33, 16
	s_cbranch_scc0 .LBB106_22
; %bb.16:
	s_bfe_u32 s2, ttmp6, 0x4000c
	s_and_b32 s3, ttmp6, 15
	s_add_co_i32 s2, s2, 1
	s_getreg_b32 s4, hwreg(HW_REG_IB_STS2, 6, 4)
	s_mul_i32 s2, ttmp9, s2
	s_mov_b32 s35, 0
	s_add_co_i32 s3, s3, s2
	s_cmp_eq_u32 s4, 0
	s_cselect_b32 s34, ttmp9, s3
	s_mov_b32 s3, s35
	s_lshl_b32 s2, s34, 12
	s_lshr_b64 s[4:5], s[38:39], 12
	s_lshl_b64 s[6:7], s[2:3], 2
	s_cmp_lg_u64 s[4:5], s[34:35]
	s_add_nc_u64 s[16:17], s[36:37], s[6:7]
	s_cbranch_scc0 .LBB106_94
; %bb.17:
	s_clause 0xf
	global_load_b32 v1, v0, s[16:17] scale_offset
	global_load_b32 v2, v0, s[16:17] offset:1024 scale_offset
	global_load_b32 v3, v0, s[16:17] offset:2048 scale_offset
	;; [unrolled: 1-line block ×15, first 2 shown]
	s_mov_b32 s3, exec_lo
	s_wait_loadcnt 0xe
	v_add_nc_u32_e32 v1, v2, v1
	s_wait_loadcnt 0xc
	s_delay_alu instid0(VALU_DEP_1) | instskip(SKIP_1) | instid1(VALU_DEP_1)
	v_add3_u32 v1, v1, v3, v4
	s_wait_loadcnt 0xa
	v_add3_u32 v1, v1, v5, v6
	s_wait_loadcnt 0x8
	s_delay_alu instid0(VALU_DEP_1) | instskip(SKIP_1) | instid1(VALU_DEP_1)
	v_add3_u32 v1, v1, v7, v8
	s_wait_loadcnt 0x6
	v_add3_u32 v1, v1, v9, v10
	;; [unrolled: 5-line block ×3, first 2 shown]
	s_wait_loadcnt 0x0
	s_delay_alu instid0(VALU_DEP_1) | instskip(NEXT) | instid1(VALU_DEP_1)
	v_add3_u32 v1, v1, v15, v16
	v_mov_b32_dpp v2, v1 quad_perm:[1,0,3,2] row_mask:0xf bank_mask:0xf
	s_delay_alu instid0(VALU_DEP_1) | instskip(NEXT) | instid1(VALU_DEP_1)
	v_add_nc_u32_e32 v1, v2, v1
	v_mov_b32_dpp v2, v1 quad_perm:[2,3,0,1] row_mask:0xf bank_mask:0xf
	s_delay_alu instid0(VALU_DEP_1) | instskip(NEXT) | instid1(VALU_DEP_1)
	v_add_nc_u32_e32 v1, v1, v2
	v_mov_b32_dpp v2, v1 row_ror:4 row_mask:0xf bank_mask:0xf
	s_delay_alu instid0(VALU_DEP_1) | instskip(NEXT) | instid1(VALU_DEP_1)
	v_add_nc_u32_e32 v1, v1, v2
	v_mov_b32_dpp v2, v1 row_ror:8 row_mask:0xf bank_mask:0xf
	s_delay_alu instid0(VALU_DEP_1)
	v_add_nc_u32_e32 v1, v1, v2
	ds_swizzle_b32 v2, v1 offset:swizzle(BROADCAST,32,15)
	s_wait_dscnt 0x0
	v_dual_mov_b32 v2, 0 :: v_dual_add_nc_u32 v1, v1, v2
	ds_bpermute_b32 v1, v2, v1 offset:124
	v_mbcnt_lo_u32_b32 v2, -1, 0
	s_delay_alu instid0(VALU_DEP_1)
	v_cmpx_eq_u32_e32 0, v2
	s_cbranch_execz .LBB106_19
; %bb.18:
	v_lshrrev_b32_e32 v3, 3, v0
	s_delay_alu instid0(VALU_DEP_1)
	v_and_b32_e32 v3, 28, v3
	s_wait_dscnt 0x0
	ds_store_b32 v3, v1
.LBB106_19:
	s_or_b32 exec_lo, exec_lo, s3
	s_delay_alu instid0(SALU_CYCLE_1)
	s_mov_b32 s3, exec_lo
	s_wait_dscnt 0x0
	s_barrier_signal -1
	s_barrier_wait -1
	v_cmpx_gt_u32_e32 32, v0
	s_cbranch_execz .LBB106_21
; %bb.20:
	v_and_b32_e32 v1, 7, v2
	s_delay_alu instid0(VALU_DEP_1) | instskip(SKIP_1) | instid1(VALU_DEP_1)
	v_cmp_ne_u32_e32 vcc_lo, 7, v1
	v_add_co_ci_u32_e64 v4, null, 0, v2, vcc_lo
	v_lshlrev_b32_e32 v4, 2, v4
	v_cmp_gt_u32_e32 vcc_lo, 6, v1
	v_lshlrev_b32_e32 v3, 2, v1
	v_cndmask_b32_e64 v1, 0, 2, vcc_lo
	s_delay_alu instid0(VALU_DEP_1)
	v_add_lshl_u32 v1, v1, v2, 2
	v_lshlrev_b32_e32 v2, 2, v2
	ds_load_b32 v3, v3
	v_or_b32_e32 v2, 16, v2
	s_wait_dscnt 0x0
	ds_bpermute_b32 v4, v4, v3
	s_wait_dscnt 0x0
	v_add_nc_u32_e32 v3, v4, v3
	ds_bpermute_b32 v1, v1, v3
	s_wait_dscnt 0x0
	v_add_nc_u32_e32 v1, v1, v3
	;; [unrolled: 3-line block ×3, first 2 shown]
.LBB106_21:
	s_or_b32 exec_lo, exec_lo, s3
	s_mov_b32 s3, 0
	s_branch .LBB106_95
.LBB106_22:
                                        ; implicit-def: $vgpr1
                                        ; implicit-def: $sgpr34_sgpr35
	s_branch .LBB106_142
.LBB106_23:
                                        ; implicit-def: $vgpr1
	s_cbranch_execz .LBB106_10
; %bb.24:
	v_mov_b32_e32 v2, 0
	s_sub_co_i32 s43, s38, s2
	s_delay_alu instid0(SALU_CYCLE_1) | instskip(NEXT) | instid1(VALU_DEP_2)
	v_cmp_gt_u32_e32 vcc_lo, s43, v0
	v_dual_mov_b32 v3, v2 :: v_dual_mov_b32 v4, v2
	v_dual_mov_b32 v5, v2 :: v_dual_mov_b32 v6, v2
	;; [unrolled: 1-line block ×15, first 2 shown]
	v_mov_b32_e32 v33, v2
	s_and_saveexec_b32 s2, vcc_lo
	s_cbranch_execz .LBB106_26
; %bb.25:
	global_load_b32 v4, v0, s[40:41] scale_offset
	v_dual_mov_b32 v5, v2 :: v_dual_mov_b32 v6, v2
	v_dual_mov_b32 v33, v2 :: v_dual_mov_b32 v34, v2
	;; [unrolled: 1-line block ×15, first 2 shown]
	v_mov_b32_e32 v32, v2
	s_wait_loadcnt 0x0
	v_mov_b64_e32 v[2:3], v[4:5]
	v_mov_b64_e32 v[4:5], v[6:7]
	;; [unrolled: 1-line block ×16, first 2 shown]
.LBB106_26:
	s_or_b32 exec_lo, exec_lo, s2
	v_or_b32_e32 v1, 0x100, v0
	s_delay_alu instid0(VALU_DEP_1)
	v_cmp_gt_u32_e32 vcc_lo, s43, v1
	s_and_saveexec_b32 s2, vcc_lo
	s_cbranch_execz .LBB106_28
; %bb.27:
	global_load_b32 v3, v0, s[40:41] offset:1024 scale_offset
.LBB106_28:
	s_wait_xcnt 0x0
	s_or_b32 exec_lo, exec_lo, s2
	v_or_b32_e32 v1, 0x200, v0
	s_delay_alu instid0(VALU_DEP_1)
	v_cmp_gt_u32_e64 s2, s43, v1
	s_and_saveexec_b32 s3, s2
	s_cbranch_execz .LBB106_30
; %bb.29:
	global_load_b32 v4, v0, s[40:41] offset:2048 scale_offset
.LBB106_30:
	s_wait_xcnt 0x0
	s_or_b32 exec_lo, exec_lo, s3
	v_or_b32_e32 v1, 0x300, v0
	s_delay_alu instid0(VALU_DEP_1)
	v_cmp_gt_u32_e64 s3, s43, v1
	s_and_saveexec_b32 s4, s3
	;; [unrolled: 10-line block ×30, first 2 shown]
	s_cbranch_execz .LBB106_88
; %bb.87:
	global_load_b32 v33, v0, s[40:41] offset:31744 scale_offset
.LBB106_88:
	s_wait_xcnt 0x0
	s_or_b32 exec_lo, exec_lo, s44
	s_wait_loadcnt 0x0
	v_dual_cndmask_b32 v1, 0, v3, vcc_lo :: v_dual_cndmask_b32 v3, 0, v4, s2
	v_cndmask_b32_e64 v4, 0, v5, s3
	s_min_u32 s2, s43, 0x100
	s_mov_b32 s3, exec_lo
	s_delay_alu instid0(VALU_DEP_2) | instskip(SKIP_2) | instid1(VALU_DEP_3)
	v_add_nc_u32_e32 v1, v1, v2
	v_dual_cndmask_b32 v2, 0, v6, s4 :: v_dual_cndmask_b32 v5, 0, v7, s5
	v_dual_cndmask_b32 v7, 0, v32, s30 :: v_dual_cndmask_b32 v6, 0, v31, s29
	v_add3_u32 v1, v1, v3, v4
	v_dual_cndmask_b32 v3, 0, v8, s6 :: v_dual_cndmask_b32 v4, 0, v9, s7
	s_delay_alu instid0(VALU_DEP_2) | instskip(SKIP_1) | instid1(VALU_DEP_2)
	v_add3_u32 v1, v1, v2, v5
	v_dual_cndmask_b32 v2, 0, v10, s8 :: v_dual_cndmask_b32 v5, 0, v11, s9
	v_add3_u32 v1, v1, v3, v4
	v_dual_cndmask_b32 v3, 0, v12, s10 :: v_dual_cndmask_b32 v4, 0, v13, s11
	s_delay_alu instid0(VALU_DEP_2) | instskip(SKIP_1) | instid1(VALU_DEP_2)
	v_add3_u32 v1, v1, v2, v5
	;; [unrolled: 5-line block ×5, first 2 shown]
	v_dual_cndmask_b32 v2, 0, v26, s24 :: v_dual_cndmask_b32 v5, 0, v27, s25
	v_add3_u32 v1, v1, v3, v4
	v_dual_cndmask_b32 v3, 0, v28, s26 :: v_dual_cndmask_b32 v4, 0, v29, s27
	s_delay_alu instid0(VALU_DEP_2) | instskip(SKIP_2) | instid1(VALU_DEP_3)
	v_add3_u32 v1, v1, v2, v5
	v_mbcnt_lo_u32_b32 v2, -1, 0
	v_cndmask_b32_e64 v5, 0, v30, s28
	v_add3_u32 v1, v1, v3, v4
	s_delay_alu instid0(VALU_DEP_3) | instskip(SKIP_1) | instid1(VALU_DEP_3)
	v_cmp_ne_u32_e32 vcc_lo, 31, v2
	v_cndmask_b32_e64 v3, 0, v33, s31
	v_add3_u32 v1, v1, v5, v6
	v_add_co_ci_u32_e64 v4, null, 0, v2, vcc_lo
	v_cmp_gt_u32_e32 vcc_lo, 30, v2
	v_add_nc_u32_e32 v5, 1, v2
	s_delay_alu instid0(VALU_DEP_4) | instskip(NEXT) | instid1(VALU_DEP_4)
	v_add3_u32 v1, v1, v7, v3
	v_lshlrev_b32_e32 v4, 2, v4
	v_cndmask_b32_e64 v6, 0, 2, vcc_lo
	ds_bpermute_b32 v3, v4, v1
	v_and_b32_e32 v4, 0xe0, v0
	s_delay_alu instid0(VALU_DEP_1) | instskip(NEXT) | instid1(VALU_DEP_1)
	v_sub_nc_u32_e64 v4, s2, v4 clamp
	v_cmp_lt_u32_e32 vcc_lo, v5, v4
	v_add_lshl_u32 v5, v6, v2, 2
	s_wait_dscnt 0x0
	v_cndmask_b32_e32 v3, 0, v3, vcc_lo
	v_cmp_gt_u32_e32 vcc_lo, 28, v2
	s_delay_alu instid0(VALU_DEP_2) | instskip(SKIP_3) | instid1(VALU_DEP_1)
	v_add_nc_u32_e32 v1, v1, v3
	v_cndmask_b32_e64 v6, 0, 4, vcc_lo
	ds_bpermute_b32 v3, v5, v1
	v_add_nc_u32_e32 v5, 2, v2
	v_cmp_lt_u32_e32 vcc_lo, v5, v4
	v_add_lshl_u32 v5, v6, v2, 2
	s_wait_dscnt 0x0
	v_cndmask_b32_e32 v3, 0, v3, vcc_lo
	v_cmp_gt_u32_e32 vcc_lo, 24, v2
	s_delay_alu instid0(VALU_DEP_2) | instskip(SKIP_3) | instid1(VALU_DEP_1)
	v_add_nc_u32_e32 v1, v1, v3
	v_cndmask_b32_e64 v6, 0, 8, vcc_lo
	ds_bpermute_b32 v3, v5, v1
	v_add_nc_u32_e32 v5, 4, v2
	v_cmp_lt_u32_e32 vcc_lo, v5, v4
	v_add_lshl_u32 v5, v6, v2, 2
	s_wait_dscnt 0x0
	v_dual_cndmask_b32 v3, 0, v3 :: v_dual_add_nc_u32 v6, 8, v2
	s_delay_alu instid0(VALU_DEP_1) | instskip(NEXT) | instid1(VALU_DEP_2)
	v_cmp_lt_u32_e32 vcc_lo, v6, v4
	v_dual_add_nc_u32 v1, v1, v3 :: v_dual_lshlrev_b32 v3, 2, v2
	ds_bpermute_b32 v5, v5, v1
	s_wait_dscnt 0x0
	v_dual_cndmask_b32 v5, 0, v5, vcc_lo :: v_dual_bitop2_b32 v6, 64, v3 bitop3:0x54
	s_delay_alu instid0(VALU_DEP_1) | instskip(SKIP_2) | instid1(VALU_DEP_1)
	v_add_nc_u32_e32 v1, v1, v5
	ds_bpermute_b32 v5, v6, v1
	v_add_nc_u32_e32 v6, 16, v2
	v_cmp_lt_u32_e32 vcc_lo, v6, v4
	s_wait_dscnt 0x0
	v_cndmask_b32_e32 v4, 0, v5, vcc_lo
	s_delay_alu instid0(VALU_DEP_1)
	v_add_nc_u32_e32 v1, v1, v4
	v_cmpx_eq_u32_e32 0, v2
; %bb.89:
	v_lshrrev_b32_e32 v4, 3, v0
	s_delay_alu instid0(VALU_DEP_1)
	v_and_b32_e32 v4, 28, v4
	ds_store_b32 v4, v1 offset:192
; %bb.90:
	s_or_b32 exec_lo, exec_lo, s3
	s_delay_alu instid0(SALU_CYCLE_1)
	s_mov_b32 s3, exec_lo
	s_wait_dscnt 0x0
	s_barrier_signal -1
	s_barrier_wait -1
	v_cmpx_gt_u32_e32 8, v0
	s_cbranch_execz .LBB106_92
; %bb.91:
	ds_load_b32 v1, v3 offset:192
	v_and_b32_e32 v4, 7, v2
	s_add_co_i32 s2, s2, 31
	s_delay_alu instid0(SALU_CYCLE_1) | instskip(NEXT) | instid1(VALU_DEP_1)
	s_lshr_b32 s2, s2, 5
	v_cmp_ne_u32_e32 vcc_lo, 7, v4
	v_add_co_ci_u32_e64 v5, null, 0, v2, vcc_lo
	s_delay_alu instid0(VALU_DEP_1)
	v_lshlrev_b32_e32 v5, 2, v5
	v_cmp_gt_u32_e32 vcc_lo, 6, v4
	s_wait_dscnt 0x0
	ds_bpermute_b32 v5, v5, v1
	v_add_nc_u32_e32 v6, 1, v4
	v_cndmask_b32_e64 v7, 0, 2, vcc_lo
	s_delay_alu instid0(VALU_DEP_2) | instskip(NEXT) | instid1(VALU_DEP_2)
	v_cmp_gt_u32_e32 vcc_lo, s2, v6
	v_add_lshl_u32 v2, v7, v2, 2
	s_wait_dscnt 0x0
	v_cndmask_b32_e32 v5, 0, v5, vcc_lo
	s_delay_alu instid0(VALU_DEP_1) | instskip(SKIP_4) | instid1(VALU_DEP_1)
	v_dual_add_nc_u32 v1, v5, v1 :: v_dual_add_nc_u32 v5, 2, v4
	ds_bpermute_b32 v2, v2, v1
	v_cmp_gt_u32_e32 vcc_lo, s2, v5
	s_wait_dscnt 0x0
	v_cndmask_b32_e32 v2, 0, v2, vcc_lo
	v_dual_add_nc_u32 v1, v1, v2 :: v_dual_bitop2_b32 v2, 16, v3 bitop3:0x54
	v_add_nc_u32_e32 v3, 4, v4
	ds_bpermute_b32 v2, v2, v1
	v_cmp_gt_u32_e32 vcc_lo, s2, v3
	s_wait_dscnt 0x0
	v_cndmask_b32_e32 v2, 0, v2, vcc_lo
	s_delay_alu instid0(VALU_DEP_1)
	v_add_nc_u32_e32 v1, v1, v2
.LBB106_92:
	s_or_b32 exec_lo, exec_lo, s3
	v_cmp_eq_u32_e64 s2, 0, v0
	s_and_b32 vcc_lo, exec_lo, s42
	s_cbranch_vccnz .LBB106_15
.LBB106_93:
	s_branch .LBB106_142
.LBB106_94:
	s_mov_b32 s3, -1
                                        ; implicit-def: $vgpr1
.LBB106_95:
	s_delay_alu instid0(SALU_CYCLE_1)
	s_and_b32 vcc_lo, exec_lo, s3
	s_cbranch_vccz .LBB106_133
; %bb.96:
	v_mov_b32_e32 v2, 0
	s_sub_co_i32 s18, s38, s2
	s_mov_b32 s2, exec_lo
	s_delay_alu instid0(VALU_DEP_1)
	v_dual_mov_b32 v3, v2 :: v_dual_mov_b32 v4, v2
	v_dual_mov_b32 v5, v2 :: v_dual_mov_b32 v6, v2
	;; [unrolled: 1-line block ×7, first 2 shown]
	v_mov_b32_e32 v17, v2
	v_cmpx_gt_u32_e64 s18, v0
	s_cbranch_execz .LBB106_98
; %bb.97:
	global_load_b32 v4, v0, s[16:17] scale_offset
	v_dual_mov_b32 v5, v2 :: v_dual_mov_b32 v6, v2
	v_dual_mov_b32 v17, v2 :: v_dual_mov_b32 v18, v2
	;; [unrolled: 1-line block ×7, first 2 shown]
	v_mov_b32_e32 v16, v2
	s_wait_loadcnt 0x0
	v_mov_b64_e32 v[2:3], v[4:5]
	v_mov_b64_e32 v[4:5], v[6:7]
	;; [unrolled: 1-line block ×8, first 2 shown]
.LBB106_98:
	s_or_b32 exec_lo, exec_lo, s2
	v_or_b32_e32 v1, 0x100, v0
	s_delay_alu instid0(VALU_DEP_1)
	v_cmp_gt_u32_e32 vcc_lo, s18, v1
	s_and_saveexec_b32 s2, vcc_lo
	s_cbranch_execz .LBB106_100
; %bb.99:
	global_load_b32 v3, v0, s[16:17] offset:1024 scale_offset
.LBB106_100:
	s_wait_xcnt 0x0
	s_or_b32 exec_lo, exec_lo, s2
	v_or_b32_e32 v1, 0x200, v0
	s_delay_alu instid0(VALU_DEP_1)
	v_cmp_gt_u32_e64 s2, s18, v1
	s_and_saveexec_b32 s3, s2
	s_cbranch_execz .LBB106_102
; %bb.101:
	global_load_b32 v4, v0, s[16:17] offset:2048 scale_offset
.LBB106_102:
	s_wait_xcnt 0x0
	s_or_b32 exec_lo, exec_lo, s3
	v_or_b32_e32 v1, 0x300, v0
	s_delay_alu instid0(VALU_DEP_1)
	v_cmp_gt_u32_e64 s3, s18, v1
	s_and_saveexec_b32 s4, s3
	s_cbranch_execz .LBB106_104
; %bb.103:
	global_load_b32 v5, v0, s[16:17] offset:3072 scale_offset
.LBB106_104:
	s_wait_xcnt 0x0
	s_or_b32 exec_lo, exec_lo, s4
	v_or_b32_e32 v1, 0x400, v0
	s_delay_alu instid0(VALU_DEP_1)
	v_cmp_gt_u32_e64 s4, s18, v1
	s_and_saveexec_b32 s5, s4
	s_cbranch_execz .LBB106_106
; %bb.105:
	global_load_b32 v6, v0, s[16:17] offset:4096 scale_offset
.LBB106_106:
	s_wait_xcnt 0x0
	s_or_b32 exec_lo, exec_lo, s5
	v_or_b32_e32 v1, 0x500, v0
	s_delay_alu instid0(VALU_DEP_1)
	v_cmp_gt_u32_e64 s5, s18, v1
	s_and_saveexec_b32 s6, s5
	s_cbranch_execz .LBB106_108
; %bb.107:
	global_load_b32 v7, v0, s[16:17] offset:5120 scale_offset
.LBB106_108:
	s_wait_xcnt 0x0
	s_or_b32 exec_lo, exec_lo, s6
	v_or_b32_e32 v1, 0x600, v0
	s_delay_alu instid0(VALU_DEP_1)
	v_cmp_gt_u32_e64 s6, s18, v1
	s_and_saveexec_b32 s7, s6
	s_cbranch_execz .LBB106_110
; %bb.109:
	global_load_b32 v8, v0, s[16:17] offset:6144 scale_offset
.LBB106_110:
	s_wait_xcnt 0x0
	s_or_b32 exec_lo, exec_lo, s7
	v_or_b32_e32 v1, 0x700, v0
	s_delay_alu instid0(VALU_DEP_1)
	v_cmp_gt_u32_e64 s7, s18, v1
	s_and_saveexec_b32 s8, s7
	s_cbranch_execz .LBB106_112
; %bb.111:
	global_load_b32 v9, v0, s[16:17] offset:7168 scale_offset
.LBB106_112:
	s_wait_xcnt 0x0
	s_or_b32 exec_lo, exec_lo, s8
	v_or_b32_e32 v1, 0x800, v0
	s_delay_alu instid0(VALU_DEP_1)
	v_cmp_gt_u32_e64 s8, s18, v1
	s_and_saveexec_b32 s9, s8
	s_cbranch_execz .LBB106_114
; %bb.113:
	global_load_b32 v10, v0, s[16:17] offset:8192 scale_offset
.LBB106_114:
	s_wait_xcnt 0x0
	s_or_b32 exec_lo, exec_lo, s9
	v_or_b32_e32 v1, 0x900, v0
	s_delay_alu instid0(VALU_DEP_1)
	v_cmp_gt_u32_e64 s9, s18, v1
	s_and_saveexec_b32 s10, s9
	s_cbranch_execz .LBB106_116
; %bb.115:
	global_load_b32 v11, v0, s[16:17] offset:9216 scale_offset
.LBB106_116:
	s_wait_xcnt 0x0
	s_or_b32 exec_lo, exec_lo, s10
	v_or_b32_e32 v1, 0xa00, v0
	s_delay_alu instid0(VALU_DEP_1)
	v_cmp_gt_u32_e64 s10, s18, v1
	s_and_saveexec_b32 s11, s10
	s_cbranch_execz .LBB106_118
; %bb.117:
	global_load_b32 v12, v0, s[16:17] offset:10240 scale_offset
.LBB106_118:
	s_wait_xcnt 0x0
	s_or_b32 exec_lo, exec_lo, s11
	v_or_b32_e32 v1, 0xb00, v0
	s_delay_alu instid0(VALU_DEP_1)
	v_cmp_gt_u32_e64 s11, s18, v1
	s_and_saveexec_b32 s12, s11
	s_cbranch_execz .LBB106_120
; %bb.119:
	global_load_b32 v13, v0, s[16:17] offset:11264 scale_offset
.LBB106_120:
	s_wait_xcnt 0x0
	s_or_b32 exec_lo, exec_lo, s12
	v_or_b32_e32 v1, 0xc00, v0
	s_delay_alu instid0(VALU_DEP_1)
	v_cmp_gt_u32_e64 s12, s18, v1
	s_and_saveexec_b32 s13, s12
	s_cbranch_execz .LBB106_122
; %bb.121:
	global_load_b32 v14, v0, s[16:17] offset:12288 scale_offset
.LBB106_122:
	s_wait_xcnt 0x0
	s_or_b32 exec_lo, exec_lo, s13
	v_or_b32_e32 v1, 0xd00, v0
	s_delay_alu instid0(VALU_DEP_1)
	v_cmp_gt_u32_e64 s13, s18, v1
	s_and_saveexec_b32 s14, s13
	s_cbranch_execz .LBB106_124
; %bb.123:
	global_load_b32 v15, v0, s[16:17] offset:13312 scale_offset
.LBB106_124:
	s_wait_xcnt 0x0
	s_or_b32 exec_lo, exec_lo, s14
	v_or_b32_e32 v1, 0xe00, v0
	s_delay_alu instid0(VALU_DEP_1)
	v_cmp_gt_u32_e64 s14, s18, v1
	s_and_saveexec_b32 s15, s14
	s_cbranch_execz .LBB106_126
; %bb.125:
	global_load_b32 v16, v0, s[16:17] offset:14336 scale_offset
.LBB106_126:
	s_wait_xcnt 0x0
	s_or_b32 exec_lo, exec_lo, s15
	v_or_b32_e32 v1, 0xf00, v0
	s_delay_alu instid0(VALU_DEP_1)
	v_cmp_gt_u32_e64 s15, s18, v1
	s_and_saveexec_b32 s19, s15
	s_cbranch_execz .LBB106_128
; %bb.127:
	global_load_b32 v17, v0, s[16:17] offset:15360 scale_offset
.LBB106_128:
	s_wait_xcnt 0x0
	s_or_b32 exec_lo, exec_lo, s19
	s_wait_loadcnt 0x0
	v_dual_cndmask_b32 v1, 0, v3, vcc_lo :: v_dual_cndmask_b32 v3, 0, v4, s2
	v_cndmask_b32_e64 v4, 0, v5, s3
	s_min_u32 s2, s18, 0x100
	s_mov_b32 s3, exec_lo
	s_delay_alu instid0(VALU_DEP_2) | instskip(SKIP_2) | instid1(VALU_DEP_3)
	v_add_nc_u32_e32 v1, v1, v2
	v_dual_cndmask_b32 v2, 0, v6, s4 :: v_dual_cndmask_b32 v5, 0, v7, s5
	v_dual_cndmask_b32 v7, 0, v16, s14 :: v_dual_cndmask_b32 v6, 0, v15, s13
	v_add3_u32 v1, v1, v3, v4
	v_dual_cndmask_b32 v3, 0, v8, s6 :: v_dual_cndmask_b32 v4, 0, v9, s7
	s_delay_alu instid0(VALU_DEP_2) | instskip(SKIP_1) | instid1(VALU_DEP_2)
	v_add3_u32 v1, v1, v2, v5
	v_dual_cndmask_b32 v2, 0, v10, s8 :: v_dual_cndmask_b32 v5, 0, v11, s9
	v_add3_u32 v1, v1, v3, v4
	v_dual_cndmask_b32 v3, 0, v12, s10 :: v_dual_cndmask_b32 v4, 0, v13, s11
	s_delay_alu instid0(VALU_DEP_2) | instskip(SKIP_2) | instid1(VALU_DEP_3)
	v_add3_u32 v1, v1, v2, v5
	v_mbcnt_lo_u32_b32 v2, -1, 0
	v_cndmask_b32_e64 v5, 0, v14, s12
	v_add3_u32 v1, v1, v3, v4
	s_delay_alu instid0(VALU_DEP_3) | instskip(SKIP_1) | instid1(VALU_DEP_3)
	v_cmp_ne_u32_e32 vcc_lo, 31, v2
	v_cndmask_b32_e64 v3, 0, v17, s15
	v_add3_u32 v1, v1, v5, v6
	v_add_co_ci_u32_e64 v4, null, 0, v2, vcc_lo
	v_cmp_gt_u32_e32 vcc_lo, 30, v2
	v_add_nc_u32_e32 v5, 1, v2
	s_delay_alu instid0(VALU_DEP_4) | instskip(NEXT) | instid1(VALU_DEP_4)
	v_add3_u32 v1, v1, v7, v3
	v_lshlrev_b32_e32 v4, 2, v4
	v_cndmask_b32_e64 v6, 0, 2, vcc_lo
	ds_bpermute_b32 v3, v4, v1
	v_and_b32_e32 v4, 0xe0, v0
	s_delay_alu instid0(VALU_DEP_1) | instskip(NEXT) | instid1(VALU_DEP_1)
	v_sub_nc_u32_e64 v4, s2, v4 clamp
	v_cmp_lt_u32_e32 vcc_lo, v5, v4
	v_add_lshl_u32 v5, v6, v2, 2
	s_wait_dscnt 0x0
	v_cndmask_b32_e32 v3, 0, v3, vcc_lo
	v_cmp_gt_u32_e32 vcc_lo, 28, v2
	s_delay_alu instid0(VALU_DEP_2) | instskip(SKIP_3) | instid1(VALU_DEP_1)
	v_add_nc_u32_e32 v1, v1, v3
	v_cndmask_b32_e64 v6, 0, 4, vcc_lo
	ds_bpermute_b32 v3, v5, v1
	v_add_nc_u32_e32 v5, 2, v2
	v_cmp_lt_u32_e32 vcc_lo, v5, v4
	v_add_lshl_u32 v5, v6, v2, 2
	s_wait_dscnt 0x0
	v_cndmask_b32_e32 v3, 0, v3, vcc_lo
	v_cmp_gt_u32_e32 vcc_lo, 24, v2
	s_delay_alu instid0(VALU_DEP_2) | instskip(SKIP_3) | instid1(VALU_DEP_1)
	v_add_nc_u32_e32 v1, v1, v3
	v_cndmask_b32_e64 v6, 0, 8, vcc_lo
	ds_bpermute_b32 v3, v5, v1
	v_add_nc_u32_e32 v5, 4, v2
	v_cmp_lt_u32_e32 vcc_lo, v5, v4
	v_add_lshl_u32 v5, v6, v2, 2
	s_wait_dscnt 0x0
	v_dual_cndmask_b32 v3, 0, v3 :: v_dual_add_nc_u32 v6, 8, v2
	s_delay_alu instid0(VALU_DEP_1) | instskip(NEXT) | instid1(VALU_DEP_2)
	v_cmp_lt_u32_e32 vcc_lo, v6, v4
	v_dual_add_nc_u32 v1, v1, v3 :: v_dual_lshlrev_b32 v3, 2, v2
	ds_bpermute_b32 v5, v5, v1
	s_wait_dscnt 0x0
	v_dual_cndmask_b32 v5, 0, v5, vcc_lo :: v_dual_bitop2_b32 v6, 64, v3 bitop3:0x54
	s_delay_alu instid0(VALU_DEP_1) | instskip(SKIP_2) | instid1(VALU_DEP_1)
	v_add_nc_u32_e32 v1, v1, v5
	ds_bpermute_b32 v5, v6, v1
	v_add_nc_u32_e32 v6, 16, v2
	v_cmp_lt_u32_e32 vcc_lo, v6, v4
	s_wait_dscnt 0x0
	v_cndmask_b32_e32 v4, 0, v5, vcc_lo
	s_delay_alu instid0(VALU_DEP_1)
	v_add_nc_u32_e32 v1, v1, v4
	v_cmpx_eq_u32_e32 0, v2
; %bb.129:
	v_lshrrev_b32_e32 v4, 3, v0
	s_delay_alu instid0(VALU_DEP_1)
	v_and_b32_e32 v4, 28, v4
	ds_store_b32 v4, v1 offset:192
; %bb.130:
	s_or_b32 exec_lo, exec_lo, s3
	s_delay_alu instid0(SALU_CYCLE_1)
	s_mov_b32 s3, exec_lo
	s_wait_dscnt 0x0
	s_barrier_signal -1
	s_barrier_wait -1
	v_cmpx_gt_u32_e32 8, v0
	s_cbranch_execz .LBB106_132
; %bb.131:
	ds_load_b32 v1, v3 offset:192
	v_and_b32_e32 v4, 7, v2
	s_add_co_i32 s2, s2, 31
	s_delay_alu instid0(SALU_CYCLE_1) | instskip(NEXT) | instid1(VALU_DEP_1)
	s_lshr_b32 s2, s2, 5
	v_cmp_ne_u32_e32 vcc_lo, 7, v4
	v_add_co_ci_u32_e64 v5, null, 0, v2, vcc_lo
	s_delay_alu instid0(VALU_DEP_1)
	v_lshlrev_b32_e32 v5, 2, v5
	v_cmp_gt_u32_e32 vcc_lo, 6, v4
	s_wait_dscnt 0x0
	ds_bpermute_b32 v5, v5, v1
	v_add_nc_u32_e32 v6, 1, v4
	v_cndmask_b32_e64 v7, 0, 2, vcc_lo
	s_delay_alu instid0(VALU_DEP_2) | instskip(NEXT) | instid1(VALU_DEP_2)
	v_cmp_gt_u32_e32 vcc_lo, s2, v6
	v_add_lshl_u32 v2, v7, v2, 2
	s_wait_dscnt 0x0
	v_cndmask_b32_e32 v5, 0, v5, vcc_lo
	s_delay_alu instid0(VALU_DEP_1) | instskip(SKIP_4) | instid1(VALU_DEP_1)
	v_dual_add_nc_u32 v1, v5, v1 :: v_dual_add_nc_u32 v5, 2, v4
	ds_bpermute_b32 v2, v2, v1
	v_cmp_gt_u32_e32 vcc_lo, s2, v5
	s_wait_dscnt 0x0
	v_cndmask_b32_e32 v2, 0, v2, vcc_lo
	v_dual_add_nc_u32 v1, v1, v2 :: v_dual_bitop2_b32 v2, 16, v3 bitop3:0x54
	v_add_nc_u32_e32 v3, 4, v4
	ds_bpermute_b32 v2, v2, v1
	v_cmp_gt_u32_e32 vcc_lo, s2, v3
	s_wait_dscnt 0x0
	v_cndmask_b32_e32 v2, 0, v2, vcc_lo
	s_delay_alu instid0(VALU_DEP_1)
	v_add_nc_u32_e32 v1, v1, v2
.LBB106_132:
	s_or_b32 exec_lo, exec_lo, s3
.LBB106_133:
	v_cmp_eq_u32_e64 s2, 0, v0
	s_branch .LBB106_142
.LBB106_134:
	s_cmp_eq_u32 s33, 8
	s_cbranch_scc0 .LBB106_141
; %bb.135:
	s_bfe_u32 s2, ttmp6, 0x4000c
	s_and_b32 s3, ttmp6, 15
	s_add_co_i32 s2, s2, 1
	s_getreg_b32 s4, hwreg(HW_REG_IB_STS2, 6, 4)
	s_mul_i32 s2, ttmp9, s2
	s_mov_b32 s35, 0
	s_add_co_i32 s3, s3, s2
	s_cmp_eq_u32 s4, 0
	s_cselect_b32 s34, ttmp9, s3
	s_mov_b32 s3, s35
	s_lshl_b32 s2, s34, 11
	s_lshr_b64 s[4:5], s[38:39], 11
	s_lshl_b64 s[6:7], s[2:3], 2
	s_cmp_lg_u64 s[4:5], s[34:35]
	s_add_nc_u64 s[8:9], s[36:37], s[6:7]
	s_cbranch_scc0 .LBB106_143
; %bb.136:
	s_clause 0x7
	global_load_b32 v1, v0, s[8:9] scale_offset
	global_load_b32 v2, v0, s[8:9] offset:1024 scale_offset
	global_load_b32 v3, v0, s[8:9] offset:2048 scale_offset
	;; [unrolled: 1-line block ×7, first 2 shown]
	s_mov_b32 s3, exec_lo
	s_wait_loadcnt 0x6
	v_add_nc_u32_e32 v1, v2, v1
	s_wait_loadcnt 0x4
	s_delay_alu instid0(VALU_DEP_1) | instskip(SKIP_1) | instid1(VALU_DEP_1)
	v_add3_u32 v1, v1, v3, v4
	s_wait_loadcnt 0x2
	v_add3_u32 v1, v1, v5, v6
	s_wait_loadcnt 0x0
	s_delay_alu instid0(VALU_DEP_1) | instskip(NEXT) | instid1(VALU_DEP_1)
	v_add3_u32 v1, v1, v7, v8
	v_mov_b32_dpp v2, v1 quad_perm:[1,0,3,2] row_mask:0xf bank_mask:0xf
	s_delay_alu instid0(VALU_DEP_1) | instskip(NEXT) | instid1(VALU_DEP_1)
	v_add_nc_u32_e32 v1, v2, v1
	v_mov_b32_dpp v2, v1 quad_perm:[2,3,0,1] row_mask:0xf bank_mask:0xf
	s_delay_alu instid0(VALU_DEP_1) | instskip(NEXT) | instid1(VALU_DEP_1)
	v_add_nc_u32_e32 v1, v1, v2
	v_mov_b32_dpp v2, v1 row_ror:4 row_mask:0xf bank_mask:0xf
	s_delay_alu instid0(VALU_DEP_1) | instskip(NEXT) | instid1(VALU_DEP_1)
	v_add_nc_u32_e32 v1, v1, v2
	v_mov_b32_dpp v2, v1 row_ror:8 row_mask:0xf bank_mask:0xf
	s_delay_alu instid0(VALU_DEP_1)
	v_add_nc_u32_e32 v1, v1, v2
	ds_swizzle_b32 v2, v1 offset:swizzle(BROADCAST,32,15)
	s_wait_dscnt 0x0
	v_dual_mov_b32 v2, 0 :: v_dual_add_nc_u32 v1, v1, v2
	ds_bpermute_b32 v1, v2, v1 offset:124
	v_mbcnt_lo_u32_b32 v2, -1, 0
	s_delay_alu instid0(VALU_DEP_1)
	v_cmpx_eq_u32_e32 0, v2
	s_cbranch_execz .LBB106_138
; %bb.137:
	v_lshrrev_b32_e32 v3, 3, v0
	s_delay_alu instid0(VALU_DEP_1)
	v_and_b32_e32 v3, 28, v3
	s_wait_dscnt 0x0
	ds_store_b32 v3, v1 offset:160
.LBB106_138:
	s_or_b32 exec_lo, exec_lo, s3
	s_delay_alu instid0(SALU_CYCLE_1)
	s_mov_b32 s3, exec_lo
	s_wait_dscnt 0x0
	s_barrier_signal -1
	s_barrier_wait -1
	v_cmpx_gt_u32_e32 32, v0
	s_cbranch_execz .LBB106_140
; %bb.139:
	v_and_b32_e32 v1, 7, v2
	s_delay_alu instid0(VALU_DEP_1) | instskip(SKIP_1) | instid1(VALU_DEP_1)
	v_cmp_ne_u32_e32 vcc_lo, 7, v1
	v_add_co_ci_u32_e64 v4, null, 0, v2, vcc_lo
	v_lshlrev_b32_e32 v4, 2, v4
	v_cmp_gt_u32_e32 vcc_lo, 6, v1
	v_lshlrev_b32_e32 v3, 2, v1
	v_cndmask_b32_e64 v1, 0, 2, vcc_lo
	s_delay_alu instid0(VALU_DEP_1)
	v_add_lshl_u32 v1, v1, v2, 2
	v_lshlrev_b32_e32 v2, 2, v2
	ds_load_b32 v3, v3 offset:160
	v_or_b32_e32 v2, 16, v2
	s_wait_dscnt 0x0
	ds_bpermute_b32 v4, v4, v3
	s_wait_dscnt 0x0
	v_add_nc_u32_e32 v3, v4, v3
	ds_bpermute_b32 v1, v1, v3
	s_wait_dscnt 0x0
	v_add_nc_u32_e32 v1, v1, v3
	;; [unrolled: 3-line block ×3, first 2 shown]
.LBB106_140:
	s_or_b32 exec_lo, exec_lo, s3
	s_branch .LBB106_165
.LBB106_141:
                                        ; implicit-def: $vgpr1
                                        ; implicit-def: $sgpr34_sgpr35
.LBB106_142:
	s_branch .LBB106_224
.LBB106_143:
                                        ; implicit-def: $vgpr1
	s_cbranch_execz .LBB106_165
; %bb.144:
	v_mov_b32_e32 v2, 0
	s_sub_co_i32 s10, s38, s2
	s_mov_b32 s2, exec_lo
	s_delay_alu instid0(VALU_DEP_1)
	v_dual_mov_b32 v3, v2 :: v_dual_mov_b32 v4, v2
	v_dual_mov_b32 v5, v2 :: v_dual_mov_b32 v6, v2
	;; [unrolled: 1-line block ×3, first 2 shown]
	v_mov_b32_e32 v9, v2
	v_cmpx_gt_u32_e64 s10, v0
	s_cbranch_execz .LBB106_146
; %bb.145:
	global_load_b32 v4, v0, s[8:9] scale_offset
	v_dual_mov_b32 v5, v2 :: v_dual_mov_b32 v6, v2
	v_dual_mov_b32 v9, v2 :: v_dual_mov_b32 v10, v2
	;; [unrolled: 1-line block ×3, first 2 shown]
	v_mov_b32_e32 v8, v2
	s_wait_loadcnt 0x0
	v_mov_b64_e32 v[2:3], v[4:5]
	s_delay_alu instid0(VALU_DEP_3) | instskip(NEXT) | instid1(VALU_DEP_3)
	v_mov_b64_e32 v[4:5], v[6:7]
	v_mov_b64_e32 v[6:7], v[8:9]
	;; [unrolled: 1-line block ×3, first 2 shown]
.LBB106_146:
	s_or_b32 exec_lo, exec_lo, s2
	v_or_b32_e32 v1, 0x100, v0
	s_delay_alu instid0(VALU_DEP_1)
	v_cmp_gt_u32_e32 vcc_lo, s10, v1
	s_and_saveexec_b32 s2, vcc_lo
	s_cbranch_execz .LBB106_148
; %bb.147:
	global_load_b32 v3, v0, s[8:9] offset:1024 scale_offset
.LBB106_148:
	s_wait_xcnt 0x0
	s_or_b32 exec_lo, exec_lo, s2
	v_or_b32_e32 v1, 0x200, v0
	s_delay_alu instid0(VALU_DEP_1)
	v_cmp_gt_u32_e64 s2, s10, v1
	s_and_saveexec_b32 s3, s2
	s_cbranch_execz .LBB106_150
; %bb.149:
	global_load_b32 v4, v0, s[8:9] offset:2048 scale_offset
.LBB106_150:
	s_wait_xcnt 0x0
	s_or_b32 exec_lo, exec_lo, s3
	v_or_b32_e32 v1, 0x300, v0
	s_delay_alu instid0(VALU_DEP_1)
	v_cmp_gt_u32_e64 s3, s10, v1
	s_and_saveexec_b32 s4, s3
	;; [unrolled: 10-line block ×6, first 2 shown]
	s_cbranch_execz .LBB106_160
; %bb.159:
	global_load_b32 v9, v0, s[8:9] offset:7168 scale_offset
.LBB106_160:
	s_wait_xcnt 0x0
	s_or_b32 exec_lo, exec_lo, s11
	s_wait_loadcnt 0x0
	v_dual_cndmask_b32 v1, 0, v3, vcc_lo :: v_dual_cndmask_b32 v3, 0, v4, s2
	v_dual_cndmask_b32 v4, 0, v5, s3 :: v_dual_cndmask_b32 v5, 0, v6, s4
	s_delay_alu instid0(VALU_DEP_2)
	v_dual_cndmask_b32 v6, 0, v7, s5 :: v_dual_add_nc_u32 v1, v1, v2
	v_mbcnt_lo_u32_b32 v2, -1, 0
	v_cndmask_b32_e64 v7, 0, v8, s6
	s_min_u32 s2, s10, 0x100
	s_mov_b32 s3, exec_lo
	v_add3_u32 v1, v1, v3, v4
	v_cmp_ne_u32_e32 vcc_lo, 31, v2
	v_cndmask_b32_e64 v3, 0, v9, s7
	s_delay_alu instid0(VALU_DEP_3) | instskip(SKIP_3) | instid1(VALU_DEP_4)
	v_add3_u32 v1, v1, v5, v6
	v_add_co_ci_u32_e64 v4, null, 0, v2, vcc_lo
	v_cmp_gt_u32_e32 vcc_lo, 30, v2
	v_add_nc_u32_e32 v5, 1, v2
	v_add3_u32 v1, v1, v7, v3
	s_delay_alu instid0(VALU_DEP_4) | instskip(SKIP_3) | instid1(VALU_DEP_1)
	v_lshlrev_b32_e32 v4, 2, v4
	v_cndmask_b32_e64 v6, 0, 2, vcc_lo
	ds_bpermute_b32 v3, v4, v1
	v_and_b32_e32 v4, 0xe0, v0
	v_sub_nc_u32_e64 v4, s2, v4 clamp
	s_delay_alu instid0(VALU_DEP_1) | instskip(SKIP_4) | instid1(VALU_DEP_2)
	v_cmp_lt_u32_e32 vcc_lo, v5, v4
	v_add_lshl_u32 v5, v6, v2, 2
	s_wait_dscnt 0x0
	v_cndmask_b32_e32 v3, 0, v3, vcc_lo
	v_cmp_gt_u32_e32 vcc_lo, 28, v2
	v_add_nc_u32_e32 v1, v1, v3
	v_cndmask_b32_e64 v6, 0, 4, vcc_lo
	ds_bpermute_b32 v3, v5, v1
	v_add_nc_u32_e32 v5, 2, v2
	s_delay_alu instid0(VALU_DEP_1) | instskip(SKIP_4) | instid1(VALU_DEP_2)
	v_cmp_lt_u32_e32 vcc_lo, v5, v4
	v_add_lshl_u32 v5, v6, v2, 2
	s_wait_dscnt 0x0
	v_cndmask_b32_e32 v3, 0, v3, vcc_lo
	v_cmp_gt_u32_e32 vcc_lo, 24, v2
	v_add_nc_u32_e32 v1, v1, v3
	v_cndmask_b32_e64 v6, 0, 8, vcc_lo
	ds_bpermute_b32 v3, v5, v1
	v_add_nc_u32_e32 v5, 4, v2
	s_delay_alu instid0(VALU_DEP_1) | instskip(SKIP_3) | instid1(VALU_DEP_1)
	v_cmp_lt_u32_e32 vcc_lo, v5, v4
	v_add_lshl_u32 v5, v6, v2, 2
	s_wait_dscnt 0x0
	v_dual_cndmask_b32 v3, 0, v3 :: v_dual_add_nc_u32 v6, 8, v2
	v_cmp_lt_u32_e32 vcc_lo, v6, v4
	s_delay_alu instid0(VALU_DEP_2) | instskip(SKIP_3) | instid1(VALU_DEP_1)
	v_dual_add_nc_u32 v1, v1, v3 :: v_dual_lshlrev_b32 v3, 2, v2
	ds_bpermute_b32 v5, v5, v1
	s_wait_dscnt 0x0
	v_dual_cndmask_b32 v5, 0, v5, vcc_lo :: v_dual_bitop2_b32 v6, 64, v3 bitop3:0x54
	v_add_nc_u32_e32 v1, v1, v5
	ds_bpermute_b32 v5, v6, v1
	v_add_nc_u32_e32 v6, 16, v2
	s_delay_alu instid0(VALU_DEP_1) | instskip(SKIP_2) | instid1(VALU_DEP_1)
	v_cmp_lt_u32_e32 vcc_lo, v6, v4
	s_wait_dscnt 0x0
	v_cndmask_b32_e32 v4, 0, v5, vcc_lo
	v_add_nc_u32_e32 v1, v1, v4
	v_cmpx_eq_u32_e32 0, v2
; %bb.161:
	v_lshrrev_b32_e32 v4, 3, v0
	s_delay_alu instid0(VALU_DEP_1)
	v_and_b32_e32 v4, 28, v4
	ds_store_b32 v4, v1 offset:192
; %bb.162:
	s_or_b32 exec_lo, exec_lo, s3
	s_delay_alu instid0(SALU_CYCLE_1)
	s_mov_b32 s3, exec_lo
	s_wait_dscnt 0x0
	s_barrier_signal -1
	s_barrier_wait -1
	v_cmpx_gt_u32_e32 8, v0
	s_cbranch_execz .LBB106_164
; %bb.163:
	ds_load_b32 v1, v3 offset:192
	v_and_b32_e32 v4, 7, v2
	s_add_co_i32 s2, s2, 31
	s_delay_alu instid0(SALU_CYCLE_1) | instskip(NEXT) | instid1(VALU_DEP_1)
	s_lshr_b32 s2, s2, 5
	v_cmp_ne_u32_e32 vcc_lo, 7, v4
	v_add_co_ci_u32_e64 v5, null, 0, v2, vcc_lo
	s_delay_alu instid0(VALU_DEP_1)
	v_lshlrev_b32_e32 v5, 2, v5
	v_cmp_gt_u32_e32 vcc_lo, 6, v4
	s_wait_dscnt 0x0
	ds_bpermute_b32 v5, v5, v1
	v_add_nc_u32_e32 v6, 1, v4
	v_cndmask_b32_e64 v7, 0, 2, vcc_lo
	s_delay_alu instid0(VALU_DEP_2) | instskip(NEXT) | instid1(VALU_DEP_2)
	v_cmp_gt_u32_e32 vcc_lo, s2, v6
	v_add_lshl_u32 v2, v7, v2, 2
	s_wait_dscnt 0x0
	v_cndmask_b32_e32 v5, 0, v5, vcc_lo
	s_delay_alu instid0(VALU_DEP_1) | instskip(SKIP_4) | instid1(VALU_DEP_1)
	v_dual_add_nc_u32 v1, v5, v1 :: v_dual_add_nc_u32 v5, 2, v4
	ds_bpermute_b32 v2, v2, v1
	v_cmp_gt_u32_e32 vcc_lo, s2, v5
	s_wait_dscnt 0x0
	v_cndmask_b32_e32 v2, 0, v2, vcc_lo
	v_dual_add_nc_u32 v1, v1, v2 :: v_dual_bitop2_b32 v2, 16, v3 bitop3:0x54
	v_add_nc_u32_e32 v3, 4, v4
	ds_bpermute_b32 v2, v2, v1
	v_cmp_gt_u32_e32 vcc_lo, s2, v3
	s_wait_dscnt 0x0
	v_cndmask_b32_e32 v2, 0, v2, vcc_lo
	s_delay_alu instid0(VALU_DEP_1)
	v_add_nc_u32_e32 v1, v1, v2
.LBB106_164:
	s_or_b32 exec_lo, exec_lo, s3
.LBB106_165:
	v_cmp_eq_u32_e64 s2, 0, v0
	s_branch .LBB106_224
.LBB106_166:
	s_cmp_gt_i32 s33, 1
	s_cbranch_scc0 .LBB106_175
; %bb.167:
	s_cmp_gt_i32 s33, 3
	s_cbranch_scc0 .LBB106_176
; %bb.168:
	s_cmp_eq_u32 s33, 4
	s_cbranch_scc0 .LBB106_177
; %bb.169:
	s_bfe_u32 s2, ttmp6, 0x4000c
	s_and_b32 s3, ttmp6, 15
	s_add_co_i32 s2, s2, 1
	s_getreg_b32 s4, hwreg(HW_REG_IB_STS2, 6, 4)
	s_mul_i32 s2, ttmp9, s2
	s_mov_b32 s35, 0
	s_add_co_i32 s3, s3, s2
	s_cmp_eq_u32 s4, 0
	s_cselect_b32 s34, ttmp9, s3
	s_mov_b32 s3, s35
	s_lshl_b32 s2, s34, 10
	s_lshr_b64 s[4:5], s[38:39], 10
	s_lshl_b64 s[6:7], s[2:3], 2
	s_cmp_lg_u64 s[4:5], s[34:35]
	s_add_nc_u64 s[4:5], s[36:37], s[6:7]
	s_cbranch_scc0 .LBB106_179
; %bb.170:
	s_clause 0x3
	global_load_b32 v1, v0, s[4:5] scale_offset
	global_load_b32 v2, v0, s[4:5] offset:1024 scale_offset
	global_load_b32 v3, v0, s[4:5] offset:2048 scale_offset
	;; [unrolled: 1-line block ×3, first 2 shown]
	s_mov_b32 s3, exec_lo
	s_wait_loadcnt 0x2
	v_add_nc_u32_e32 v1, v2, v1
	s_wait_loadcnt 0x0
	s_delay_alu instid0(VALU_DEP_1) | instskip(NEXT) | instid1(VALU_DEP_1)
	v_add3_u32 v1, v1, v3, v4
	v_mov_b32_dpp v2, v1 quad_perm:[1,0,3,2] row_mask:0xf bank_mask:0xf
	s_delay_alu instid0(VALU_DEP_1) | instskip(NEXT) | instid1(VALU_DEP_1)
	v_add_nc_u32_e32 v1, v2, v1
	v_mov_b32_dpp v2, v1 quad_perm:[2,3,0,1] row_mask:0xf bank_mask:0xf
	s_delay_alu instid0(VALU_DEP_1) | instskip(NEXT) | instid1(VALU_DEP_1)
	v_add_nc_u32_e32 v1, v1, v2
	v_mov_b32_dpp v2, v1 row_ror:4 row_mask:0xf bank_mask:0xf
	s_delay_alu instid0(VALU_DEP_1) | instskip(NEXT) | instid1(VALU_DEP_1)
	v_add_nc_u32_e32 v1, v1, v2
	v_mov_b32_dpp v2, v1 row_ror:8 row_mask:0xf bank_mask:0xf
	s_delay_alu instid0(VALU_DEP_1)
	v_add_nc_u32_e32 v1, v1, v2
	ds_swizzle_b32 v2, v1 offset:swizzle(BROADCAST,32,15)
	s_wait_dscnt 0x0
	v_dual_mov_b32 v2, 0 :: v_dual_add_nc_u32 v1, v1, v2
	ds_bpermute_b32 v1, v2, v1 offset:124
	v_mbcnt_lo_u32_b32 v2, -1, 0
	s_delay_alu instid0(VALU_DEP_1)
	v_cmpx_eq_u32_e32 0, v2
	s_cbranch_execz .LBB106_172
; %bb.171:
	v_lshrrev_b32_e32 v3, 3, v0
	s_delay_alu instid0(VALU_DEP_1)
	v_and_b32_e32 v3, 28, v3
	s_wait_dscnt 0x0
	ds_store_b32 v3, v1 offset:128
.LBB106_172:
	s_or_b32 exec_lo, exec_lo, s3
	s_delay_alu instid0(SALU_CYCLE_1)
	s_mov_b32 s3, exec_lo
	s_wait_dscnt 0x0
	s_barrier_signal -1
	s_barrier_wait -1
	v_cmpx_gt_u32_e32 32, v0
	s_cbranch_execz .LBB106_174
; %bb.173:
	v_and_b32_e32 v1, 7, v2
	s_delay_alu instid0(VALU_DEP_1) | instskip(SKIP_1) | instid1(VALU_DEP_1)
	v_cmp_ne_u32_e32 vcc_lo, 7, v1
	v_add_co_ci_u32_e64 v4, null, 0, v2, vcc_lo
	v_lshlrev_b32_e32 v4, 2, v4
	v_cmp_gt_u32_e32 vcc_lo, 6, v1
	v_lshlrev_b32_e32 v3, 2, v1
	v_cndmask_b32_e64 v1, 0, 2, vcc_lo
	s_delay_alu instid0(VALU_DEP_1)
	v_add_lshl_u32 v1, v1, v2, 2
	v_lshlrev_b32_e32 v2, 2, v2
	ds_load_b32 v3, v3 offset:128
	v_or_b32_e32 v2, 16, v2
	s_wait_dscnt 0x0
	ds_bpermute_b32 v4, v4, v3
	s_wait_dscnt 0x0
	v_add_nc_u32_e32 v3, v4, v3
	ds_bpermute_b32 v1, v1, v3
	s_wait_dscnt 0x0
	v_add_nc_u32_e32 v1, v1, v3
	;; [unrolled: 3-line block ×3, first 2 shown]
.LBB106_174:
	s_or_b32 exec_lo, exec_lo, s3
	s_mov_b32 s3, 0
	s_branch .LBB106_180
.LBB106_175:
                                        ; implicit-def: $vgpr1
                                        ; implicit-def: $sgpr34_sgpr35
	s_cbranch_execnz .LBB106_215
	s_branch .LBB106_224
.LBB106_176:
                                        ; implicit-def: $vgpr1
                                        ; implicit-def: $sgpr34_sgpr35
	s_cbranch_execz .LBB106_178
	s_branch .LBB106_195
.LBB106_177:
                                        ; implicit-def: $vgpr1
                                        ; implicit-def: $sgpr34_sgpr35
.LBB106_178:
	s_branch .LBB106_224
.LBB106_179:
	s_mov_b32 s3, -1
                                        ; implicit-def: $vgpr1
.LBB106_180:
	s_delay_alu instid0(SALU_CYCLE_1)
	s_and_b32 vcc_lo, exec_lo, s3
	s_cbranch_vccz .LBB106_194
; %bb.181:
	v_mov_b32_e32 v2, 0
	s_sub_co_i32 s6, s38, s2
	s_mov_b32 s2, exec_lo
	s_delay_alu instid0(VALU_DEP_1)
	v_dual_mov_b32 v3, v2 :: v_dual_mov_b32 v4, v2
	v_mov_b32_e32 v5, v2
	v_cmpx_gt_u32_e64 s6, v0
	s_cbranch_execz .LBB106_183
; %bb.182:
	global_load_b32 v4, v0, s[4:5] scale_offset
	v_dual_mov_b32 v5, v2 :: v_dual_mov_b32 v6, v2
	v_mov_b32_e32 v7, v2
	s_wait_loadcnt 0x0
	s_delay_alu instid0(VALU_DEP_2) | instskip(NEXT) | instid1(VALU_DEP_2)
	v_mov_b64_e32 v[2:3], v[4:5]
	v_mov_b64_e32 v[4:5], v[6:7]
.LBB106_183:
	s_or_b32 exec_lo, exec_lo, s2
	v_or_b32_e32 v1, 0x100, v0
	s_delay_alu instid0(VALU_DEP_1)
	v_cmp_gt_u32_e32 vcc_lo, s6, v1
	s_and_saveexec_b32 s2, vcc_lo
	s_cbranch_execz .LBB106_185
; %bb.184:
	global_load_b32 v3, v0, s[4:5] offset:1024 scale_offset
.LBB106_185:
	s_wait_xcnt 0x0
	s_or_b32 exec_lo, exec_lo, s2
	v_or_b32_e32 v1, 0x200, v0
	s_delay_alu instid0(VALU_DEP_1)
	v_cmp_gt_u32_e64 s2, s6, v1
	s_and_saveexec_b32 s3, s2
	s_cbranch_execz .LBB106_187
; %bb.186:
	global_load_b32 v4, v0, s[4:5] offset:2048 scale_offset
.LBB106_187:
	s_wait_xcnt 0x0
	s_or_b32 exec_lo, exec_lo, s3
	v_or_b32_e32 v1, 0x300, v0
	s_delay_alu instid0(VALU_DEP_1)
	v_cmp_gt_u32_e64 s3, s6, v1
	s_and_saveexec_b32 s7, s3
	s_cbranch_execz .LBB106_189
; %bb.188:
	global_load_b32 v5, v0, s[4:5] offset:3072 scale_offset
.LBB106_189:
	s_wait_xcnt 0x0
	s_or_b32 exec_lo, exec_lo, s7
	s_wait_loadcnt 0x0
	v_dual_cndmask_b32 v1, 0, v3, vcc_lo :: v_dual_cndmask_b32 v4, 0, v4, s2
	v_mbcnt_lo_u32_b32 v3, -1, 0
	v_cndmask_b32_e64 v5, 0, v5, s3
	s_min_u32 s2, s6, 0x100
	s_delay_alu instid0(VALU_DEP_3) | instskip(SKIP_2) | instid1(VALU_DEP_2)
	v_add_nc_u32_e32 v1, v1, v2
	s_mov_b32 s3, exec_lo
	v_cmp_ne_u32_e32 vcc_lo, 31, v3
	v_add3_u32 v1, v1, v4, v5
	v_and_b32_e32 v4, 0xe0, v0
	v_add_co_ci_u32_e64 v2, null, 0, v3, vcc_lo
	v_cmp_gt_u32_e32 vcc_lo, 30, v3
	v_add_nc_u32_e32 v5, 1, v3
	s_delay_alu instid0(VALU_DEP_4) | instskip(NEXT) | instid1(VALU_DEP_4)
	v_sub_nc_u32_e64 v4, s2, v4 clamp
	v_lshlrev_b32_e32 v2, 2, v2
	v_cndmask_b32_e64 v6, 0, 2, vcc_lo
	s_delay_alu instid0(VALU_DEP_3)
	v_cmp_lt_u32_e32 vcc_lo, v5, v4
	ds_bpermute_b32 v2, v2, v1
	v_add_lshl_u32 v5, v6, v3, 2
	s_wait_dscnt 0x0
	v_cndmask_b32_e32 v2, 0, v2, vcc_lo
	v_cmp_gt_u32_e32 vcc_lo, 28, v3
	s_delay_alu instid0(VALU_DEP_2) | instskip(SKIP_3) | instid1(VALU_DEP_1)
	v_add_nc_u32_e32 v1, v2, v1
	v_cndmask_b32_e64 v6, 0, 4, vcc_lo
	ds_bpermute_b32 v2, v5, v1
	v_add_nc_u32_e32 v5, 2, v3
	v_cmp_lt_u32_e32 vcc_lo, v5, v4
	v_add_lshl_u32 v5, v6, v3, 2
	s_wait_dscnt 0x0
	v_cndmask_b32_e32 v2, 0, v2, vcc_lo
	v_cmp_gt_u32_e32 vcc_lo, 24, v3
	s_delay_alu instid0(VALU_DEP_2) | instskip(SKIP_3) | instid1(VALU_DEP_1)
	v_add_nc_u32_e32 v1, v1, v2
	v_cndmask_b32_e64 v6, 0, 8, vcc_lo
	ds_bpermute_b32 v2, v5, v1
	v_add_nc_u32_e32 v5, 4, v3
	v_cmp_lt_u32_e32 vcc_lo, v5, v4
	v_add_lshl_u32 v5, v6, v3, 2
	s_wait_dscnt 0x0
	v_dual_add_nc_u32 v6, 8, v3 :: v_dual_cndmask_b32 v2, 0, v2, vcc_lo
	s_delay_alu instid0(VALU_DEP_1) | instskip(NEXT) | instid1(VALU_DEP_2)
	v_cmp_lt_u32_e32 vcc_lo, v6, v4
	v_dual_add_nc_u32 v1, v1, v2 :: v_dual_lshlrev_b32 v2, 2, v3
	ds_bpermute_b32 v5, v5, v1
	s_wait_dscnt 0x0
	v_dual_cndmask_b32 v5, 0, v5, vcc_lo :: v_dual_bitop2_b32 v6, 64, v2 bitop3:0x54
	s_delay_alu instid0(VALU_DEP_1) | instskip(SKIP_2) | instid1(VALU_DEP_1)
	v_add_nc_u32_e32 v1, v1, v5
	ds_bpermute_b32 v5, v6, v1
	v_add_nc_u32_e32 v6, 16, v3
	v_cmp_lt_u32_e32 vcc_lo, v6, v4
	s_wait_dscnt 0x0
	v_cndmask_b32_e32 v4, 0, v5, vcc_lo
	s_delay_alu instid0(VALU_DEP_1)
	v_add_nc_u32_e32 v1, v1, v4
	v_cmpx_eq_u32_e32 0, v3
; %bb.190:
	v_lshrrev_b32_e32 v4, 3, v0
	s_delay_alu instid0(VALU_DEP_1)
	v_and_b32_e32 v4, 28, v4
	ds_store_b32 v4, v1 offset:192
; %bb.191:
	s_or_b32 exec_lo, exec_lo, s3
	s_delay_alu instid0(SALU_CYCLE_1)
	s_mov_b32 s3, exec_lo
	s_wait_dscnt 0x0
	s_barrier_signal -1
	s_barrier_wait -1
	v_cmpx_gt_u32_e32 8, v0
	s_cbranch_execz .LBB106_193
; %bb.192:
	ds_load_b32 v1, v2 offset:192
	v_and_b32_e32 v4, 7, v3
	s_add_co_i32 s2, s2, 31
	v_or_b32_e32 v2, 16, v2
	s_lshr_b32 s2, s2, 5
	s_delay_alu instid0(VALU_DEP_2) | instskip(SKIP_1) | instid1(VALU_DEP_1)
	v_cmp_ne_u32_e32 vcc_lo, 7, v4
	v_add_co_ci_u32_e64 v5, null, 0, v3, vcc_lo
	v_lshlrev_b32_e32 v5, 2, v5
	v_cmp_gt_u32_e32 vcc_lo, 6, v4
	s_wait_dscnt 0x0
	ds_bpermute_b32 v5, v5, v1
	v_add_nc_u32_e32 v6, 1, v4
	v_cndmask_b32_e64 v7, 0, 2, vcc_lo
	s_delay_alu instid0(VALU_DEP_2) | instskip(NEXT) | instid1(VALU_DEP_2)
	v_cmp_gt_u32_e32 vcc_lo, s2, v6
	v_add_lshl_u32 v3, v7, v3, 2
	s_wait_dscnt 0x0
	v_cndmask_b32_e32 v5, 0, v5, vcc_lo
	s_delay_alu instid0(VALU_DEP_1) | instskip(SKIP_4) | instid1(VALU_DEP_1)
	v_dual_add_nc_u32 v1, v5, v1 :: v_dual_add_nc_u32 v5, 2, v4
	ds_bpermute_b32 v3, v3, v1
	v_cmp_gt_u32_e32 vcc_lo, s2, v5
	s_wait_dscnt 0x0
	v_cndmask_b32_e32 v3, 0, v3, vcc_lo
	v_dual_add_nc_u32 v1, v1, v3 :: v_dual_add_nc_u32 v3, 4, v4
	ds_bpermute_b32 v2, v2, v1
	v_cmp_gt_u32_e32 vcc_lo, s2, v3
	s_wait_dscnt 0x0
	v_cndmask_b32_e32 v2, 0, v2, vcc_lo
	s_delay_alu instid0(VALU_DEP_1)
	v_add_nc_u32_e32 v1, v1, v2
.LBB106_193:
	s_or_b32 exec_lo, exec_lo, s3
.LBB106_194:
	v_cmp_eq_u32_e64 s2, 0, v0
	s_branch .LBB106_178
.LBB106_195:
	s_cmp_eq_u32 s33, 2
	s_cbranch_scc0 .LBB106_202
; %bb.196:
	s_bfe_u32 s2, ttmp6, 0x4000c
	s_and_b32 s3, ttmp6, 15
	s_add_co_i32 s2, s2, 1
	s_getreg_b32 s4, hwreg(HW_REG_IB_STS2, 6, 4)
	s_mul_i32 s2, ttmp9, s2
	s_mov_b32 s35, 0
	s_add_co_i32 s3, s3, s2
	s_cmp_eq_u32 s4, 0
	s_mov_b32 s5, s35
	s_cselect_b32 s34, ttmp9, s3
	s_lshr_b64 s[2:3], s[38:39], 9
	s_lshl_b32 s4, s34, 9
	s_delay_alu instid0(SALU_CYCLE_1)
	s_lshl_b64 s[6:7], s[4:5], 2
	s_cmp_lg_u64 s[2:3], s[34:35]
	s_add_nc_u64 s[2:3], s[36:37], s[6:7]
	s_cbranch_scc0 .LBB106_203
; %bb.197:
	s_clause 0x1
	global_load_b32 v1, v0, s[2:3] scale_offset
	global_load_b32 v2, v0, s[2:3] offset:1024 scale_offset
	s_mov_b32 s5, exec_lo
	s_wait_loadcnt 0x0
	v_add_nc_u32_e32 v1, v2, v1
	s_delay_alu instid0(VALU_DEP_1) | instskip(NEXT) | instid1(VALU_DEP_1)
	v_mov_b32_dpp v2, v1 quad_perm:[1,0,3,2] row_mask:0xf bank_mask:0xf
	v_add_nc_u32_e32 v1, v2, v1
	s_delay_alu instid0(VALU_DEP_1) | instskip(NEXT) | instid1(VALU_DEP_1)
	v_mov_b32_dpp v2, v1 quad_perm:[2,3,0,1] row_mask:0xf bank_mask:0xf
	v_add_nc_u32_e32 v1, v1, v2
	s_delay_alu instid0(VALU_DEP_1) | instskip(NEXT) | instid1(VALU_DEP_1)
	v_mov_b32_dpp v2, v1 row_ror:4 row_mask:0xf bank_mask:0xf
	v_add_nc_u32_e32 v1, v1, v2
	s_delay_alu instid0(VALU_DEP_1) | instskip(NEXT) | instid1(VALU_DEP_1)
	v_mov_b32_dpp v2, v1 row_ror:8 row_mask:0xf bank_mask:0xf
	v_add_nc_u32_e32 v1, v1, v2
	ds_swizzle_b32 v2, v1 offset:swizzle(BROADCAST,32,15)
	s_wait_dscnt 0x0
	v_dual_mov_b32 v2, 0 :: v_dual_add_nc_u32 v1, v1, v2
	ds_bpermute_b32 v1, v2, v1 offset:124
	v_mbcnt_lo_u32_b32 v2, -1, 0
	s_delay_alu instid0(VALU_DEP_1)
	v_cmpx_eq_u32_e32 0, v2
	s_cbranch_execz .LBB106_199
; %bb.198:
	v_lshrrev_b32_e32 v3, 3, v0
	s_delay_alu instid0(VALU_DEP_1)
	v_and_b32_e32 v3, 28, v3
	s_wait_dscnt 0x0
	ds_store_b32 v3, v1 offset:64
.LBB106_199:
	s_or_b32 exec_lo, exec_lo, s5
	s_delay_alu instid0(SALU_CYCLE_1)
	s_mov_b32 s5, exec_lo
	s_wait_dscnt 0x0
	s_barrier_signal -1
	s_barrier_wait -1
	v_cmpx_gt_u32_e32 32, v0
	s_cbranch_execz .LBB106_201
; %bb.200:
	v_and_b32_e32 v1, 7, v2
	s_delay_alu instid0(VALU_DEP_1) | instskip(SKIP_1) | instid1(VALU_DEP_1)
	v_cmp_ne_u32_e32 vcc_lo, 7, v1
	v_add_co_ci_u32_e64 v4, null, 0, v2, vcc_lo
	v_lshlrev_b32_e32 v4, 2, v4
	v_cmp_gt_u32_e32 vcc_lo, 6, v1
	v_lshlrev_b32_e32 v3, 2, v1
	v_cndmask_b32_e64 v1, 0, 2, vcc_lo
	s_delay_alu instid0(VALU_DEP_1)
	v_add_lshl_u32 v1, v1, v2, 2
	v_lshlrev_b32_e32 v2, 2, v2
	ds_load_b32 v3, v3 offset:64
	v_or_b32_e32 v2, 16, v2
	s_wait_dscnt 0x0
	ds_bpermute_b32 v4, v4, v3
	s_wait_dscnt 0x0
	v_add_nc_u32_e32 v3, v4, v3
	ds_bpermute_b32 v1, v1, v3
	s_wait_dscnt 0x0
	v_add_nc_u32_e32 v1, v1, v3
	;; [unrolled: 3-line block ×3, first 2 shown]
.LBB106_201:
	s_or_b32 exec_lo, exec_lo, s5
	s_mov_b32 s5, 0
	s_branch .LBB106_204
.LBB106_202:
                                        ; implicit-def: $vgpr1
                                        ; implicit-def: $sgpr34_sgpr35
	s_branch .LBB106_224
.LBB106_203:
	s_mov_b32 s5, -1
                                        ; implicit-def: $vgpr1
.LBB106_204:
	s_delay_alu instid0(SALU_CYCLE_1)
	s_and_b32 vcc_lo, exec_lo, s5
	s_cbranch_vccz .LBB106_214
; %bb.205:
	v_mov_b64_e32 v[2:3], 0
	s_sub_co_i32 s4, s38, s4
	s_mov_b32 s5, exec_lo
	v_cmpx_gt_u32_e64 s4, v0
	s_cbranch_execz .LBB106_207
; %bb.206:
	global_load_b32 v2, v0, s[2:3] scale_offset
	v_mov_b32_e32 v3, 0
.LBB106_207:
	s_wait_xcnt 0x0
	s_or_b32 exec_lo, exec_lo, s5
	v_or_b32_e32 v1, 0x100, v0
	s_delay_alu instid0(VALU_DEP_1)
	v_cmp_gt_u32_e32 vcc_lo, s4, v1
	s_and_saveexec_b32 s5, vcc_lo
	s_cbranch_execz .LBB106_209
; %bb.208:
	global_load_b32 v3, v0, s[2:3] offset:1024 scale_offset
.LBB106_209:
	s_wait_xcnt 0x0
	s_or_b32 exec_lo, exec_lo, s5
	v_mbcnt_lo_u32_b32 v4, -1, 0
	s_wait_loadcnt 0x0
	v_cndmask_b32_e32 v1, 0, v3, vcc_lo
	s_min_u32 s2, s4, 0x100
	s_mov_b32 s3, exec_lo
	v_cmp_ne_u32_e32 vcc_lo, 31, v4
	s_delay_alu instid0(VALU_DEP_2) | instskip(SKIP_2) | instid1(VALU_DEP_2)
	v_dual_add_nc_u32 v1, v1, v2 :: v_dual_add_nc_u32 v5, 1, v4
	v_add_co_ci_u32_e64 v3, null, 0, v4, vcc_lo
	v_cmp_gt_u32_e32 vcc_lo, 30, v4
	v_lshlrev_b32_e32 v2, 2, v3
	v_and_b32_e32 v3, 0xe0, v0
	v_cndmask_b32_e64 v6, 0, 2, vcc_lo
	ds_bpermute_b32 v2, v2, v1
	v_sub_nc_u32_e64 v3, s2, v3 clamp
	s_delay_alu instid0(VALU_DEP_1) | instskip(SKIP_4) | instid1(VALU_DEP_2)
	v_cmp_lt_u32_e32 vcc_lo, v5, v3
	v_add_lshl_u32 v5, v6, v4, 2
	s_wait_dscnt 0x0
	v_cndmask_b32_e32 v2, 0, v2, vcc_lo
	v_cmp_gt_u32_e32 vcc_lo, 28, v4
	v_add_nc_u32_e32 v1, v2, v1
	v_cndmask_b32_e64 v6, 0, 4, vcc_lo
	ds_bpermute_b32 v2, v5, v1
	v_add_nc_u32_e32 v5, 2, v4
	s_delay_alu instid0(VALU_DEP_1) | instskip(SKIP_4) | instid1(VALU_DEP_2)
	v_cmp_lt_u32_e32 vcc_lo, v5, v3
	v_add_lshl_u32 v5, v6, v4, 2
	s_wait_dscnt 0x0
	v_cndmask_b32_e32 v2, 0, v2, vcc_lo
	v_cmp_gt_u32_e32 vcc_lo, 24, v4
	v_add_nc_u32_e32 v1, v1, v2
	v_cndmask_b32_e64 v6, 0, 8, vcc_lo
	ds_bpermute_b32 v2, v5, v1
	v_add_nc_u32_e32 v5, 4, v4
	s_delay_alu instid0(VALU_DEP_1) | instskip(SKIP_3) | instid1(VALU_DEP_1)
	v_cmp_lt_u32_e32 vcc_lo, v5, v3
	v_add_lshl_u32 v5, v6, v4, 2
	s_wait_dscnt 0x0
	v_dual_add_nc_u32 v6, 8, v4 :: v_dual_cndmask_b32 v2, 0, v2, vcc_lo
	v_cmp_lt_u32_e32 vcc_lo, v6, v3
	s_delay_alu instid0(VALU_DEP_2) | instskip(SKIP_3) | instid1(VALU_DEP_1)
	v_dual_add_nc_u32 v1, v1, v2 :: v_dual_lshlrev_b32 v2, 2, v4
	ds_bpermute_b32 v5, v5, v1
	s_wait_dscnt 0x0
	v_dual_cndmask_b32 v5, 0, v5, vcc_lo :: v_dual_bitop2_b32 v6, 64, v2 bitop3:0x54
	v_add_nc_u32_e32 v1, v1, v5
	ds_bpermute_b32 v5, v6, v1
	v_add_nc_u32_e32 v6, 16, v4
	s_delay_alu instid0(VALU_DEP_1) | instskip(SKIP_2) | instid1(VALU_DEP_1)
	v_cmp_lt_u32_e32 vcc_lo, v6, v3
	s_wait_dscnt 0x0
	v_cndmask_b32_e32 v3, 0, v5, vcc_lo
	v_add_nc_u32_e32 v1, v1, v3
	v_cmpx_eq_u32_e32 0, v4
; %bb.210:
	v_lshrrev_b32_e32 v3, 3, v0
	s_delay_alu instid0(VALU_DEP_1)
	v_and_b32_e32 v3, 28, v3
	ds_store_b32 v3, v1 offset:192
; %bb.211:
	s_or_b32 exec_lo, exec_lo, s3
	s_delay_alu instid0(SALU_CYCLE_1)
	s_mov_b32 s3, exec_lo
	s_wait_dscnt 0x0
	s_barrier_signal -1
	s_barrier_wait -1
	v_cmpx_gt_u32_e32 8, v0
	s_cbranch_execz .LBB106_213
; %bb.212:
	ds_load_b32 v1, v2 offset:192
	v_and_b32_e32 v3, 7, v4
	s_add_co_i32 s2, s2, 31
	v_or_b32_e32 v2, 16, v2
	s_lshr_b32 s2, s2, 5
	s_delay_alu instid0(VALU_DEP_2) | instskip(SKIP_1) | instid1(VALU_DEP_1)
	v_cmp_ne_u32_e32 vcc_lo, 7, v3
	v_add_co_ci_u32_e64 v5, null, 0, v4, vcc_lo
	v_lshlrev_b32_e32 v5, 2, v5
	v_cmp_gt_u32_e32 vcc_lo, 6, v3
	s_wait_dscnt 0x0
	ds_bpermute_b32 v5, v5, v1
	v_add_nc_u32_e32 v6, 1, v3
	v_cndmask_b32_e64 v7, 0, 2, vcc_lo
	s_delay_alu instid0(VALU_DEP_2) | instskip(NEXT) | instid1(VALU_DEP_2)
	v_cmp_gt_u32_e32 vcc_lo, s2, v6
	v_add_lshl_u32 v4, v7, v4, 2
	s_wait_dscnt 0x0
	v_cndmask_b32_e32 v5, 0, v5, vcc_lo
	s_delay_alu instid0(VALU_DEP_1)
	v_dual_add_nc_u32 v1, v5, v1 :: v_dual_add_nc_u32 v5, 2, v3
	v_add_nc_u32_e32 v3, 4, v3
	ds_bpermute_b32 v4, v4, v1
	v_cmp_gt_u32_e32 vcc_lo, s2, v5
	s_wait_dscnt 0x0
	v_cndmask_b32_e32 v4, 0, v4, vcc_lo
	v_cmp_gt_u32_e32 vcc_lo, s2, v3
	s_delay_alu instid0(VALU_DEP_2) | instskip(SKIP_3) | instid1(VALU_DEP_1)
	v_add_nc_u32_e32 v1, v1, v4
	ds_bpermute_b32 v2, v2, v1
	s_wait_dscnt 0x0
	v_cndmask_b32_e32 v2, 0, v2, vcc_lo
	v_add_nc_u32_e32 v1, v1, v2
.LBB106_213:
	s_or_b32 exec_lo, exec_lo, s3
.LBB106_214:
	v_cmp_eq_u32_e64 s2, 0, v0
	s_branch .LBB106_224
.LBB106_215:
	s_cmp_eq_u32 s33, 1
	s_cbranch_scc0 .LBB106_223
; %bb.216:
	s_bfe_u32 s2, ttmp6, 0x4000c
	s_and_b32 s4, ttmp6, 15
	s_add_co_i32 s2, s2, 1
	s_getreg_b32 s5, hwreg(HW_REG_IB_STS2, 6, 4)
	s_mul_i32 s2, ttmp9, s2
	s_mov_b32 s3, 0
	s_add_co_i32 s4, s4, s2
	s_cmp_eq_u32 s5, 0
	v_mbcnt_lo_u32_b32 v2, -1, 0
	s_cselect_b32 s34, ttmp9, s4
	s_mov_b32 s35, s3
	s_lshr_b64 s[4:5], s[38:39], 8
	s_lshl_b32 s2, s34, 8
	s_cmp_lg_u64 s[4:5], s[34:35]
	s_cbranch_scc0 .LBB106_227
; %bb.217:
	s_lshl_b64 s[4:5], s[2:3], 2
	s_delay_alu instid0(SALU_CYCLE_1)
	s_add_nc_u64 s[4:5], s[36:37], s[4:5]
	global_load_b32 v1, v0, s[4:5] scale_offset
	s_wait_xcnt 0x0
	s_mov_b32 s4, exec_lo
	s_wait_loadcnt 0x0
	v_mov_b32_dpp v3, v1 quad_perm:[1,0,3,2] row_mask:0xf bank_mask:0xf
	s_delay_alu instid0(VALU_DEP_1) | instskip(NEXT) | instid1(VALU_DEP_1)
	v_add_nc_u32_e32 v1, v3, v1
	v_mov_b32_dpp v3, v1 quad_perm:[2,3,0,1] row_mask:0xf bank_mask:0xf
	s_delay_alu instid0(VALU_DEP_1) | instskip(NEXT) | instid1(VALU_DEP_1)
	v_add_nc_u32_e32 v1, v1, v3
	v_mov_b32_dpp v3, v1 row_ror:4 row_mask:0xf bank_mask:0xf
	s_delay_alu instid0(VALU_DEP_1) | instskip(NEXT) | instid1(VALU_DEP_1)
	v_add_nc_u32_e32 v1, v1, v3
	v_mov_b32_dpp v3, v1 row_ror:8 row_mask:0xf bank_mask:0xf
	s_delay_alu instid0(VALU_DEP_1)
	v_add_nc_u32_e32 v1, v1, v3
	ds_swizzle_b32 v3, v1 offset:swizzle(BROADCAST,32,15)
	s_wait_dscnt 0x0
	v_dual_add_nc_u32 v1, v1, v3 :: v_dual_mov_b32 v3, 0
	ds_bpermute_b32 v1, v3, v1 offset:124
	v_cmpx_eq_u32_e32 0, v2
	s_cbranch_execz .LBB106_219
; %bb.218:
	v_lshrrev_b32_e32 v3, 3, v0
	s_delay_alu instid0(VALU_DEP_1)
	v_and_b32_e32 v3, 28, v3
	s_wait_dscnt 0x0
	ds_store_b32 v3, v1 offset:32
.LBB106_219:
	s_or_b32 exec_lo, exec_lo, s4
	s_delay_alu instid0(SALU_CYCLE_1)
	s_mov_b32 s4, exec_lo
	s_wait_dscnt 0x0
	s_barrier_signal -1
	s_barrier_wait -1
	v_cmpx_gt_u32_e32 32, v0
	s_cbranch_execz .LBB106_221
; %bb.220:
	v_and_b32_e32 v1, 7, v2
	s_delay_alu instid0(VALU_DEP_1) | instskip(SKIP_1) | instid1(VALU_DEP_1)
	v_cmp_ne_u32_e32 vcc_lo, 7, v1
	v_add_co_ci_u32_e64 v4, null, 0, v2, vcc_lo
	v_dual_lshlrev_b32 v4, 2, v4 :: v_dual_lshlrev_b32 v3, 2, v1
	v_cmp_gt_u32_e32 vcc_lo, 6, v1
	ds_load_b32 v3, v3 offset:32
	v_cndmask_b32_e64 v1, 0, 2, vcc_lo
	s_delay_alu instid0(VALU_DEP_1)
	v_add_lshl_u32 v1, v1, v2, 2
	s_wait_dscnt 0x0
	ds_bpermute_b32 v4, v4, v3
	s_wait_dscnt 0x0
	v_dual_add_nc_u32 v3, v4, v3 :: v_dual_lshlrev_b32 v4, 2, v2
	ds_bpermute_b32 v1, v1, v3
	s_wait_dscnt 0x0
	v_dual_add_nc_u32 v1, v1, v3 :: v_dual_bitop2_b32 v3, 16, v4 bitop3:0x54
	ds_bpermute_b32 v3, v3, v1
	s_wait_dscnt 0x0
	v_add_nc_u32_e32 v1, v3, v1
.LBB106_221:
	s_or_b32 exec_lo, exec_lo, s4
.LBB106_222:
	v_cmp_eq_u32_e64 s2, 0, v0
	s_and_saveexec_b32 s3, s2
	s_cbranch_execnz .LBB106_225
	s_branch .LBB106_226
.LBB106_223:
                                        ; implicit-def: $vgpr1
                                        ; implicit-def: $sgpr34_sgpr35
.LBB106_224:
	s_delay_alu instid0(VALU_DEP_1)
	s_and_saveexec_b32 s3, s2
	s_cbranch_execz .LBB106_226
.LBB106_225:
	s_load_b96 s[4:6], s[0:1], 0x18
	s_wait_xcnt 0x0
	s_lshl_b64 s[0:1], s[34:35], 2
	s_cmp_lg_u64 s[38:39], 0
	s_cselect_b32 vcc_lo, -1, 0
	v_dual_cndmask_b32 v0, 0, v1 :: v_dual_mov_b32 v1, 0
	s_wait_kmcnt 0x0
	s_delay_alu instid0(VALU_DEP_1)
	v_add_nc_u32_e32 v0, s6, v0
	s_add_nc_u64 s[0:1], s[4:5], s[0:1]
	global_store_b32 v1, v0, s[0:1]
.LBB106_226:
	s_endpgm
.LBB106_227:
                                        ; implicit-def: $vgpr1
	s_cbranch_execz .LBB106_222
; %bb.228:
	s_sub_co_i32 s4, s38, s2
	s_mov_b32 s5, exec_lo
                                        ; implicit-def: $vgpr1
	v_cmpx_gt_u32_e64 s4, v0
	s_cbranch_execz .LBB106_230
; %bb.229:
	s_lshl_b64 s[2:3], s[2:3], 2
	s_delay_alu instid0(SALU_CYCLE_1)
	s_add_nc_u64 s[2:3], s[36:37], s[2:3]
	global_load_b32 v1, v0, s[2:3] scale_offset
.LBB106_230:
	s_wait_xcnt 0x0
	s_or_b32 exec_lo, exec_lo, s5
	v_cmp_ne_u32_e32 vcc_lo, 31, v2
	v_and_b32_e32 v4, 0xe0, v0
	s_min_u32 s2, s4, 0x100
	s_mov_b32 s3, exec_lo
	v_add_nc_u32_e32 v5, 1, v2
	v_add_co_ci_u32_e64 v3, null, 0, v2, vcc_lo
	v_sub_nc_u32_e64 v4, s2, v4 clamp
	v_cmp_gt_u32_e32 vcc_lo, 30, v2
	s_delay_alu instid0(VALU_DEP_3) | instskip(SKIP_1) | instid1(VALU_DEP_4)
	v_lshlrev_b32_e32 v3, 2, v3
	v_cndmask_b32_e64 v6, 0, 2, vcc_lo
	v_cmp_lt_u32_e32 vcc_lo, v5, v4
	s_wait_loadcnt 0x0
	ds_bpermute_b32 v3, v3, v1
	v_add_lshl_u32 v5, v6, v2, 2
	s_wait_dscnt 0x0
	v_cndmask_b32_e32 v3, 0, v3, vcc_lo
	v_cmp_gt_u32_e32 vcc_lo, 28, v2
	s_delay_alu instid0(VALU_DEP_2) | instskip(SKIP_3) | instid1(VALU_DEP_1)
	v_add_nc_u32_e32 v1, v3, v1
	v_cndmask_b32_e64 v6, 0, 4, vcc_lo
	ds_bpermute_b32 v3, v5, v1
	v_add_nc_u32_e32 v5, 2, v2
	v_cmp_lt_u32_e32 vcc_lo, v5, v4
	v_add_lshl_u32 v5, v6, v2, 2
	s_wait_dscnt 0x0
	v_cndmask_b32_e32 v3, 0, v3, vcc_lo
	v_cmp_gt_u32_e32 vcc_lo, 24, v2
	s_delay_alu instid0(VALU_DEP_2) | instskip(SKIP_3) | instid1(VALU_DEP_1)
	v_add_nc_u32_e32 v1, v1, v3
	v_cndmask_b32_e64 v6, 0, 8, vcc_lo
	ds_bpermute_b32 v3, v5, v1
	v_add_nc_u32_e32 v5, 4, v2
	v_cmp_lt_u32_e32 vcc_lo, v5, v4
	v_add_lshl_u32 v5, v6, v2, 2
	s_wait_dscnt 0x0
	v_dual_cndmask_b32 v3, 0, v3 :: v_dual_add_nc_u32 v6, 8, v2
	s_delay_alu instid0(VALU_DEP_1) | instskip(NEXT) | instid1(VALU_DEP_2)
	v_cmp_lt_u32_e32 vcc_lo, v6, v4
	v_dual_add_nc_u32 v1, v1, v3 :: v_dual_lshlrev_b32 v3, 2, v2
	ds_bpermute_b32 v5, v5, v1
	s_wait_dscnt 0x0
	v_dual_cndmask_b32 v5, 0, v5, vcc_lo :: v_dual_bitop2_b32 v6, 64, v3 bitop3:0x54
	s_delay_alu instid0(VALU_DEP_1) | instskip(SKIP_2) | instid1(VALU_DEP_1)
	v_add_nc_u32_e32 v1, v1, v5
	ds_bpermute_b32 v5, v6, v1
	v_add_nc_u32_e32 v6, 16, v2
	v_cmp_lt_u32_e32 vcc_lo, v6, v4
	s_wait_dscnt 0x0
	v_cndmask_b32_e32 v4, 0, v5, vcc_lo
	s_delay_alu instid0(VALU_DEP_1)
	v_add_nc_u32_e32 v1, v1, v4
	v_cmpx_eq_u32_e32 0, v2
; %bb.231:
	v_lshrrev_b32_e32 v4, 3, v0
	s_delay_alu instid0(VALU_DEP_1)
	v_and_b32_e32 v4, 28, v4
	ds_store_b32 v4, v1 offset:192
; %bb.232:
	s_or_b32 exec_lo, exec_lo, s3
	s_delay_alu instid0(SALU_CYCLE_1)
	s_mov_b32 s3, exec_lo
	s_wait_dscnt 0x0
	s_barrier_signal -1
	s_barrier_wait -1
	v_cmpx_gt_u32_e32 8, v0
	s_cbranch_execz .LBB106_234
; %bb.233:
	ds_load_b32 v1, v3 offset:192
	v_and_b32_e32 v4, 7, v2
	s_add_co_i32 s2, s2, 31
	s_delay_alu instid0(SALU_CYCLE_1) | instskip(NEXT) | instid1(VALU_DEP_1)
	s_lshr_b32 s2, s2, 5
	v_cmp_ne_u32_e32 vcc_lo, 7, v4
	v_add_co_ci_u32_e64 v5, null, 0, v2, vcc_lo
	s_delay_alu instid0(VALU_DEP_1)
	v_lshlrev_b32_e32 v5, 2, v5
	v_cmp_gt_u32_e32 vcc_lo, 6, v4
	s_wait_dscnt 0x0
	ds_bpermute_b32 v5, v5, v1
	v_add_nc_u32_e32 v6, 1, v4
	v_cndmask_b32_e64 v7, 0, 2, vcc_lo
	s_delay_alu instid0(VALU_DEP_2) | instskip(NEXT) | instid1(VALU_DEP_2)
	v_cmp_gt_u32_e32 vcc_lo, s2, v6
	v_add_lshl_u32 v2, v7, v2, 2
	s_wait_dscnt 0x0
	v_cndmask_b32_e32 v5, 0, v5, vcc_lo
	s_delay_alu instid0(VALU_DEP_1) | instskip(SKIP_4) | instid1(VALU_DEP_1)
	v_dual_add_nc_u32 v1, v5, v1 :: v_dual_add_nc_u32 v5, 2, v4
	ds_bpermute_b32 v2, v2, v1
	v_cmp_gt_u32_e32 vcc_lo, s2, v5
	s_wait_dscnt 0x0
	v_cndmask_b32_e32 v2, 0, v2, vcc_lo
	v_dual_add_nc_u32 v1, v1, v2 :: v_dual_bitop2_b32 v2, 16, v3 bitop3:0x54
	v_add_nc_u32_e32 v3, 4, v4
	ds_bpermute_b32 v2, v2, v1
	v_cmp_gt_u32_e32 vcc_lo, s2, v3
	s_wait_dscnt 0x0
	v_cndmask_b32_e32 v2, 0, v2, vcc_lo
	s_delay_alu instid0(VALU_DEP_1)
	v_add_nc_u32_e32 v1, v1, v2
.LBB106_234:
	s_or_b32 exec_lo, exec_lo, s3
	v_cmp_eq_u32_e64 s2, 0, v0
	s_and_saveexec_b32 s3, s2
	s_cbranch_execnz .LBB106_225
	s_branch .LBB106_226
	.section	.rodata,"a",@progbits
	.p2align	6, 0x0
	.amdhsa_kernel _ZN7rocprim17ROCPRIM_400000_NS6detail17trampoline_kernelINS0_14default_configENS1_22reduce_config_selectorIiEEZNS1_11reduce_implILb1ES3_PiS7_iN6hipcub16HIPCUB_304000_NS6detail34convert_binary_result_type_wrapperISt4plusIvENS9_22TransformInputIteratorIiN2at6native8internal21MapNumberOfTrueValuesEPKhlEEiEEEE10hipError_tPvRmT1_T2_T3_mT4_P12ihipStream_tbEUlT_E1_NS1_11comp_targetILNS1_3genE0ELNS1_11target_archE4294967295ELNS1_3gpuE0ELNS1_3repE0EEENS1_30default_config_static_selectorELNS0_4arch9wavefront6targetE0EEEvSQ_
		.amdhsa_group_segment_fixed_size 224
		.amdhsa_private_segment_fixed_size 0
		.amdhsa_kernarg_size 40
		.amdhsa_user_sgpr_count 2
		.amdhsa_user_sgpr_dispatch_ptr 0
		.amdhsa_user_sgpr_queue_ptr 0
		.amdhsa_user_sgpr_kernarg_segment_ptr 1
		.amdhsa_user_sgpr_dispatch_id 0
		.amdhsa_user_sgpr_kernarg_preload_length 0
		.amdhsa_user_sgpr_kernarg_preload_offset 0
		.amdhsa_user_sgpr_private_segment_size 0
		.amdhsa_wavefront_size32 1
		.amdhsa_uses_dynamic_stack 0
		.amdhsa_enable_private_segment 0
		.amdhsa_system_sgpr_workgroup_id_x 1
		.amdhsa_system_sgpr_workgroup_id_y 0
		.amdhsa_system_sgpr_workgroup_id_z 0
		.amdhsa_system_sgpr_workgroup_info 0
		.amdhsa_system_vgpr_workitem_id 0
		.amdhsa_next_free_vgpr 36
		.amdhsa_next_free_sgpr 45
		.amdhsa_named_barrier_count 0
		.amdhsa_reserve_vcc 1
		.amdhsa_float_round_mode_32 0
		.amdhsa_float_round_mode_16_64 0
		.amdhsa_float_denorm_mode_32 3
		.amdhsa_float_denorm_mode_16_64 3
		.amdhsa_fp16_overflow 0
		.amdhsa_memory_ordered 1
		.amdhsa_forward_progress 1
		.amdhsa_inst_pref_size 89
		.amdhsa_round_robin_scheduling 0
		.amdhsa_exception_fp_ieee_invalid_op 0
		.amdhsa_exception_fp_denorm_src 0
		.amdhsa_exception_fp_ieee_div_zero 0
		.amdhsa_exception_fp_ieee_overflow 0
		.amdhsa_exception_fp_ieee_underflow 0
		.amdhsa_exception_fp_ieee_inexact 0
		.amdhsa_exception_int_div_zero 0
	.end_amdhsa_kernel
	.section	.text._ZN7rocprim17ROCPRIM_400000_NS6detail17trampoline_kernelINS0_14default_configENS1_22reduce_config_selectorIiEEZNS1_11reduce_implILb1ES3_PiS7_iN6hipcub16HIPCUB_304000_NS6detail34convert_binary_result_type_wrapperISt4plusIvENS9_22TransformInputIteratorIiN2at6native8internal21MapNumberOfTrueValuesEPKhlEEiEEEE10hipError_tPvRmT1_T2_T3_mT4_P12ihipStream_tbEUlT_E1_NS1_11comp_targetILNS1_3genE0ELNS1_11target_archE4294967295ELNS1_3gpuE0ELNS1_3repE0EEENS1_30default_config_static_selectorELNS0_4arch9wavefront6targetE0EEEvSQ_,"axG",@progbits,_ZN7rocprim17ROCPRIM_400000_NS6detail17trampoline_kernelINS0_14default_configENS1_22reduce_config_selectorIiEEZNS1_11reduce_implILb1ES3_PiS7_iN6hipcub16HIPCUB_304000_NS6detail34convert_binary_result_type_wrapperISt4plusIvENS9_22TransformInputIteratorIiN2at6native8internal21MapNumberOfTrueValuesEPKhlEEiEEEE10hipError_tPvRmT1_T2_T3_mT4_P12ihipStream_tbEUlT_E1_NS1_11comp_targetILNS1_3genE0ELNS1_11target_archE4294967295ELNS1_3gpuE0ELNS1_3repE0EEENS1_30default_config_static_selectorELNS0_4arch9wavefront6targetE0EEEvSQ_,comdat
.Lfunc_end106:
	.size	_ZN7rocprim17ROCPRIM_400000_NS6detail17trampoline_kernelINS0_14default_configENS1_22reduce_config_selectorIiEEZNS1_11reduce_implILb1ES3_PiS7_iN6hipcub16HIPCUB_304000_NS6detail34convert_binary_result_type_wrapperISt4plusIvENS9_22TransformInputIteratorIiN2at6native8internal21MapNumberOfTrueValuesEPKhlEEiEEEE10hipError_tPvRmT1_T2_T3_mT4_P12ihipStream_tbEUlT_E1_NS1_11comp_targetILNS1_3genE0ELNS1_11target_archE4294967295ELNS1_3gpuE0ELNS1_3repE0EEENS1_30default_config_static_selectorELNS0_4arch9wavefront6targetE0EEEvSQ_, .Lfunc_end106-_ZN7rocprim17ROCPRIM_400000_NS6detail17trampoline_kernelINS0_14default_configENS1_22reduce_config_selectorIiEEZNS1_11reduce_implILb1ES3_PiS7_iN6hipcub16HIPCUB_304000_NS6detail34convert_binary_result_type_wrapperISt4plusIvENS9_22TransformInputIteratorIiN2at6native8internal21MapNumberOfTrueValuesEPKhlEEiEEEE10hipError_tPvRmT1_T2_T3_mT4_P12ihipStream_tbEUlT_E1_NS1_11comp_targetILNS1_3genE0ELNS1_11target_archE4294967295ELNS1_3gpuE0ELNS1_3repE0EEENS1_30default_config_static_selectorELNS0_4arch9wavefront6targetE0EEEvSQ_
                                        ; -- End function
	.set _ZN7rocprim17ROCPRIM_400000_NS6detail17trampoline_kernelINS0_14default_configENS1_22reduce_config_selectorIiEEZNS1_11reduce_implILb1ES3_PiS7_iN6hipcub16HIPCUB_304000_NS6detail34convert_binary_result_type_wrapperISt4plusIvENS9_22TransformInputIteratorIiN2at6native8internal21MapNumberOfTrueValuesEPKhlEEiEEEE10hipError_tPvRmT1_T2_T3_mT4_P12ihipStream_tbEUlT_E1_NS1_11comp_targetILNS1_3genE0ELNS1_11target_archE4294967295ELNS1_3gpuE0ELNS1_3repE0EEENS1_30default_config_static_selectorELNS0_4arch9wavefront6targetE0EEEvSQ_.num_vgpr, 36
	.set _ZN7rocprim17ROCPRIM_400000_NS6detail17trampoline_kernelINS0_14default_configENS1_22reduce_config_selectorIiEEZNS1_11reduce_implILb1ES3_PiS7_iN6hipcub16HIPCUB_304000_NS6detail34convert_binary_result_type_wrapperISt4plusIvENS9_22TransformInputIteratorIiN2at6native8internal21MapNumberOfTrueValuesEPKhlEEiEEEE10hipError_tPvRmT1_T2_T3_mT4_P12ihipStream_tbEUlT_E1_NS1_11comp_targetILNS1_3genE0ELNS1_11target_archE4294967295ELNS1_3gpuE0ELNS1_3repE0EEENS1_30default_config_static_selectorELNS0_4arch9wavefront6targetE0EEEvSQ_.num_agpr, 0
	.set _ZN7rocprim17ROCPRIM_400000_NS6detail17trampoline_kernelINS0_14default_configENS1_22reduce_config_selectorIiEEZNS1_11reduce_implILb1ES3_PiS7_iN6hipcub16HIPCUB_304000_NS6detail34convert_binary_result_type_wrapperISt4plusIvENS9_22TransformInputIteratorIiN2at6native8internal21MapNumberOfTrueValuesEPKhlEEiEEEE10hipError_tPvRmT1_T2_T3_mT4_P12ihipStream_tbEUlT_E1_NS1_11comp_targetILNS1_3genE0ELNS1_11target_archE4294967295ELNS1_3gpuE0ELNS1_3repE0EEENS1_30default_config_static_selectorELNS0_4arch9wavefront6targetE0EEEvSQ_.numbered_sgpr, 45
	.set _ZN7rocprim17ROCPRIM_400000_NS6detail17trampoline_kernelINS0_14default_configENS1_22reduce_config_selectorIiEEZNS1_11reduce_implILb1ES3_PiS7_iN6hipcub16HIPCUB_304000_NS6detail34convert_binary_result_type_wrapperISt4plusIvENS9_22TransformInputIteratorIiN2at6native8internal21MapNumberOfTrueValuesEPKhlEEiEEEE10hipError_tPvRmT1_T2_T3_mT4_P12ihipStream_tbEUlT_E1_NS1_11comp_targetILNS1_3genE0ELNS1_11target_archE4294967295ELNS1_3gpuE0ELNS1_3repE0EEENS1_30default_config_static_selectorELNS0_4arch9wavefront6targetE0EEEvSQ_.num_named_barrier, 0
	.set _ZN7rocprim17ROCPRIM_400000_NS6detail17trampoline_kernelINS0_14default_configENS1_22reduce_config_selectorIiEEZNS1_11reduce_implILb1ES3_PiS7_iN6hipcub16HIPCUB_304000_NS6detail34convert_binary_result_type_wrapperISt4plusIvENS9_22TransformInputIteratorIiN2at6native8internal21MapNumberOfTrueValuesEPKhlEEiEEEE10hipError_tPvRmT1_T2_T3_mT4_P12ihipStream_tbEUlT_E1_NS1_11comp_targetILNS1_3genE0ELNS1_11target_archE4294967295ELNS1_3gpuE0ELNS1_3repE0EEENS1_30default_config_static_selectorELNS0_4arch9wavefront6targetE0EEEvSQ_.private_seg_size, 0
	.set _ZN7rocprim17ROCPRIM_400000_NS6detail17trampoline_kernelINS0_14default_configENS1_22reduce_config_selectorIiEEZNS1_11reduce_implILb1ES3_PiS7_iN6hipcub16HIPCUB_304000_NS6detail34convert_binary_result_type_wrapperISt4plusIvENS9_22TransformInputIteratorIiN2at6native8internal21MapNumberOfTrueValuesEPKhlEEiEEEE10hipError_tPvRmT1_T2_T3_mT4_P12ihipStream_tbEUlT_E1_NS1_11comp_targetILNS1_3genE0ELNS1_11target_archE4294967295ELNS1_3gpuE0ELNS1_3repE0EEENS1_30default_config_static_selectorELNS0_4arch9wavefront6targetE0EEEvSQ_.uses_vcc, 1
	.set _ZN7rocprim17ROCPRIM_400000_NS6detail17trampoline_kernelINS0_14default_configENS1_22reduce_config_selectorIiEEZNS1_11reduce_implILb1ES3_PiS7_iN6hipcub16HIPCUB_304000_NS6detail34convert_binary_result_type_wrapperISt4plusIvENS9_22TransformInputIteratorIiN2at6native8internal21MapNumberOfTrueValuesEPKhlEEiEEEE10hipError_tPvRmT1_T2_T3_mT4_P12ihipStream_tbEUlT_E1_NS1_11comp_targetILNS1_3genE0ELNS1_11target_archE4294967295ELNS1_3gpuE0ELNS1_3repE0EEENS1_30default_config_static_selectorELNS0_4arch9wavefront6targetE0EEEvSQ_.uses_flat_scratch, 0
	.set _ZN7rocprim17ROCPRIM_400000_NS6detail17trampoline_kernelINS0_14default_configENS1_22reduce_config_selectorIiEEZNS1_11reduce_implILb1ES3_PiS7_iN6hipcub16HIPCUB_304000_NS6detail34convert_binary_result_type_wrapperISt4plusIvENS9_22TransformInputIteratorIiN2at6native8internal21MapNumberOfTrueValuesEPKhlEEiEEEE10hipError_tPvRmT1_T2_T3_mT4_P12ihipStream_tbEUlT_E1_NS1_11comp_targetILNS1_3genE0ELNS1_11target_archE4294967295ELNS1_3gpuE0ELNS1_3repE0EEENS1_30default_config_static_selectorELNS0_4arch9wavefront6targetE0EEEvSQ_.has_dyn_sized_stack, 0
	.set _ZN7rocprim17ROCPRIM_400000_NS6detail17trampoline_kernelINS0_14default_configENS1_22reduce_config_selectorIiEEZNS1_11reduce_implILb1ES3_PiS7_iN6hipcub16HIPCUB_304000_NS6detail34convert_binary_result_type_wrapperISt4plusIvENS9_22TransformInputIteratorIiN2at6native8internal21MapNumberOfTrueValuesEPKhlEEiEEEE10hipError_tPvRmT1_T2_T3_mT4_P12ihipStream_tbEUlT_E1_NS1_11comp_targetILNS1_3genE0ELNS1_11target_archE4294967295ELNS1_3gpuE0ELNS1_3repE0EEENS1_30default_config_static_selectorELNS0_4arch9wavefront6targetE0EEEvSQ_.has_recursion, 0
	.set _ZN7rocprim17ROCPRIM_400000_NS6detail17trampoline_kernelINS0_14default_configENS1_22reduce_config_selectorIiEEZNS1_11reduce_implILb1ES3_PiS7_iN6hipcub16HIPCUB_304000_NS6detail34convert_binary_result_type_wrapperISt4plusIvENS9_22TransformInputIteratorIiN2at6native8internal21MapNumberOfTrueValuesEPKhlEEiEEEE10hipError_tPvRmT1_T2_T3_mT4_P12ihipStream_tbEUlT_E1_NS1_11comp_targetILNS1_3genE0ELNS1_11target_archE4294967295ELNS1_3gpuE0ELNS1_3repE0EEENS1_30default_config_static_selectorELNS0_4arch9wavefront6targetE0EEEvSQ_.has_indirect_call, 0
	.section	.AMDGPU.csdata,"",@progbits
; Kernel info:
; codeLenInByte = 11328
; TotalNumSgprs: 47
; NumVgprs: 36
; ScratchSize: 0
; MemoryBound: 0
; FloatMode: 240
; IeeeMode: 1
; LDSByteSize: 224 bytes/workgroup (compile time only)
; SGPRBlocks: 0
; VGPRBlocks: 2
; NumSGPRsForWavesPerEU: 47
; NumVGPRsForWavesPerEU: 36
; NamedBarCnt: 0
; Occupancy: 16
; WaveLimiterHint : 1
; COMPUTE_PGM_RSRC2:SCRATCH_EN: 0
; COMPUTE_PGM_RSRC2:USER_SGPR: 2
; COMPUTE_PGM_RSRC2:TRAP_HANDLER: 0
; COMPUTE_PGM_RSRC2:TGID_X_EN: 1
; COMPUTE_PGM_RSRC2:TGID_Y_EN: 0
; COMPUTE_PGM_RSRC2:TGID_Z_EN: 0
; COMPUTE_PGM_RSRC2:TIDIG_COMP_CNT: 0
	.section	.text._ZN7rocprim17ROCPRIM_400000_NS6detail17trampoline_kernelINS0_14default_configENS1_22reduce_config_selectorIiEEZNS1_11reduce_implILb1ES3_PiS7_iN6hipcub16HIPCUB_304000_NS6detail34convert_binary_result_type_wrapperISt4plusIvENS9_22TransformInputIteratorIiN2at6native8internal21MapNumberOfTrueValuesEPKhlEEiEEEE10hipError_tPvRmT1_T2_T3_mT4_P12ihipStream_tbEUlT_E1_NS1_11comp_targetILNS1_3genE5ELNS1_11target_archE942ELNS1_3gpuE9ELNS1_3repE0EEENS1_30default_config_static_selectorELNS0_4arch9wavefront6targetE0EEEvSQ_,"axG",@progbits,_ZN7rocprim17ROCPRIM_400000_NS6detail17trampoline_kernelINS0_14default_configENS1_22reduce_config_selectorIiEEZNS1_11reduce_implILb1ES3_PiS7_iN6hipcub16HIPCUB_304000_NS6detail34convert_binary_result_type_wrapperISt4plusIvENS9_22TransformInputIteratorIiN2at6native8internal21MapNumberOfTrueValuesEPKhlEEiEEEE10hipError_tPvRmT1_T2_T3_mT4_P12ihipStream_tbEUlT_E1_NS1_11comp_targetILNS1_3genE5ELNS1_11target_archE942ELNS1_3gpuE9ELNS1_3repE0EEENS1_30default_config_static_selectorELNS0_4arch9wavefront6targetE0EEEvSQ_,comdat
	.protected	_ZN7rocprim17ROCPRIM_400000_NS6detail17trampoline_kernelINS0_14default_configENS1_22reduce_config_selectorIiEEZNS1_11reduce_implILb1ES3_PiS7_iN6hipcub16HIPCUB_304000_NS6detail34convert_binary_result_type_wrapperISt4plusIvENS9_22TransformInputIteratorIiN2at6native8internal21MapNumberOfTrueValuesEPKhlEEiEEEE10hipError_tPvRmT1_T2_T3_mT4_P12ihipStream_tbEUlT_E1_NS1_11comp_targetILNS1_3genE5ELNS1_11target_archE942ELNS1_3gpuE9ELNS1_3repE0EEENS1_30default_config_static_selectorELNS0_4arch9wavefront6targetE0EEEvSQ_ ; -- Begin function _ZN7rocprim17ROCPRIM_400000_NS6detail17trampoline_kernelINS0_14default_configENS1_22reduce_config_selectorIiEEZNS1_11reduce_implILb1ES3_PiS7_iN6hipcub16HIPCUB_304000_NS6detail34convert_binary_result_type_wrapperISt4plusIvENS9_22TransformInputIteratorIiN2at6native8internal21MapNumberOfTrueValuesEPKhlEEiEEEE10hipError_tPvRmT1_T2_T3_mT4_P12ihipStream_tbEUlT_E1_NS1_11comp_targetILNS1_3genE5ELNS1_11target_archE942ELNS1_3gpuE9ELNS1_3repE0EEENS1_30default_config_static_selectorELNS0_4arch9wavefront6targetE0EEEvSQ_
	.globl	_ZN7rocprim17ROCPRIM_400000_NS6detail17trampoline_kernelINS0_14default_configENS1_22reduce_config_selectorIiEEZNS1_11reduce_implILb1ES3_PiS7_iN6hipcub16HIPCUB_304000_NS6detail34convert_binary_result_type_wrapperISt4plusIvENS9_22TransformInputIteratorIiN2at6native8internal21MapNumberOfTrueValuesEPKhlEEiEEEE10hipError_tPvRmT1_T2_T3_mT4_P12ihipStream_tbEUlT_E1_NS1_11comp_targetILNS1_3genE5ELNS1_11target_archE942ELNS1_3gpuE9ELNS1_3repE0EEENS1_30default_config_static_selectorELNS0_4arch9wavefront6targetE0EEEvSQ_
	.p2align	8
	.type	_ZN7rocprim17ROCPRIM_400000_NS6detail17trampoline_kernelINS0_14default_configENS1_22reduce_config_selectorIiEEZNS1_11reduce_implILb1ES3_PiS7_iN6hipcub16HIPCUB_304000_NS6detail34convert_binary_result_type_wrapperISt4plusIvENS9_22TransformInputIteratorIiN2at6native8internal21MapNumberOfTrueValuesEPKhlEEiEEEE10hipError_tPvRmT1_T2_T3_mT4_P12ihipStream_tbEUlT_E1_NS1_11comp_targetILNS1_3genE5ELNS1_11target_archE942ELNS1_3gpuE9ELNS1_3repE0EEENS1_30default_config_static_selectorELNS0_4arch9wavefront6targetE0EEEvSQ_,@function
_ZN7rocprim17ROCPRIM_400000_NS6detail17trampoline_kernelINS0_14default_configENS1_22reduce_config_selectorIiEEZNS1_11reduce_implILb1ES3_PiS7_iN6hipcub16HIPCUB_304000_NS6detail34convert_binary_result_type_wrapperISt4plusIvENS9_22TransformInputIteratorIiN2at6native8internal21MapNumberOfTrueValuesEPKhlEEiEEEE10hipError_tPvRmT1_T2_T3_mT4_P12ihipStream_tbEUlT_E1_NS1_11comp_targetILNS1_3genE5ELNS1_11target_archE942ELNS1_3gpuE9ELNS1_3repE0EEENS1_30default_config_static_selectorELNS0_4arch9wavefront6targetE0EEEvSQ_: ; @_ZN7rocprim17ROCPRIM_400000_NS6detail17trampoline_kernelINS0_14default_configENS1_22reduce_config_selectorIiEEZNS1_11reduce_implILb1ES3_PiS7_iN6hipcub16HIPCUB_304000_NS6detail34convert_binary_result_type_wrapperISt4plusIvENS9_22TransformInputIteratorIiN2at6native8internal21MapNumberOfTrueValuesEPKhlEEiEEEE10hipError_tPvRmT1_T2_T3_mT4_P12ihipStream_tbEUlT_E1_NS1_11comp_targetILNS1_3genE5ELNS1_11target_archE942ELNS1_3gpuE9ELNS1_3repE0EEENS1_30default_config_static_selectorELNS0_4arch9wavefront6targetE0EEEvSQ_
; %bb.0:
	.section	.rodata,"a",@progbits
	.p2align	6, 0x0
	.amdhsa_kernel _ZN7rocprim17ROCPRIM_400000_NS6detail17trampoline_kernelINS0_14default_configENS1_22reduce_config_selectorIiEEZNS1_11reduce_implILb1ES3_PiS7_iN6hipcub16HIPCUB_304000_NS6detail34convert_binary_result_type_wrapperISt4plusIvENS9_22TransformInputIteratorIiN2at6native8internal21MapNumberOfTrueValuesEPKhlEEiEEEE10hipError_tPvRmT1_T2_T3_mT4_P12ihipStream_tbEUlT_E1_NS1_11comp_targetILNS1_3genE5ELNS1_11target_archE942ELNS1_3gpuE9ELNS1_3repE0EEENS1_30default_config_static_selectorELNS0_4arch9wavefront6targetE0EEEvSQ_
		.amdhsa_group_segment_fixed_size 0
		.amdhsa_private_segment_fixed_size 0
		.amdhsa_kernarg_size 40
		.amdhsa_user_sgpr_count 2
		.amdhsa_user_sgpr_dispatch_ptr 0
		.amdhsa_user_sgpr_queue_ptr 0
		.amdhsa_user_sgpr_kernarg_segment_ptr 1
		.amdhsa_user_sgpr_dispatch_id 0
		.amdhsa_user_sgpr_kernarg_preload_length 0
		.amdhsa_user_sgpr_kernarg_preload_offset 0
		.amdhsa_user_sgpr_private_segment_size 0
		.amdhsa_wavefront_size32 1
		.amdhsa_uses_dynamic_stack 0
		.amdhsa_enable_private_segment 0
		.amdhsa_system_sgpr_workgroup_id_x 1
		.amdhsa_system_sgpr_workgroup_id_y 0
		.amdhsa_system_sgpr_workgroup_id_z 0
		.amdhsa_system_sgpr_workgroup_info 0
		.amdhsa_system_vgpr_workitem_id 0
		.amdhsa_next_free_vgpr 1
		.amdhsa_next_free_sgpr 1
		.amdhsa_named_barrier_count 0
		.amdhsa_reserve_vcc 0
		.amdhsa_float_round_mode_32 0
		.amdhsa_float_round_mode_16_64 0
		.amdhsa_float_denorm_mode_32 3
		.amdhsa_float_denorm_mode_16_64 3
		.amdhsa_fp16_overflow 0
		.amdhsa_memory_ordered 1
		.amdhsa_forward_progress 1
		.amdhsa_inst_pref_size 0
		.amdhsa_round_robin_scheduling 0
		.amdhsa_exception_fp_ieee_invalid_op 0
		.amdhsa_exception_fp_denorm_src 0
		.amdhsa_exception_fp_ieee_div_zero 0
		.amdhsa_exception_fp_ieee_overflow 0
		.amdhsa_exception_fp_ieee_underflow 0
		.amdhsa_exception_fp_ieee_inexact 0
		.amdhsa_exception_int_div_zero 0
	.end_amdhsa_kernel
	.section	.text._ZN7rocprim17ROCPRIM_400000_NS6detail17trampoline_kernelINS0_14default_configENS1_22reduce_config_selectorIiEEZNS1_11reduce_implILb1ES3_PiS7_iN6hipcub16HIPCUB_304000_NS6detail34convert_binary_result_type_wrapperISt4plusIvENS9_22TransformInputIteratorIiN2at6native8internal21MapNumberOfTrueValuesEPKhlEEiEEEE10hipError_tPvRmT1_T2_T3_mT4_P12ihipStream_tbEUlT_E1_NS1_11comp_targetILNS1_3genE5ELNS1_11target_archE942ELNS1_3gpuE9ELNS1_3repE0EEENS1_30default_config_static_selectorELNS0_4arch9wavefront6targetE0EEEvSQ_,"axG",@progbits,_ZN7rocprim17ROCPRIM_400000_NS6detail17trampoline_kernelINS0_14default_configENS1_22reduce_config_selectorIiEEZNS1_11reduce_implILb1ES3_PiS7_iN6hipcub16HIPCUB_304000_NS6detail34convert_binary_result_type_wrapperISt4plusIvENS9_22TransformInputIteratorIiN2at6native8internal21MapNumberOfTrueValuesEPKhlEEiEEEE10hipError_tPvRmT1_T2_T3_mT4_P12ihipStream_tbEUlT_E1_NS1_11comp_targetILNS1_3genE5ELNS1_11target_archE942ELNS1_3gpuE9ELNS1_3repE0EEENS1_30default_config_static_selectorELNS0_4arch9wavefront6targetE0EEEvSQ_,comdat
.Lfunc_end107:
	.size	_ZN7rocprim17ROCPRIM_400000_NS6detail17trampoline_kernelINS0_14default_configENS1_22reduce_config_selectorIiEEZNS1_11reduce_implILb1ES3_PiS7_iN6hipcub16HIPCUB_304000_NS6detail34convert_binary_result_type_wrapperISt4plusIvENS9_22TransformInputIteratorIiN2at6native8internal21MapNumberOfTrueValuesEPKhlEEiEEEE10hipError_tPvRmT1_T2_T3_mT4_P12ihipStream_tbEUlT_E1_NS1_11comp_targetILNS1_3genE5ELNS1_11target_archE942ELNS1_3gpuE9ELNS1_3repE0EEENS1_30default_config_static_selectorELNS0_4arch9wavefront6targetE0EEEvSQ_, .Lfunc_end107-_ZN7rocprim17ROCPRIM_400000_NS6detail17trampoline_kernelINS0_14default_configENS1_22reduce_config_selectorIiEEZNS1_11reduce_implILb1ES3_PiS7_iN6hipcub16HIPCUB_304000_NS6detail34convert_binary_result_type_wrapperISt4plusIvENS9_22TransformInputIteratorIiN2at6native8internal21MapNumberOfTrueValuesEPKhlEEiEEEE10hipError_tPvRmT1_T2_T3_mT4_P12ihipStream_tbEUlT_E1_NS1_11comp_targetILNS1_3genE5ELNS1_11target_archE942ELNS1_3gpuE9ELNS1_3repE0EEENS1_30default_config_static_selectorELNS0_4arch9wavefront6targetE0EEEvSQ_
                                        ; -- End function
	.set _ZN7rocprim17ROCPRIM_400000_NS6detail17trampoline_kernelINS0_14default_configENS1_22reduce_config_selectorIiEEZNS1_11reduce_implILb1ES3_PiS7_iN6hipcub16HIPCUB_304000_NS6detail34convert_binary_result_type_wrapperISt4plusIvENS9_22TransformInputIteratorIiN2at6native8internal21MapNumberOfTrueValuesEPKhlEEiEEEE10hipError_tPvRmT1_T2_T3_mT4_P12ihipStream_tbEUlT_E1_NS1_11comp_targetILNS1_3genE5ELNS1_11target_archE942ELNS1_3gpuE9ELNS1_3repE0EEENS1_30default_config_static_selectorELNS0_4arch9wavefront6targetE0EEEvSQ_.num_vgpr, 0
	.set _ZN7rocprim17ROCPRIM_400000_NS6detail17trampoline_kernelINS0_14default_configENS1_22reduce_config_selectorIiEEZNS1_11reduce_implILb1ES3_PiS7_iN6hipcub16HIPCUB_304000_NS6detail34convert_binary_result_type_wrapperISt4plusIvENS9_22TransformInputIteratorIiN2at6native8internal21MapNumberOfTrueValuesEPKhlEEiEEEE10hipError_tPvRmT1_T2_T3_mT4_P12ihipStream_tbEUlT_E1_NS1_11comp_targetILNS1_3genE5ELNS1_11target_archE942ELNS1_3gpuE9ELNS1_3repE0EEENS1_30default_config_static_selectorELNS0_4arch9wavefront6targetE0EEEvSQ_.num_agpr, 0
	.set _ZN7rocprim17ROCPRIM_400000_NS6detail17trampoline_kernelINS0_14default_configENS1_22reduce_config_selectorIiEEZNS1_11reduce_implILb1ES3_PiS7_iN6hipcub16HIPCUB_304000_NS6detail34convert_binary_result_type_wrapperISt4plusIvENS9_22TransformInputIteratorIiN2at6native8internal21MapNumberOfTrueValuesEPKhlEEiEEEE10hipError_tPvRmT1_T2_T3_mT4_P12ihipStream_tbEUlT_E1_NS1_11comp_targetILNS1_3genE5ELNS1_11target_archE942ELNS1_3gpuE9ELNS1_3repE0EEENS1_30default_config_static_selectorELNS0_4arch9wavefront6targetE0EEEvSQ_.numbered_sgpr, 0
	.set _ZN7rocprim17ROCPRIM_400000_NS6detail17trampoline_kernelINS0_14default_configENS1_22reduce_config_selectorIiEEZNS1_11reduce_implILb1ES3_PiS7_iN6hipcub16HIPCUB_304000_NS6detail34convert_binary_result_type_wrapperISt4plusIvENS9_22TransformInputIteratorIiN2at6native8internal21MapNumberOfTrueValuesEPKhlEEiEEEE10hipError_tPvRmT1_T2_T3_mT4_P12ihipStream_tbEUlT_E1_NS1_11comp_targetILNS1_3genE5ELNS1_11target_archE942ELNS1_3gpuE9ELNS1_3repE0EEENS1_30default_config_static_selectorELNS0_4arch9wavefront6targetE0EEEvSQ_.num_named_barrier, 0
	.set _ZN7rocprim17ROCPRIM_400000_NS6detail17trampoline_kernelINS0_14default_configENS1_22reduce_config_selectorIiEEZNS1_11reduce_implILb1ES3_PiS7_iN6hipcub16HIPCUB_304000_NS6detail34convert_binary_result_type_wrapperISt4plusIvENS9_22TransformInputIteratorIiN2at6native8internal21MapNumberOfTrueValuesEPKhlEEiEEEE10hipError_tPvRmT1_T2_T3_mT4_P12ihipStream_tbEUlT_E1_NS1_11comp_targetILNS1_3genE5ELNS1_11target_archE942ELNS1_3gpuE9ELNS1_3repE0EEENS1_30default_config_static_selectorELNS0_4arch9wavefront6targetE0EEEvSQ_.private_seg_size, 0
	.set _ZN7rocprim17ROCPRIM_400000_NS6detail17trampoline_kernelINS0_14default_configENS1_22reduce_config_selectorIiEEZNS1_11reduce_implILb1ES3_PiS7_iN6hipcub16HIPCUB_304000_NS6detail34convert_binary_result_type_wrapperISt4plusIvENS9_22TransformInputIteratorIiN2at6native8internal21MapNumberOfTrueValuesEPKhlEEiEEEE10hipError_tPvRmT1_T2_T3_mT4_P12ihipStream_tbEUlT_E1_NS1_11comp_targetILNS1_3genE5ELNS1_11target_archE942ELNS1_3gpuE9ELNS1_3repE0EEENS1_30default_config_static_selectorELNS0_4arch9wavefront6targetE0EEEvSQ_.uses_vcc, 0
	.set _ZN7rocprim17ROCPRIM_400000_NS6detail17trampoline_kernelINS0_14default_configENS1_22reduce_config_selectorIiEEZNS1_11reduce_implILb1ES3_PiS7_iN6hipcub16HIPCUB_304000_NS6detail34convert_binary_result_type_wrapperISt4plusIvENS9_22TransformInputIteratorIiN2at6native8internal21MapNumberOfTrueValuesEPKhlEEiEEEE10hipError_tPvRmT1_T2_T3_mT4_P12ihipStream_tbEUlT_E1_NS1_11comp_targetILNS1_3genE5ELNS1_11target_archE942ELNS1_3gpuE9ELNS1_3repE0EEENS1_30default_config_static_selectorELNS0_4arch9wavefront6targetE0EEEvSQ_.uses_flat_scratch, 0
	.set _ZN7rocprim17ROCPRIM_400000_NS6detail17trampoline_kernelINS0_14default_configENS1_22reduce_config_selectorIiEEZNS1_11reduce_implILb1ES3_PiS7_iN6hipcub16HIPCUB_304000_NS6detail34convert_binary_result_type_wrapperISt4plusIvENS9_22TransformInputIteratorIiN2at6native8internal21MapNumberOfTrueValuesEPKhlEEiEEEE10hipError_tPvRmT1_T2_T3_mT4_P12ihipStream_tbEUlT_E1_NS1_11comp_targetILNS1_3genE5ELNS1_11target_archE942ELNS1_3gpuE9ELNS1_3repE0EEENS1_30default_config_static_selectorELNS0_4arch9wavefront6targetE0EEEvSQ_.has_dyn_sized_stack, 0
	.set _ZN7rocprim17ROCPRIM_400000_NS6detail17trampoline_kernelINS0_14default_configENS1_22reduce_config_selectorIiEEZNS1_11reduce_implILb1ES3_PiS7_iN6hipcub16HIPCUB_304000_NS6detail34convert_binary_result_type_wrapperISt4plusIvENS9_22TransformInputIteratorIiN2at6native8internal21MapNumberOfTrueValuesEPKhlEEiEEEE10hipError_tPvRmT1_T2_T3_mT4_P12ihipStream_tbEUlT_E1_NS1_11comp_targetILNS1_3genE5ELNS1_11target_archE942ELNS1_3gpuE9ELNS1_3repE0EEENS1_30default_config_static_selectorELNS0_4arch9wavefront6targetE0EEEvSQ_.has_recursion, 0
	.set _ZN7rocprim17ROCPRIM_400000_NS6detail17trampoline_kernelINS0_14default_configENS1_22reduce_config_selectorIiEEZNS1_11reduce_implILb1ES3_PiS7_iN6hipcub16HIPCUB_304000_NS6detail34convert_binary_result_type_wrapperISt4plusIvENS9_22TransformInputIteratorIiN2at6native8internal21MapNumberOfTrueValuesEPKhlEEiEEEE10hipError_tPvRmT1_T2_T3_mT4_P12ihipStream_tbEUlT_E1_NS1_11comp_targetILNS1_3genE5ELNS1_11target_archE942ELNS1_3gpuE9ELNS1_3repE0EEENS1_30default_config_static_selectorELNS0_4arch9wavefront6targetE0EEEvSQ_.has_indirect_call, 0
	.section	.AMDGPU.csdata,"",@progbits
; Kernel info:
; codeLenInByte = 0
; TotalNumSgprs: 0
; NumVgprs: 0
; ScratchSize: 0
; MemoryBound: 0
; FloatMode: 240
; IeeeMode: 1
; LDSByteSize: 0 bytes/workgroup (compile time only)
; SGPRBlocks: 0
; VGPRBlocks: 0
; NumSGPRsForWavesPerEU: 1
; NumVGPRsForWavesPerEU: 1
; NamedBarCnt: 0
; Occupancy: 16
; WaveLimiterHint : 0
; COMPUTE_PGM_RSRC2:SCRATCH_EN: 0
; COMPUTE_PGM_RSRC2:USER_SGPR: 2
; COMPUTE_PGM_RSRC2:TRAP_HANDLER: 0
; COMPUTE_PGM_RSRC2:TGID_X_EN: 1
; COMPUTE_PGM_RSRC2:TGID_Y_EN: 0
; COMPUTE_PGM_RSRC2:TGID_Z_EN: 0
; COMPUTE_PGM_RSRC2:TIDIG_COMP_CNT: 0
	.section	.text._ZN7rocprim17ROCPRIM_400000_NS6detail17trampoline_kernelINS0_14default_configENS1_22reduce_config_selectorIiEEZNS1_11reduce_implILb1ES3_PiS7_iN6hipcub16HIPCUB_304000_NS6detail34convert_binary_result_type_wrapperISt4plusIvENS9_22TransformInputIteratorIiN2at6native8internal21MapNumberOfTrueValuesEPKhlEEiEEEE10hipError_tPvRmT1_T2_T3_mT4_P12ihipStream_tbEUlT_E1_NS1_11comp_targetILNS1_3genE4ELNS1_11target_archE910ELNS1_3gpuE8ELNS1_3repE0EEENS1_30default_config_static_selectorELNS0_4arch9wavefront6targetE0EEEvSQ_,"axG",@progbits,_ZN7rocprim17ROCPRIM_400000_NS6detail17trampoline_kernelINS0_14default_configENS1_22reduce_config_selectorIiEEZNS1_11reduce_implILb1ES3_PiS7_iN6hipcub16HIPCUB_304000_NS6detail34convert_binary_result_type_wrapperISt4plusIvENS9_22TransformInputIteratorIiN2at6native8internal21MapNumberOfTrueValuesEPKhlEEiEEEE10hipError_tPvRmT1_T2_T3_mT4_P12ihipStream_tbEUlT_E1_NS1_11comp_targetILNS1_3genE4ELNS1_11target_archE910ELNS1_3gpuE8ELNS1_3repE0EEENS1_30default_config_static_selectorELNS0_4arch9wavefront6targetE0EEEvSQ_,comdat
	.protected	_ZN7rocprim17ROCPRIM_400000_NS6detail17trampoline_kernelINS0_14default_configENS1_22reduce_config_selectorIiEEZNS1_11reduce_implILb1ES3_PiS7_iN6hipcub16HIPCUB_304000_NS6detail34convert_binary_result_type_wrapperISt4plusIvENS9_22TransformInputIteratorIiN2at6native8internal21MapNumberOfTrueValuesEPKhlEEiEEEE10hipError_tPvRmT1_T2_T3_mT4_P12ihipStream_tbEUlT_E1_NS1_11comp_targetILNS1_3genE4ELNS1_11target_archE910ELNS1_3gpuE8ELNS1_3repE0EEENS1_30default_config_static_selectorELNS0_4arch9wavefront6targetE0EEEvSQ_ ; -- Begin function _ZN7rocprim17ROCPRIM_400000_NS6detail17trampoline_kernelINS0_14default_configENS1_22reduce_config_selectorIiEEZNS1_11reduce_implILb1ES3_PiS7_iN6hipcub16HIPCUB_304000_NS6detail34convert_binary_result_type_wrapperISt4plusIvENS9_22TransformInputIteratorIiN2at6native8internal21MapNumberOfTrueValuesEPKhlEEiEEEE10hipError_tPvRmT1_T2_T3_mT4_P12ihipStream_tbEUlT_E1_NS1_11comp_targetILNS1_3genE4ELNS1_11target_archE910ELNS1_3gpuE8ELNS1_3repE0EEENS1_30default_config_static_selectorELNS0_4arch9wavefront6targetE0EEEvSQ_
	.globl	_ZN7rocprim17ROCPRIM_400000_NS6detail17trampoline_kernelINS0_14default_configENS1_22reduce_config_selectorIiEEZNS1_11reduce_implILb1ES3_PiS7_iN6hipcub16HIPCUB_304000_NS6detail34convert_binary_result_type_wrapperISt4plusIvENS9_22TransformInputIteratorIiN2at6native8internal21MapNumberOfTrueValuesEPKhlEEiEEEE10hipError_tPvRmT1_T2_T3_mT4_P12ihipStream_tbEUlT_E1_NS1_11comp_targetILNS1_3genE4ELNS1_11target_archE910ELNS1_3gpuE8ELNS1_3repE0EEENS1_30default_config_static_selectorELNS0_4arch9wavefront6targetE0EEEvSQ_
	.p2align	8
	.type	_ZN7rocprim17ROCPRIM_400000_NS6detail17trampoline_kernelINS0_14default_configENS1_22reduce_config_selectorIiEEZNS1_11reduce_implILb1ES3_PiS7_iN6hipcub16HIPCUB_304000_NS6detail34convert_binary_result_type_wrapperISt4plusIvENS9_22TransformInputIteratorIiN2at6native8internal21MapNumberOfTrueValuesEPKhlEEiEEEE10hipError_tPvRmT1_T2_T3_mT4_P12ihipStream_tbEUlT_E1_NS1_11comp_targetILNS1_3genE4ELNS1_11target_archE910ELNS1_3gpuE8ELNS1_3repE0EEENS1_30default_config_static_selectorELNS0_4arch9wavefront6targetE0EEEvSQ_,@function
_ZN7rocprim17ROCPRIM_400000_NS6detail17trampoline_kernelINS0_14default_configENS1_22reduce_config_selectorIiEEZNS1_11reduce_implILb1ES3_PiS7_iN6hipcub16HIPCUB_304000_NS6detail34convert_binary_result_type_wrapperISt4plusIvENS9_22TransformInputIteratorIiN2at6native8internal21MapNumberOfTrueValuesEPKhlEEiEEEE10hipError_tPvRmT1_T2_T3_mT4_P12ihipStream_tbEUlT_E1_NS1_11comp_targetILNS1_3genE4ELNS1_11target_archE910ELNS1_3gpuE8ELNS1_3repE0EEENS1_30default_config_static_selectorELNS0_4arch9wavefront6targetE0EEEvSQ_: ; @_ZN7rocprim17ROCPRIM_400000_NS6detail17trampoline_kernelINS0_14default_configENS1_22reduce_config_selectorIiEEZNS1_11reduce_implILb1ES3_PiS7_iN6hipcub16HIPCUB_304000_NS6detail34convert_binary_result_type_wrapperISt4plusIvENS9_22TransformInputIteratorIiN2at6native8internal21MapNumberOfTrueValuesEPKhlEEiEEEE10hipError_tPvRmT1_T2_T3_mT4_P12ihipStream_tbEUlT_E1_NS1_11comp_targetILNS1_3genE4ELNS1_11target_archE910ELNS1_3gpuE8ELNS1_3repE0EEENS1_30default_config_static_selectorELNS0_4arch9wavefront6targetE0EEEvSQ_
; %bb.0:
	.section	.rodata,"a",@progbits
	.p2align	6, 0x0
	.amdhsa_kernel _ZN7rocprim17ROCPRIM_400000_NS6detail17trampoline_kernelINS0_14default_configENS1_22reduce_config_selectorIiEEZNS1_11reduce_implILb1ES3_PiS7_iN6hipcub16HIPCUB_304000_NS6detail34convert_binary_result_type_wrapperISt4plusIvENS9_22TransformInputIteratorIiN2at6native8internal21MapNumberOfTrueValuesEPKhlEEiEEEE10hipError_tPvRmT1_T2_T3_mT4_P12ihipStream_tbEUlT_E1_NS1_11comp_targetILNS1_3genE4ELNS1_11target_archE910ELNS1_3gpuE8ELNS1_3repE0EEENS1_30default_config_static_selectorELNS0_4arch9wavefront6targetE0EEEvSQ_
		.amdhsa_group_segment_fixed_size 0
		.amdhsa_private_segment_fixed_size 0
		.amdhsa_kernarg_size 40
		.amdhsa_user_sgpr_count 2
		.amdhsa_user_sgpr_dispatch_ptr 0
		.amdhsa_user_sgpr_queue_ptr 0
		.amdhsa_user_sgpr_kernarg_segment_ptr 1
		.amdhsa_user_sgpr_dispatch_id 0
		.amdhsa_user_sgpr_kernarg_preload_length 0
		.amdhsa_user_sgpr_kernarg_preload_offset 0
		.amdhsa_user_sgpr_private_segment_size 0
		.amdhsa_wavefront_size32 1
		.amdhsa_uses_dynamic_stack 0
		.amdhsa_enable_private_segment 0
		.amdhsa_system_sgpr_workgroup_id_x 1
		.amdhsa_system_sgpr_workgroup_id_y 0
		.amdhsa_system_sgpr_workgroup_id_z 0
		.amdhsa_system_sgpr_workgroup_info 0
		.amdhsa_system_vgpr_workitem_id 0
		.amdhsa_next_free_vgpr 1
		.amdhsa_next_free_sgpr 1
		.amdhsa_named_barrier_count 0
		.amdhsa_reserve_vcc 0
		.amdhsa_float_round_mode_32 0
		.amdhsa_float_round_mode_16_64 0
		.amdhsa_float_denorm_mode_32 3
		.amdhsa_float_denorm_mode_16_64 3
		.amdhsa_fp16_overflow 0
		.amdhsa_memory_ordered 1
		.amdhsa_forward_progress 1
		.amdhsa_inst_pref_size 0
		.amdhsa_round_robin_scheduling 0
		.amdhsa_exception_fp_ieee_invalid_op 0
		.amdhsa_exception_fp_denorm_src 0
		.amdhsa_exception_fp_ieee_div_zero 0
		.amdhsa_exception_fp_ieee_overflow 0
		.amdhsa_exception_fp_ieee_underflow 0
		.amdhsa_exception_fp_ieee_inexact 0
		.amdhsa_exception_int_div_zero 0
	.end_amdhsa_kernel
	.section	.text._ZN7rocprim17ROCPRIM_400000_NS6detail17trampoline_kernelINS0_14default_configENS1_22reduce_config_selectorIiEEZNS1_11reduce_implILb1ES3_PiS7_iN6hipcub16HIPCUB_304000_NS6detail34convert_binary_result_type_wrapperISt4plusIvENS9_22TransformInputIteratorIiN2at6native8internal21MapNumberOfTrueValuesEPKhlEEiEEEE10hipError_tPvRmT1_T2_T3_mT4_P12ihipStream_tbEUlT_E1_NS1_11comp_targetILNS1_3genE4ELNS1_11target_archE910ELNS1_3gpuE8ELNS1_3repE0EEENS1_30default_config_static_selectorELNS0_4arch9wavefront6targetE0EEEvSQ_,"axG",@progbits,_ZN7rocprim17ROCPRIM_400000_NS6detail17trampoline_kernelINS0_14default_configENS1_22reduce_config_selectorIiEEZNS1_11reduce_implILb1ES3_PiS7_iN6hipcub16HIPCUB_304000_NS6detail34convert_binary_result_type_wrapperISt4plusIvENS9_22TransformInputIteratorIiN2at6native8internal21MapNumberOfTrueValuesEPKhlEEiEEEE10hipError_tPvRmT1_T2_T3_mT4_P12ihipStream_tbEUlT_E1_NS1_11comp_targetILNS1_3genE4ELNS1_11target_archE910ELNS1_3gpuE8ELNS1_3repE0EEENS1_30default_config_static_selectorELNS0_4arch9wavefront6targetE0EEEvSQ_,comdat
.Lfunc_end108:
	.size	_ZN7rocprim17ROCPRIM_400000_NS6detail17trampoline_kernelINS0_14default_configENS1_22reduce_config_selectorIiEEZNS1_11reduce_implILb1ES3_PiS7_iN6hipcub16HIPCUB_304000_NS6detail34convert_binary_result_type_wrapperISt4plusIvENS9_22TransformInputIteratorIiN2at6native8internal21MapNumberOfTrueValuesEPKhlEEiEEEE10hipError_tPvRmT1_T2_T3_mT4_P12ihipStream_tbEUlT_E1_NS1_11comp_targetILNS1_3genE4ELNS1_11target_archE910ELNS1_3gpuE8ELNS1_3repE0EEENS1_30default_config_static_selectorELNS0_4arch9wavefront6targetE0EEEvSQ_, .Lfunc_end108-_ZN7rocprim17ROCPRIM_400000_NS6detail17trampoline_kernelINS0_14default_configENS1_22reduce_config_selectorIiEEZNS1_11reduce_implILb1ES3_PiS7_iN6hipcub16HIPCUB_304000_NS6detail34convert_binary_result_type_wrapperISt4plusIvENS9_22TransformInputIteratorIiN2at6native8internal21MapNumberOfTrueValuesEPKhlEEiEEEE10hipError_tPvRmT1_T2_T3_mT4_P12ihipStream_tbEUlT_E1_NS1_11comp_targetILNS1_3genE4ELNS1_11target_archE910ELNS1_3gpuE8ELNS1_3repE0EEENS1_30default_config_static_selectorELNS0_4arch9wavefront6targetE0EEEvSQ_
                                        ; -- End function
	.set _ZN7rocprim17ROCPRIM_400000_NS6detail17trampoline_kernelINS0_14default_configENS1_22reduce_config_selectorIiEEZNS1_11reduce_implILb1ES3_PiS7_iN6hipcub16HIPCUB_304000_NS6detail34convert_binary_result_type_wrapperISt4plusIvENS9_22TransformInputIteratorIiN2at6native8internal21MapNumberOfTrueValuesEPKhlEEiEEEE10hipError_tPvRmT1_T2_T3_mT4_P12ihipStream_tbEUlT_E1_NS1_11comp_targetILNS1_3genE4ELNS1_11target_archE910ELNS1_3gpuE8ELNS1_3repE0EEENS1_30default_config_static_selectorELNS0_4arch9wavefront6targetE0EEEvSQ_.num_vgpr, 0
	.set _ZN7rocprim17ROCPRIM_400000_NS6detail17trampoline_kernelINS0_14default_configENS1_22reduce_config_selectorIiEEZNS1_11reduce_implILb1ES3_PiS7_iN6hipcub16HIPCUB_304000_NS6detail34convert_binary_result_type_wrapperISt4plusIvENS9_22TransformInputIteratorIiN2at6native8internal21MapNumberOfTrueValuesEPKhlEEiEEEE10hipError_tPvRmT1_T2_T3_mT4_P12ihipStream_tbEUlT_E1_NS1_11comp_targetILNS1_3genE4ELNS1_11target_archE910ELNS1_3gpuE8ELNS1_3repE0EEENS1_30default_config_static_selectorELNS0_4arch9wavefront6targetE0EEEvSQ_.num_agpr, 0
	.set _ZN7rocprim17ROCPRIM_400000_NS6detail17trampoline_kernelINS0_14default_configENS1_22reduce_config_selectorIiEEZNS1_11reduce_implILb1ES3_PiS7_iN6hipcub16HIPCUB_304000_NS6detail34convert_binary_result_type_wrapperISt4plusIvENS9_22TransformInputIteratorIiN2at6native8internal21MapNumberOfTrueValuesEPKhlEEiEEEE10hipError_tPvRmT1_T2_T3_mT4_P12ihipStream_tbEUlT_E1_NS1_11comp_targetILNS1_3genE4ELNS1_11target_archE910ELNS1_3gpuE8ELNS1_3repE0EEENS1_30default_config_static_selectorELNS0_4arch9wavefront6targetE0EEEvSQ_.numbered_sgpr, 0
	.set _ZN7rocprim17ROCPRIM_400000_NS6detail17trampoline_kernelINS0_14default_configENS1_22reduce_config_selectorIiEEZNS1_11reduce_implILb1ES3_PiS7_iN6hipcub16HIPCUB_304000_NS6detail34convert_binary_result_type_wrapperISt4plusIvENS9_22TransformInputIteratorIiN2at6native8internal21MapNumberOfTrueValuesEPKhlEEiEEEE10hipError_tPvRmT1_T2_T3_mT4_P12ihipStream_tbEUlT_E1_NS1_11comp_targetILNS1_3genE4ELNS1_11target_archE910ELNS1_3gpuE8ELNS1_3repE0EEENS1_30default_config_static_selectorELNS0_4arch9wavefront6targetE0EEEvSQ_.num_named_barrier, 0
	.set _ZN7rocprim17ROCPRIM_400000_NS6detail17trampoline_kernelINS0_14default_configENS1_22reduce_config_selectorIiEEZNS1_11reduce_implILb1ES3_PiS7_iN6hipcub16HIPCUB_304000_NS6detail34convert_binary_result_type_wrapperISt4plusIvENS9_22TransformInputIteratorIiN2at6native8internal21MapNumberOfTrueValuesEPKhlEEiEEEE10hipError_tPvRmT1_T2_T3_mT4_P12ihipStream_tbEUlT_E1_NS1_11comp_targetILNS1_3genE4ELNS1_11target_archE910ELNS1_3gpuE8ELNS1_3repE0EEENS1_30default_config_static_selectorELNS0_4arch9wavefront6targetE0EEEvSQ_.private_seg_size, 0
	.set _ZN7rocprim17ROCPRIM_400000_NS6detail17trampoline_kernelINS0_14default_configENS1_22reduce_config_selectorIiEEZNS1_11reduce_implILb1ES3_PiS7_iN6hipcub16HIPCUB_304000_NS6detail34convert_binary_result_type_wrapperISt4plusIvENS9_22TransformInputIteratorIiN2at6native8internal21MapNumberOfTrueValuesEPKhlEEiEEEE10hipError_tPvRmT1_T2_T3_mT4_P12ihipStream_tbEUlT_E1_NS1_11comp_targetILNS1_3genE4ELNS1_11target_archE910ELNS1_3gpuE8ELNS1_3repE0EEENS1_30default_config_static_selectorELNS0_4arch9wavefront6targetE0EEEvSQ_.uses_vcc, 0
	.set _ZN7rocprim17ROCPRIM_400000_NS6detail17trampoline_kernelINS0_14default_configENS1_22reduce_config_selectorIiEEZNS1_11reduce_implILb1ES3_PiS7_iN6hipcub16HIPCUB_304000_NS6detail34convert_binary_result_type_wrapperISt4plusIvENS9_22TransformInputIteratorIiN2at6native8internal21MapNumberOfTrueValuesEPKhlEEiEEEE10hipError_tPvRmT1_T2_T3_mT4_P12ihipStream_tbEUlT_E1_NS1_11comp_targetILNS1_3genE4ELNS1_11target_archE910ELNS1_3gpuE8ELNS1_3repE0EEENS1_30default_config_static_selectorELNS0_4arch9wavefront6targetE0EEEvSQ_.uses_flat_scratch, 0
	.set _ZN7rocprim17ROCPRIM_400000_NS6detail17trampoline_kernelINS0_14default_configENS1_22reduce_config_selectorIiEEZNS1_11reduce_implILb1ES3_PiS7_iN6hipcub16HIPCUB_304000_NS6detail34convert_binary_result_type_wrapperISt4plusIvENS9_22TransformInputIteratorIiN2at6native8internal21MapNumberOfTrueValuesEPKhlEEiEEEE10hipError_tPvRmT1_T2_T3_mT4_P12ihipStream_tbEUlT_E1_NS1_11comp_targetILNS1_3genE4ELNS1_11target_archE910ELNS1_3gpuE8ELNS1_3repE0EEENS1_30default_config_static_selectorELNS0_4arch9wavefront6targetE0EEEvSQ_.has_dyn_sized_stack, 0
	.set _ZN7rocprim17ROCPRIM_400000_NS6detail17trampoline_kernelINS0_14default_configENS1_22reduce_config_selectorIiEEZNS1_11reduce_implILb1ES3_PiS7_iN6hipcub16HIPCUB_304000_NS6detail34convert_binary_result_type_wrapperISt4plusIvENS9_22TransformInputIteratorIiN2at6native8internal21MapNumberOfTrueValuesEPKhlEEiEEEE10hipError_tPvRmT1_T2_T3_mT4_P12ihipStream_tbEUlT_E1_NS1_11comp_targetILNS1_3genE4ELNS1_11target_archE910ELNS1_3gpuE8ELNS1_3repE0EEENS1_30default_config_static_selectorELNS0_4arch9wavefront6targetE0EEEvSQ_.has_recursion, 0
	.set _ZN7rocprim17ROCPRIM_400000_NS6detail17trampoline_kernelINS0_14default_configENS1_22reduce_config_selectorIiEEZNS1_11reduce_implILb1ES3_PiS7_iN6hipcub16HIPCUB_304000_NS6detail34convert_binary_result_type_wrapperISt4plusIvENS9_22TransformInputIteratorIiN2at6native8internal21MapNumberOfTrueValuesEPKhlEEiEEEE10hipError_tPvRmT1_T2_T3_mT4_P12ihipStream_tbEUlT_E1_NS1_11comp_targetILNS1_3genE4ELNS1_11target_archE910ELNS1_3gpuE8ELNS1_3repE0EEENS1_30default_config_static_selectorELNS0_4arch9wavefront6targetE0EEEvSQ_.has_indirect_call, 0
	.section	.AMDGPU.csdata,"",@progbits
; Kernel info:
; codeLenInByte = 0
; TotalNumSgprs: 0
; NumVgprs: 0
; ScratchSize: 0
; MemoryBound: 0
; FloatMode: 240
; IeeeMode: 1
; LDSByteSize: 0 bytes/workgroup (compile time only)
; SGPRBlocks: 0
; VGPRBlocks: 0
; NumSGPRsForWavesPerEU: 1
; NumVGPRsForWavesPerEU: 1
; NamedBarCnt: 0
; Occupancy: 16
; WaveLimiterHint : 0
; COMPUTE_PGM_RSRC2:SCRATCH_EN: 0
; COMPUTE_PGM_RSRC2:USER_SGPR: 2
; COMPUTE_PGM_RSRC2:TRAP_HANDLER: 0
; COMPUTE_PGM_RSRC2:TGID_X_EN: 1
; COMPUTE_PGM_RSRC2:TGID_Y_EN: 0
; COMPUTE_PGM_RSRC2:TGID_Z_EN: 0
; COMPUTE_PGM_RSRC2:TIDIG_COMP_CNT: 0
	.section	.text._ZN7rocprim17ROCPRIM_400000_NS6detail17trampoline_kernelINS0_14default_configENS1_22reduce_config_selectorIiEEZNS1_11reduce_implILb1ES3_PiS7_iN6hipcub16HIPCUB_304000_NS6detail34convert_binary_result_type_wrapperISt4plusIvENS9_22TransformInputIteratorIiN2at6native8internal21MapNumberOfTrueValuesEPKhlEEiEEEE10hipError_tPvRmT1_T2_T3_mT4_P12ihipStream_tbEUlT_E1_NS1_11comp_targetILNS1_3genE3ELNS1_11target_archE908ELNS1_3gpuE7ELNS1_3repE0EEENS1_30default_config_static_selectorELNS0_4arch9wavefront6targetE0EEEvSQ_,"axG",@progbits,_ZN7rocprim17ROCPRIM_400000_NS6detail17trampoline_kernelINS0_14default_configENS1_22reduce_config_selectorIiEEZNS1_11reduce_implILb1ES3_PiS7_iN6hipcub16HIPCUB_304000_NS6detail34convert_binary_result_type_wrapperISt4plusIvENS9_22TransformInputIteratorIiN2at6native8internal21MapNumberOfTrueValuesEPKhlEEiEEEE10hipError_tPvRmT1_T2_T3_mT4_P12ihipStream_tbEUlT_E1_NS1_11comp_targetILNS1_3genE3ELNS1_11target_archE908ELNS1_3gpuE7ELNS1_3repE0EEENS1_30default_config_static_selectorELNS0_4arch9wavefront6targetE0EEEvSQ_,comdat
	.protected	_ZN7rocprim17ROCPRIM_400000_NS6detail17trampoline_kernelINS0_14default_configENS1_22reduce_config_selectorIiEEZNS1_11reduce_implILb1ES3_PiS7_iN6hipcub16HIPCUB_304000_NS6detail34convert_binary_result_type_wrapperISt4plusIvENS9_22TransformInputIteratorIiN2at6native8internal21MapNumberOfTrueValuesEPKhlEEiEEEE10hipError_tPvRmT1_T2_T3_mT4_P12ihipStream_tbEUlT_E1_NS1_11comp_targetILNS1_3genE3ELNS1_11target_archE908ELNS1_3gpuE7ELNS1_3repE0EEENS1_30default_config_static_selectorELNS0_4arch9wavefront6targetE0EEEvSQ_ ; -- Begin function _ZN7rocprim17ROCPRIM_400000_NS6detail17trampoline_kernelINS0_14default_configENS1_22reduce_config_selectorIiEEZNS1_11reduce_implILb1ES3_PiS7_iN6hipcub16HIPCUB_304000_NS6detail34convert_binary_result_type_wrapperISt4plusIvENS9_22TransformInputIteratorIiN2at6native8internal21MapNumberOfTrueValuesEPKhlEEiEEEE10hipError_tPvRmT1_T2_T3_mT4_P12ihipStream_tbEUlT_E1_NS1_11comp_targetILNS1_3genE3ELNS1_11target_archE908ELNS1_3gpuE7ELNS1_3repE0EEENS1_30default_config_static_selectorELNS0_4arch9wavefront6targetE0EEEvSQ_
	.globl	_ZN7rocprim17ROCPRIM_400000_NS6detail17trampoline_kernelINS0_14default_configENS1_22reduce_config_selectorIiEEZNS1_11reduce_implILb1ES3_PiS7_iN6hipcub16HIPCUB_304000_NS6detail34convert_binary_result_type_wrapperISt4plusIvENS9_22TransformInputIteratorIiN2at6native8internal21MapNumberOfTrueValuesEPKhlEEiEEEE10hipError_tPvRmT1_T2_T3_mT4_P12ihipStream_tbEUlT_E1_NS1_11comp_targetILNS1_3genE3ELNS1_11target_archE908ELNS1_3gpuE7ELNS1_3repE0EEENS1_30default_config_static_selectorELNS0_4arch9wavefront6targetE0EEEvSQ_
	.p2align	8
	.type	_ZN7rocprim17ROCPRIM_400000_NS6detail17trampoline_kernelINS0_14default_configENS1_22reduce_config_selectorIiEEZNS1_11reduce_implILb1ES3_PiS7_iN6hipcub16HIPCUB_304000_NS6detail34convert_binary_result_type_wrapperISt4plusIvENS9_22TransformInputIteratorIiN2at6native8internal21MapNumberOfTrueValuesEPKhlEEiEEEE10hipError_tPvRmT1_T2_T3_mT4_P12ihipStream_tbEUlT_E1_NS1_11comp_targetILNS1_3genE3ELNS1_11target_archE908ELNS1_3gpuE7ELNS1_3repE0EEENS1_30default_config_static_selectorELNS0_4arch9wavefront6targetE0EEEvSQ_,@function
_ZN7rocprim17ROCPRIM_400000_NS6detail17trampoline_kernelINS0_14default_configENS1_22reduce_config_selectorIiEEZNS1_11reduce_implILb1ES3_PiS7_iN6hipcub16HIPCUB_304000_NS6detail34convert_binary_result_type_wrapperISt4plusIvENS9_22TransformInputIteratorIiN2at6native8internal21MapNumberOfTrueValuesEPKhlEEiEEEE10hipError_tPvRmT1_T2_T3_mT4_P12ihipStream_tbEUlT_E1_NS1_11comp_targetILNS1_3genE3ELNS1_11target_archE908ELNS1_3gpuE7ELNS1_3repE0EEENS1_30default_config_static_selectorELNS0_4arch9wavefront6targetE0EEEvSQ_: ; @_ZN7rocprim17ROCPRIM_400000_NS6detail17trampoline_kernelINS0_14default_configENS1_22reduce_config_selectorIiEEZNS1_11reduce_implILb1ES3_PiS7_iN6hipcub16HIPCUB_304000_NS6detail34convert_binary_result_type_wrapperISt4plusIvENS9_22TransformInputIteratorIiN2at6native8internal21MapNumberOfTrueValuesEPKhlEEiEEEE10hipError_tPvRmT1_T2_T3_mT4_P12ihipStream_tbEUlT_E1_NS1_11comp_targetILNS1_3genE3ELNS1_11target_archE908ELNS1_3gpuE7ELNS1_3repE0EEENS1_30default_config_static_selectorELNS0_4arch9wavefront6targetE0EEEvSQ_
; %bb.0:
	.section	.rodata,"a",@progbits
	.p2align	6, 0x0
	.amdhsa_kernel _ZN7rocprim17ROCPRIM_400000_NS6detail17trampoline_kernelINS0_14default_configENS1_22reduce_config_selectorIiEEZNS1_11reduce_implILb1ES3_PiS7_iN6hipcub16HIPCUB_304000_NS6detail34convert_binary_result_type_wrapperISt4plusIvENS9_22TransformInputIteratorIiN2at6native8internal21MapNumberOfTrueValuesEPKhlEEiEEEE10hipError_tPvRmT1_T2_T3_mT4_P12ihipStream_tbEUlT_E1_NS1_11comp_targetILNS1_3genE3ELNS1_11target_archE908ELNS1_3gpuE7ELNS1_3repE0EEENS1_30default_config_static_selectorELNS0_4arch9wavefront6targetE0EEEvSQ_
		.amdhsa_group_segment_fixed_size 0
		.amdhsa_private_segment_fixed_size 0
		.amdhsa_kernarg_size 40
		.amdhsa_user_sgpr_count 2
		.amdhsa_user_sgpr_dispatch_ptr 0
		.amdhsa_user_sgpr_queue_ptr 0
		.amdhsa_user_sgpr_kernarg_segment_ptr 1
		.amdhsa_user_sgpr_dispatch_id 0
		.amdhsa_user_sgpr_kernarg_preload_length 0
		.amdhsa_user_sgpr_kernarg_preload_offset 0
		.amdhsa_user_sgpr_private_segment_size 0
		.amdhsa_wavefront_size32 1
		.amdhsa_uses_dynamic_stack 0
		.amdhsa_enable_private_segment 0
		.amdhsa_system_sgpr_workgroup_id_x 1
		.amdhsa_system_sgpr_workgroup_id_y 0
		.amdhsa_system_sgpr_workgroup_id_z 0
		.amdhsa_system_sgpr_workgroup_info 0
		.amdhsa_system_vgpr_workitem_id 0
		.amdhsa_next_free_vgpr 1
		.amdhsa_next_free_sgpr 1
		.amdhsa_named_barrier_count 0
		.amdhsa_reserve_vcc 0
		.amdhsa_float_round_mode_32 0
		.amdhsa_float_round_mode_16_64 0
		.amdhsa_float_denorm_mode_32 3
		.amdhsa_float_denorm_mode_16_64 3
		.amdhsa_fp16_overflow 0
		.amdhsa_memory_ordered 1
		.amdhsa_forward_progress 1
		.amdhsa_inst_pref_size 0
		.amdhsa_round_robin_scheduling 0
		.amdhsa_exception_fp_ieee_invalid_op 0
		.amdhsa_exception_fp_denorm_src 0
		.amdhsa_exception_fp_ieee_div_zero 0
		.amdhsa_exception_fp_ieee_overflow 0
		.amdhsa_exception_fp_ieee_underflow 0
		.amdhsa_exception_fp_ieee_inexact 0
		.amdhsa_exception_int_div_zero 0
	.end_amdhsa_kernel
	.section	.text._ZN7rocprim17ROCPRIM_400000_NS6detail17trampoline_kernelINS0_14default_configENS1_22reduce_config_selectorIiEEZNS1_11reduce_implILb1ES3_PiS7_iN6hipcub16HIPCUB_304000_NS6detail34convert_binary_result_type_wrapperISt4plusIvENS9_22TransformInputIteratorIiN2at6native8internal21MapNumberOfTrueValuesEPKhlEEiEEEE10hipError_tPvRmT1_T2_T3_mT4_P12ihipStream_tbEUlT_E1_NS1_11comp_targetILNS1_3genE3ELNS1_11target_archE908ELNS1_3gpuE7ELNS1_3repE0EEENS1_30default_config_static_selectorELNS0_4arch9wavefront6targetE0EEEvSQ_,"axG",@progbits,_ZN7rocprim17ROCPRIM_400000_NS6detail17trampoline_kernelINS0_14default_configENS1_22reduce_config_selectorIiEEZNS1_11reduce_implILb1ES3_PiS7_iN6hipcub16HIPCUB_304000_NS6detail34convert_binary_result_type_wrapperISt4plusIvENS9_22TransformInputIteratorIiN2at6native8internal21MapNumberOfTrueValuesEPKhlEEiEEEE10hipError_tPvRmT1_T2_T3_mT4_P12ihipStream_tbEUlT_E1_NS1_11comp_targetILNS1_3genE3ELNS1_11target_archE908ELNS1_3gpuE7ELNS1_3repE0EEENS1_30default_config_static_selectorELNS0_4arch9wavefront6targetE0EEEvSQ_,comdat
.Lfunc_end109:
	.size	_ZN7rocprim17ROCPRIM_400000_NS6detail17trampoline_kernelINS0_14default_configENS1_22reduce_config_selectorIiEEZNS1_11reduce_implILb1ES3_PiS7_iN6hipcub16HIPCUB_304000_NS6detail34convert_binary_result_type_wrapperISt4plusIvENS9_22TransformInputIteratorIiN2at6native8internal21MapNumberOfTrueValuesEPKhlEEiEEEE10hipError_tPvRmT1_T2_T3_mT4_P12ihipStream_tbEUlT_E1_NS1_11comp_targetILNS1_3genE3ELNS1_11target_archE908ELNS1_3gpuE7ELNS1_3repE0EEENS1_30default_config_static_selectorELNS0_4arch9wavefront6targetE0EEEvSQ_, .Lfunc_end109-_ZN7rocprim17ROCPRIM_400000_NS6detail17trampoline_kernelINS0_14default_configENS1_22reduce_config_selectorIiEEZNS1_11reduce_implILb1ES3_PiS7_iN6hipcub16HIPCUB_304000_NS6detail34convert_binary_result_type_wrapperISt4plusIvENS9_22TransformInputIteratorIiN2at6native8internal21MapNumberOfTrueValuesEPKhlEEiEEEE10hipError_tPvRmT1_T2_T3_mT4_P12ihipStream_tbEUlT_E1_NS1_11comp_targetILNS1_3genE3ELNS1_11target_archE908ELNS1_3gpuE7ELNS1_3repE0EEENS1_30default_config_static_selectorELNS0_4arch9wavefront6targetE0EEEvSQ_
                                        ; -- End function
	.set _ZN7rocprim17ROCPRIM_400000_NS6detail17trampoline_kernelINS0_14default_configENS1_22reduce_config_selectorIiEEZNS1_11reduce_implILb1ES3_PiS7_iN6hipcub16HIPCUB_304000_NS6detail34convert_binary_result_type_wrapperISt4plusIvENS9_22TransformInputIteratorIiN2at6native8internal21MapNumberOfTrueValuesEPKhlEEiEEEE10hipError_tPvRmT1_T2_T3_mT4_P12ihipStream_tbEUlT_E1_NS1_11comp_targetILNS1_3genE3ELNS1_11target_archE908ELNS1_3gpuE7ELNS1_3repE0EEENS1_30default_config_static_selectorELNS0_4arch9wavefront6targetE0EEEvSQ_.num_vgpr, 0
	.set _ZN7rocprim17ROCPRIM_400000_NS6detail17trampoline_kernelINS0_14default_configENS1_22reduce_config_selectorIiEEZNS1_11reduce_implILb1ES3_PiS7_iN6hipcub16HIPCUB_304000_NS6detail34convert_binary_result_type_wrapperISt4plusIvENS9_22TransformInputIteratorIiN2at6native8internal21MapNumberOfTrueValuesEPKhlEEiEEEE10hipError_tPvRmT1_T2_T3_mT4_P12ihipStream_tbEUlT_E1_NS1_11comp_targetILNS1_3genE3ELNS1_11target_archE908ELNS1_3gpuE7ELNS1_3repE0EEENS1_30default_config_static_selectorELNS0_4arch9wavefront6targetE0EEEvSQ_.num_agpr, 0
	.set _ZN7rocprim17ROCPRIM_400000_NS6detail17trampoline_kernelINS0_14default_configENS1_22reduce_config_selectorIiEEZNS1_11reduce_implILb1ES3_PiS7_iN6hipcub16HIPCUB_304000_NS6detail34convert_binary_result_type_wrapperISt4plusIvENS9_22TransformInputIteratorIiN2at6native8internal21MapNumberOfTrueValuesEPKhlEEiEEEE10hipError_tPvRmT1_T2_T3_mT4_P12ihipStream_tbEUlT_E1_NS1_11comp_targetILNS1_3genE3ELNS1_11target_archE908ELNS1_3gpuE7ELNS1_3repE0EEENS1_30default_config_static_selectorELNS0_4arch9wavefront6targetE0EEEvSQ_.numbered_sgpr, 0
	.set _ZN7rocprim17ROCPRIM_400000_NS6detail17trampoline_kernelINS0_14default_configENS1_22reduce_config_selectorIiEEZNS1_11reduce_implILb1ES3_PiS7_iN6hipcub16HIPCUB_304000_NS6detail34convert_binary_result_type_wrapperISt4plusIvENS9_22TransformInputIteratorIiN2at6native8internal21MapNumberOfTrueValuesEPKhlEEiEEEE10hipError_tPvRmT1_T2_T3_mT4_P12ihipStream_tbEUlT_E1_NS1_11comp_targetILNS1_3genE3ELNS1_11target_archE908ELNS1_3gpuE7ELNS1_3repE0EEENS1_30default_config_static_selectorELNS0_4arch9wavefront6targetE0EEEvSQ_.num_named_barrier, 0
	.set _ZN7rocprim17ROCPRIM_400000_NS6detail17trampoline_kernelINS0_14default_configENS1_22reduce_config_selectorIiEEZNS1_11reduce_implILb1ES3_PiS7_iN6hipcub16HIPCUB_304000_NS6detail34convert_binary_result_type_wrapperISt4plusIvENS9_22TransformInputIteratorIiN2at6native8internal21MapNumberOfTrueValuesEPKhlEEiEEEE10hipError_tPvRmT1_T2_T3_mT4_P12ihipStream_tbEUlT_E1_NS1_11comp_targetILNS1_3genE3ELNS1_11target_archE908ELNS1_3gpuE7ELNS1_3repE0EEENS1_30default_config_static_selectorELNS0_4arch9wavefront6targetE0EEEvSQ_.private_seg_size, 0
	.set _ZN7rocprim17ROCPRIM_400000_NS6detail17trampoline_kernelINS0_14default_configENS1_22reduce_config_selectorIiEEZNS1_11reduce_implILb1ES3_PiS7_iN6hipcub16HIPCUB_304000_NS6detail34convert_binary_result_type_wrapperISt4plusIvENS9_22TransformInputIteratorIiN2at6native8internal21MapNumberOfTrueValuesEPKhlEEiEEEE10hipError_tPvRmT1_T2_T3_mT4_P12ihipStream_tbEUlT_E1_NS1_11comp_targetILNS1_3genE3ELNS1_11target_archE908ELNS1_3gpuE7ELNS1_3repE0EEENS1_30default_config_static_selectorELNS0_4arch9wavefront6targetE0EEEvSQ_.uses_vcc, 0
	.set _ZN7rocprim17ROCPRIM_400000_NS6detail17trampoline_kernelINS0_14default_configENS1_22reduce_config_selectorIiEEZNS1_11reduce_implILb1ES3_PiS7_iN6hipcub16HIPCUB_304000_NS6detail34convert_binary_result_type_wrapperISt4plusIvENS9_22TransformInputIteratorIiN2at6native8internal21MapNumberOfTrueValuesEPKhlEEiEEEE10hipError_tPvRmT1_T2_T3_mT4_P12ihipStream_tbEUlT_E1_NS1_11comp_targetILNS1_3genE3ELNS1_11target_archE908ELNS1_3gpuE7ELNS1_3repE0EEENS1_30default_config_static_selectorELNS0_4arch9wavefront6targetE0EEEvSQ_.uses_flat_scratch, 0
	.set _ZN7rocprim17ROCPRIM_400000_NS6detail17trampoline_kernelINS0_14default_configENS1_22reduce_config_selectorIiEEZNS1_11reduce_implILb1ES3_PiS7_iN6hipcub16HIPCUB_304000_NS6detail34convert_binary_result_type_wrapperISt4plusIvENS9_22TransformInputIteratorIiN2at6native8internal21MapNumberOfTrueValuesEPKhlEEiEEEE10hipError_tPvRmT1_T2_T3_mT4_P12ihipStream_tbEUlT_E1_NS1_11comp_targetILNS1_3genE3ELNS1_11target_archE908ELNS1_3gpuE7ELNS1_3repE0EEENS1_30default_config_static_selectorELNS0_4arch9wavefront6targetE0EEEvSQ_.has_dyn_sized_stack, 0
	.set _ZN7rocprim17ROCPRIM_400000_NS6detail17trampoline_kernelINS0_14default_configENS1_22reduce_config_selectorIiEEZNS1_11reduce_implILb1ES3_PiS7_iN6hipcub16HIPCUB_304000_NS6detail34convert_binary_result_type_wrapperISt4plusIvENS9_22TransformInputIteratorIiN2at6native8internal21MapNumberOfTrueValuesEPKhlEEiEEEE10hipError_tPvRmT1_T2_T3_mT4_P12ihipStream_tbEUlT_E1_NS1_11comp_targetILNS1_3genE3ELNS1_11target_archE908ELNS1_3gpuE7ELNS1_3repE0EEENS1_30default_config_static_selectorELNS0_4arch9wavefront6targetE0EEEvSQ_.has_recursion, 0
	.set _ZN7rocprim17ROCPRIM_400000_NS6detail17trampoline_kernelINS0_14default_configENS1_22reduce_config_selectorIiEEZNS1_11reduce_implILb1ES3_PiS7_iN6hipcub16HIPCUB_304000_NS6detail34convert_binary_result_type_wrapperISt4plusIvENS9_22TransformInputIteratorIiN2at6native8internal21MapNumberOfTrueValuesEPKhlEEiEEEE10hipError_tPvRmT1_T2_T3_mT4_P12ihipStream_tbEUlT_E1_NS1_11comp_targetILNS1_3genE3ELNS1_11target_archE908ELNS1_3gpuE7ELNS1_3repE0EEENS1_30default_config_static_selectorELNS0_4arch9wavefront6targetE0EEEvSQ_.has_indirect_call, 0
	.section	.AMDGPU.csdata,"",@progbits
; Kernel info:
; codeLenInByte = 0
; TotalNumSgprs: 0
; NumVgprs: 0
; ScratchSize: 0
; MemoryBound: 0
; FloatMode: 240
; IeeeMode: 1
; LDSByteSize: 0 bytes/workgroup (compile time only)
; SGPRBlocks: 0
; VGPRBlocks: 0
; NumSGPRsForWavesPerEU: 1
; NumVGPRsForWavesPerEU: 1
; NamedBarCnt: 0
; Occupancy: 16
; WaveLimiterHint : 0
; COMPUTE_PGM_RSRC2:SCRATCH_EN: 0
; COMPUTE_PGM_RSRC2:USER_SGPR: 2
; COMPUTE_PGM_RSRC2:TRAP_HANDLER: 0
; COMPUTE_PGM_RSRC2:TGID_X_EN: 1
; COMPUTE_PGM_RSRC2:TGID_Y_EN: 0
; COMPUTE_PGM_RSRC2:TGID_Z_EN: 0
; COMPUTE_PGM_RSRC2:TIDIG_COMP_CNT: 0
	.section	.text._ZN7rocprim17ROCPRIM_400000_NS6detail17trampoline_kernelINS0_14default_configENS1_22reduce_config_selectorIiEEZNS1_11reduce_implILb1ES3_PiS7_iN6hipcub16HIPCUB_304000_NS6detail34convert_binary_result_type_wrapperISt4plusIvENS9_22TransformInputIteratorIiN2at6native8internal21MapNumberOfTrueValuesEPKhlEEiEEEE10hipError_tPvRmT1_T2_T3_mT4_P12ihipStream_tbEUlT_E1_NS1_11comp_targetILNS1_3genE2ELNS1_11target_archE906ELNS1_3gpuE6ELNS1_3repE0EEENS1_30default_config_static_selectorELNS0_4arch9wavefront6targetE0EEEvSQ_,"axG",@progbits,_ZN7rocprim17ROCPRIM_400000_NS6detail17trampoline_kernelINS0_14default_configENS1_22reduce_config_selectorIiEEZNS1_11reduce_implILb1ES3_PiS7_iN6hipcub16HIPCUB_304000_NS6detail34convert_binary_result_type_wrapperISt4plusIvENS9_22TransformInputIteratorIiN2at6native8internal21MapNumberOfTrueValuesEPKhlEEiEEEE10hipError_tPvRmT1_T2_T3_mT4_P12ihipStream_tbEUlT_E1_NS1_11comp_targetILNS1_3genE2ELNS1_11target_archE906ELNS1_3gpuE6ELNS1_3repE0EEENS1_30default_config_static_selectorELNS0_4arch9wavefront6targetE0EEEvSQ_,comdat
	.protected	_ZN7rocprim17ROCPRIM_400000_NS6detail17trampoline_kernelINS0_14default_configENS1_22reduce_config_selectorIiEEZNS1_11reduce_implILb1ES3_PiS7_iN6hipcub16HIPCUB_304000_NS6detail34convert_binary_result_type_wrapperISt4plusIvENS9_22TransformInputIteratorIiN2at6native8internal21MapNumberOfTrueValuesEPKhlEEiEEEE10hipError_tPvRmT1_T2_T3_mT4_P12ihipStream_tbEUlT_E1_NS1_11comp_targetILNS1_3genE2ELNS1_11target_archE906ELNS1_3gpuE6ELNS1_3repE0EEENS1_30default_config_static_selectorELNS0_4arch9wavefront6targetE0EEEvSQ_ ; -- Begin function _ZN7rocprim17ROCPRIM_400000_NS6detail17trampoline_kernelINS0_14default_configENS1_22reduce_config_selectorIiEEZNS1_11reduce_implILb1ES3_PiS7_iN6hipcub16HIPCUB_304000_NS6detail34convert_binary_result_type_wrapperISt4plusIvENS9_22TransformInputIteratorIiN2at6native8internal21MapNumberOfTrueValuesEPKhlEEiEEEE10hipError_tPvRmT1_T2_T3_mT4_P12ihipStream_tbEUlT_E1_NS1_11comp_targetILNS1_3genE2ELNS1_11target_archE906ELNS1_3gpuE6ELNS1_3repE0EEENS1_30default_config_static_selectorELNS0_4arch9wavefront6targetE0EEEvSQ_
	.globl	_ZN7rocprim17ROCPRIM_400000_NS6detail17trampoline_kernelINS0_14default_configENS1_22reduce_config_selectorIiEEZNS1_11reduce_implILb1ES3_PiS7_iN6hipcub16HIPCUB_304000_NS6detail34convert_binary_result_type_wrapperISt4plusIvENS9_22TransformInputIteratorIiN2at6native8internal21MapNumberOfTrueValuesEPKhlEEiEEEE10hipError_tPvRmT1_T2_T3_mT4_P12ihipStream_tbEUlT_E1_NS1_11comp_targetILNS1_3genE2ELNS1_11target_archE906ELNS1_3gpuE6ELNS1_3repE0EEENS1_30default_config_static_selectorELNS0_4arch9wavefront6targetE0EEEvSQ_
	.p2align	8
	.type	_ZN7rocprim17ROCPRIM_400000_NS6detail17trampoline_kernelINS0_14default_configENS1_22reduce_config_selectorIiEEZNS1_11reduce_implILb1ES3_PiS7_iN6hipcub16HIPCUB_304000_NS6detail34convert_binary_result_type_wrapperISt4plusIvENS9_22TransformInputIteratorIiN2at6native8internal21MapNumberOfTrueValuesEPKhlEEiEEEE10hipError_tPvRmT1_T2_T3_mT4_P12ihipStream_tbEUlT_E1_NS1_11comp_targetILNS1_3genE2ELNS1_11target_archE906ELNS1_3gpuE6ELNS1_3repE0EEENS1_30default_config_static_selectorELNS0_4arch9wavefront6targetE0EEEvSQ_,@function
_ZN7rocprim17ROCPRIM_400000_NS6detail17trampoline_kernelINS0_14default_configENS1_22reduce_config_selectorIiEEZNS1_11reduce_implILb1ES3_PiS7_iN6hipcub16HIPCUB_304000_NS6detail34convert_binary_result_type_wrapperISt4plusIvENS9_22TransformInputIteratorIiN2at6native8internal21MapNumberOfTrueValuesEPKhlEEiEEEE10hipError_tPvRmT1_T2_T3_mT4_P12ihipStream_tbEUlT_E1_NS1_11comp_targetILNS1_3genE2ELNS1_11target_archE906ELNS1_3gpuE6ELNS1_3repE0EEENS1_30default_config_static_selectorELNS0_4arch9wavefront6targetE0EEEvSQ_: ; @_ZN7rocprim17ROCPRIM_400000_NS6detail17trampoline_kernelINS0_14default_configENS1_22reduce_config_selectorIiEEZNS1_11reduce_implILb1ES3_PiS7_iN6hipcub16HIPCUB_304000_NS6detail34convert_binary_result_type_wrapperISt4plusIvENS9_22TransformInputIteratorIiN2at6native8internal21MapNumberOfTrueValuesEPKhlEEiEEEE10hipError_tPvRmT1_T2_T3_mT4_P12ihipStream_tbEUlT_E1_NS1_11comp_targetILNS1_3genE2ELNS1_11target_archE906ELNS1_3gpuE6ELNS1_3repE0EEENS1_30default_config_static_selectorELNS0_4arch9wavefront6targetE0EEEvSQ_
; %bb.0:
	.section	.rodata,"a",@progbits
	.p2align	6, 0x0
	.amdhsa_kernel _ZN7rocprim17ROCPRIM_400000_NS6detail17trampoline_kernelINS0_14default_configENS1_22reduce_config_selectorIiEEZNS1_11reduce_implILb1ES3_PiS7_iN6hipcub16HIPCUB_304000_NS6detail34convert_binary_result_type_wrapperISt4plusIvENS9_22TransformInputIteratorIiN2at6native8internal21MapNumberOfTrueValuesEPKhlEEiEEEE10hipError_tPvRmT1_T2_T3_mT4_P12ihipStream_tbEUlT_E1_NS1_11comp_targetILNS1_3genE2ELNS1_11target_archE906ELNS1_3gpuE6ELNS1_3repE0EEENS1_30default_config_static_selectorELNS0_4arch9wavefront6targetE0EEEvSQ_
		.amdhsa_group_segment_fixed_size 0
		.amdhsa_private_segment_fixed_size 0
		.amdhsa_kernarg_size 40
		.amdhsa_user_sgpr_count 2
		.amdhsa_user_sgpr_dispatch_ptr 0
		.amdhsa_user_sgpr_queue_ptr 0
		.amdhsa_user_sgpr_kernarg_segment_ptr 1
		.amdhsa_user_sgpr_dispatch_id 0
		.amdhsa_user_sgpr_kernarg_preload_length 0
		.amdhsa_user_sgpr_kernarg_preload_offset 0
		.amdhsa_user_sgpr_private_segment_size 0
		.amdhsa_wavefront_size32 1
		.amdhsa_uses_dynamic_stack 0
		.amdhsa_enable_private_segment 0
		.amdhsa_system_sgpr_workgroup_id_x 1
		.amdhsa_system_sgpr_workgroup_id_y 0
		.amdhsa_system_sgpr_workgroup_id_z 0
		.amdhsa_system_sgpr_workgroup_info 0
		.amdhsa_system_vgpr_workitem_id 0
		.amdhsa_next_free_vgpr 1
		.amdhsa_next_free_sgpr 1
		.amdhsa_named_barrier_count 0
		.amdhsa_reserve_vcc 0
		.amdhsa_float_round_mode_32 0
		.amdhsa_float_round_mode_16_64 0
		.amdhsa_float_denorm_mode_32 3
		.amdhsa_float_denorm_mode_16_64 3
		.amdhsa_fp16_overflow 0
		.amdhsa_memory_ordered 1
		.amdhsa_forward_progress 1
		.amdhsa_inst_pref_size 0
		.amdhsa_round_robin_scheduling 0
		.amdhsa_exception_fp_ieee_invalid_op 0
		.amdhsa_exception_fp_denorm_src 0
		.amdhsa_exception_fp_ieee_div_zero 0
		.amdhsa_exception_fp_ieee_overflow 0
		.amdhsa_exception_fp_ieee_underflow 0
		.amdhsa_exception_fp_ieee_inexact 0
		.amdhsa_exception_int_div_zero 0
	.end_amdhsa_kernel
	.section	.text._ZN7rocprim17ROCPRIM_400000_NS6detail17trampoline_kernelINS0_14default_configENS1_22reduce_config_selectorIiEEZNS1_11reduce_implILb1ES3_PiS7_iN6hipcub16HIPCUB_304000_NS6detail34convert_binary_result_type_wrapperISt4plusIvENS9_22TransformInputIteratorIiN2at6native8internal21MapNumberOfTrueValuesEPKhlEEiEEEE10hipError_tPvRmT1_T2_T3_mT4_P12ihipStream_tbEUlT_E1_NS1_11comp_targetILNS1_3genE2ELNS1_11target_archE906ELNS1_3gpuE6ELNS1_3repE0EEENS1_30default_config_static_selectorELNS0_4arch9wavefront6targetE0EEEvSQ_,"axG",@progbits,_ZN7rocprim17ROCPRIM_400000_NS6detail17trampoline_kernelINS0_14default_configENS1_22reduce_config_selectorIiEEZNS1_11reduce_implILb1ES3_PiS7_iN6hipcub16HIPCUB_304000_NS6detail34convert_binary_result_type_wrapperISt4plusIvENS9_22TransformInputIteratorIiN2at6native8internal21MapNumberOfTrueValuesEPKhlEEiEEEE10hipError_tPvRmT1_T2_T3_mT4_P12ihipStream_tbEUlT_E1_NS1_11comp_targetILNS1_3genE2ELNS1_11target_archE906ELNS1_3gpuE6ELNS1_3repE0EEENS1_30default_config_static_selectorELNS0_4arch9wavefront6targetE0EEEvSQ_,comdat
.Lfunc_end110:
	.size	_ZN7rocprim17ROCPRIM_400000_NS6detail17trampoline_kernelINS0_14default_configENS1_22reduce_config_selectorIiEEZNS1_11reduce_implILb1ES3_PiS7_iN6hipcub16HIPCUB_304000_NS6detail34convert_binary_result_type_wrapperISt4plusIvENS9_22TransformInputIteratorIiN2at6native8internal21MapNumberOfTrueValuesEPKhlEEiEEEE10hipError_tPvRmT1_T2_T3_mT4_P12ihipStream_tbEUlT_E1_NS1_11comp_targetILNS1_3genE2ELNS1_11target_archE906ELNS1_3gpuE6ELNS1_3repE0EEENS1_30default_config_static_selectorELNS0_4arch9wavefront6targetE0EEEvSQ_, .Lfunc_end110-_ZN7rocprim17ROCPRIM_400000_NS6detail17trampoline_kernelINS0_14default_configENS1_22reduce_config_selectorIiEEZNS1_11reduce_implILb1ES3_PiS7_iN6hipcub16HIPCUB_304000_NS6detail34convert_binary_result_type_wrapperISt4plusIvENS9_22TransformInputIteratorIiN2at6native8internal21MapNumberOfTrueValuesEPKhlEEiEEEE10hipError_tPvRmT1_T2_T3_mT4_P12ihipStream_tbEUlT_E1_NS1_11comp_targetILNS1_3genE2ELNS1_11target_archE906ELNS1_3gpuE6ELNS1_3repE0EEENS1_30default_config_static_selectorELNS0_4arch9wavefront6targetE0EEEvSQ_
                                        ; -- End function
	.set _ZN7rocprim17ROCPRIM_400000_NS6detail17trampoline_kernelINS0_14default_configENS1_22reduce_config_selectorIiEEZNS1_11reduce_implILb1ES3_PiS7_iN6hipcub16HIPCUB_304000_NS6detail34convert_binary_result_type_wrapperISt4plusIvENS9_22TransformInputIteratorIiN2at6native8internal21MapNumberOfTrueValuesEPKhlEEiEEEE10hipError_tPvRmT1_T2_T3_mT4_P12ihipStream_tbEUlT_E1_NS1_11comp_targetILNS1_3genE2ELNS1_11target_archE906ELNS1_3gpuE6ELNS1_3repE0EEENS1_30default_config_static_selectorELNS0_4arch9wavefront6targetE0EEEvSQ_.num_vgpr, 0
	.set _ZN7rocprim17ROCPRIM_400000_NS6detail17trampoline_kernelINS0_14default_configENS1_22reduce_config_selectorIiEEZNS1_11reduce_implILb1ES3_PiS7_iN6hipcub16HIPCUB_304000_NS6detail34convert_binary_result_type_wrapperISt4plusIvENS9_22TransformInputIteratorIiN2at6native8internal21MapNumberOfTrueValuesEPKhlEEiEEEE10hipError_tPvRmT1_T2_T3_mT4_P12ihipStream_tbEUlT_E1_NS1_11comp_targetILNS1_3genE2ELNS1_11target_archE906ELNS1_3gpuE6ELNS1_3repE0EEENS1_30default_config_static_selectorELNS0_4arch9wavefront6targetE0EEEvSQ_.num_agpr, 0
	.set _ZN7rocprim17ROCPRIM_400000_NS6detail17trampoline_kernelINS0_14default_configENS1_22reduce_config_selectorIiEEZNS1_11reduce_implILb1ES3_PiS7_iN6hipcub16HIPCUB_304000_NS6detail34convert_binary_result_type_wrapperISt4plusIvENS9_22TransformInputIteratorIiN2at6native8internal21MapNumberOfTrueValuesEPKhlEEiEEEE10hipError_tPvRmT1_T2_T3_mT4_P12ihipStream_tbEUlT_E1_NS1_11comp_targetILNS1_3genE2ELNS1_11target_archE906ELNS1_3gpuE6ELNS1_3repE0EEENS1_30default_config_static_selectorELNS0_4arch9wavefront6targetE0EEEvSQ_.numbered_sgpr, 0
	.set _ZN7rocprim17ROCPRIM_400000_NS6detail17trampoline_kernelINS0_14default_configENS1_22reduce_config_selectorIiEEZNS1_11reduce_implILb1ES3_PiS7_iN6hipcub16HIPCUB_304000_NS6detail34convert_binary_result_type_wrapperISt4plusIvENS9_22TransformInputIteratorIiN2at6native8internal21MapNumberOfTrueValuesEPKhlEEiEEEE10hipError_tPvRmT1_T2_T3_mT4_P12ihipStream_tbEUlT_E1_NS1_11comp_targetILNS1_3genE2ELNS1_11target_archE906ELNS1_3gpuE6ELNS1_3repE0EEENS1_30default_config_static_selectorELNS0_4arch9wavefront6targetE0EEEvSQ_.num_named_barrier, 0
	.set _ZN7rocprim17ROCPRIM_400000_NS6detail17trampoline_kernelINS0_14default_configENS1_22reduce_config_selectorIiEEZNS1_11reduce_implILb1ES3_PiS7_iN6hipcub16HIPCUB_304000_NS6detail34convert_binary_result_type_wrapperISt4plusIvENS9_22TransformInputIteratorIiN2at6native8internal21MapNumberOfTrueValuesEPKhlEEiEEEE10hipError_tPvRmT1_T2_T3_mT4_P12ihipStream_tbEUlT_E1_NS1_11comp_targetILNS1_3genE2ELNS1_11target_archE906ELNS1_3gpuE6ELNS1_3repE0EEENS1_30default_config_static_selectorELNS0_4arch9wavefront6targetE0EEEvSQ_.private_seg_size, 0
	.set _ZN7rocprim17ROCPRIM_400000_NS6detail17trampoline_kernelINS0_14default_configENS1_22reduce_config_selectorIiEEZNS1_11reduce_implILb1ES3_PiS7_iN6hipcub16HIPCUB_304000_NS6detail34convert_binary_result_type_wrapperISt4plusIvENS9_22TransformInputIteratorIiN2at6native8internal21MapNumberOfTrueValuesEPKhlEEiEEEE10hipError_tPvRmT1_T2_T3_mT4_P12ihipStream_tbEUlT_E1_NS1_11comp_targetILNS1_3genE2ELNS1_11target_archE906ELNS1_3gpuE6ELNS1_3repE0EEENS1_30default_config_static_selectorELNS0_4arch9wavefront6targetE0EEEvSQ_.uses_vcc, 0
	.set _ZN7rocprim17ROCPRIM_400000_NS6detail17trampoline_kernelINS0_14default_configENS1_22reduce_config_selectorIiEEZNS1_11reduce_implILb1ES3_PiS7_iN6hipcub16HIPCUB_304000_NS6detail34convert_binary_result_type_wrapperISt4plusIvENS9_22TransformInputIteratorIiN2at6native8internal21MapNumberOfTrueValuesEPKhlEEiEEEE10hipError_tPvRmT1_T2_T3_mT4_P12ihipStream_tbEUlT_E1_NS1_11comp_targetILNS1_3genE2ELNS1_11target_archE906ELNS1_3gpuE6ELNS1_3repE0EEENS1_30default_config_static_selectorELNS0_4arch9wavefront6targetE0EEEvSQ_.uses_flat_scratch, 0
	.set _ZN7rocprim17ROCPRIM_400000_NS6detail17trampoline_kernelINS0_14default_configENS1_22reduce_config_selectorIiEEZNS1_11reduce_implILb1ES3_PiS7_iN6hipcub16HIPCUB_304000_NS6detail34convert_binary_result_type_wrapperISt4plusIvENS9_22TransformInputIteratorIiN2at6native8internal21MapNumberOfTrueValuesEPKhlEEiEEEE10hipError_tPvRmT1_T2_T3_mT4_P12ihipStream_tbEUlT_E1_NS1_11comp_targetILNS1_3genE2ELNS1_11target_archE906ELNS1_3gpuE6ELNS1_3repE0EEENS1_30default_config_static_selectorELNS0_4arch9wavefront6targetE0EEEvSQ_.has_dyn_sized_stack, 0
	.set _ZN7rocprim17ROCPRIM_400000_NS6detail17trampoline_kernelINS0_14default_configENS1_22reduce_config_selectorIiEEZNS1_11reduce_implILb1ES3_PiS7_iN6hipcub16HIPCUB_304000_NS6detail34convert_binary_result_type_wrapperISt4plusIvENS9_22TransformInputIteratorIiN2at6native8internal21MapNumberOfTrueValuesEPKhlEEiEEEE10hipError_tPvRmT1_T2_T3_mT4_P12ihipStream_tbEUlT_E1_NS1_11comp_targetILNS1_3genE2ELNS1_11target_archE906ELNS1_3gpuE6ELNS1_3repE0EEENS1_30default_config_static_selectorELNS0_4arch9wavefront6targetE0EEEvSQ_.has_recursion, 0
	.set _ZN7rocprim17ROCPRIM_400000_NS6detail17trampoline_kernelINS0_14default_configENS1_22reduce_config_selectorIiEEZNS1_11reduce_implILb1ES3_PiS7_iN6hipcub16HIPCUB_304000_NS6detail34convert_binary_result_type_wrapperISt4plusIvENS9_22TransformInputIteratorIiN2at6native8internal21MapNumberOfTrueValuesEPKhlEEiEEEE10hipError_tPvRmT1_T2_T3_mT4_P12ihipStream_tbEUlT_E1_NS1_11comp_targetILNS1_3genE2ELNS1_11target_archE906ELNS1_3gpuE6ELNS1_3repE0EEENS1_30default_config_static_selectorELNS0_4arch9wavefront6targetE0EEEvSQ_.has_indirect_call, 0
	.section	.AMDGPU.csdata,"",@progbits
; Kernel info:
; codeLenInByte = 0
; TotalNumSgprs: 0
; NumVgprs: 0
; ScratchSize: 0
; MemoryBound: 0
; FloatMode: 240
; IeeeMode: 1
; LDSByteSize: 0 bytes/workgroup (compile time only)
; SGPRBlocks: 0
; VGPRBlocks: 0
; NumSGPRsForWavesPerEU: 1
; NumVGPRsForWavesPerEU: 1
; NamedBarCnt: 0
; Occupancy: 16
; WaveLimiterHint : 0
; COMPUTE_PGM_RSRC2:SCRATCH_EN: 0
; COMPUTE_PGM_RSRC2:USER_SGPR: 2
; COMPUTE_PGM_RSRC2:TRAP_HANDLER: 0
; COMPUTE_PGM_RSRC2:TGID_X_EN: 1
; COMPUTE_PGM_RSRC2:TGID_Y_EN: 0
; COMPUTE_PGM_RSRC2:TGID_Z_EN: 0
; COMPUTE_PGM_RSRC2:TIDIG_COMP_CNT: 0
	.section	.text._ZN7rocprim17ROCPRIM_400000_NS6detail17trampoline_kernelINS0_14default_configENS1_22reduce_config_selectorIiEEZNS1_11reduce_implILb1ES3_PiS7_iN6hipcub16HIPCUB_304000_NS6detail34convert_binary_result_type_wrapperISt4plusIvENS9_22TransformInputIteratorIiN2at6native8internal21MapNumberOfTrueValuesEPKhlEEiEEEE10hipError_tPvRmT1_T2_T3_mT4_P12ihipStream_tbEUlT_E1_NS1_11comp_targetILNS1_3genE10ELNS1_11target_archE1201ELNS1_3gpuE5ELNS1_3repE0EEENS1_30default_config_static_selectorELNS0_4arch9wavefront6targetE0EEEvSQ_,"axG",@progbits,_ZN7rocprim17ROCPRIM_400000_NS6detail17trampoline_kernelINS0_14default_configENS1_22reduce_config_selectorIiEEZNS1_11reduce_implILb1ES3_PiS7_iN6hipcub16HIPCUB_304000_NS6detail34convert_binary_result_type_wrapperISt4plusIvENS9_22TransformInputIteratorIiN2at6native8internal21MapNumberOfTrueValuesEPKhlEEiEEEE10hipError_tPvRmT1_T2_T3_mT4_P12ihipStream_tbEUlT_E1_NS1_11comp_targetILNS1_3genE10ELNS1_11target_archE1201ELNS1_3gpuE5ELNS1_3repE0EEENS1_30default_config_static_selectorELNS0_4arch9wavefront6targetE0EEEvSQ_,comdat
	.protected	_ZN7rocprim17ROCPRIM_400000_NS6detail17trampoline_kernelINS0_14default_configENS1_22reduce_config_selectorIiEEZNS1_11reduce_implILb1ES3_PiS7_iN6hipcub16HIPCUB_304000_NS6detail34convert_binary_result_type_wrapperISt4plusIvENS9_22TransformInputIteratorIiN2at6native8internal21MapNumberOfTrueValuesEPKhlEEiEEEE10hipError_tPvRmT1_T2_T3_mT4_P12ihipStream_tbEUlT_E1_NS1_11comp_targetILNS1_3genE10ELNS1_11target_archE1201ELNS1_3gpuE5ELNS1_3repE0EEENS1_30default_config_static_selectorELNS0_4arch9wavefront6targetE0EEEvSQ_ ; -- Begin function _ZN7rocprim17ROCPRIM_400000_NS6detail17trampoline_kernelINS0_14default_configENS1_22reduce_config_selectorIiEEZNS1_11reduce_implILb1ES3_PiS7_iN6hipcub16HIPCUB_304000_NS6detail34convert_binary_result_type_wrapperISt4plusIvENS9_22TransformInputIteratorIiN2at6native8internal21MapNumberOfTrueValuesEPKhlEEiEEEE10hipError_tPvRmT1_T2_T3_mT4_P12ihipStream_tbEUlT_E1_NS1_11comp_targetILNS1_3genE10ELNS1_11target_archE1201ELNS1_3gpuE5ELNS1_3repE0EEENS1_30default_config_static_selectorELNS0_4arch9wavefront6targetE0EEEvSQ_
	.globl	_ZN7rocprim17ROCPRIM_400000_NS6detail17trampoline_kernelINS0_14default_configENS1_22reduce_config_selectorIiEEZNS1_11reduce_implILb1ES3_PiS7_iN6hipcub16HIPCUB_304000_NS6detail34convert_binary_result_type_wrapperISt4plusIvENS9_22TransformInputIteratorIiN2at6native8internal21MapNumberOfTrueValuesEPKhlEEiEEEE10hipError_tPvRmT1_T2_T3_mT4_P12ihipStream_tbEUlT_E1_NS1_11comp_targetILNS1_3genE10ELNS1_11target_archE1201ELNS1_3gpuE5ELNS1_3repE0EEENS1_30default_config_static_selectorELNS0_4arch9wavefront6targetE0EEEvSQ_
	.p2align	8
	.type	_ZN7rocprim17ROCPRIM_400000_NS6detail17trampoline_kernelINS0_14default_configENS1_22reduce_config_selectorIiEEZNS1_11reduce_implILb1ES3_PiS7_iN6hipcub16HIPCUB_304000_NS6detail34convert_binary_result_type_wrapperISt4plusIvENS9_22TransformInputIteratorIiN2at6native8internal21MapNumberOfTrueValuesEPKhlEEiEEEE10hipError_tPvRmT1_T2_T3_mT4_P12ihipStream_tbEUlT_E1_NS1_11comp_targetILNS1_3genE10ELNS1_11target_archE1201ELNS1_3gpuE5ELNS1_3repE0EEENS1_30default_config_static_selectorELNS0_4arch9wavefront6targetE0EEEvSQ_,@function
_ZN7rocprim17ROCPRIM_400000_NS6detail17trampoline_kernelINS0_14default_configENS1_22reduce_config_selectorIiEEZNS1_11reduce_implILb1ES3_PiS7_iN6hipcub16HIPCUB_304000_NS6detail34convert_binary_result_type_wrapperISt4plusIvENS9_22TransformInputIteratorIiN2at6native8internal21MapNumberOfTrueValuesEPKhlEEiEEEE10hipError_tPvRmT1_T2_T3_mT4_P12ihipStream_tbEUlT_E1_NS1_11comp_targetILNS1_3genE10ELNS1_11target_archE1201ELNS1_3gpuE5ELNS1_3repE0EEENS1_30default_config_static_selectorELNS0_4arch9wavefront6targetE0EEEvSQ_: ; @_ZN7rocprim17ROCPRIM_400000_NS6detail17trampoline_kernelINS0_14default_configENS1_22reduce_config_selectorIiEEZNS1_11reduce_implILb1ES3_PiS7_iN6hipcub16HIPCUB_304000_NS6detail34convert_binary_result_type_wrapperISt4plusIvENS9_22TransformInputIteratorIiN2at6native8internal21MapNumberOfTrueValuesEPKhlEEiEEEE10hipError_tPvRmT1_T2_T3_mT4_P12ihipStream_tbEUlT_E1_NS1_11comp_targetILNS1_3genE10ELNS1_11target_archE1201ELNS1_3gpuE5ELNS1_3repE0EEENS1_30default_config_static_selectorELNS0_4arch9wavefront6targetE0EEEvSQ_
; %bb.0:
	.section	.rodata,"a",@progbits
	.p2align	6, 0x0
	.amdhsa_kernel _ZN7rocprim17ROCPRIM_400000_NS6detail17trampoline_kernelINS0_14default_configENS1_22reduce_config_selectorIiEEZNS1_11reduce_implILb1ES3_PiS7_iN6hipcub16HIPCUB_304000_NS6detail34convert_binary_result_type_wrapperISt4plusIvENS9_22TransformInputIteratorIiN2at6native8internal21MapNumberOfTrueValuesEPKhlEEiEEEE10hipError_tPvRmT1_T2_T3_mT4_P12ihipStream_tbEUlT_E1_NS1_11comp_targetILNS1_3genE10ELNS1_11target_archE1201ELNS1_3gpuE5ELNS1_3repE0EEENS1_30default_config_static_selectorELNS0_4arch9wavefront6targetE0EEEvSQ_
		.amdhsa_group_segment_fixed_size 0
		.amdhsa_private_segment_fixed_size 0
		.amdhsa_kernarg_size 40
		.amdhsa_user_sgpr_count 2
		.amdhsa_user_sgpr_dispatch_ptr 0
		.amdhsa_user_sgpr_queue_ptr 0
		.amdhsa_user_sgpr_kernarg_segment_ptr 1
		.amdhsa_user_sgpr_dispatch_id 0
		.amdhsa_user_sgpr_kernarg_preload_length 0
		.amdhsa_user_sgpr_kernarg_preload_offset 0
		.amdhsa_user_sgpr_private_segment_size 0
		.amdhsa_wavefront_size32 1
		.amdhsa_uses_dynamic_stack 0
		.amdhsa_enable_private_segment 0
		.amdhsa_system_sgpr_workgroup_id_x 1
		.amdhsa_system_sgpr_workgroup_id_y 0
		.amdhsa_system_sgpr_workgroup_id_z 0
		.amdhsa_system_sgpr_workgroup_info 0
		.amdhsa_system_vgpr_workitem_id 0
		.amdhsa_next_free_vgpr 1
		.amdhsa_next_free_sgpr 1
		.amdhsa_named_barrier_count 0
		.amdhsa_reserve_vcc 0
		.amdhsa_float_round_mode_32 0
		.amdhsa_float_round_mode_16_64 0
		.amdhsa_float_denorm_mode_32 3
		.amdhsa_float_denorm_mode_16_64 3
		.amdhsa_fp16_overflow 0
		.amdhsa_memory_ordered 1
		.amdhsa_forward_progress 1
		.amdhsa_inst_pref_size 0
		.amdhsa_round_robin_scheduling 0
		.amdhsa_exception_fp_ieee_invalid_op 0
		.amdhsa_exception_fp_denorm_src 0
		.amdhsa_exception_fp_ieee_div_zero 0
		.amdhsa_exception_fp_ieee_overflow 0
		.amdhsa_exception_fp_ieee_underflow 0
		.amdhsa_exception_fp_ieee_inexact 0
		.amdhsa_exception_int_div_zero 0
	.end_amdhsa_kernel
	.section	.text._ZN7rocprim17ROCPRIM_400000_NS6detail17trampoline_kernelINS0_14default_configENS1_22reduce_config_selectorIiEEZNS1_11reduce_implILb1ES3_PiS7_iN6hipcub16HIPCUB_304000_NS6detail34convert_binary_result_type_wrapperISt4plusIvENS9_22TransformInputIteratorIiN2at6native8internal21MapNumberOfTrueValuesEPKhlEEiEEEE10hipError_tPvRmT1_T2_T3_mT4_P12ihipStream_tbEUlT_E1_NS1_11comp_targetILNS1_3genE10ELNS1_11target_archE1201ELNS1_3gpuE5ELNS1_3repE0EEENS1_30default_config_static_selectorELNS0_4arch9wavefront6targetE0EEEvSQ_,"axG",@progbits,_ZN7rocprim17ROCPRIM_400000_NS6detail17trampoline_kernelINS0_14default_configENS1_22reduce_config_selectorIiEEZNS1_11reduce_implILb1ES3_PiS7_iN6hipcub16HIPCUB_304000_NS6detail34convert_binary_result_type_wrapperISt4plusIvENS9_22TransformInputIteratorIiN2at6native8internal21MapNumberOfTrueValuesEPKhlEEiEEEE10hipError_tPvRmT1_T2_T3_mT4_P12ihipStream_tbEUlT_E1_NS1_11comp_targetILNS1_3genE10ELNS1_11target_archE1201ELNS1_3gpuE5ELNS1_3repE0EEENS1_30default_config_static_selectorELNS0_4arch9wavefront6targetE0EEEvSQ_,comdat
.Lfunc_end111:
	.size	_ZN7rocprim17ROCPRIM_400000_NS6detail17trampoline_kernelINS0_14default_configENS1_22reduce_config_selectorIiEEZNS1_11reduce_implILb1ES3_PiS7_iN6hipcub16HIPCUB_304000_NS6detail34convert_binary_result_type_wrapperISt4plusIvENS9_22TransformInputIteratorIiN2at6native8internal21MapNumberOfTrueValuesEPKhlEEiEEEE10hipError_tPvRmT1_T2_T3_mT4_P12ihipStream_tbEUlT_E1_NS1_11comp_targetILNS1_3genE10ELNS1_11target_archE1201ELNS1_3gpuE5ELNS1_3repE0EEENS1_30default_config_static_selectorELNS0_4arch9wavefront6targetE0EEEvSQ_, .Lfunc_end111-_ZN7rocprim17ROCPRIM_400000_NS6detail17trampoline_kernelINS0_14default_configENS1_22reduce_config_selectorIiEEZNS1_11reduce_implILb1ES3_PiS7_iN6hipcub16HIPCUB_304000_NS6detail34convert_binary_result_type_wrapperISt4plusIvENS9_22TransformInputIteratorIiN2at6native8internal21MapNumberOfTrueValuesEPKhlEEiEEEE10hipError_tPvRmT1_T2_T3_mT4_P12ihipStream_tbEUlT_E1_NS1_11comp_targetILNS1_3genE10ELNS1_11target_archE1201ELNS1_3gpuE5ELNS1_3repE0EEENS1_30default_config_static_selectorELNS0_4arch9wavefront6targetE0EEEvSQ_
                                        ; -- End function
	.set _ZN7rocprim17ROCPRIM_400000_NS6detail17trampoline_kernelINS0_14default_configENS1_22reduce_config_selectorIiEEZNS1_11reduce_implILb1ES3_PiS7_iN6hipcub16HIPCUB_304000_NS6detail34convert_binary_result_type_wrapperISt4plusIvENS9_22TransformInputIteratorIiN2at6native8internal21MapNumberOfTrueValuesEPKhlEEiEEEE10hipError_tPvRmT1_T2_T3_mT4_P12ihipStream_tbEUlT_E1_NS1_11comp_targetILNS1_3genE10ELNS1_11target_archE1201ELNS1_3gpuE5ELNS1_3repE0EEENS1_30default_config_static_selectorELNS0_4arch9wavefront6targetE0EEEvSQ_.num_vgpr, 0
	.set _ZN7rocprim17ROCPRIM_400000_NS6detail17trampoline_kernelINS0_14default_configENS1_22reduce_config_selectorIiEEZNS1_11reduce_implILb1ES3_PiS7_iN6hipcub16HIPCUB_304000_NS6detail34convert_binary_result_type_wrapperISt4plusIvENS9_22TransformInputIteratorIiN2at6native8internal21MapNumberOfTrueValuesEPKhlEEiEEEE10hipError_tPvRmT1_T2_T3_mT4_P12ihipStream_tbEUlT_E1_NS1_11comp_targetILNS1_3genE10ELNS1_11target_archE1201ELNS1_3gpuE5ELNS1_3repE0EEENS1_30default_config_static_selectorELNS0_4arch9wavefront6targetE0EEEvSQ_.num_agpr, 0
	.set _ZN7rocprim17ROCPRIM_400000_NS6detail17trampoline_kernelINS0_14default_configENS1_22reduce_config_selectorIiEEZNS1_11reduce_implILb1ES3_PiS7_iN6hipcub16HIPCUB_304000_NS6detail34convert_binary_result_type_wrapperISt4plusIvENS9_22TransformInputIteratorIiN2at6native8internal21MapNumberOfTrueValuesEPKhlEEiEEEE10hipError_tPvRmT1_T2_T3_mT4_P12ihipStream_tbEUlT_E1_NS1_11comp_targetILNS1_3genE10ELNS1_11target_archE1201ELNS1_3gpuE5ELNS1_3repE0EEENS1_30default_config_static_selectorELNS0_4arch9wavefront6targetE0EEEvSQ_.numbered_sgpr, 0
	.set _ZN7rocprim17ROCPRIM_400000_NS6detail17trampoline_kernelINS0_14default_configENS1_22reduce_config_selectorIiEEZNS1_11reduce_implILb1ES3_PiS7_iN6hipcub16HIPCUB_304000_NS6detail34convert_binary_result_type_wrapperISt4plusIvENS9_22TransformInputIteratorIiN2at6native8internal21MapNumberOfTrueValuesEPKhlEEiEEEE10hipError_tPvRmT1_T2_T3_mT4_P12ihipStream_tbEUlT_E1_NS1_11comp_targetILNS1_3genE10ELNS1_11target_archE1201ELNS1_3gpuE5ELNS1_3repE0EEENS1_30default_config_static_selectorELNS0_4arch9wavefront6targetE0EEEvSQ_.num_named_barrier, 0
	.set _ZN7rocprim17ROCPRIM_400000_NS6detail17trampoline_kernelINS0_14default_configENS1_22reduce_config_selectorIiEEZNS1_11reduce_implILb1ES3_PiS7_iN6hipcub16HIPCUB_304000_NS6detail34convert_binary_result_type_wrapperISt4plusIvENS9_22TransformInputIteratorIiN2at6native8internal21MapNumberOfTrueValuesEPKhlEEiEEEE10hipError_tPvRmT1_T2_T3_mT4_P12ihipStream_tbEUlT_E1_NS1_11comp_targetILNS1_3genE10ELNS1_11target_archE1201ELNS1_3gpuE5ELNS1_3repE0EEENS1_30default_config_static_selectorELNS0_4arch9wavefront6targetE0EEEvSQ_.private_seg_size, 0
	.set _ZN7rocprim17ROCPRIM_400000_NS6detail17trampoline_kernelINS0_14default_configENS1_22reduce_config_selectorIiEEZNS1_11reduce_implILb1ES3_PiS7_iN6hipcub16HIPCUB_304000_NS6detail34convert_binary_result_type_wrapperISt4plusIvENS9_22TransformInputIteratorIiN2at6native8internal21MapNumberOfTrueValuesEPKhlEEiEEEE10hipError_tPvRmT1_T2_T3_mT4_P12ihipStream_tbEUlT_E1_NS1_11comp_targetILNS1_3genE10ELNS1_11target_archE1201ELNS1_3gpuE5ELNS1_3repE0EEENS1_30default_config_static_selectorELNS0_4arch9wavefront6targetE0EEEvSQ_.uses_vcc, 0
	.set _ZN7rocprim17ROCPRIM_400000_NS6detail17trampoline_kernelINS0_14default_configENS1_22reduce_config_selectorIiEEZNS1_11reduce_implILb1ES3_PiS7_iN6hipcub16HIPCUB_304000_NS6detail34convert_binary_result_type_wrapperISt4plusIvENS9_22TransformInputIteratorIiN2at6native8internal21MapNumberOfTrueValuesEPKhlEEiEEEE10hipError_tPvRmT1_T2_T3_mT4_P12ihipStream_tbEUlT_E1_NS1_11comp_targetILNS1_3genE10ELNS1_11target_archE1201ELNS1_3gpuE5ELNS1_3repE0EEENS1_30default_config_static_selectorELNS0_4arch9wavefront6targetE0EEEvSQ_.uses_flat_scratch, 0
	.set _ZN7rocprim17ROCPRIM_400000_NS6detail17trampoline_kernelINS0_14default_configENS1_22reduce_config_selectorIiEEZNS1_11reduce_implILb1ES3_PiS7_iN6hipcub16HIPCUB_304000_NS6detail34convert_binary_result_type_wrapperISt4plusIvENS9_22TransformInputIteratorIiN2at6native8internal21MapNumberOfTrueValuesEPKhlEEiEEEE10hipError_tPvRmT1_T2_T3_mT4_P12ihipStream_tbEUlT_E1_NS1_11comp_targetILNS1_3genE10ELNS1_11target_archE1201ELNS1_3gpuE5ELNS1_3repE0EEENS1_30default_config_static_selectorELNS0_4arch9wavefront6targetE0EEEvSQ_.has_dyn_sized_stack, 0
	.set _ZN7rocprim17ROCPRIM_400000_NS6detail17trampoline_kernelINS0_14default_configENS1_22reduce_config_selectorIiEEZNS1_11reduce_implILb1ES3_PiS7_iN6hipcub16HIPCUB_304000_NS6detail34convert_binary_result_type_wrapperISt4plusIvENS9_22TransformInputIteratorIiN2at6native8internal21MapNumberOfTrueValuesEPKhlEEiEEEE10hipError_tPvRmT1_T2_T3_mT4_P12ihipStream_tbEUlT_E1_NS1_11comp_targetILNS1_3genE10ELNS1_11target_archE1201ELNS1_3gpuE5ELNS1_3repE0EEENS1_30default_config_static_selectorELNS0_4arch9wavefront6targetE0EEEvSQ_.has_recursion, 0
	.set _ZN7rocprim17ROCPRIM_400000_NS6detail17trampoline_kernelINS0_14default_configENS1_22reduce_config_selectorIiEEZNS1_11reduce_implILb1ES3_PiS7_iN6hipcub16HIPCUB_304000_NS6detail34convert_binary_result_type_wrapperISt4plusIvENS9_22TransformInputIteratorIiN2at6native8internal21MapNumberOfTrueValuesEPKhlEEiEEEE10hipError_tPvRmT1_T2_T3_mT4_P12ihipStream_tbEUlT_E1_NS1_11comp_targetILNS1_3genE10ELNS1_11target_archE1201ELNS1_3gpuE5ELNS1_3repE0EEENS1_30default_config_static_selectorELNS0_4arch9wavefront6targetE0EEEvSQ_.has_indirect_call, 0
	.section	.AMDGPU.csdata,"",@progbits
; Kernel info:
; codeLenInByte = 0
; TotalNumSgprs: 0
; NumVgprs: 0
; ScratchSize: 0
; MemoryBound: 0
; FloatMode: 240
; IeeeMode: 1
; LDSByteSize: 0 bytes/workgroup (compile time only)
; SGPRBlocks: 0
; VGPRBlocks: 0
; NumSGPRsForWavesPerEU: 1
; NumVGPRsForWavesPerEU: 1
; NamedBarCnt: 0
; Occupancy: 16
; WaveLimiterHint : 0
; COMPUTE_PGM_RSRC2:SCRATCH_EN: 0
; COMPUTE_PGM_RSRC2:USER_SGPR: 2
; COMPUTE_PGM_RSRC2:TRAP_HANDLER: 0
; COMPUTE_PGM_RSRC2:TGID_X_EN: 1
; COMPUTE_PGM_RSRC2:TGID_Y_EN: 0
; COMPUTE_PGM_RSRC2:TGID_Z_EN: 0
; COMPUTE_PGM_RSRC2:TIDIG_COMP_CNT: 0
	.section	.text._ZN7rocprim17ROCPRIM_400000_NS6detail17trampoline_kernelINS0_14default_configENS1_22reduce_config_selectorIiEEZNS1_11reduce_implILb1ES3_PiS7_iN6hipcub16HIPCUB_304000_NS6detail34convert_binary_result_type_wrapperISt4plusIvENS9_22TransformInputIteratorIiN2at6native8internal21MapNumberOfTrueValuesEPKhlEEiEEEE10hipError_tPvRmT1_T2_T3_mT4_P12ihipStream_tbEUlT_E1_NS1_11comp_targetILNS1_3genE10ELNS1_11target_archE1200ELNS1_3gpuE4ELNS1_3repE0EEENS1_30default_config_static_selectorELNS0_4arch9wavefront6targetE0EEEvSQ_,"axG",@progbits,_ZN7rocprim17ROCPRIM_400000_NS6detail17trampoline_kernelINS0_14default_configENS1_22reduce_config_selectorIiEEZNS1_11reduce_implILb1ES3_PiS7_iN6hipcub16HIPCUB_304000_NS6detail34convert_binary_result_type_wrapperISt4plusIvENS9_22TransformInputIteratorIiN2at6native8internal21MapNumberOfTrueValuesEPKhlEEiEEEE10hipError_tPvRmT1_T2_T3_mT4_P12ihipStream_tbEUlT_E1_NS1_11comp_targetILNS1_3genE10ELNS1_11target_archE1200ELNS1_3gpuE4ELNS1_3repE0EEENS1_30default_config_static_selectorELNS0_4arch9wavefront6targetE0EEEvSQ_,comdat
	.protected	_ZN7rocprim17ROCPRIM_400000_NS6detail17trampoline_kernelINS0_14default_configENS1_22reduce_config_selectorIiEEZNS1_11reduce_implILb1ES3_PiS7_iN6hipcub16HIPCUB_304000_NS6detail34convert_binary_result_type_wrapperISt4plusIvENS9_22TransformInputIteratorIiN2at6native8internal21MapNumberOfTrueValuesEPKhlEEiEEEE10hipError_tPvRmT1_T2_T3_mT4_P12ihipStream_tbEUlT_E1_NS1_11comp_targetILNS1_3genE10ELNS1_11target_archE1200ELNS1_3gpuE4ELNS1_3repE0EEENS1_30default_config_static_selectorELNS0_4arch9wavefront6targetE0EEEvSQ_ ; -- Begin function _ZN7rocprim17ROCPRIM_400000_NS6detail17trampoline_kernelINS0_14default_configENS1_22reduce_config_selectorIiEEZNS1_11reduce_implILb1ES3_PiS7_iN6hipcub16HIPCUB_304000_NS6detail34convert_binary_result_type_wrapperISt4plusIvENS9_22TransformInputIteratorIiN2at6native8internal21MapNumberOfTrueValuesEPKhlEEiEEEE10hipError_tPvRmT1_T2_T3_mT4_P12ihipStream_tbEUlT_E1_NS1_11comp_targetILNS1_3genE10ELNS1_11target_archE1200ELNS1_3gpuE4ELNS1_3repE0EEENS1_30default_config_static_selectorELNS0_4arch9wavefront6targetE0EEEvSQ_
	.globl	_ZN7rocprim17ROCPRIM_400000_NS6detail17trampoline_kernelINS0_14default_configENS1_22reduce_config_selectorIiEEZNS1_11reduce_implILb1ES3_PiS7_iN6hipcub16HIPCUB_304000_NS6detail34convert_binary_result_type_wrapperISt4plusIvENS9_22TransformInputIteratorIiN2at6native8internal21MapNumberOfTrueValuesEPKhlEEiEEEE10hipError_tPvRmT1_T2_T3_mT4_P12ihipStream_tbEUlT_E1_NS1_11comp_targetILNS1_3genE10ELNS1_11target_archE1200ELNS1_3gpuE4ELNS1_3repE0EEENS1_30default_config_static_selectorELNS0_4arch9wavefront6targetE0EEEvSQ_
	.p2align	8
	.type	_ZN7rocprim17ROCPRIM_400000_NS6detail17trampoline_kernelINS0_14default_configENS1_22reduce_config_selectorIiEEZNS1_11reduce_implILb1ES3_PiS7_iN6hipcub16HIPCUB_304000_NS6detail34convert_binary_result_type_wrapperISt4plusIvENS9_22TransformInputIteratorIiN2at6native8internal21MapNumberOfTrueValuesEPKhlEEiEEEE10hipError_tPvRmT1_T2_T3_mT4_P12ihipStream_tbEUlT_E1_NS1_11comp_targetILNS1_3genE10ELNS1_11target_archE1200ELNS1_3gpuE4ELNS1_3repE0EEENS1_30default_config_static_selectorELNS0_4arch9wavefront6targetE0EEEvSQ_,@function
_ZN7rocprim17ROCPRIM_400000_NS6detail17trampoline_kernelINS0_14default_configENS1_22reduce_config_selectorIiEEZNS1_11reduce_implILb1ES3_PiS7_iN6hipcub16HIPCUB_304000_NS6detail34convert_binary_result_type_wrapperISt4plusIvENS9_22TransformInputIteratorIiN2at6native8internal21MapNumberOfTrueValuesEPKhlEEiEEEE10hipError_tPvRmT1_T2_T3_mT4_P12ihipStream_tbEUlT_E1_NS1_11comp_targetILNS1_3genE10ELNS1_11target_archE1200ELNS1_3gpuE4ELNS1_3repE0EEENS1_30default_config_static_selectorELNS0_4arch9wavefront6targetE0EEEvSQ_: ; @_ZN7rocprim17ROCPRIM_400000_NS6detail17trampoline_kernelINS0_14default_configENS1_22reduce_config_selectorIiEEZNS1_11reduce_implILb1ES3_PiS7_iN6hipcub16HIPCUB_304000_NS6detail34convert_binary_result_type_wrapperISt4plusIvENS9_22TransformInputIteratorIiN2at6native8internal21MapNumberOfTrueValuesEPKhlEEiEEEE10hipError_tPvRmT1_T2_T3_mT4_P12ihipStream_tbEUlT_E1_NS1_11comp_targetILNS1_3genE10ELNS1_11target_archE1200ELNS1_3gpuE4ELNS1_3repE0EEENS1_30default_config_static_selectorELNS0_4arch9wavefront6targetE0EEEvSQ_
; %bb.0:
	.section	.rodata,"a",@progbits
	.p2align	6, 0x0
	.amdhsa_kernel _ZN7rocprim17ROCPRIM_400000_NS6detail17trampoline_kernelINS0_14default_configENS1_22reduce_config_selectorIiEEZNS1_11reduce_implILb1ES3_PiS7_iN6hipcub16HIPCUB_304000_NS6detail34convert_binary_result_type_wrapperISt4plusIvENS9_22TransformInputIteratorIiN2at6native8internal21MapNumberOfTrueValuesEPKhlEEiEEEE10hipError_tPvRmT1_T2_T3_mT4_P12ihipStream_tbEUlT_E1_NS1_11comp_targetILNS1_3genE10ELNS1_11target_archE1200ELNS1_3gpuE4ELNS1_3repE0EEENS1_30default_config_static_selectorELNS0_4arch9wavefront6targetE0EEEvSQ_
		.amdhsa_group_segment_fixed_size 0
		.amdhsa_private_segment_fixed_size 0
		.amdhsa_kernarg_size 40
		.amdhsa_user_sgpr_count 2
		.amdhsa_user_sgpr_dispatch_ptr 0
		.amdhsa_user_sgpr_queue_ptr 0
		.amdhsa_user_sgpr_kernarg_segment_ptr 1
		.amdhsa_user_sgpr_dispatch_id 0
		.amdhsa_user_sgpr_kernarg_preload_length 0
		.amdhsa_user_sgpr_kernarg_preload_offset 0
		.amdhsa_user_sgpr_private_segment_size 0
		.amdhsa_wavefront_size32 1
		.amdhsa_uses_dynamic_stack 0
		.amdhsa_enable_private_segment 0
		.amdhsa_system_sgpr_workgroup_id_x 1
		.amdhsa_system_sgpr_workgroup_id_y 0
		.amdhsa_system_sgpr_workgroup_id_z 0
		.amdhsa_system_sgpr_workgroup_info 0
		.amdhsa_system_vgpr_workitem_id 0
		.amdhsa_next_free_vgpr 1
		.amdhsa_next_free_sgpr 1
		.amdhsa_named_barrier_count 0
		.amdhsa_reserve_vcc 0
		.amdhsa_float_round_mode_32 0
		.amdhsa_float_round_mode_16_64 0
		.amdhsa_float_denorm_mode_32 3
		.amdhsa_float_denorm_mode_16_64 3
		.amdhsa_fp16_overflow 0
		.amdhsa_memory_ordered 1
		.amdhsa_forward_progress 1
		.amdhsa_inst_pref_size 0
		.amdhsa_round_robin_scheduling 0
		.amdhsa_exception_fp_ieee_invalid_op 0
		.amdhsa_exception_fp_denorm_src 0
		.amdhsa_exception_fp_ieee_div_zero 0
		.amdhsa_exception_fp_ieee_overflow 0
		.amdhsa_exception_fp_ieee_underflow 0
		.amdhsa_exception_fp_ieee_inexact 0
		.amdhsa_exception_int_div_zero 0
	.end_amdhsa_kernel
	.section	.text._ZN7rocprim17ROCPRIM_400000_NS6detail17trampoline_kernelINS0_14default_configENS1_22reduce_config_selectorIiEEZNS1_11reduce_implILb1ES3_PiS7_iN6hipcub16HIPCUB_304000_NS6detail34convert_binary_result_type_wrapperISt4plusIvENS9_22TransformInputIteratorIiN2at6native8internal21MapNumberOfTrueValuesEPKhlEEiEEEE10hipError_tPvRmT1_T2_T3_mT4_P12ihipStream_tbEUlT_E1_NS1_11comp_targetILNS1_3genE10ELNS1_11target_archE1200ELNS1_3gpuE4ELNS1_3repE0EEENS1_30default_config_static_selectorELNS0_4arch9wavefront6targetE0EEEvSQ_,"axG",@progbits,_ZN7rocprim17ROCPRIM_400000_NS6detail17trampoline_kernelINS0_14default_configENS1_22reduce_config_selectorIiEEZNS1_11reduce_implILb1ES3_PiS7_iN6hipcub16HIPCUB_304000_NS6detail34convert_binary_result_type_wrapperISt4plusIvENS9_22TransformInputIteratorIiN2at6native8internal21MapNumberOfTrueValuesEPKhlEEiEEEE10hipError_tPvRmT1_T2_T3_mT4_P12ihipStream_tbEUlT_E1_NS1_11comp_targetILNS1_3genE10ELNS1_11target_archE1200ELNS1_3gpuE4ELNS1_3repE0EEENS1_30default_config_static_selectorELNS0_4arch9wavefront6targetE0EEEvSQ_,comdat
.Lfunc_end112:
	.size	_ZN7rocprim17ROCPRIM_400000_NS6detail17trampoline_kernelINS0_14default_configENS1_22reduce_config_selectorIiEEZNS1_11reduce_implILb1ES3_PiS7_iN6hipcub16HIPCUB_304000_NS6detail34convert_binary_result_type_wrapperISt4plusIvENS9_22TransformInputIteratorIiN2at6native8internal21MapNumberOfTrueValuesEPKhlEEiEEEE10hipError_tPvRmT1_T2_T3_mT4_P12ihipStream_tbEUlT_E1_NS1_11comp_targetILNS1_3genE10ELNS1_11target_archE1200ELNS1_3gpuE4ELNS1_3repE0EEENS1_30default_config_static_selectorELNS0_4arch9wavefront6targetE0EEEvSQ_, .Lfunc_end112-_ZN7rocprim17ROCPRIM_400000_NS6detail17trampoline_kernelINS0_14default_configENS1_22reduce_config_selectorIiEEZNS1_11reduce_implILb1ES3_PiS7_iN6hipcub16HIPCUB_304000_NS6detail34convert_binary_result_type_wrapperISt4plusIvENS9_22TransformInputIteratorIiN2at6native8internal21MapNumberOfTrueValuesEPKhlEEiEEEE10hipError_tPvRmT1_T2_T3_mT4_P12ihipStream_tbEUlT_E1_NS1_11comp_targetILNS1_3genE10ELNS1_11target_archE1200ELNS1_3gpuE4ELNS1_3repE0EEENS1_30default_config_static_selectorELNS0_4arch9wavefront6targetE0EEEvSQ_
                                        ; -- End function
	.set _ZN7rocprim17ROCPRIM_400000_NS6detail17trampoline_kernelINS0_14default_configENS1_22reduce_config_selectorIiEEZNS1_11reduce_implILb1ES3_PiS7_iN6hipcub16HIPCUB_304000_NS6detail34convert_binary_result_type_wrapperISt4plusIvENS9_22TransformInputIteratorIiN2at6native8internal21MapNumberOfTrueValuesEPKhlEEiEEEE10hipError_tPvRmT1_T2_T3_mT4_P12ihipStream_tbEUlT_E1_NS1_11comp_targetILNS1_3genE10ELNS1_11target_archE1200ELNS1_3gpuE4ELNS1_3repE0EEENS1_30default_config_static_selectorELNS0_4arch9wavefront6targetE0EEEvSQ_.num_vgpr, 0
	.set _ZN7rocprim17ROCPRIM_400000_NS6detail17trampoline_kernelINS0_14default_configENS1_22reduce_config_selectorIiEEZNS1_11reduce_implILb1ES3_PiS7_iN6hipcub16HIPCUB_304000_NS6detail34convert_binary_result_type_wrapperISt4plusIvENS9_22TransformInputIteratorIiN2at6native8internal21MapNumberOfTrueValuesEPKhlEEiEEEE10hipError_tPvRmT1_T2_T3_mT4_P12ihipStream_tbEUlT_E1_NS1_11comp_targetILNS1_3genE10ELNS1_11target_archE1200ELNS1_3gpuE4ELNS1_3repE0EEENS1_30default_config_static_selectorELNS0_4arch9wavefront6targetE0EEEvSQ_.num_agpr, 0
	.set _ZN7rocprim17ROCPRIM_400000_NS6detail17trampoline_kernelINS0_14default_configENS1_22reduce_config_selectorIiEEZNS1_11reduce_implILb1ES3_PiS7_iN6hipcub16HIPCUB_304000_NS6detail34convert_binary_result_type_wrapperISt4plusIvENS9_22TransformInputIteratorIiN2at6native8internal21MapNumberOfTrueValuesEPKhlEEiEEEE10hipError_tPvRmT1_T2_T3_mT4_P12ihipStream_tbEUlT_E1_NS1_11comp_targetILNS1_3genE10ELNS1_11target_archE1200ELNS1_3gpuE4ELNS1_3repE0EEENS1_30default_config_static_selectorELNS0_4arch9wavefront6targetE0EEEvSQ_.numbered_sgpr, 0
	.set _ZN7rocprim17ROCPRIM_400000_NS6detail17trampoline_kernelINS0_14default_configENS1_22reduce_config_selectorIiEEZNS1_11reduce_implILb1ES3_PiS7_iN6hipcub16HIPCUB_304000_NS6detail34convert_binary_result_type_wrapperISt4plusIvENS9_22TransformInputIteratorIiN2at6native8internal21MapNumberOfTrueValuesEPKhlEEiEEEE10hipError_tPvRmT1_T2_T3_mT4_P12ihipStream_tbEUlT_E1_NS1_11comp_targetILNS1_3genE10ELNS1_11target_archE1200ELNS1_3gpuE4ELNS1_3repE0EEENS1_30default_config_static_selectorELNS0_4arch9wavefront6targetE0EEEvSQ_.num_named_barrier, 0
	.set _ZN7rocprim17ROCPRIM_400000_NS6detail17trampoline_kernelINS0_14default_configENS1_22reduce_config_selectorIiEEZNS1_11reduce_implILb1ES3_PiS7_iN6hipcub16HIPCUB_304000_NS6detail34convert_binary_result_type_wrapperISt4plusIvENS9_22TransformInputIteratorIiN2at6native8internal21MapNumberOfTrueValuesEPKhlEEiEEEE10hipError_tPvRmT1_T2_T3_mT4_P12ihipStream_tbEUlT_E1_NS1_11comp_targetILNS1_3genE10ELNS1_11target_archE1200ELNS1_3gpuE4ELNS1_3repE0EEENS1_30default_config_static_selectorELNS0_4arch9wavefront6targetE0EEEvSQ_.private_seg_size, 0
	.set _ZN7rocprim17ROCPRIM_400000_NS6detail17trampoline_kernelINS0_14default_configENS1_22reduce_config_selectorIiEEZNS1_11reduce_implILb1ES3_PiS7_iN6hipcub16HIPCUB_304000_NS6detail34convert_binary_result_type_wrapperISt4plusIvENS9_22TransformInputIteratorIiN2at6native8internal21MapNumberOfTrueValuesEPKhlEEiEEEE10hipError_tPvRmT1_T2_T3_mT4_P12ihipStream_tbEUlT_E1_NS1_11comp_targetILNS1_3genE10ELNS1_11target_archE1200ELNS1_3gpuE4ELNS1_3repE0EEENS1_30default_config_static_selectorELNS0_4arch9wavefront6targetE0EEEvSQ_.uses_vcc, 0
	.set _ZN7rocprim17ROCPRIM_400000_NS6detail17trampoline_kernelINS0_14default_configENS1_22reduce_config_selectorIiEEZNS1_11reduce_implILb1ES3_PiS7_iN6hipcub16HIPCUB_304000_NS6detail34convert_binary_result_type_wrapperISt4plusIvENS9_22TransformInputIteratorIiN2at6native8internal21MapNumberOfTrueValuesEPKhlEEiEEEE10hipError_tPvRmT1_T2_T3_mT4_P12ihipStream_tbEUlT_E1_NS1_11comp_targetILNS1_3genE10ELNS1_11target_archE1200ELNS1_3gpuE4ELNS1_3repE0EEENS1_30default_config_static_selectorELNS0_4arch9wavefront6targetE0EEEvSQ_.uses_flat_scratch, 0
	.set _ZN7rocprim17ROCPRIM_400000_NS6detail17trampoline_kernelINS0_14default_configENS1_22reduce_config_selectorIiEEZNS1_11reduce_implILb1ES3_PiS7_iN6hipcub16HIPCUB_304000_NS6detail34convert_binary_result_type_wrapperISt4plusIvENS9_22TransformInputIteratorIiN2at6native8internal21MapNumberOfTrueValuesEPKhlEEiEEEE10hipError_tPvRmT1_T2_T3_mT4_P12ihipStream_tbEUlT_E1_NS1_11comp_targetILNS1_3genE10ELNS1_11target_archE1200ELNS1_3gpuE4ELNS1_3repE0EEENS1_30default_config_static_selectorELNS0_4arch9wavefront6targetE0EEEvSQ_.has_dyn_sized_stack, 0
	.set _ZN7rocprim17ROCPRIM_400000_NS6detail17trampoline_kernelINS0_14default_configENS1_22reduce_config_selectorIiEEZNS1_11reduce_implILb1ES3_PiS7_iN6hipcub16HIPCUB_304000_NS6detail34convert_binary_result_type_wrapperISt4plusIvENS9_22TransformInputIteratorIiN2at6native8internal21MapNumberOfTrueValuesEPKhlEEiEEEE10hipError_tPvRmT1_T2_T3_mT4_P12ihipStream_tbEUlT_E1_NS1_11comp_targetILNS1_3genE10ELNS1_11target_archE1200ELNS1_3gpuE4ELNS1_3repE0EEENS1_30default_config_static_selectorELNS0_4arch9wavefront6targetE0EEEvSQ_.has_recursion, 0
	.set _ZN7rocprim17ROCPRIM_400000_NS6detail17trampoline_kernelINS0_14default_configENS1_22reduce_config_selectorIiEEZNS1_11reduce_implILb1ES3_PiS7_iN6hipcub16HIPCUB_304000_NS6detail34convert_binary_result_type_wrapperISt4plusIvENS9_22TransformInputIteratorIiN2at6native8internal21MapNumberOfTrueValuesEPKhlEEiEEEE10hipError_tPvRmT1_T2_T3_mT4_P12ihipStream_tbEUlT_E1_NS1_11comp_targetILNS1_3genE10ELNS1_11target_archE1200ELNS1_3gpuE4ELNS1_3repE0EEENS1_30default_config_static_selectorELNS0_4arch9wavefront6targetE0EEEvSQ_.has_indirect_call, 0
	.section	.AMDGPU.csdata,"",@progbits
; Kernel info:
; codeLenInByte = 0
; TotalNumSgprs: 0
; NumVgprs: 0
; ScratchSize: 0
; MemoryBound: 0
; FloatMode: 240
; IeeeMode: 1
; LDSByteSize: 0 bytes/workgroup (compile time only)
; SGPRBlocks: 0
; VGPRBlocks: 0
; NumSGPRsForWavesPerEU: 1
; NumVGPRsForWavesPerEU: 1
; NamedBarCnt: 0
; Occupancy: 16
; WaveLimiterHint : 0
; COMPUTE_PGM_RSRC2:SCRATCH_EN: 0
; COMPUTE_PGM_RSRC2:USER_SGPR: 2
; COMPUTE_PGM_RSRC2:TRAP_HANDLER: 0
; COMPUTE_PGM_RSRC2:TGID_X_EN: 1
; COMPUTE_PGM_RSRC2:TGID_Y_EN: 0
; COMPUTE_PGM_RSRC2:TGID_Z_EN: 0
; COMPUTE_PGM_RSRC2:TIDIG_COMP_CNT: 0
	.section	.text._ZN7rocprim17ROCPRIM_400000_NS6detail17trampoline_kernelINS0_14default_configENS1_22reduce_config_selectorIiEEZNS1_11reduce_implILb1ES3_PiS7_iN6hipcub16HIPCUB_304000_NS6detail34convert_binary_result_type_wrapperISt4plusIvENS9_22TransformInputIteratorIiN2at6native8internal21MapNumberOfTrueValuesEPKhlEEiEEEE10hipError_tPvRmT1_T2_T3_mT4_P12ihipStream_tbEUlT_E1_NS1_11comp_targetILNS1_3genE9ELNS1_11target_archE1100ELNS1_3gpuE3ELNS1_3repE0EEENS1_30default_config_static_selectorELNS0_4arch9wavefront6targetE0EEEvSQ_,"axG",@progbits,_ZN7rocprim17ROCPRIM_400000_NS6detail17trampoline_kernelINS0_14default_configENS1_22reduce_config_selectorIiEEZNS1_11reduce_implILb1ES3_PiS7_iN6hipcub16HIPCUB_304000_NS6detail34convert_binary_result_type_wrapperISt4plusIvENS9_22TransformInputIteratorIiN2at6native8internal21MapNumberOfTrueValuesEPKhlEEiEEEE10hipError_tPvRmT1_T2_T3_mT4_P12ihipStream_tbEUlT_E1_NS1_11comp_targetILNS1_3genE9ELNS1_11target_archE1100ELNS1_3gpuE3ELNS1_3repE0EEENS1_30default_config_static_selectorELNS0_4arch9wavefront6targetE0EEEvSQ_,comdat
	.protected	_ZN7rocprim17ROCPRIM_400000_NS6detail17trampoline_kernelINS0_14default_configENS1_22reduce_config_selectorIiEEZNS1_11reduce_implILb1ES3_PiS7_iN6hipcub16HIPCUB_304000_NS6detail34convert_binary_result_type_wrapperISt4plusIvENS9_22TransformInputIteratorIiN2at6native8internal21MapNumberOfTrueValuesEPKhlEEiEEEE10hipError_tPvRmT1_T2_T3_mT4_P12ihipStream_tbEUlT_E1_NS1_11comp_targetILNS1_3genE9ELNS1_11target_archE1100ELNS1_3gpuE3ELNS1_3repE0EEENS1_30default_config_static_selectorELNS0_4arch9wavefront6targetE0EEEvSQ_ ; -- Begin function _ZN7rocprim17ROCPRIM_400000_NS6detail17trampoline_kernelINS0_14default_configENS1_22reduce_config_selectorIiEEZNS1_11reduce_implILb1ES3_PiS7_iN6hipcub16HIPCUB_304000_NS6detail34convert_binary_result_type_wrapperISt4plusIvENS9_22TransformInputIteratorIiN2at6native8internal21MapNumberOfTrueValuesEPKhlEEiEEEE10hipError_tPvRmT1_T2_T3_mT4_P12ihipStream_tbEUlT_E1_NS1_11comp_targetILNS1_3genE9ELNS1_11target_archE1100ELNS1_3gpuE3ELNS1_3repE0EEENS1_30default_config_static_selectorELNS0_4arch9wavefront6targetE0EEEvSQ_
	.globl	_ZN7rocprim17ROCPRIM_400000_NS6detail17trampoline_kernelINS0_14default_configENS1_22reduce_config_selectorIiEEZNS1_11reduce_implILb1ES3_PiS7_iN6hipcub16HIPCUB_304000_NS6detail34convert_binary_result_type_wrapperISt4plusIvENS9_22TransformInputIteratorIiN2at6native8internal21MapNumberOfTrueValuesEPKhlEEiEEEE10hipError_tPvRmT1_T2_T3_mT4_P12ihipStream_tbEUlT_E1_NS1_11comp_targetILNS1_3genE9ELNS1_11target_archE1100ELNS1_3gpuE3ELNS1_3repE0EEENS1_30default_config_static_selectorELNS0_4arch9wavefront6targetE0EEEvSQ_
	.p2align	8
	.type	_ZN7rocprim17ROCPRIM_400000_NS6detail17trampoline_kernelINS0_14default_configENS1_22reduce_config_selectorIiEEZNS1_11reduce_implILb1ES3_PiS7_iN6hipcub16HIPCUB_304000_NS6detail34convert_binary_result_type_wrapperISt4plusIvENS9_22TransformInputIteratorIiN2at6native8internal21MapNumberOfTrueValuesEPKhlEEiEEEE10hipError_tPvRmT1_T2_T3_mT4_P12ihipStream_tbEUlT_E1_NS1_11comp_targetILNS1_3genE9ELNS1_11target_archE1100ELNS1_3gpuE3ELNS1_3repE0EEENS1_30default_config_static_selectorELNS0_4arch9wavefront6targetE0EEEvSQ_,@function
_ZN7rocprim17ROCPRIM_400000_NS6detail17trampoline_kernelINS0_14default_configENS1_22reduce_config_selectorIiEEZNS1_11reduce_implILb1ES3_PiS7_iN6hipcub16HIPCUB_304000_NS6detail34convert_binary_result_type_wrapperISt4plusIvENS9_22TransformInputIteratorIiN2at6native8internal21MapNumberOfTrueValuesEPKhlEEiEEEE10hipError_tPvRmT1_T2_T3_mT4_P12ihipStream_tbEUlT_E1_NS1_11comp_targetILNS1_3genE9ELNS1_11target_archE1100ELNS1_3gpuE3ELNS1_3repE0EEENS1_30default_config_static_selectorELNS0_4arch9wavefront6targetE0EEEvSQ_: ; @_ZN7rocprim17ROCPRIM_400000_NS6detail17trampoline_kernelINS0_14default_configENS1_22reduce_config_selectorIiEEZNS1_11reduce_implILb1ES3_PiS7_iN6hipcub16HIPCUB_304000_NS6detail34convert_binary_result_type_wrapperISt4plusIvENS9_22TransformInputIteratorIiN2at6native8internal21MapNumberOfTrueValuesEPKhlEEiEEEE10hipError_tPvRmT1_T2_T3_mT4_P12ihipStream_tbEUlT_E1_NS1_11comp_targetILNS1_3genE9ELNS1_11target_archE1100ELNS1_3gpuE3ELNS1_3repE0EEENS1_30default_config_static_selectorELNS0_4arch9wavefront6targetE0EEEvSQ_
; %bb.0:
	.section	.rodata,"a",@progbits
	.p2align	6, 0x0
	.amdhsa_kernel _ZN7rocprim17ROCPRIM_400000_NS6detail17trampoline_kernelINS0_14default_configENS1_22reduce_config_selectorIiEEZNS1_11reduce_implILb1ES3_PiS7_iN6hipcub16HIPCUB_304000_NS6detail34convert_binary_result_type_wrapperISt4plusIvENS9_22TransformInputIteratorIiN2at6native8internal21MapNumberOfTrueValuesEPKhlEEiEEEE10hipError_tPvRmT1_T2_T3_mT4_P12ihipStream_tbEUlT_E1_NS1_11comp_targetILNS1_3genE9ELNS1_11target_archE1100ELNS1_3gpuE3ELNS1_3repE0EEENS1_30default_config_static_selectorELNS0_4arch9wavefront6targetE0EEEvSQ_
		.amdhsa_group_segment_fixed_size 0
		.amdhsa_private_segment_fixed_size 0
		.amdhsa_kernarg_size 40
		.amdhsa_user_sgpr_count 2
		.amdhsa_user_sgpr_dispatch_ptr 0
		.amdhsa_user_sgpr_queue_ptr 0
		.amdhsa_user_sgpr_kernarg_segment_ptr 1
		.amdhsa_user_sgpr_dispatch_id 0
		.amdhsa_user_sgpr_kernarg_preload_length 0
		.amdhsa_user_sgpr_kernarg_preload_offset 0
		.amdhsa_user_sgpr_private_segment_size 0
		.amdhsa_wavefront_size32 1
		.amdhsa_uses_dynamic_stack 0
		.amdhsa_enable_private_segment 0
		.amdhsa_system_sgpr_workgroup_id_x 1
		.amdhsa_system_sgpr_workgroup_id_y 0
		.amdhsa_system_sgpr_workgroup_id_z 0
		.amdhsa_system_sgpr_workgroup_info 0
		.amdhsa_system_vgpr_workitem_id 0
		.amdhsa_next_free_vgpr 1
		.amdhsa_next_free_sgpr 1
		.amdhsa_named_barrier_count 0
		.amdhsa_reserve_vcc 0
		.amdhsa_float_round_mode_32 0
		.amdhsa_float_round_mode_16_64 0
		.amdhsa_float_denorm_mode_32 3
		.amdhsa_float_denorm_mode_16_64 3
		.amdhsa_fp16_overflow 0
		.amdhsa_memory_ordered 1
		.amdhsa_forward_progress 1
		.amdhsa_inst_pref_size 0
		.amdhsa_round_robin_scheduling 0
		.amdhsa_exception_fp_ieee_invalid_op 0
		.amdhsa_exception_fp_denorm_src 0
		.amdhsa_exception_fp_ieee_div_zero 0
		.amdhsa_exception_fp_ieee_overflow 0
		.amdhsa_exception_fp_ieee_underflow 0
		.amdhsa_exception_fp_ieee_inexact 0
		.amdhsa_exception_int_div_zero 0
	.end_amdhsa_kernel
	.section	.text._ZN7rocprim17ROCPRIM_400000_NS6detail17trampoline_kernelINS0_14default_configENS1_22reduce_config_selectorIiEEZNS1_11reduce_implILb1ES3_PiS7_iN6hipcub16HIPCUB_304000_NS6detail34convert_binary_result_type_wrapperISt4plusIvENS9_22TransformInputIteratorIiN2at6native8internal21MapNumberOfTrueValuesEPKhlEEiEEEE10hipError_tPvRmT1_T2_T3_mT4_P12ihipStream_tbEUlT_E1_NS1_11comp_targetILNS1_3genE9ELNS1_11target_archE1100ELNS1_3gpuE3ELNS1_3repE0EEENS1_30default_config_static_selectorELNS0_4arch9wavefront6targetE0EEEvSQ_,"axG",@progbits,_ZN7rocprim17ROCPRIM_400000_NS6detail17trampoline_kernelINS0_14default_configENS1_22reduce_config_selectorIiEEZNS1_11reduce_implILb1ES3_PiS7_iN6hipcub16HIPCUB_304000_NS6detail34convert_binary_result_type_wrapperISt4plusIvENS9_22TransformInputIteratorIiN2at6native8internal21MapNumberOfTrueValuesEPKhlEEiEEEE10hipError_tPvRmT1_T2_T3_mT4_P12ihipStream_tbEUlT_E1_NS1_11comp_targetILNS1_3genE9ELNS1_11target_archE1100ELNS1_3gpuE3ELNS1_3repE0EEENS1_30default_config_static_selectorELNS0_4arch9wavefront6targetE0EEEvSQ_,comdat
.Lfunc_end113:
	.size	_ZN7rocprim17ROCPRIM_400000_NS6detail17trampoline_kernelINS0_14default_configENS1_22reduce_config_selectorIiEEZNS1_11reduce_implILb1ES3_PiS7_iN6hipcub16HIPCUB_304000_NS6detail34convert_binary_result_type_wrapperISt4plusIvENS9_22TransformInputIteratorIiN2at6native8internal21MapNumberOfTrueValuesEPKhlEEiEEEE10hipError_tPvRmT1_T2_T3_mT4_P12ihipStream_tbEUlT_E1_NS1_11comp_targetILNS1_3genE9ELNS1_11target_archE1100ELNS1_3gpuE3ELNS1_3repE0EEENS1_30default_config_static_selectorELNS0_4arch9wavefront6targetE0EEEvSQ_, .Lfunc_end113-_ZN7rocprim17ROCPRIM_400000_NS6detail17trampoline_kernelINS0_14default_configENS1_22reduce_config_selectorIiEEZNS1_11reduce_implILb1ES3_PiS7_iN6hipcub16HIPCUB_304000_NS6detail34convert_binary_result_type_wrapperISt4plusIvENS9_22TransformInputIteratorIiN2at6native8internal21MapNumberOfTrueValuesEPKhlEEiEEEE10hipError_tPvRmT1_T2_T3_mT4_P12ihipStream_tbEUlT_E1_NS1_11comp_targetILNS1_3genE9ELNS1_11target_archE1100ELNS1_3gpuE3ELNS1_3repE0EEENS1_30default_config_static_selectorELNS0_4arch9wavefront6targetE0EEEvSQ_
                                        ; -- End function
	.set _ZN7rocprim17ROCPRIM_400000_NS6detail17trampoline_kernelINS0_14default_configENS1_22reduce_config_selectorIiEEZNS1_11reduce_implILb1ES3_PiS7_iN6hipcub16HIPCUB_304000_NS6detail34convert_binary_result_type_wrapperISt4plusIvENS9_22TransformInputIteratorIiN2at6native8internal21MapNumberOfTrueValuesEPKhlEEiEEEE10hipError_tPvRmT1_T2_T3_mT4_P12ihipStream_tbEUlT_E1_NS1_11comp_targetILNS1_3genE9ELNS1_11target_archE1100ELNS1_3gpuE3ELNS1_3repE0EEENS1_30default_config_static_selectorELNS0_4arch9wavefront6targetE0EEEvSQ_.num_vgpr, 0
	.set _ZN7rocprim17ROCPRIM_400000_NS6detail17trampoline_kernelINS0_14default_configENS1_22reduce_config_selectorIiEEZNS1_11reduce_implILb1ES3_PiS7_iN6hipcub16HIPCUB_304000_NS6detail34convert_binary_result_type_wrapperISt4plusIvENS9_22TransformInputIteratorIiN2at6native8internal21MapNumberOfTrueValuesEPKhlEEiEEEE10hipError_tPvRmT1_T2_T3_mT4_P12ihipStream_tbEUlT_E1_NS1_11comp_targetILNS1_3genE9ELNS1_11target_archE1100ELNS1_3gpuE3ELNS1_3repE0EEENS1_30default_config_static_selectorELNS0_4arch9wavefront6targetE0EEEvSQ_.num_agpr, 0
	.set _ZN7rocprim17ROCPRIM_400000_NS6detail17trampoline_kernelINS0_14default_configENS1_22reduce_config_selectorIiEEZNS1_11reduce_implILb1ES3_PiS7_iN6hipcub16HIPCUB_304000_NS6detail34convert_binary_result_type_wrapperISt4plusIvENS9_22TransformInputIteratorIiN2at6native8internal21MapNumberOfTrueValuesEPKhlEEiEEEE10hipError_tPvRmT1_T2_T3_mT4_P12ihipStream_tbEUlT_E1_NS1_11comp_targetILNS1_3genE9ELNS1_11target_archE1100ELNS1_3gpuE3ELNS1_3repE0EEENS1_30default_config_static_selectorELNS0_4arch9wavefront6targetE0EEEvSQ_.numbered_sgpr, 0
	.set _ZN7rocprim17ROCPRIM_400000_NS6detail17trampoline_kernelINS0_14default_configENS1_22reduce_config_selectorIiEEZNS1_11reduce_implILb1ES3_PiS7_iN6hipcub16HIPCUB_304000_NS6detail34convert_binary_result_type_wrapperISt4plusIvENS9_22TransformInputIteratorIiN2at6native8internal21MapNumberOfTrueValuesEPKhlEEiEEEE10hipError_tPvRmT1_T2_T3_mT4_P12ihipStream_tbEUlT_E1_NS1_11comp_targetILNS1_3genE9ELNS1_11target_archE1100ELNS1_3gpuE3ELNS1_3repE0EEENS1_30default_config_static_selectorELNS0_4arch9wavefront6targetE0EEEvSQ_.num_named_barrier, 0
	.set _ZN7rocprim17ROCPRIM_400000_NS6detail17trampoline_kernelINS0_14default_configENS1_22reduce_config_selectorIiEEZNS1_11reduce_implILb1ES3_PiS7_iN6hipcub16HIPCUB_304000_NS6detail34convert_binary_result_type_wrapperISt4plusIvENS9_22TransformInputIteratorIiN2at6native8internal21MapNumberOfTrueValuesEPKhlEEiEEEE10hipError_tPvRmT1_T2_T3_mT4_P12ihipStream_tbEUlT_E1_NS1_11comp_targetILNS1_3genE9ELNS1_11target_archE1100ELNS1_3gpuE3ELNS1_3repE0EEENS1_30default_config_static_selectorELNS0_4arch9wavefront6targetE0EEEvSQ_.private_seg_size, 0
	.set _ZN7rocprim17ROCPRIM_400000_NS6detail17trampoline_kernelINS0_14default_configENS1_22reduce_config_selectorIiEEZNS1_11reduce_implILb1ES3_PiS7_iN6hipcub16HIPCUB_304000_NS6detail34convert_binary_result_type_wrapperISt4plusIvENS9_22TransformInputIteratorIiN2at6native8internal21MapNumberOfTrueValuesEPKhlEEiEEEE10hipError_tPvRmT1_T2_T3_mT4_P12ihipStream_tbEUlT_E1_NS1_11comp_targetILNS1_3genE9ELNS1_11target_archE1100ELNS1_3gpuE3ELNS1_3repE0EEENS1_30default_config_static_selectorELNS0_4arch9wavefront6targetE0EEEvSQ_.uses_vcc, 0
	.set _ZN7rocprim17ROCPRIM_400000_NS6detail17trampoline_kernelINS0_14default_configENS1_22reduce_config_selectorIiEEZNS1_11reduce_implILb1ES3_PiS7_iN6hipcub16HIPCUB_304000_NS6detail34convert_binary_result_type_wrapperISt4plusIvENS9_22TransformInputIteratorIiN2at6native8internal21MapNumberOfTrueValuesEPKhlEEiEEEE10hipError_tPvRmT1_T2_T3_mT4_P12ihipStream_tbEUlT_E1_NS1_11comp_targetILNS1_3genE9ELNS1_11target_archE1100ELNS1_3gpuE3ELNS1_3repE0EEENS1_30default_config_static_selectorELNS0_4arch9wavefront6targetE0EEEvSQ_.uses_flat_scratch, 0
	.set _ZN7rocprim17ROCPRIM_400000_NS6detail17trampoline_kernelINS0_14default_configENS1_22reduce_config_selectorIiEEZNS1_11reduce_implILb1ES3_PiS7_iN6hipcub16HIPCUB_304000_NS6detail34convert_binary_result_type_wrapperISt4plusIvENS9_22TransformInputIteratorIiN2at6native8internal21MapNumberOfTrueValuesEPKhlEEiEEEE10hipError_tPvRmT1_T2_T3_mT4_P12ihipStream_tbEUlT_E1_NS1_11comp_targetILNS1_3genE9ELNS1_11target_archE1100ELNS1_3gpuE3ELNS1_3repE0EEENS1_30default_config_static_selectorELNS0_4arch9wavefront6targetE0EEEvSQ_.has_dyn_sized_stack, 0
	.set _ZN7rocprim17ROCPRIM_400000_NS6detail17trampoline_kernelINS0_14default_configENS1_22reduce_config_selectorIiEEZNS1_11reduce_implILb1ES3_PiS7_iN6hipcub16HIPCUB_304000_NS6detail34convert_binary_result_type_wrapperISt4plusIvENS9_22TransformInputIteratorIiN2at6native8internal21MapNumberOfTrueValuesEPKhlEEiEEEE10hipError_tPvRmT1_T2_T3_mT4_P12ihipStream_tbEUlT_E1_NS1_11comp_targetILNS1_3genE9ELNS1_11target_archE1100ELNS1_3gpuE3ELNS1_3repE0EEENS1_30default_config_static_selectorELNS0_4arch9wavefront6targetE0EEEvSQ_.has_recursion, 0
	.set _ZN7rocprim17ROCPRIM_400000_NS6detail17trampoline_kernelINS0_14default_configENS1_22reduce_config_selectorIiEEZNS1_11reduce_implILb1ES3_PiS7_iN6hipcub16HIPCUB_304000_NS6detail34convert_binary_result_type_wrapperISt4plusIvENS9_22TransformInputIteratorIiN2at6native8internal21MapNumberOfTrueValuesEPKhlEEiEEEE10hipError_tPvRmT1_T2_T3_mT4_P12ihipStream_tbEUlT_E1_NS1_11comp_targetILNS1_3genE9ELNS1_11target_archE1100ELNS1_3gpuE3ELNS1_3repE0EEENS1_30default_config_static_selectorELNS0_4arch9wavefront6targetE0EEEvSQ_.has_indirect_call, 0
	.section	.AMDGPU.csdata,"",@progbits
; Kernel info:
; codeLenInByte = 0
; TotalNumSgprs: 0
; NumVgprs: 0
; ScratchSize: 0
; MemoryBound: 0
; FloatMode: 240
; IeeeMode: 1
; LDSByteSize: 0 bytes/workgroup (compile time only)
; SGPRBlocks: 0
; VGPRBlocks: 0
; NumSGPRsForWavesPerEU: 1
; NumVGPRsForWavesPerEU: 1
; NamedBarCnt: 0
; Occupancy: 16
; WaveLimiterHint : 0
; COMPUTE_PGM_RSRC2:SCRATCH_EN: 0
; COMPUTE_PGM_RSRC2:USER_SGPR: 2
; COMPUTE_PGM_RSRC2:TRAP_HANDLER: 0
; COMPUTE_PGM_RSRC2:TGID_X_EN: 1
; COMPUTE_PGM_RSRC2:TGID_Y_EN: 0
; COMPUTE_PGM_RSRC2:TGID_Z_EN: 0
; COMPUTE_PGM_RSRC2:TIDIG_COMP_CNT: 0
	.section	.text._ZN7rocprim17ROCPRIM_400000_NS6detail17trampoline_kernelINS0_14default_configENS1_22reduce_config_selectorIiEEZNS1_11reduce_implILb1ES3_PiS7_iN6hipcub16HIPCUB_304000_NS6detail34convert_binary_result_type_wrapperISt4plusIvENS9_22TransformInputIteratorIiN2at6native8internal21MapNumberOfTrueValuesEPKhlEEiEEEE10hipError_tPvRmT1_T2_T3_mT4_P12ihipStream_tbEUlT_E1_NS1_11comp_targetILNS1_3genE8ELNS1_11target_archE1030ELNS1_3gpuE2ELNS1_3repE0EEENS1_30default_config_static_selectorELNS0_4arch9wavefront6targetE0EEEvSQ_,"axG",@progbits,_ZN7rocprim17ROCPRIM_400000_NS6detail17trampoline_kernelINS0_14default_configENS1_22reduce_config_selectorIiEEZNS1_11reduce_implILb1ES3_PiS7_iN6hipcub16HIPCUB_304000_NS6detail34convert_binary_result_type_wrapperISt4plusIvENS9_22TransformInputIteratorIiN2at6native8internal21MapNumberOfTrueValuesEPKhlEEiEEEE10hipError_tPvRmT1_T2_T3_mT4_P12ihipStream_tbEUlT_E1_NS1_11comp_targetILNS1_3genE8ELNS1_11target_archE1030ELNS1_3gpuE2ELNS1_3repE0EEENS1_30default_config_static_selectorELNS0_4arch9wavefront6targetE0EEEvSQ_,comdat
	.protected	_ZN7rocprim17ROCPRIM_400000_NS6detail17trampoline_kernelINS0_14default_configENS1_22reduce_config_selectorIiEEZNS1_11reduce_implILb1ES3_PiS7_iN6hipcub16HIPCUB_304000_NS6detail34convert_binary_result_type_wrapperISt4plusIvENS9_22TransformInputIteratorIiN2at6native8internal21MapNumberOfTrueValuesEPKhlEEiEEEE10hipError_tPvRmT1_T2_T3_mT4_P12ihipStream_tbEUlT_E1_NS1_11comp_targetILNS1_3genE8ELNS1_11target_archE1030ELNS1_3gpuE2ELNS1_3repE0EEENS1_30default_config_static_selectorELNS0_4arch9wavefront6targetE0EEEvSQ_ ; -- Begin function _ZN7rocprim17ROCPRIM_400000_NS6detail17trampoline_kernelINS0_14default_configENS1_22reduce_config_selectorIiEEZNS1_11reduce_implILb1ES3_PiS7_iN6hipcub16HIPCUB_304000_NS6detail34convert_binary_result_type_wrapperISt4plusIvENS9_22TransformInputIteratorIiN2at6native8internal21MapNumberOfTrueValuesEPKhlEEiEEEE10hipError_tPvRmT1_T2_T3_mT4_P12ihipStream_tbEUlT_E1_NS1_11comp_targetILNS1_3genE8ELNS1_11target_archE1030ELNS1_3gpuE2ELNS1_3repE0EEENS1_30default_config_static_selectorELNS0_4arch9wavefront6targetE0EEEvSQ_
	.globl	_ZN7rocprim17ROCPRIM_400000_NS6detail17trampoline_kernelINS0_14default_configENS1_22reduce_config_selectorIiEEZNS1_11reduce_implILb1ES3_PiS7_iN6hipcub16HIPCUB_304000_NS6detail34convert_binary_result_type_wrapperISt4plusIvENS9_22TransformInputIteratorIiN2at6native8internal21MapNumberOfTrueValuesEPKhlEEiEEEE10hipError_tPvRmT1_T2_T3_mT4_P12ihipStream_tbEUlT_E1_NS1_11comp_targetILNS1_3genE8ELNS1_11target_archE1030ELNS1_3gpuE2ELNS1_3repE0EEENS1_30default_config_static_selectorELNS0_4arch9wavefront6targetE0EEEvSQ_
	.p2align	8
	.type	_ZN7rocprim17ROCPRIM_400000_NS6detail17trampoline_kernelINS0_14default_configENS1_22reduce_config_selectorIiEEZNS1_11reduce_implILb1ES3_PiS7_iN6hipcub16HIPCUB_304000_NS6detail34convert_binary_result_type_wrapperISt4plusIvENS9_22TransformInputIteratorIiN2at6native8internal21MapNumberOfTrueValuesEPKhlEEiEEEE10hipError_tPvRmT1_T2_T3_mT4_P12ihipStream_tbEUlT_E1_NS1_11comp_targetILNS1_3genE8ELNS1_11target_archE1030ELNS1_3gpuE2ELNS1_3repE0EEENS1_30default_config_static_selectorELNS0_4arch9wavefront6targetE0EEEvSQ_,@function
_ZN7rocprim17ROCPRIM_400000_NS6detail17trampoline_kernelINS0_14default_configENS1_22reduce_config_selectorIiEEZNS1_11reduce_implILb1ES3_PiS7_iN6hipcub16HIPCUB_304000_NS6detail34convert_binary_result_type_wrapperISt4plusIvENS9_22TransformInputIteratorIiN2at6native8internal21MapNumberOfTrueValuesEPKhlEEiEEEE10hipError_tPvRmT1_T2_T3_mT4_P12ihipStream_tbEUlT_E1_NS1_11comp_targetILNS1_3genE8ELNS1_11target_archE1030ELNS1_3gpuE2ELNS1_3repE0EEENS1_30default_config_static_selectorELNS0_4arch9wavefront6targetE0EEEvSQ_: ; @_ZN7rocprim17ROCPRIM_400000_NS6detail17trampoline_kernelINS0_14default_configENS1_22reduce_config_selectorIiEEZNS1_11reduce_implILb1ES3_PiS7_iN6hipcub16HIPCUB_304000_NS6detail34convert_binary_result_type_wrapperISt4plusIvENS9_22TransformInputIteratorIiN2at6native8internal21MapNumberOfTrueValuesEPKhlEEiEEEE10hipError_tPvRmT1_T2_T3_mT4_P12ihipStream_tbEUlT_E1_NS1_11comp_targetILNS1_3genE8ELNS1_11target_archE1030ELNS1_3gpuE2ELNS1_3repE0EEENS1_30default_config_static_selectorELNS0_4arch9wavefront6targetE0EEEvSQ_
; %bb.0:
	.section	.rodata,"a",@progbits
	.p2align	6, 0x0
	.amdhsa_kernel _ZN7rocprim17ROCPRIM_400000_NS6detail17trampoline_kernelINS0_14default_configENS1_22reduce_config_selectorIiEEZNS1_11reduce_implILb1ES3_PiS7_iN6hipcub16HIPCUB_304000_NS6detail34convert_binary_result_type_wrapperISt4plusIvENS9_22TransformInputIteratorIiN2at6native8internal21MapNumberOfTrueValuesEPKhlEEiEEEE10hipError_tPvRmT1_T2_T3_mT4_P12ihipStream_tbEUlT_E1_NS1_11comp_targetILNS1_3genE8ELNS1_11target_archE1030ELNS1_3gpuE2ELNS1_3repE0EEENS1_30default_config_static_selectorELNS0_4arch9wavefront6targetE0EEEvSQ_
		.amdhsa_group_segment_fixed_size 0
		.amdhsa_private_segment_fixed_size 0
		.amdhsa_kernarg_size 40
		.amdhsa_user_sgpr_count 2
		.amdhsa_user_sgpr_dispatch_ptr 0
		.amdhsa_user_sgpr_queue_ptr 0
		.amdhsa_user_sgpr_kernarg_segment_ptr 1
		.amdhsa_user_sgpr_dispatch_id 0
		.amdhsa_user_sgpr_kernarg_preload_length 0
		.amdhsa_user_sgpr_kernarg_preload_offset 0
		.amdhsa_user_sgpr_private_segment_size 0
		.amdhsa_wavefront_size32 1
		.amdhsa_uses_dynamic_stack 0
		.amdhsa_enable_private_segment 0
		.amdhsa_system_sgpr_workgroup_id_x 1
		.amdhsa_system_sgpr_workgroup_id_y 0
		.amdhsa_system_sgpr_workgroup_id_z 0
		.amdhsa_system_sgpr_workgroup_info 0
		.amdhsa_system_vgpr_workitem_id 0
		.amdhsa_next_free_vgpr 1
		.amdhsa_next_free_sgpr 1
		.amdhsa_named_barrier_count 0
		.amdhsa_reserve_vcc 0
		.amdhsa_float_round_mode_32 0
		.amdhsa_float_round_mode_16_64 0
		.amdhsa_float_denorm_mode_32 3
		.amdhsa_float_denorm_mode_16_64 3
		.amdhsa_fp16_overflow 0
		.amdhsa_memory_ordered 1
		.amdhsa_forward_progress 1
		.amdhsa_inst_pref_size 0
		.amdhsa_round_robin_scheduling 0
		.amdhsa_exception_fp_ieee_invalid_op 0
		.amdhsa_exception_fp_denorm_src 0
		.amdhsa_exception_fp_ieee_div_zero 0
		.amdhsa_exception_fp_ieee_overflow 0
		.amdhsa_exception_fp_ieee_underflow 0
		.amdhsa_exception_fp_ieee_inexact 0
		.amdhsa_exception_int_div_zero 0
	.end_amdhsa_kernel
	.section	.text._ZN7rocprim17ROCPRIM_400000_NS6detail17trampoline_kernelINS0_14default_configENS1_22reduce_config_selectorIiEEZNS1_11reduce_implILb1ES3_PiS7_iN6hipcub16HIPCUB_304000_NS6detail34convert_binary_result_type_wrapperISt4plusIvENS9_22TransformInputIteratorIiN2at6native8internal21MapNumberOfTrueValuesEPKhlEEiEEEE10hipError_tPvRmT1_T2_T3_mT4_P12ihipStream_tbEUlT_E1_NS1_11comp_targetILNS1_3genE8ELNS1_11target_archE1030ELNS1_3gpuE2ELNS1_3repE0EEENS1_30default_config_static_selectorELNS0_4arch9wavefront6targetE0EEEvSQ_,"axG",@progbits,_ZN7rocprim17ROCPRIM_400000_NS6detail17trampoline_kernelINS0_14default_configENS1_22reduce_config_selectorIiEEZNS1_11reduce_implILb1ES3_PiS7_iN6hipcub16HIPCUB_304000_NS6detail34convert_binary_result_type_wrapperISt4plusIvENS9_22TransformInputIteratorIiN2at6native8internal21MapNumberOfTrueValuesEPKhlEEiEEEE10hipError_tPvRmT1_T2_T3_mT4_P12ihipStream_tbEUlT_E1_NS1_11comp_targetILNS1_3genE8ELNS1_11target_archE1030ELNS1_3gpuE2ELNS1_3repE0EEENS1_30default_config_static_selectorELNS0_4arch9wavefront6targetE0EEEvSQ_,comdat
.Lfunc_end114:
	.size	_ZN7rocprim17ROCPRIM_400000_NS6detail17trampoline_kernelINS0_14default_configENS1_22reduce_config_selectorIiEEZNS1_11reduce_implILb1ES3_PiS7_iN6hipcub16HIPCUB_304000_NS6detail34convert_binary_result_type_wrapperISt4plusIvENS9_22TransformInputIteratorIiN2at6native8internal21MapNumberOfTrueValuesEPKhlEEiEEEE10hipError_tPvRmT1_T2_T3_mT4_P12ihipStream_tbEUlT_E1_NS1_11comp_targetILNS1_3genE8ELNS1_11target_archE1030ELNS1_3gpuE2ELNS1_3repE0EEENS1_30default_config_static_selectorELNS0_4arch9wavefront6targetE0EEEvSQ_, .Lfunc_end114-_ZN7rocprim17ROCPRIM_400000_NS6detail17trampoline_kernelINS0_14default_configENS1_22reduce_config_selectorIiEEZNS1_11reduce_implILb1ES3_PiS7_iN6hipcub16HIPCUB_304000_NS6detail34convert_binary_result_type_wrapperISt4plusIvENS9_22TransformInputIteratorIiN2at6native8internal21MapNumberOfTrueValuesEPKhlEEiEEEE10hipError_tPvRmT1_T2_T3_mT4_P12ihipStream_tbEUlT_E1_NS1_11comp_targetILNS1_3genE8ELNS1_11target_archE1030ELNS1_3gpuE2ELNS1_3repE0EEENS1_30default_config_static_selectorELNS0_4arch9wavefront6targetE0EEEvSQ_
                                        ; -- End function
	.set _ZN7rocprim17ROCPRIM_400000_NS6detail17trampoline_kernelINS0_14default_configENS1_22reduce_config_selectorIiEEZNS1_11reduce_implILb1ES3_PiS7_iN6hipcub16HIPCUB_304000_NS6detail34convert_binary_result_type_wrapperISt4plusIvENS9_22TransformInputIteratorIiN2at6native8internal21MapNumberOfTrueValuesEPKhlEEiEEEE10hipError_tPvRmT1_T2_T3_mT4_P12ihipStream_tbEUlT_E1_NS1_11comp_targetILNS1_3genE8ELNS1_11target_archE1030ELNS1_3gpuE2ELNS1_3repE0EEENS1_30default_config_static_selectorELNS0_4arch9wavefront6targetE0EEEvSQ_.num_vgpr, 0
	.set _ZN7rocprim17ROCPRIM_400000_NS6detail17trampoline_kernelINS0_14default_configENS1_22reduce_config_selectorIiEEZNS1_11reduce_implILb1ES3_PiS7_iN6hipcub16HIPCUB_304000_NS6detail34convert_binary_result_type_wrapperISt4plusIvENS9_22TransformInputIteratorIiN2at6native8internal21MapNumberOfTrueValuesEPKhlEEiEEEE10hipError_tPvRmT1_T2_T3_mT4_P12ihipStream_tbEUlT_E1_NS1_11comp_targetILNS1_3genE8ELNS1_11target_archE1030ELNS1_3gpuE2ELNS1_3repE0EEENS1_30default_config_static_selectorELNS0_4arch9wavefront6targetE0EEEvSQ_.num_agpr, 0
	.set _ZN7rocprim17ROCPRIM_400000_NS6detail17trampoline_kernelINS0_14default_configENS1_22reduce_config_selectorIiEEZNS1_11reduce_implILb1ES3_PiS7_iN6hipcub16HIPCUB_304000_NS6detail34convert_binary_result_type_wrapperISt4plusIvENS9_22TransformInputIteratorIiN2at6native8internal21MapNumberOfTrueValuesEPKhlEEiEEEE10hipError_tPvRmT1_T2_T3_mT4_P12ihipStream_tbEUlT_E1_NS1_11comp_targetILNS1_3genE8ELNS1_11target_archE1030ELNS1_3gpuE2ELNS1_3repE0EEENS1_30default_config_static_selectorELNS0_4arch9wavefront6targetE0EEEvSQ_.numbered_sgpr, 0
	.set _ZN7rocprim17ROCPRIM_400000_NS6detail17trampoline_kernelINS0_14default_configENS1_22reduce_config_selectorIiEEZNS1_11reduce_implILb1ES3_PiS7_iN6hipcub16HIPCUB_304000_NS6detail34convert_binary_result_type_wrapperISt4plusIvENS9_22TransformInputIteratorIiN2at6native8internal21MapNumberOfTrueValuesEPKhlEEiEEEE10hipError_tPvRmT1_T2_T3_mT4_P12ihipStream_tbEUlT_E1_NS1_11comp_targetILNS1_3genE8ELNS1_11target_archE1030ELNS1_3gpuE2ELNS1_3repE0EEENS1_30default_config_static_selectorELNS0_4arch9wavefront6targetE0EEEvSQ_.num_named_barrier, 0
	.set _ZN7rocprim17ROCPRIM_400000_NS6detail17trampoline_kernelINS0_14default_configENS1_22reduce_config_selectorIiEEZNS1_11reduce_implILb1ES3_PiS7_iN6hipcub16HIPCUB_304000_NS6detail34convert_binary_result_type_wrapperISt4plusIvENS9_22TransformInputIteratorIiN2at6native8internal21MapNumberOfTrueValuesEPKhlEEiEEEE10hipError_tPvRmT1_T2_T3_mT4_P12ihipStream_tbEUlT_E1_NS1_11comp_targetILNS1_3genE8ELNS1_11target_archE1030ELNS1_3gpuE2ELNS1_3repE0EEENS1_30default_config_static_selectorELNS0_4arch9wavefront6targetE0EEEvSQ_.private_seg_size, 0
	.set _ZN7rocprim17ROCPRIM_400000_NS6detail17trampoline_kernelINS0_14default_configENS1_22reduce_config_selectorIiEEZNS1_11reduce_implILb1ES3_PiS7_iN6hipcub16HIPCUB_304000_NS6detail34convert_binary_result_type_wrapperISt4plusIvENS9_22TransformInputIteratorIiN2at6native8internal21MapNumberOfTrueValuesEPKhlEEiEEEE10hipError_tPvRmT1_T2_T3_mT4_P12ihipStream_tbEUlT_E1_NS1_11comp_targetILNS1_3genE8ELNS1_11target_archE1030ELNS1_3gpuE2ELNS1_3repE0EEENS1_30default_config_static_selectorELNS0_4arch9wavefront6targetE0EEEvSQ_.uses_vcc, 0
	.set _ZN7rocprim17ROCPRIM_400000_NS6detail17trampoline_kernelINS0_14default_configENS1_22reduce_config_selectorIiEEZNS1_11reduce_implILb1ES3_PiS7_iN6hipcub16HIPCUB_304000_NS6detail34convert_binary_result_type_wrapperISt4plusIvENS9_22TransformInputIteratorIiN2at6native8internal21MapNumberOfTrueValuesEPKhlEEiEEEE10hipError_tPvRmT1_T2_T3_mT4_P12ihipStream_tbEUlT_E1_NS1_11comp_targetILNS1_3genE8ELNS1_11target_archE1030ELNS1_3gpuE2ELNS1_3repE0EEENS1_30default_config_static_selectorELNS0_4arch9wavefront6targetE0EEEvSQ_.uses_flat_scratch, 0
	.set _ZN7rocprim17ROCPRIM_400000_NS6detail17trampoline_kernelINS0_14default_configENS1_22reduce_config_selectorIiEEZNS1_11reduce_implILb1ES3_PiS7_iN6hipcub16HIPCUB_304000_NS6detail34convert_binary_result_type_wrapperISt4plusIvENS9_22TransformInputIteratorIiN2at6native8internal21MapNumberOfTrueValuesEPKhlEEiEEEE10hipError_tPvRmT1_T2_T3_mT4_P12ihipStream_tbEUlT_E1_NS1_11comp_targetILNS1_3genE8ELNS1_11target_archE1030ELNS1_3gpuE2ELNS1_3repE0EEENS1_30default_config_static_selectorELNS0_4arch9wavefront6targetE0EEEvSQ_.has_dyn_sized_stack, 0
	.set _ZN7rocprim17ROCPRIM_400000_NS6detail17trampoline_kernelINS0_14default_configENS1_22reduce_config_selectorIiEEZNS1_11reduce_implILb1ES3_PiS7_iN6hipcub16HIPCUB_304000_NS6detail34convert_binary_result_type_wrapperISt4plusIvENS9_22TransformInputIteratorIiN2at6native8internal21MapNumberOfTrueValuesEPKhlEEiEEEE10hipError_tPvRmT1_T2_T3_mT4_P12ihipStream_tbEUlT_E1_NS1_11comp_targetILNS1_3genE8ELNS1_11target_archE1030ELNS1_3gpuE2ELNS1_3repE0EEENS1_30default_config_static_selectorELNS0_4arch9wavefront6targetE0EEEvSQ_.has_recursion, 0
	.set _ZN7rocprim17ROCPRIM_400000_NS6detail17trampoline_kernelINS0_14default_configENS1_22reduce_config_selectorIiEEZNS1_11reduce_implILb1ES3_PiS7_iN6hipcub16HIPCUB_304000_NS6detail34convert_binary_result_type_wrapperISt4plusIvENS9_22TransformInputIteratorIiN2at6native8internal21MapNumberOfTrueValuesEPKhlEEiEEEE10hipError_tPvRmT1_T2_T3_mT4_P12ihipStream_tbEUlT_E1_NS1_11comp_targetILNS1_3genE8ELNS1_11target_archE1030ELNS1_3gpuE2ELNS1_3repE0EEENS1_30default_config_static_selectorELNS0_4arch9wavefront6targetE0EEEvSQ_.has_indirect_call, 0
	.section	.AMDGPU.csdata,"",@progbits
; Kernel info:
; codeLenInByte = 0
; TotalNumSgprs: 0
; NumVgprs: 0
; ScratchSize: 0
; MemoryBound: 0
; FloatMode: 240
; IeeeMode: 1
; LDSByteSize: 0 bytes/workgroup (compile time only)
; SGPRBlocks: 0
; VGPRBlocks: 0
; NumSGPRsForWavesPerEU: 1
; NumVGPRsForWavesPerEU: 1
; NamedBarCnt: 0
; Occupancy: 16
; WaveLimiterHint : 0
; COMPUTE_PGM_RSRC2:SCRATCH_EN: 0
; COMPUTE_PGM_RSRC2:USER_SGPR: 2
; COMPUTE_PGM_RSRC2:TRAP_HANDLER: 0
; COMPUTE_PGM_RSRC2:TGID_X_EN: 1
; COMPUTE_PGM_RSRC2:TGID_Y_EN: 0
; COMPUTE_PGM_RSRC2:TGID_Z_EN: 0
; COMPUTE_PGM_RSRC2:TIDIG_COMP_CNT: 0
	.section	.text._ZN7rocprim17ROCPRIM_400000_NS6detail17trampoline_kernelINS0_14default_configENS1_22reduce_config_selectorIiEEZNS1_11reduce_implILb1ES3_N6hipcub16HIPCUB_304000_NS22TransformInputIteratorIiN2at6native8internal21MapNumberOfTrueValuesEPKhlEEPiiNS8_6detail34convert_binary_result_type_wrapperISt4plusIvESG_iEEEE10hipError_tPvRmT1_T2_T3_mT4_P12ihipStream_tbEUlT_E0_NS1_11comp_targetILNS1_3genE0ELNS1_11target_archE4294967295ELNS1_3gpuE0ELNS1_3repE0EEENS1_30default_config_static_selectorELNS0_4arch9wavefront6targetE0EEEvSQ_,"axG",@progbits,_ZN7rocprim17ROCPRIM_400000_NS6detail17trampoline_kernelINS0_14default_configENS1_22reduce_config_selectorIiEEZNS1_11reduce_implILb1ES3_N6hipcub16HIPCUB_304000_NS22TransformInputIteratorIiN2at6native8internal21MapNumberOfTrueValuesEPKhlEEPiiNS8_6detail34convert_binary_result_type_wrapperISt4plusIvESG_iEEEE10hipError_tPvRmT1_T2_T3_mT4_P12ihipStream_tbEUlT_E0_NS1_11comp_targetILNS1_3genE0ELNS1_11target_archE4294967295ELNS1_3gpuE0ELNS1_3repE0EEENS1_30default_config_static_selectorELNS0_4arch9wavefront6targetE0EEEvSQ_,comdat
	.protected	_ZN7rocprim17ROCPRIM_400000_NS6detail17trampoline_kernelINS0_14default_configENS1_22reduce_config_selectorIiEEZNS1_11reduce_implILb1ES3_N6hipcub16HIPCUB_304000_NS22TransformInputIteratorIiN2at6native8internal21MapNumberOfTrueValuesEPKhlEEPiiNS8_6detail34convert_binary_result_type_wrapperISt4plusIvESG_iEEEE10hipError_tPvRmT1_T2_T3_mT4_P12ihipStream_tbEUlT_E0_NS1_11comp_targetILNS1_3genE0ELNS1_11target_archE4294967295ELNS1_3gpuE0ELNS1_3repE0EEENS1_30default_config_static_selectorELNS0_4arch9wavefront6targetE0EEEvSQ_ ; -- Begin function _ZN7rocprim17ROCPRIM_400000_NS6detail17trampoline_kernelINS0_14default_configENS1_22reduce_config_selectorIiEEZNS1_11reduce_implILb1ES3_N6hipcub16HIPCUB_304000_NS22TransformInputIteratorIiN2at6native8internal21MapNumberOfTrueValuesEPKhlEEPiiNS8_6detail34convert_binary_result_type_wrapperISt4plusIvESG_iEEEE10hipError_tPvRmT1_T2_T3_mT4_P12ihipStream_tbEUlT_E0_NS1_11comp_targetILNS1_3genE0ELNS1_11target_archE4294967295ELNS1_3gpuE0ELNS1_3repE0EEENS1_30default_config_static_selectorELNS0_4arch9wavefront6targetE0EEEvSQ_
	.globl	_ZN7rocprim17ROCPRIM_400000_NS6detail17trampoline_kernelINS0_14default_configENS1_22reduce_config_selectorIiEEZNS1_11reduce_implILb1ES3_N6hipcub16HIPCUB_304000_NS22TransformInputIteratorIiN2at6native8internal21MapNumberOfTrueValuesEPKhlEEPiiNS8_6detail34convert_binary_result_type_wrapperISt4plusIvESG_iEEEE10hipError_tPvRmT1_T2_T3_mT4_P12ihipStream_tbEUlT_E0_NS1_11comp_targetILNS1_3genE0ELNS1_11target_archE4294967295ELNS1_3gpuE0ELNS1_3repE0EEENS1_30default_config_static_selectorELNS0_4arch9wavefront6targetE0EEEvSQ_
	.p2align	8
	.type	_ZN7rocprim17ROCPRIM_400000_NS6detail17trampoline_kernelINS0_14default_configENS1_22reduce_config_selectorIiEEZNS1_11reduce_implILb1ES3_N6hipcub16HIPCUB_304000_NS22TransformInputIteratorIiN2at6native8internal21MapNumberOfTrueValuesEPKhlEEPiiNS8_6detail34convert_binary_result_type_wrapperISt4plusIvESG_iEEEE10hipError_tPvRmT1_T2_T3_mT4_P12ihipStream_tbEUlT_E0_NS1_11comp_targetILNS1_3genE0ELNS1_11target_archE4294967295ELNS1_3gpuE0ELNS1_3repE0EEENS1_30default_config_static_selectorELNS0_4arch9wavefront6targetE0EEEvSQ_,@function
_ZN7rocprim17ROCPRIM_400000_NS6detail17trampoline_kernelINS0_14default_configENS1_22reduce_config_selectorIiEEZNS1_11reduce_implILb1ES3_N6hipcub16HIPCUB_304000_NS22TransformInputIteratorIiN2at6native8internal21MapNumberOfTrueValuesEPKhlEEPiiNS8_6detail34convert_binary_result_type_wrapperISt4plusIvESG_iEEEE10hipError_tPvRmT1_T2_T3_mT4_P12ihipStream_tbEUlT_E0_NS1_11comp_targetILNS1_3genE0ELNS1_11target_archE4294967295ELNS1_3gpuE0ELNS1_3repE0EEENS1_30default_config_static_selectorELNS0_4arch9wavefront6targetE0EEEvSQ_: ; @_ZN7rocprim17ROCPRIM_400000_NS6detail17trampoline_kernelINS0_14default_configENS1_22reduce_config_selectorIiEEZNS1_11reduce_implILb1ES3_N6hipcub16HIPCUB_304000_NS22TransformInputIteratorIiN2at6native8internal21MapNumberOfTrueValuesEPKhlEEPiiNS8_6detail34convert_binary_result_type_wrapperISt4plusIvESG_iEEEE10hipError_tPvRmT1_T2_T3_mT4_P12ihipStream_tbEUlT_E0_NS1_11comp_targetILNS1_3genE0ELNS1_11target_archE4294967295ELNS1_3gpuE0ELNS1_3repE0EEENS1_30default_config_static_selectorELNS0_4arch9wavefront6targetE0EEEvSQ_
; %bb.0:
	s_clause 0x2
	s_load_b256 s[4:11], s[0:1], 0x10
	s_load_b64 s[16:17], s[0:1], 0x0
	s_load_b64 s[12:13], s[0:1], 0x30
	s_bfe_u32 s2, ttmp6, 0x4000c
	s_and_b32 s14, ttmp6, 15
	s_add_co_i32 s2, s2, 1
	s_getreg_b32 s15, hwreg(HW_REG_IB_STS2, 6, 4)
	s_mul_i32 s2, ttmp9, s2
	s_mov_b32 s3, 0
	s_add_co_i32 s14, s14, s2
	s_cmp_eq_u32 s15, 0
	v_mbcnt_lo_u32_b32 v1, -1, 0
	s_cselect_b32 s14, ttmp9, s14
	s_mov_b32 s15, s3
	s_lshl_b32 s2, s14, 10
	s_wait_kmcnt 0x0
	s_add_nc_u64 s[4:5], s[16:17], s[4:5]
	s_lshr_b64 s[16:17], s[6:7], 10
	s_add_nc_u64 s[4:5], s[4:5], s[2:3]
	s_cmp_lg_u64 s[16:17], s[14:15]
	s_cbranch_scc0 .LBB115_6
; %bb.1:
	s_clause 0x3
	global_load_u8 v2, v0, s[4:5]
	global_load_u8 v3, v0, s[4:5] offset:512
	global_load_u8 v4, v0, s[4:5] offset:256
	;; [unrolled: 1-line block ×3, first 2 shown]
	s_mov_b32 s3, exec_lo
	s_wait_loadcnt 0x3
	v_cmp_ne_u16_e32 vcc_lo, 0, v2
	v_cndmask_b32_e64 v2, 0, 1, vcc_lo
	s_wait_loadcnt 0x2
	v_cmp_ne_u16_e32 vcc_lo, 0, v3
	v_cndmask_b32_e64 v3, 0, 1, vcc_lo
	s_wait_loadcnt 0x1
	v_cmp_ne_u16_e32 vcc_lo, 0, v4
	v_add_co_ci_u32_e64 v2, null, 0, v2, vcc_lo
	s_wait_loadcnt 0x0
	v_cmp_ne_u16_e32 vcc_lo, 0, v5
	s_delay_alu instid0(VALU_DEP_2) | instskip(NEXT) | instid1(VALU_DEP_1)
	v_add_co_ci_u32_e64 v2, null, v2, v3, vcc_lo
	v_mov_b32_dpp v3, v2 quad_perm:[1,0,3,2] row_mask:0xf bank_mask:0xf
	s_delay_alu instid0(VALU_DEP_1) | instskip(NEXT) | instid1(VALU_DEP_1)
	v_add_nc_u32_e32 v2, v2, v3
	v_mov_b32_dpp v3, v2 quad_perm:[2,3,0,1] row_mask:0xf bank_mask:0xf
	s_delay_alu instid0(VALU_DEP_1) | instskip(NEXT) | instid1(VALU_DEP_1)
	v_add_nc_u32_e32 v2, v2, v3
	v_mov_b32_dpp v3, v2 row_ror:4 row_mask:0xf bank_mask:0xf
	s_delay_alu instid0(VALU_DEP_1) | instskip(NEXT) | instid1(VALU_DEP_1)
	v_add_nc_u32_e32 v2, v2, v3
	v_mov_b32_dpp v3, v2 row_ror:8 row_mask:0xf bank_mask:0xf
	s_delay_alu instid0(VALU_DEP_1)
	v_add_nc_u32_e32 v2, v2, v3
	ds_swizzle_b32 v3, v2 offset:swizzle(BROADCAST,32,15)
	s_wait_dscnt 0x0
	v_dual_mov_b32 v3, 0 :: v_dual_add_nc_u32 v2, v2, v3
	ds_bpermute_b32 v2, v3, v2 offset:124
	v_cmpx_eq_u32_e32 0, v1
	s_cbranch_execz .LBB115_3
; %bb.2:
	v_lshrrev_b32_e32 v3, 3, v0
	s_delay_alu instid0(VALU_DEP_1)
	v_and_b32_e32 v3, 28, v3
	s_wait_dscnt 0x0
	ds_store_b32 v3, v2
.LBB115_3:
	s_or_b32 exec_lo, exec_lo, s3
	s_delay_alu instid0(SALU_CYCLE_1)
	s_mov_b32 s3, exec_lo
	s_wait_dscnt 0x0
	s_barrier_signal -1
	s_barrier_wait -1
	v_cmpx_gt_u32_e32 32, v0
	s_cbranch_execz .LBB115_5
; %bb.4:
	v_and_b32_e32 v2, 7, v1
	s_delay_alu instid0(VALU_DEP_1) | instskip(SKIP_1) | instid1(VALU_DEP_1)
	v_cmp_ne_u32_e32 vcc_lo, 7, v2
	v_add_co_ci_u32_e64 v4, null, 0, v1, vcc_lo
	v_dual_lshlrev_b32 v4, 2, v4 :: v_dual_lshlrev_b32 v3, 2, v2
	v_cmp_gt_u32_e32 vcc_lo, 6, v2
	ds_load_b32 v3, v3
	v_cndmask_b32_e64 v2, 0, 2, vcc_lo
	s_delay_alu instid0(VALU_DEP_1)
	v_add_lshl_u32 v2, v2, v1, 2
	s_wait_dscnt 0x0
	ds_bpermute_b32 v4, v4, v3
	s_wait_dscnt 0x0
	v_dual_add_nc_u32 v3, v4, v3 :: v_dual_lshlrev_b32 v4, 2, v1
	ds_bpermute_b32 v2, v2, v3
	s_wait_dscnt 0x0
	v_dual_add_nc_u32 v2, v2, v3 :: v_dual_bitop2_b32 v3, 16, v4 bitop3:0x54
	ds_bpermute_b32 v3, v3, v2
	s_wait_dscnt 0x0
	v_add_nc_u32_e32 v2, v3, v2
.LBB115_5:
	s_or_b32 exec_lo, exec_lo, s3
	s_branch .LBB115_20
.LBB115_6:
                                        ; implicit-def: $vgpr2
	s_cbranch_execz .LBB115_20
; %bb.7:
	v_mov_b32_e32 v2, 0
	s_sub_co_i32 s16, s6, s2
	s_mov_b32 s2, exec_lo
	s_delay_alu instid0(VALU_DEP_1)
	v_dual_mov_b32 v3, v2 :: v_dual_mov_b32 v4, v2
	v_mov_b32_e32 v5, v2
	v_cmpx_gt_u32_e64 s16, v0
	s_cbranch_execz .LBB115_9
; %bb.8:
	global_load_u8 v3, v0, s[4:5]
	v_dual_mov_b32 v5, v2 :: v_dual_mov_b32 v6, v2
	v_mov_b32_e32 v7, v2
	s_wait_loadcnt 0x0
	v_cmp_ne_u16_e32 vcc_lo, 0, v3
	v_cndmask_b32_e64 v3, 0, 1, vcc_lo
	s_delay_alu instid0(VALU_DEP_1) | instskip(NEXT) | instid1(VALU_DEP_1)
	v_and_b32_e32 v4, 0xffff, v3
	v_mov_b64_e32 v[2:3], v[4:5]
	v_mov_b64_e32 v[4:5], v[6:7]
.LBB115_9:
	s_or_b32 exec_lo, exec_lo, s2
	v_or_b32_e32 v6, 0x100, v0
	s_delay_alu instid0(VALU_DEP_1)
	v_cmp_gt_u32_e32 vcc_lo, s16, v6
	s_and_saveexec_b32 s3, vcc_lo
	s_cbranch_execz .LBB115_11
; %bb.10:
	global_load_u8 v3, v0, s[4:5] offset:256
	s_wait_loadcnt 0x0
	v_cmp_ne_u16_e64 s2, 0, v3
	s_delay_alu instid0(VALU_DEP_1)
	v_cndmask_b32_e64 v3, 0, 1, s2
.LBB115_11:
	s_or_b32 exec_lo, exec_lo, s3
	v_or_b32_e32 v6, 0x200, v0
	s_delay_alu instid0(VALU_DEP_1)
	v_cmp_gt_u32_e64 s2, s16, v6
	s_and_saveexec_b32 s17, s2
	s_cbranch_execz .LBB115_13
; %bb.12:
	global_load_u8 v4, v0, s[4:5] offset:512
	s_wait_loadcnt 0x0
	v_cmp_ne_u16_e64 s3, 0, v4
	s_delay_alu instid0(VALU_DEP_1)
	v_cndmask_b32_e64 v4, 0, 1, s3
.LBB115_13:
	s_or_b32 exec_lo, exec_lo, s17
	v_or_b32_e32 v6, 0x300, v0
	s_delay_alu instid0(VALU_DEP_1)
	v_cmp_gt_u32_e64 s3, s16, v6
	s_and_saveexec_b32 s17, s3
	s_cbranch_execz .LBB115_15
; %bb.14:
	global_load_u8 v5, v0, s[4:5] offset:768
	s_wait_loadcnt 0x0
	v_cmp_ne_u16_e64 s4, 0, v5
	s_delay_alu instid0(VALU_DEP_1)
	v_cndmask_b32_e64 v5, 0, 1, s4
.LBB115_15:
	s_or_b32 exec_lo, exec_lo, s17
	v_dual_cndmask_b32 v3, 0, v3, vcc_lo :: v_dual_cndmask_b32 v4, 0, v4, s2
	v_cmp_ne_u32_e32 vcc_lo, 31, v1
	s_delay_alu instid0(VALU_DEP_3) | instskip(SKIP_1) | instid1(VALU_DEP_3)
	v_cndmask_b32_e64 v5, 0, v5, s3
	s_min_u32 s2, s16, 0x100
	v_add_nc_u32_e32 v2, v3, v2
	s_mov_b32 s3, exec_lo
	v_add_co_ci_u32_e64 v6, null, 0, v1, vcc_lo
	v_cmp_gt_u32_e32 vcc_lo, 30, v1
	s_delay_alu instid0(VALU_DEP_3) | instskip(NEXT) | instid1(VALU_DEP_3)
	v_add3_u32 v2, v2, v4, v5
	v_dual_add_nc_u32 v5, 1, v1 :: v_dual_lshlrev_b32 v3, 2, v6
	v_and_b32_e32 v4, 0xe0, v0
	v_cndmask_b32_e64 v6, 0, 2, vcc_lo
	ds_bpermute_b32 v3, v3, v2
	v_sub_nc_u32_e64 v4, s2, v4 clamp
	s_delay_alu instid0(VALU_DEP_1) | instskip(SKIP_4) | instid1(VALU_DEP_2)
	v_cmp_lt_u32_e32 vcc_lo, v5, v4
	v_add_lshl_u32 v5, v6, v1, 2
	s_wait_dscnt 0x0
	v_cndmask_b32_e32 v3, 0, v3, vcc_lo
	v_cmp_gt_u32_e32 vcc_lo, 28, v1
	v_add_nc_u32_e32 v2, v3, v2
	v_cndmask_b32_e64 v6, 0, 4, vcc_lo
	ds_bpermute_b32 v3, v5, v2
	v_add_nc_u32_e32 v5, 2, v1
	s_delay_alu instid0(VALU_DEP_1) | instskip(SKIP_4) | instid1(VALU_DEP_2)
	v_cmp_lt_u32_e32 vcc_lo, v5, v4
	v_add_lshl_u32 v5, v6, v1, 2
	s_wait_dscnt 0x0
	v_cndmask_b32_e32 v3, 0, v3, vcc_lo
	v_cmp_gt_u32_e32 vcc_lo, 24, v1
	v_add_nc_u32_e32 v2, v2, v3
	v_cndmask_b32_e64 v6, 0, 8, vcc_lo
	ds_bpermute_b32 v3, v5, v2
	v_add_nc_u32_e32 v5, 4, v1
	s_delay_alu instid0(VALU_DEP_1) | instskip(SKIP_3) | instid1(VALU_DEP_1)
	v_cmp_lt_u32_e32 vcc_lo, v5, v4
	v_add_lshl_u32 v5, v6, v1, 2
	s_wait_dscnt 0x0
	v_dual_cndmask_b32 v3, 0, v3 :: v_dual_add_nc_u32 v6, 8, v1
	v_cmp_lt_u32_e32 vcc_lo, v6, v4
	s_delay_alu instid0(VALU_DEP_2) | instskip(SKIP_3) | instid1(VALU_DEP_1)
	v_dual_add_nc_u32 v2, v2, v3 :: v_dual_lshlrev_b32 v3, 2, v1
	ds_bpermute_b32 v5, v5, v2
	s_wait_dscnt 0x0
	v_dual_cndmask_b32 v5, 0, v5, vcc_lo :: v_dual_bitop2_b32 v6, 64, v3 bitop3:0x54
	v_add_nc_u32_e32 v2, v2, v5
	ds_bpermute_b32 v5, v6, v2
	v_add_nc_u32_e32 v6, 16, v1
	s_delay_alu instid0(VALU_DEP_1) | instskip(SKIP_2) | instid1(VALU_DEP_1)
	v_cmp_lt_u32_e32 vcc_lo, v6, v4
	s_wait_dscnt 0x0
	v_cndmask_b32_e32 v4, 0, v5, vcc_lo
	v_add_nc_u32_e32 v2, v2, v4
	v_cmpx_eq_u32_e32 0, v1
; %bb.16:
	v_lshrrev_b32_e32 v4, 3, v0
	s_delay_alu instid0(VALU_DEP_1)
	v_and_b32_e32 v4, 28, v4
	ds_store_b32 v4, v2 offset:32
; %bb.17:
	s_or_b32 exec_lo, exec_lo, s3
	s_delay_alu instid0(SALU_CYCLE_1)
	s_mov_b32 s3, exec_lo
	s_wait_dscnt 0x0
	s_barrier_signal -1
	s_barrier_wait -1
	v_cmpx_gt_u32_e32 8, v0
	s_cbranch_execz .LBB115_19
; %bb.18:
	ds_load_b32 v2, v3 offset:32
	v_and_b32_e32 v4, 7, v1
	s_add_co_i32 s2, s2, 31
	s_delay_alu instid0(SALU_CYCLE_1) | instskip(NEXT) | instid1(VALU_DEP_1)
	s_lshr_b32 s2, s2, 5
	v_cmp_ne_u32_e32 vcc_lo, 7, v4
	v_add_nc_u32_e32 v6, 1, v4
	v_add_co_ci_u32_e64 v5, null, 0, v1, vcc_lo
	v_cmp_gt_u32_e32 vcc_lo, 6, v4
	s_delay_alu instid0(VALU_DEP_2)
	v_lshlrev_b32_e32 v5, 2, v5
	v_cndmask_b32_e64 v7, 0, 2, vcc_lo
	v_cmp_gt_u32_e32 vcc_lo, s2, v6
	s_wait_dscnt 0x0
	ds_bpermute_b32 v5, v5, v2
	v_add_lshl_u32 v1, v7, v1, 2
	s_wait_dscnt 0x0
	v_cndmask_b32_e32 v5, 0, v5, vcc_lo
	s_delay_alu instid0(VALU_DEP_1) | instskip(SKIP_2) | instid1(VALU_DEP_1)
	v_add_nc_u32_e32 v2, v5, v2
	ds_bpermute_b32 v1, v1, v2
	v_add_nc_u32_e32 v5, 2, v4
	v_cmp_gt_u32_e32 vcc_lo, s2, v5
	s_wait_dscnt 0x0
	v_cndmask_b32_e32 v1, 0, v1, vcc_lo
	s_delay_alu instid0(VALU_DEP_1)
	v_dual_add_nc_u32 v1, v2, v1 :: v_dual_bitop2_b32 v2, 16, v3 bitop3:0x54
	v_add_nc_u32_e32 v3, 4, v4
	ds_bpermute_b32 v2, v2, v1
	v_cmp_gt_u32_e32 vcc_lo, s2, v3
	s_wait_dscnt 0x0
	v_cndmask_b32_e32 v2, 0, v2, vcc_lo
	s_delay_alu instid0(VALU_DEP_1)
	v_add_nc_u32_e32 v2, v1, v2
.LBB115_19:
	s_or_b32 exec_lo, exec_lo, s3
.LBB115_20:
	s_load_b32 s0, s[0:1], 0x38
	s_wait_xcnt 0x0
	s_mov_b32 s1, exec_lo
	v_cmpx_eq_u32_e32 0, v0
	s_cbranch_execz .LBB115_22
; %bb.21:
	s_mul_u64 s[2:3], s[12:13], s[10:11]
	v_mov_b32_e32 v1, 0
	s_lshl_b64 s[2:3], s[2:3], 2
	s_cmp_eq_u64 s[6:7], 0
	s_add_nc_u64 s[2:3], s[8:9], s[2:3]
	s_cselect_b32 s1, -1, 0
	s_wait_kmcnt 0x0
	v_cndmask_b32_e64 v0, v2, s0, s1
	s_lshl_b64 s[0:1], s[14:15], 2
	s_delay_alu instid0(SALU_CYCLE_1)
	s_add_nc_u64 s[0:1], s[2:3], s[0:1]
	global_store_b32 v1, v0, s[0:1]
.LBB115_22:
	s_endpgm
	.section	.rodata,"a",@progbits
	.p2align	6, 0x0
	.amdhsa_kernel _ZN7rocprim17ROCPRIM_400000_NS6detail17trampoline_kernelINS0_14default_configENS1_22reduce_config_selectorIiEEZNS1_11reduce_implILb1ES3_N6hipcub16HIPCUB_304000_NS22TransformInputIteratorIiN2at6native8internal21MapNumberOfTrueValuesEPKhlEEPiiNS8_6detail34convert_binary_result_type_wrapperISt4plusIvESG_iEEEE10hipError_tPvRmT1_T2_T3_mT4_P12ihipStream_tbEUlT_E0_NS1_11comp_targetILNS1_3genE0ELNS1_11target_archE4294967295ELNS1_3gpuE0ELNS1_3repE0EEENS1_30default_config_static_selectorELNS0_4arch9wavefront6targetE0EEEvSQ_
		.amdhsa_group_segment_fixed_size 64
		.amdhsa_private_segment_fixed_size 0
		.amdhsa_kernarg_size 64
		.amdhsa_user_sgpr_count 2
		.amdhsa_user_sgpr_dispatch_ptr 0
		.amdhsa_user_sgpr_queue_ptr 0
		.amdhsa_user_sgpr_kernarg_segment_ptr 1
		.amdhsa_user_sgpr_dispatch_id 0
		.amdhsa_user_sgpr_kernarg_preload_length 0
		.amdhsa_user_sgpr_kernarg_preload_offset 0
		.amdhsa_user_sgpr_private_segment_size 0
		.amdhsa_wavefront_size32 1
		.amdhsa_uses_dynamic_stack 0
		.amdhsa_enable_private_segment 0
		.amdhsa_system_sgpr_workgroup_id_x 1
		.amdhsa_system_sgpr_workgroup_id_y 0
		.amdhsa_system_sgpr_workgroup_id_z 0
		.amdhsa_system_sgpr_workgroup_info 0
		.amdhsa_system_vgpr_workitem_id 0
		.amdhsa_next_free_vgpr 8
		.amdhsa_next_free_sgpr 18
		.amdhsa_named_barrier_count 0
		.amdhsa_reserve_vcc 1
		.amdhsa_float_round_mode_32 0
		.amdhsa_float_round_mode_16_64 0
		.amdhsa_float_denorm_mode_32 3
		.amdhsa_float_denorm_mode_16_64 3
		.amdhsa_fp16_overflow 0
		.amdhsa_memory_ordered 1
		.amdhsa_forward_progress 1
		.amdhsa_inst_pref_size 12
		.amdhsa_round_robin_scheduling 0
		.amdhsa_exception_fp_ieee_invalid_op 0
		.amdhsa_exception_fp_denorm_src 0
		.amdhsa_exception_fp_ieee_div_zero 0
		.amdhsa_exception_fp_ieee_overflow 0
		.amdhsa_exception_fp_ieee_underflow 0
		.amdhsa_exception_fp_ieee_inexact 0
		.amdhsa_exception_int_div_zero 0
	.end_amdhsa_kernel
	.section	.text._ZN7rocprim17ROCPRIM_400000_NS6detail17trampoline_kernelINS0_14default_configENS1_22reduce_config_selectorIiEEZNS1_11reduce_implILb1ES3_N6hipcub16HIPCUB_304000_NS22TransformInputIteratorIiN2at6native8internal21MapNumberOfTrueValuesEPKhlEEPiiNS8_6detail34convert_binary_result_type_wrapperISt4plusIvESG_iEEEE10hipError_tPvRmT1_T2_T3_mT4_P12ihipStream_tbEUlT_E0_NS1_11comp_targetILNS1_3genE0ELNS1_11target_archE4294967295ELNS1_3gpuE0ELNS1_3repE0EEENS1_30default_config_static_selectorELNS0_4arch9wavefront6targetE0EEEvSQ_,"axG",@progbits,_ZN7rocprim17ROCPRIM_400000_NS6detail17trampoline_kernelINS0_14default_configENS1_22reduce_config_selectorIiEEZNS1_11reduce_implILb1ES3_N6hipcub16HIPCUB_304000_NS22TransformInputIteratorIiN2at6native8internal21MapNumberOfTrueValuesEPKhlEEPiiNS8_6detail34convert_binary_result_type_wrapperISt4plusIvESG_iEEEE10hipError_tPvRmT1_T2_T3_mT4_P12ihipStream_tbEUlT_E0_NS1_11comp_targetILNS1_3genE0ELNS1_11target_archE4294967295ELNS1_3gpuE0ELNS1_3repE0EEENS1_30default_config_static_selectorELNS0_4arch9wavefront6targetE0EEEvSQ_,comdat
.Lfunc_end115:
	.size	_ZN7rocprim17ROCPRIM_400000_NS6detail17trampoline_kernelINS0_14default_configENS1_22reduce_config_selectorIiEEZNS1_11reduce_implILb1ES3_N6hipcub16HIPCUB_304000_NS22TransformInputIteratorIiN2at6native8internal21MapNumberOfTrueValuesEPKhlEEPiiNS8_6detail34convert_binary_result_type_wrapperISt4plusIvESG_iEEEE10hipError_tPvRmT1_T2_T3_mT4_P12ihipStream_tbEUlT_E0_NS1_11comp_targetILNS1_3genE0ELNS1_11target_archE4294967295ELNS1_3gpuE0ELNS1_3repE0EEENS1_30default_config_static_selectorELNS0_4arch9wavefront6targetE0EEEvSQ_, .Lfunc_end115-_ZN7rocprim17ROCPRIM_400000_NS6detail17trampoline_kernelINS0_14default_configENS1_22reduce_config_selectorIiEEZNS1_11reduce_implILb1ES3_N6hipcub16HIPCUB_304000_NS22TransformInputIteratorIiN2at6native8internal21MapNumberOfTrueValuesEPKhlEEPiiNS8_6detail34convert_binary_result_type_wrapperISt4plusIvESG_iEEEE10hipError_tPvRmT1_T2_T3_mT4_P12ihipStream_tbEUlT_E0_NS1_11comp_targetILNS1_3genE0ELNS1_11target_archE4294967295ELNS1_3gpuE0ELNS1_3repE0EEENS1_30default_config_static_selectorELNS0_4arch9wavefront6targetE0EEEvSQ_
                                        ; -- End function
	.set _ZN7rocprim17ROCPRIM_400000_NS6detail17trampoline_kernelINS0_14default_configENS1_22reduce_config_selectorIiEEZNS1_11reduce_implILb1ES3_N6hipcub16HIPCUB_304000_NS22TransformInputIteratorIiN2at6native8internal21MapNumberOfTrueValuesEPKhlEEPiiNS8_6detail34convert_binary_result_type_wrapperISt4plusIvESG_iEEEE10hipError_tPvRmT1_T2_T3_mT4_P12ihipStream_tbEUlT_E0_NS1_11comp_targetILNS1_3genE0ELNS1_11target_archE4294967295ELNS1_3gpuE0ELNS1_3repE0EEENS1_30default_config_static_selectorELNS0_4arch9wavefront6targetE0EEEvSQ_.num_vgpr, 8
	.set _ZN7rocprim17ROCPRIM_400000_NS6detail17trampoline_kernelINS0_14default_configENS1_22reduce_config_selectorIiEEZNS1_11reduce_implILb1ES3_N6hipcub16HIPCUB_304000_NS22TransformInputIteratorIiN2at6native8internal21MapNumberOfTrueValuesEPKhlEEPiiNS8_6detail34convert_binary_result_type_wrapperISt4plusIvESG_iEEEE10hipError_tPvRmT1_T2_T3_mT4_P12ihipStream_tbEUlT_E0_NS1_11comp_targetILNS1_3genE0ELNS1_11target_archE4294967295ELNS1_3gpuE0ELNS1_3repE0EEENS1_30default_config_static_selectorELNS0_4arch9wavefront6targetE0EEEvSQ_.num_agpr, 0
	.set _ZN7rocprim17ROCPRIM_400000_NS6detail17trampoline_kernelINS0_14default_configENS1_22reduce_config_selectorIiEEZNS1_11reduce_implILb1ES3_N6hipcub16HIPCUB_304000_NS22TransformInputIteratorIiN2at6native8internal21MapNumberOfTrueValuesEPKhlEEPiiNS8_6detail34convert_binary_result_type_wrapperISt4plusIvESG_iEEEE10hipError_tPvRmT1_T2_T3_mT4_P12ihipStream_tbEUlT_E0_NS1_11comp_targetILNS1_3genE0ELNS1_11target_archE4294967295ELNS1_3gpuE0ELNS1_3repE0EEENS1_30default_config_static_selectorELNS0_4arch9wavefront6targetE0EEEvSQ_.numbered_sgpr, 18
	.set _ZN7rocprim17ROCPRIM_400000_NS6detail17trampoline_kernelINS0_14default_configENS1_22reduce_config_selectorIiEEZNS1_11reduce_implILb1ES3_N6hipcub16HIPCUB_304000_NS22TransformInputIteratorIiN2at6native8internal21MapNumberOfTrueValuesEPKhlEEPiiNS8_6detail34convert_binary_result_type_wrapperISt4plusIvESG_iEEEE10hipError_tPvRmT1_T2_T3_mT4_P12ihipStream_tbEUlT_E0_NS1_11comp_targetILNS1_3genE0ELNS1_11target_archE4294967295ELNS1_3gpuE0ELNS1_3repE0EEENS1_30default_config_static_selectorELNS0_4arch9wavefront6targetE0EEEvSQ_.num_named_barrier, 0
	.set _ZN7rocprim17ROCPRIM_400000_NS6detail17trampoline_kernelINS0_14default_configENS1_22reduce_config_selectorIiEEZNS1_11reduce_implILb1ES3_N6hipcub16HIPCUB_304000_NS22TransformInputIteratorIiN2at6native8internal21MapNumberOfTrueValuesEPKhlEEPiiNS8_6detail34convert_binary_result_type_wrapperISt4plusIvESG_iEEEE10hipError_tPvRmT1_T2_T3_mT4_P12ihipStream_tbEUlT_E0_NS1_11comp_targetILNS1_3genE0ELNS1_11target_archE4294967295ELNS1_3gpuE0ELNS1_3repE0EEENS1_30default_config_static_selectorELNS0_4arch9wavefront6targetE0EEEvSQ_.private_seg_size, 0
	.set _ZN7rocprim17ROCPRIM_400000_NS6detail17trampoline_kernelINS0_14default_configENS1_22reduce_config_selectorIiEEZNS1_11reduce_implILb1ES3_N6hipcub16HIPCUB_304000_NS22TransformInputIteratorIiN2at6native8internal21MapNumberOfTrueValuesEPKhlEEPiiNS8_6detail34convert_binary_result_type_wrapperISt4plusIvESG_iEEEE10hipError_tPvRmT1_T2_T3_mT4_P12ihipStream_tbEUlT_E0_NS1_11comp_targetILNS1_3genE0ELNS1_11target_archE4294967295ELNS1_3gpuE0ELNS1_3repE0EEENS1_30default_config_static_selectorELNS0_4arch9wavefront6targetE0EEEvSQ_.uses_vcc, 1
	.set _ZN7rocprim17ROCPRIM_400000_NS6detail17trampoline_kernelINS0_14default_configENS1_22reduce_config_selectorIiEEZNS1_11reduce_implILb1ES3_N6hipcub16HIPCUB_304000_NS22TransformInputIteratorIiN2at6native8internal21MapNumberOfTrueValuesEPKhlEEPiiNS8_6detail34convert_binary_result_type_wrapperISt4plusIvESG_iEEEE10hipError_tPvRmT1_T2_T3_mT4_P12ihipStream_tbEUlT_E0_NS1_11comp_targetILNS1_3genE0ELNS1_11target_archE4294967295ELNS1_3gpuE0ELNS1_3repE0EEENS1_30default_config_static_selectorELNS0_4arch9wavefront6targetE0EEEvSQ_.uses_flat_scratch, 0
	.set _ZN7rocprim17ROCPRIM_400000_NS6detail17trampoline_kernelINS0_14default_configENS1_22reduce_config_selectorIiEEZNS1_11reduce_implILb1ES3_N6hipcub16HIPCUB_304000_NS22TransformInputIteratorIiN2at6native8internal21MapNumberOfTrueValuesEPKhlEEPiiNS8_6detail34convert_binary_result_type_wrapperISt4plusIvESG_iEEEE10hipError_tPvRmT1_T2_T3_mT4_P12ihipStream_tbEUlT_E0_NS1_11comp_targetILNS1_3genE0ELNS1_11target_archE4294967295ELNS1_3gpuE0ELNS1_3repE0EEENS1_30default_config_static_selectorELNS0_4arch9wavefront6targetE0EEEvSQ_.has_dyn_sized_stack, 0
	.set _ZN7rocprim17ROCPRIM_400000_NS6detail17trampoline_kernelINS0_14default_configENS1_22reduce_config_selectorIiEEZNS1_11reduce_implILb1ES3_N6hipcub16HIPCUB_304000_NS22TransformInputIteratorIiN2at6native8internal21MapNumberOfTrueValuesEPKhlEEPiiNS8_6detail34convert_binary_result_type_wrapperISt4plusIvESG_iEEEE10hipError_tPvRmT1_T2_T3_mT4_P12ihipStream_tbEUlT_E0_NS1_11comp_targetILNS1_3genE0ELNS1_11target_archE4294967295ELNS1_3gpuE0ELNS1_3repE0EEENS1_30default_config_static_selectorELNS0_4arch9wavefront6targetE0EEEvSQ_.has_recursion, 0
	.set _ZN7rocprim17ROCPRIM_400000_NS6detail17trampoline_kernelINS0_14default_configENS1_22reduce_config_selectorIiEEZNS1_11reduce_implILb1ES3_N6hipcub16HIPCUB_304000_NS22TransformInputIteratorIiN2at6native8internal21MapNumberOfTrueValuesEPKhlEEPiiNS8_6detail34convert_binary_result_type_wrapperISt4plusIvESG_iEEEE10hipError_tPvRmT1_T2_T3_mT4_P12ihipStream_tbEUlT_E0_NS1_11comp_targetILNS1_3genE0ELNS1_11target_archE4294967295ELNS1_3gpuE0ELNS1_3repE0EEENS1_30default_config_static_selectorELNS0_4arch9wavefront6targetE0EEEvSQ_.has_indirect_call, 0
	.section	.AMDGPU.csdata,"",@progbits
; Kernel info:
; codeLenInByte = 1480
; TotalNumSgprs: 20
; NumVgprs: 8
; ScratchSize: 0
; MemoryBound: 0
; FloatMode: 240
; IeeeMode: 1
; LDSByteSize: 64 bytes/workgroup (compile time only)
; SGPRBlocks: 0
; VGPRBlocks: 0
; NumSGPRsForWavesPerEU: 20
; NumVGPRsForWavesPerEU: 8
; NamedBarCnt: 0
; Occupancy: 16
; WaveLimiterHint : 1
; COMPUTE_PGM_RSRC2:SCRATCH_EN: 0
; COMPUTE_PGM_RSRC2:USER_SGPR: 2
; COMPUTE_PGM_RSRC2:TRAP_HANDLER: 0
; COMPUTE_PGM_RSRC2:TGID_X_EN: 1
; COMPUTE_PGM_RSRC2:TGID_Y_EN: 0
; COMPUTE_PGM_RSRC2:TGID_Z_EN: 0
; COMPUTE_PGM_RSRC2:TIDIG_COMP_CNT: 0
	.section	.text._ZN7rocprim17ROCPRIM_400000_NS6detail17trampoline_kernelINS0_14default_configENS1_22reduce_config_selectorIiEEZNS1_11reduce_implILb1ES3_N6hipcub16HIPCUB_304000_NS22TransformInputIteratorIiN2at6native8internal21MapNumberOfTrueValuesEPKhlEEPiiNS8_6detail34convert_binary_result_type_wrapperISt4plusIvESG_iEEEE10hipError_tPvRmT1_T2_T3_mT4_P12ihipStream_tbEUlT_E0_NS1_11comp_targetILNS1_3genE5ELNS1_11target_archE942ELNS1_3gpuE9ELNS1_3repE0EEENS1_30default_config_static_selectorELNS0_4arch9wavefront6targetE0EEEvSQ_,"axG",@progbits,_ZN7rocprim17ROCPRIM_400000_NS6detail17trampoline_kernelINS0_14default_configENS1_22reduce_config_selectorIiEEZNS1_11reduce_implILb1ES3_N6hipcub16HIPCUB_304000_NS22TransformInputIteratorIiN2at6native8internal21MapNumberOfTrueValuesEPKhlEEPiiNS8_6detail34convert_binary_result_type_wrapperISt4plusIvESG_iEEEE10hipError_tPvRmT1_T2_T3_mT4_P12ihipStream_tbEUlT_E0_NS1_11comp_targetILNS1_3genE5ELNS1_11target_archE942ELNS1_3gpuE9ELNS1_3repE0EEENS1_30default_config_static_selectorELNS0_4arch9wavefront6targetE0EEEvSQ_,comdat
	.protected	_ZN7rocprim17ROCPRIM_400000_NS6detail17trampoline_kernelINS0_14default_configENS1_22reduce_config_selectorIiEEZNS1_11reduce_implILb1ES3_N6hipcub16HIPCUB_304000_NS22TransformInputIteratorIiN2at6native8internal21MapNumberOfTrueValuesEPKhlEEPiiNS8_6detail34convert_binary_result_type_wrapperISt4plusIvESG_iEEEE10hipError_tPvRmT1_T2_T3_mT4_P12ihipStream_tbEUlT_E0_NS1_11comp_targetILNS1_3genE5ELNS1_11target_archE942ELNS1_3gpuE9ELNS1_3repE0EEENS1_30default_config_static_selectorELNS0_4arch9wavefront6targetE0EEEvSQ_ ; -- Begin function _ZN7rocprim17ROCPRIM_400000_NS6detail17trampoline_kernelINS0_14default_configENS1_22reduce_config_selectorIiEEZNS1_11reduce_implILb1ES3_N6hipcub16HIPCUB_304000_NS22TransformInputIteratorIiN2at6native8internal21MapNumberOfTrueValuesEPKhlEEPiiNS8_6detail34convert_binary_result_type_wrapperISt4plusIvESG_iEEEE10hipError_tPvRmT1_T2_T3_mT4_P12ihipStream_tbEUlT_E0_NS1_11comp_targetILNS1_3genE5ELNS1_11target_archE942ELNS1_3gpuE9ELNS1_3repE0EEENS1_30default_config_static_selectorELNS0_4arch9wavefront6targetE0EEEvSQ_
	.globl	_ZN7rocprim17ROCPRIM_400000_NS6detail17trampoline_kernelINS0_14default_configENS1_22reduce_config_selectorIiEEZNS1_11reduce_implILb1ES3_N6hipcub16HIPCUB_304000_NS22TransformInputIteratorIiN2at6native8internal21MapNumberOfTrueValuesEPKhlEEPiiNS8_6detail34convert_binary_result_type_wrapperISt4plusIvESG_iEEEE10hipError_tPvRmT1_T2_T3_mT4_P12ihipStream_tbEUlT_E0_NS1_11comp_targetILNS1_3genE5ELNS1_11target_archE942ELNS1_3gpuE9ELNS1_3repE0EEENS1_30default_config_static_selectorELNS0_4arch9wavefront6targetE0EEEvSQ_
	.p2align	8
	.type	_ZN7rocprim17ROCPRIM_400000_NS6detail17trampoline_kernelINS0_14default_configENS1_22reduce_config_selectorIiEEZNS1_11reduce_implILb1ES3_N6hipcub16HIPCUB_304000_NS22TransformInputIteratorIiN2at6native8internal21MapNumberOfTrueValuesEPKhlEEPiiNS8_6detail34convert_binary_result_type_wrapperISt4plusIvESG_iEEEE10hipError_tPvRmT1_T2_T3_mT4_P12ihipStream_tbEUlT_E0_NS1_11comp_targetILNS1_3genE5ELNS1_11target_archE942ELNS1_3gpuE9ELNS1_3repE0EEENS1_30default_config_static_selectorELNS0_4arch9wavefront6targetE0EEEvSQ_,@function
_ZN7rocprim17ROCPRIM_400000_NS6detail17trampoline_kernelINS0_14default_configENS1_22reduce_config_selectorIiEEZNS1_11reduce_implILb1ES3_N6hipcub16HIPCUB_304000_NS22TransformInputIteratorIiN2at6native8internal21MapNumberOfTrueValuesEPKhlEEPiiNS8_6detail34convert_binary_result_type_wrapperISt4plusIvESG_iEEEE10hipError_tPvRmT1_T2_T3_mT4_P12ihipStream_tbEUlT_E0_NS1_11comp_targetILNS1_3genE5ELNS1_11target_archE942ELNS1_3gpuE9ELNS1_3repE0EEENS1_30default_config_static_selectorELNS0_4arch9wavefront6targetE0EEEvSQ_: ; @_ZN7rocprim17ROCPRIM_400000_NS6detail17trampoline_kernelINS0_14default_configENS1_22reduce_config_selectorIiEEZNS1_11reduce_implILb1ES3_N6hipcub16HIPCUB_304000_NS22TransformInputIteratorIiN2at6native8internal21MapNumberOfTrueValuesEPKhlEEPiiNS8_6detail34convert_binary_result_type_wrapperISt4plusIvESG_iEEEE10hipError_tPvRmT1_T2_T3_mT4_P12ihipStream_tbEUlT_E0_NS1_11comp_targetILNS1_3genE5ELNS1_11target_archE942ELNS1_3gpuE9ELNS1_3repE0EEENS1_30default_config_static_selectorELNS0_4arch9wavefront6targetE0EEEvSQ_
; %bb.0:
	.section	.rodata,"a",@progbits
	.p2align	6, 0x0
	.amdhsa_kernel _ZN7rocprim17ROCPRIM_400000_NS6detail17trampoline_kernelINS0_14default_configENS1_22reduce_config_selectorIiEEZNS1_11reduce_implILb1ES3_N6hipcub16HIPCUB_304000_NS22TransformInputIteratorIiN2at6native8internal21MapNumberOfTrueValuesEPKhlEEPiiNS8_6detail34convert_binary_result_type_wrapperISt4plusIvESG_iEEEE10hipError_tPvRmT1_T2_T3_mT4_P12ihipStream_tbEUlT_E0_NS1_11comp_targetILNS1_3genE5ELNS1_11target_archE942ELNS1_3gpuE9ELNS1_3repE0EEENS1_30default_config_static_selectorELNS0_4arch9wavefront6targetE0EEEvSQ_
		.amdhsa_group_segment_fixed_size 0
		.amdhsa_private_segment_fixed_size 0
		.amdhsa_kernarg_size 64
		.amdhsa_user_sgpr_count 2
		.amdhsa_user_sgpr_dispatch_ptr 0
		.amdhsa_user_sgpr_queue_ptr 0
		.amdhsa_user_sgpr_kernarg_segment_ptr 1
		.amdhsa_user_sgpr_dispatch_id 0
		.amdhsa_user_sgpr_kernarg_preload_length 0
		.amdhsa_user_sgpr_kernarg_preload_offset 0
		.amdhsa_user_sgpr_private_segment_size 0
		.amdhsa_wavefront_size32 1
		.amdhsa_uses_dynamic_stack 0
		.amdhsa_enable_private_segment 0
		.amdhsa_system_sgpr_workgroup_id_x 1
		.amdhsa_system_sgpr_workgroup_id_y 0
		.amdhsa_system_sgpr_workgroup_id_z 0
		.amdhsa_system_sgpr_workgroup_info 0
		.amdhsa_system_vgpr_workitem_id 0
		.amdhsa_next_free_vgpr 1
		.amdhsa_next_free_sgpr 1
		.amdhsa_named_barrier_count 0
		.amdhsa_reserve_vcc 0
		.amdhsa_float_round_mode_32 0
		.amdhsa_float_round_mode_16_64 0
		.amdhsa_float_denorm_mode_32 3
		.amdhsa_float_denorm_mode_16_64 3
		.amdhsa_fp16_overflow 0
		.amdhsa_memory_ordered 1
		.amdhsa_forward_progress 1
		.amdhsa_inst_pref_size 0
		.amdhsa_round_robin_scheduling 0
		.amdhsa_exception_fp_ieee_invalid_op 0
		.amdhsa_exception_fp_denorm_src 0
		.amdhsa_exception_fp_ieee_div_zero 0
		.amdhsa_exception_fp_ieee_overflow 0
		.amdhsa_exception_fp_ieee_underflow 0
		.amdhsa_exception_fp_ieee_inexact 0
		.amdhsa_exception_int_div_zero 0
	.end_amdhsa_kernel
	.section	.text._ZN7rocprim17ROCPRIM_400000_NS6detail17trampoline_kernelINS0_14default_configENS1_22reduce_config_selectorIiEEZNS1_11reduce_implILb1ES3_N6hipcub16HIPCUB_304000_NS22TransformInputIteratorIiN2at6native8internal21MapNumberOfTrueValuesEPKhlEEPiiNS8_6detail34convert_binary_result_type_wrapperISt4plusIvESG_iEEEE10hipError_tPvRmT1_T2_T3_mT4_P12ihipStream_tbEUlT_E0_NS1_11comp_targetILNS1_3genE5ELNS1_11target_archE942ELNS1_3gpuE9ELNS1_3repE0EEENS1_30default_config_static_selectorELNS0_4arch9wavefront6targetE0EEEvSQ_,"axG",@progbits,_ZN7rocprim17ROCPRIM_400000_NS6detail17trampoline_kernelINS0_14default_configENS1_22reduce_config_selectorIiEEZNS1_11reduce_implILb1ES3_N6hipcub16HIPCUB_304000_NS22TransformInputIteratorIiN2at6native8internal21MapNumberOfTrueValuesEPKhlEEPiiNS8_6detail34convert_binary_result_type_wrapperISt4plusIvESG_iEEEE10hipError_tPvRmT1_T2_T3_mT4_P12ihipStream_tbEUlT_E0_NS1_11comp_targetILNS1_3genE5ELNS1_11target_archE942ELNS1_3gpuE9ELNS1_3repE0EEENS1_30default_config_static_selectorELNS0_4arch9wavefront6targetE0EEEvSQ_,comdat
.Lfunc_end116:
	.size	_ZN7rocprim17ROCPRIM_400000_NS6detail17trampoline_kernelINS0_14default_configENS1_22reduce_config_selectorIiEEZNS1_11reduce_implILb1ES3_N6hipcub16HIPCUB_304000_NS22TransformInputIteratorIiN2at6native8internal21MapNumberOfTrueValuesEPKhlEEPiiNS8_6detail34convert_binary_result_type_wrapperISt4plusIvESG_iEEEE10hipError_tPvRmT1_T2_T3_mT4_P12ihipStream_tbEUlT_E0_NS1_11comp_targetILNS1_3genE5ELNS1_11target_archE942ELNS1_3gpuE9ELNS1_3repE0EEENS1_30default_config_static_selectorELNS0_4arch9wavefront6targetE0EEEvSQ_, .Lfunc_end116-_ZN7rocprim17ROCPRIM_400000_NS6detail17trampoline_kernelINS0_14default_configENS1_22reduce_config_selectorIiEEZNS1_11reduce_implILb1ES3_N6hipcub16HIPCUB_304000_NS22TransformInputIteratorIiN2at6native8internal21MapNumberOfTrueValuesEPKhlEEPiiNS8_6detail34convert_binary_result_type_wrapperISt4plusIvESG_iEEEE10hipError_tPvRmT1_T2_T3_mT4_P12ihipStream_tbEUlT_E0_NS1_11comp_targetILNS1_3genE5ELNS1_11target_archE942ELNS1_3gpuE9ELNS1_3repE0EEENS1_30default_config_static_selectorELNS0_4arch9wavefront6targetE0EEEvSQ_
                                        ; -- End function
	.set _ZN7rocprim17ROCPRIM_400000_NS6detail17trampoline_kernelINS0_14default_configENS1_22reduce_config_selectorIiEEZNS1_11reduce_implILb1ES3_N6hipcub16HIPCUB_304000_NS22TransformInputIteratorIiN2at6native8internal21MapNumberOfTrueValuesEPKhlEEPiiNS8_6detail34convert_binary_result_type_wrapperISt4plusIvESG_iEEEE10hipError_tPvRmT1_T2_T3_mT4_P12ihipStream_tbEUlT_E0_NS1_11comp_targetILNS1_3genE5ELNS1_11target_archE942ELNS1_3gpuE9ELNS1_3repE0EEENS1_30default_config_static_selectorELNS0_4arch9wavefront6targetE0EEEvSQ_.num_vgpr, 0
	.set _ZN7rocprim17ROCPRIM_400000_NS6detail17trampoline_kernelINS0_14default_configENS1_22reduce_config_selectorIiEEZNS1_11reduce_implILb1ES3_N6hipcub16HIPCUB_304000_NS22TransformInputIteratorIiN2at6native8internal21MapNumberOfTrueValuesEPKhlEEPiiNS8_6detail34convert_binary_result_type_wrapperISt4plusIvESG_iEEEE10hipError_tPvRmT1_T2_T3_mT4_P12ihipStream_tbEUlT_E0_NS1_11comp_targetILNS1_3genE5ELNS1_11target_archE942ELNS1_3gpuE9ELNS1_3repE0EEENS1_30default_config_static_selectorELNS0_4arch9wavefront6targetE0EEEvSQ_.num_agpr, 0
	.set _ZN7rocprim17ROCPRIM_400000_NS6detail17trampoline_kernelINS0_14default_configENS1_22reduce_config_selectorIiEEZNS1_11reduce_implILb1ES3_N6hipcub16HIPCUB_304000_NS22TransformInputIteratorIiN2at6native8internal21MapNumberOfTrueValuesEPKhlEEPiiNS8_6detail34convert_binary_result_type_wrapperISt4plusIvESG_iEEEE10hipError_tPvRmT1_T2_T3_mT4_P12ihipStream_tbEUlT_E0_NS1_11comp_targetILNS1_3genE5ELNS1_11target_archE942ELNS1_3gpuE9ELNS1_3repE0EEENS1_30default_config_static_selectorELNS0_4arch9wavefront6targetE0EEEvSQ_.numbered_sgpr, 0
	.set _ZN7rocprim17ROCPRIM_400000_NS6detail17trampoline_kernelINS0_14default_configENS1_22reduce_config_selectorIiEEZNS1_11reduce_implILb1ES3_N6hipcub16HIPCUB_304000_NS22TransformInputIteratorIiN2at6native8internal21MapNumberOfTrueValuesEPKhlEEPiiNS8_6detail34convert_binary_result_type_wrapperISt4plusIvESG_iEEEE10hipError_tPvRmT1_T2_T3_mT4_P12ihipStream_tbEUlT_E0_NS1_11comp_targetILNS1_3genE5ELNS1_11target_archE942ELNS1_3gpuE9ELNS1_3repE0EEENS1_30default_config_static_selectorELNS0_4arch9wavefront6targetE0EEEvSQ_.num_named_barrier, 0
	.set _ZN7rocprim17ROCPRIM_400000_NS6detail17trampoline_kernelINS0_14default_configENS1_22reduce_config_selectorIiEEZNS1_11reduce_implILb1ES3_N6hipcub16HIPCUB_304000_NS22TransformInputIteratorIiN2at6native8internal21MapNumberOfTrueValuesEPKhlEEPiiNS8_6detail34convert_binary_result_type_wrapperISt4plusIvESG_iEEEE10hipError_tPvRmT1_T2_T3_mT4_P12ihipStream_tbEUlT_E0_NS1_11comp_targetILNS1_3genE5ELNS1_11target_archE942ELNS1_3gpuE9ELNS1_3repE0EEENS1_30default_config_static_selectorELNS0_4arch9wavefront6targetE0EEEvSQ_.private_seg_size, 0
	.set _ZN7rocprim17ROCPRIM_400000_NS6detail17trampoline_kernelINS0_14default_configENS1_22reduce_config_selectorIiEEZNS1_11reduce_implILb1ES3_N6hipcub16HIPCUB_304000_NS22TransformInputIteratorIiN2at6native8internal21MapNumberOfTrueValuesEPKhlEEPiiNS8_6detail34convert_binary_result_type_wrapperISt4plusIvESG_iEEEE10hipError_tPvRmT1_T2_T3_mT4_P12ihipStream_tbEUlT_E0_NS1_11comp_targetILNS1_3genE5ELNS1_11target_archE942ELNS1_3gpuE9ELNS1_3repE0EEENS1_30default_config_static_selectorELNS0_4arch9wavefront6targetE0EEEvSQ_.uses_vcc, 0
	.set _ZN7rocprim17ROCPRIM_400000_NS6detail17trampoline_kernelINS0_14default_configENS1_22reduce_config_selectorIiEEZNS1_11reduce_implILb1ES3_N6hipcub16HIPCUB_304000_NS22TransformInputIteratorIiN2at6native8internal21MapNumberOfTrueValuesEPKhlEEPiiNS8_6detail34convert_binary_result_type_wrapperISt4plusIvESG_iEEEE10hipError_tPvRmT1_T2_T3_mT4_P12ihipStream_tbEUlT_E0_NS1_11comp_targetILNS1_3genE5ELNS1_11target_archE942ELNS1_3gpuE9ELNS1_3repE0EEENS1_30default_config_static_selectorELNS0_4arch9wavefront6targetE0EEEvSQ_.uses_flat_scratch, 0
	.set _ZN7rocprim17ROCPRIM_400000_NS6detail17trampoline_kernelINS0_14default_configENS1_22reduce_config_selectorIiEEZNS1_11reduce_implILb1ES3_N6hipcub16HIPCUB_304000_NS22TransformInputIteratorIiN2at6native8internal21MapNumberOfTrueValuesEPKhlEEPiiNS8_6detail34convert_binary_result_type_wrapperISt4plusIvESG_iEEEE10hipError_tPvRmT1_T2_T3_mT4_P12ihipStream_tbEUlT_E0_NS1_11comp_targetILNS1_3genE5ELNS1_11target_archE942ELNS1_3gpuE9ELNS1_3repE0EEENS1_30default_config_static_selectorELNS0_4arch9wavefront6targetE0EEEvSQ_.has_dyn_sized_stack, 0
	.set _ZN7rocprim17ROCPRIM_400000_NS6detail17trampoline_kernelINS0_14default_configENS1_22reduce_config_selectorIiEEZNS1_11reduce_implILb1ES3_N6hipcub16HIPCUB_304000_NS22TransformInputIteratorIiN2at6native8internal21MapNumberOfTrueValuesEPKhlEEPiiNS8_6detail34convert_binary_result_type_wrapperISt4plusIvESG_iEEEE10hipError_tPvRmT1_T2_T3_mT4_P12ihipStream_tbEUlT_E0_NS1_11comp_targetILNS1_3genE5ELNS1_11target_archE942ELNS1_3gpuE9ELNS1_3repE0EEENS1_30default_config_static_selectorELNS0_4arch9wavefront6targetE0EEEvSQ_.has_recursion, 0
	.set _ZN7rocprim17ROCPRIM_400000_NS6detail17trampoline_kernelINS0_14default_configENS1_22reduce_config_selectorIiEEZNS1_11reduce_implILb1ES3_N6hipcub16HIPCUB_304000_NS22TransformInputIteratorIiN2at6native8internal21MapNumberOfTrueValuesEPKhlEEPiiNS8_6detail34convert_binary_result_type_wrapperISt4plusIvESG_iEEEE10hipError_tPvRmT1_T2_T3_mT4_P12ihipStream_tbEUlT_E0_NS1_11comp_targetILNS1_3genE5ELNS1_11target_archE942ELNS1_3gpuE9ELNS1_3repE0EEENS1_30default_config_static_selectorELNS0_4arch9wavefront6targetE0EEEvSQ_.has_indirect_call, 0
	.section	.AMDGPU.csdata,"",@progbits
; Kernel info:
; codeLenInByte = 0
; TotalNumSgprs: 0
; NumVgprs: 0
; ScratchSize: 0
; MemoryBound: 0
; FloatMode: 240
; IeeeMode: 1
; LDSByteSize: 0 bytes/workgroup (compile time only)
; SGPRBlocks: 0
; VGPRBlocks: 0
; NumSGPRsForWavesPerEU: 1
; NumVGPRsForWavesPerEU: 1
; NamedBarCnt: 0
; Occupancy: 16
; WaveLimiterHint : 0
; COMPUTE_PGM_RSRC2:SCRATCH_EN: 0
; COMPUTE_PGM_RSRC2:USER_SGPR: 2
; COMPUTE_PGM_RSRC2:TRAP_HANDLER: 0
; COMPUTE_PGM_RSRC2:TGID_X_EN: 1
; COMPUTE_PGM_RSRC2:TGID_Y_EN: 0
; COMPUTE_PGM_RSRC2:TGID_Z_EN: 0
; COMPUTE_PGM_RSRC2:TIDIG_COMP_CNT: 0
	.section	.text._ZN7rocprim17ROCPRIM_400000_NS6detail17trampoline_kernelINS0_14default_configENS1_22reduce_config_selectorIiEEZNS1_11reduce_implILb1ES3_N6hipcub16HIPCUB_304000_NS22TransformInputIteratorIiN2at6native8internal21MapNumberOfTrueValuesEPKhlEEPiiNS8_6detail34convert_binary_result_type_wrapperISt4plusIvESG_iEEEE10hipError_tPvRmT1_T2_T3_mT4_P12ihipStream_tbEUlT_E0_NS1_11comp_targetILNS1_3genE4ELNS1_11target_archE910ELNS1_3gpuE8ELNS1_3repE0EEENS1_30default_config_static_selectorELNS0_4arch9wavefront6targetE0EEEvSQ_,"axG",@progbits,_ZN7rocprim17ROCPRIM_400000_NS6detail17trampoline_kernelINS0_14default_configENS1_22reduce_config_selectorIiEEZNS1_11reduce_implILb1ES3_N6hipcub16HIPCUB_304000_NS22TransformInputIteratorIiN2at6native8internal21MapNumberOfTrueValuesEPKhlEEPiiNS8_6detail34convert_binary_result_type_wrapperISt4plusIvESG_iEEEE10hipError_tPvRmT1_T2_T3_mT4_P12ihipStream_tbEUlT_E0_NS1_11comp_targetILNS1_3genE4ELNS1_11target_archE910ELNS1_3gpuE8ELNS1_3repE0EEENS1_30default_config_static_selectorELNS0_4arch9wavefront6targetE0EEEvSQ_,comdat
	.protected	_ZN7rocprim17ROCPRIM_400000_NS6detail17trampoline_kernelINS0_14default_configENS1_22reduce_config_selectorIiEEZNS1_11reduce_implILb1ES3_N6hipcub16HIPCUB_304000_NS22TransformInputIteratorIiN2at6native8internal21MapNumberOfTrueValuesEPKhlEEPiiNS8_6detail34convert_binary_result_type_wrapperISt4plusIvESG_iEEEE10hipError_tPvRmT1_T2_T3_mT4_P12ihipStream_tbEUlT_E0_NS1_11comp_targetILNS1_3genE4ELNS1_11target_archE910ELNS1_3gpuE8ELNS1_3repE0EEENS1_30default_config_static_selectorELNS0_4arch9wavefront6targetE0EEEvSQ_ ; -- Begin function _ZN7rocprim17ROCPRIM_400000_NS6detail17trampoline_kernelINS0_14default_configENS1_22reduce_config_selectorIiEEZNS1_11reduce_implILb1ES3_N6hipcub16HIPCUB_304000_NS22TransformInputIteratorIiN2at6native8internal21MapNumberOfTrueValuesEPKhlEEPiiNS8_6detail34convert_binary_result_type_wrapperISt4plusIvESG_iEEEE10hipError_tPvRmT1_T2_T3_mT4_P12ihipStream_tbEUlT_E0_NS1_11comp_targetILNS1_3genE4ELNS1_11target_archE910ELNS1_3gpuE8ELNS1_3repE0EEENS1_30default_config_static_selectorELNS0_4arch9wavefront6targetE0EEEvSQ_
	.globl	_ZN7rocprim17ROCPRIM_400000_NS6detail17trampoline_kernelINS0_14default_configENS1_22reduce_config_selectorIiEEZNS1_11reduce_implILb1ES3_N6hipcub16HIPCUB_304000_NS22TransformInputIteratorIiN2at6native8internal21MapNumberOfTrueValuesEPKhlEEPiiNS8_6detail34convert_binary_result_type_wrapperISt4plusIvESG_iEEEE10hipError_tPvRmT1_T2_T3_mT4_P12ihipStream_tbEUlT_E0_NS1_11comp_targetILNS1_3genE4ELNS1_11target_archE910ELNS1_3gpuE8ELNS1_3repE0EEENS1_30default_config_static_selectorELNS0_4arch9wavefront6targetE0EEEvSQ_
	.p2align	8
	.type	_ZN7rocprim17ROCPRIM_400000_NS6detail17trampoline_kernelINS0_14default_configENS1_22reduce_config_selectorIiEEZNS1_11reduce_implILb1ES3_N6hipcub16HIPCUB_304000_NS22TransformInputIteratorIiN2at6native8internal21MapNumberOfTrueValuesEPKhlEEPiiNS8_6detail34convert_binary_result_type_wrapperISt4plusIvESG_iEEEE10hipError_tPvRmT1_T2_T3_mT4_P12ihipStream_tbEUlT_E0_NS1_11comp_targetILNS1_3genE4ELNS1_11target_archE910ELNS1_3gpuE8ELNS1_3repE0EEENS1_30default_config_static_selectorELNS0_4arch9wavefront6targetE0EEEvSQ_,@function
_ZN7rocprim17ROCPRIM_400000_NS6detail17trampoline_kernelINS0_14default_configENS1_22reduce_config_selectorIiEEZNS1_11reduce_implILb1ES3_N6hipcub16HIPCUB_304000_NS22TransformInputIteratorIiN2at6native8internal21MapNumberOfTrueValuesEPKhlEEPiiNS8_6detail34convert_binary_result_type_wrapperISt4plusIvESG_iEEEE10hipError_tPvRmT1_T2_T3_mT4_P12ihipStream_tbEUlT_E0_NS1_11comp_targetILNS1_3genE4ELNS1_11target_archE910ELNS1_3gpuE8ELNS1_3repE0EEENS1_30default_config_static_selectorELNS0_4arch9wavefront6targetE0EEEvSQ_: ; @_ZN7rocprim17ROCPRIM_400000_NS6detail17trampoline_kernelINS0_14default_configENS1_22reduce_config_selectorIiEEZNS1_11reduce_implILb1ES3_N6hipcub16HIPCUB_304000_NS22TransformInputIteratorIiN2at6native8internal21MapNumberOfTrueValuesEPKhlEEPiiNS8_6detail34convert_binary_result_type_wrapperISt4plusIvESG_iEEEE10hipError_tPvRmT1_T2_T3_mT4_P12ihipStream_tbEUlT_E0_NS1_11comp_targetILNS1_3genE4ELNS1_11target_archE910ELNS1_3gpuE8ELNS1_3repE0EEENS1_30default_config_static_selectorELNS0_4arch9wavefront6targetE0EEEvSQ_
; %bb.0:
	.section	.rodata,"a",@progbits
	.p2align	6, 0x0
	.amdhsa_kernel _ZN7rocprim17ROCPRIM_400000_NS6detail17trampoline_kernelINS0_14default_configENS1_22reduce_config_selectorIiEEZNS1_11reduce_implILb1ES3_N6hipcub16HIPCUB_304000_NS22TransformInputIteratorIiN2at6native8internal21MapNumberOfTrueValuesEPKhlEEPiiNS8_6detail34convert_binary_result_type_wrapperISt4plusIvESG_iEEEE10hipError_tPvRmT1_T2_T3_mT4_P12ihipStream_tbEUlT_E0_NS1_11comp_targetILNS1_3genE4ELNS1_11target_archE910ELNS1_3gpuE8ELNS1_3repE0EEENS1_30default_config_static_selectorELNS0_4arch9wavefront6targetE0EEEvSQ_
		.amdhsa_group_segment_fixed_size 0
		.amdhsa_private_segment_fixed_size 0
		.amdhsa_kernarg_size 64
		.amdhsa_user_sgpr_count 2
		.amdhsa_user_sgpr_dispatch_ptr 0
		.amdhsa_user_sgpr_queue_ptr 0
		.amdhsa_user_sgpr_kernarg_segment_ptr 1
		.amdhsa_user_sgpr_dispatch_id 0
		.amdhsa_user_sgpr_kernarg_preload_length 0
		.amdhsa_user_sgpr_kernarg_preload_offset 0
		.amdhsa_user_sgpr_private_segment_size 0
		.amdhsa_wavefront_size32 1
		.amdhsa_uses_dynamic_stack 0
		.amdhsa_enable_private_segment 0
		.amdhsa_system_sgpr_workgroup_id_x 1
		.amdhsa_system_sgpr_workgroup_id_y 0
		.amdhsa_system_sgpr_workgroup_id_z 0
		.amdhsa_system_sgpr_workgroup_info 0
		.amdhsa_system_vgpr_workitem_id 0
		.amdhsa_next_free_vgpr 1
		.amdhsa_next_free_sgpr 1
		.amdhsa_named_barrier_count 0
		.amdhsa_reserve_vcc 0
		.amdhsa_float_round_mode_32 0
		.amdhsa_float_round_mode_16_64 0
		.amdhsa_float_denorm_mode_32 3
		.amdhsa_float_denorm_mode_16_64 3
		.amdhsa_fp16_overflow 0
		.amdhsa_memory_ordered 1
		.amdhsa_forward_progress 1
		.amdhsa_inst_pref_size 0
		.amdhsa_round_robin_scheduling 0
		.amdhsa_exception_fp_ieee_invalid_op 0
		.amdhsa_exception_fp_denorm_src 0
		.amdhsa_exception_fp_ieee_div_zero 0
		.amdhsa_exception_fp_ieee_overflow 0
		.amdhsa_exception_fp_ieee_underflow 0
		.amdhsa_exception_fp_ieee_inexact 0
		.amdhsa_exception_int_div_zero 0
	.end_amdhsa_kernel
	.section	.text._ZN7rocprim17ROCPRIM_400000_NS6detail17trampoline_kernelINS0_14default_configENS1_22reduce_config_selectorIiEEZNS1_11reduce_implILb1ES3_N6hipcub16HIPCUB_304000_NS22TransformInputIteratorIiN2at6native8internal21MapNumberOfTrueValuesEPKhlEEPiiNS8_6detail34convert_binary_result_type_wrapperISt4plusIvESG_iEEEE10hipError_tPvRmT1_T2_T3_mT4_P12ihipStream_tbEUlT_E0_NS1_11comp_targetILNS1_3genE4ELNS1_11target_archE910ELNS1_3gpuE8ELNS1_3repE0EEENS1_30default_config_static_selectorELNS0_4arch9wavefront6targetE0EEEvSQ_,"axG",@progbits,_ZN7rocprim17ROCPRIM_400000_NS6detail17trampoline_kernelINS0_14default_configENS1_22reduce_config_selectorIiEEZNS1_11reduce_implILb1ES3_N6hipcub16HIPCUB_304000_NS22TransformInputIteratorIiN2at6native8internal21MapNumberOfTrueValuesEPKhlEEPiiNS8_6detail34convert_binary_result_type_wrapperISt4plusIvESG_iEEEE10hipError_tPvRmT1_T2_T3_mT4_P12ihipStream_tbEUlT_E0_NS1_11comp_targetILNS1_3genE4ELNS1_11target_archE910ELNS1_3gpuE8ELNS1_3repE0EEENS1_30default_config_static_selectorELNS0_4arch9wavefront6targetE0EEEvSQ_,comdat
.Lfunc_end117:
	.size	_ZN7rocprim17ROCPRIM_400000_NS6detail17trampoline_kernelINS0_14default_configENS1_22reduce_config_selectorIiEEZNS1_11reduce_implILb1ES3_N6hipcub16HIPCUB_304000_NS22TransformInputIteratorIiN2at6native8internal21MapNumberOfTrueValuesEPKhlEEPiiNS8_6detail34convert_binary_result_type_wrapperISt4plusIvESG_iEEEE10hipError_tPvRmT1_T2_T3_mT4_P12ihipStream_tbEUlT_E0_NS1_11comp_targetILNS1_3genE4ELNS1_11target_archE910ELNS1_3gpuE8ELNS1_3repE0EEENS1_30default_config_static_selectorELNS0_4arch9wavefront6targetE0EEEvSQ_, .Lfunc_end117-_ZN7rocprim17ROCPRIM_400000_NS6detail17trampoline_kernelINS0_14default_configENS1_22reduce_config_selectorIiEEZNS1_11reduce_implILb1ES3_N6hipcub16HIPCUB_304000_NS22TransformInputIteratorIiN2at6native8internal21MapNumberOfTrueValuesEPKhlEEPiiNS8_6detail34convert_binary_result_type_wrapperISt4plusIvESG_iEEEE10hipError_tPvRmT1_T2_T3_mT4_P12ihipStream_tbEUlT_E0_NS1_11comp_targetILNS1_3genE4ELNS1_11target_archE910ELNS1_3gpuE8ELNS1_3repE0EEENS1_30default_config_static_selectorELNS0_4arch9wavefront6targetE0EEEvSQ_
                                        ; -- End function
	.set _ZN7rocprim17ROCPRIM_400000_NS6detail17trampoline_kernelINS0_14default_configENS1_22reduce_config_selectorIiEEZNS1_11reduce_implILb1ES3_N6hipcub16HIPCUB_304000_NS22TransformInputIteratorIiN2at6native8internal21MapNumberOfTrueValuesEPKhlEEPiiNS8_6detail34convert_binary_result_type_wrapperISt4plusIvESG_iEEEE10hipError_tPvRmT1_T2_T3_mT4_P12ihipStream_tbEUlT_E0_NS1_11comp_targetILNS1_3genE4ELNS1_11target_archE910ELNS1_3gpuE8ELNS1_3repE0EEENS1_30default_config_static_selectorELNS0_4arch9wavefront6targetE0EEEvSQ_.num_vgpr, 0
	.set _ZN7rocprim17ROCPRIM_400000_NS6detail17trampoline_kernelINS0_14default_configENS1_22reduce_config_selectorIiEEZNS1_11reduce_implILb1ES3_N6hipcub16HIPCUB_304000_NS22TransformInputIteratorIiN2at6native8internal21MapNumberOfTrueValuesEPKhlEEPiiNS8_6detail34convert_binary_result_type_wrapperISt4plusIvESG_iEEEE10hipError_tPvRmT1_T2_T3_mT4_P12ihipStream_tbEUlT_E0_NS1_11comp_targetILNS1_3genE4ELNS1_11target_archE910ELNS1_3gpuE8ELNS1_3repE0EEENS1_30default_config_static_selectorELNS0_4arch9wavefront6targetE0EEEvSQ_.num_agpr, 0
	.set _ZN7rocprim17ROCPRIM_400000_NS6detail17trampoline_kernelINS0_14default_configENS1_22reduce_config_selectorIiEEZNS1_11reduce_implILb1ES3_N6hipcub16HIPCUB_304000_NS22TransformInputIteratorIiN2at6native8internal21MapNumberOfTrueValuesEPKhlEEPiiNS8_6detail34convert_binary_result_type_wrapperISt4plusIvESG_iEEEE10hipError_tPvRmT1_T2_T3_mT4_P12ihipStream_tbEUlT_E0_NS1_11comp_targetILNS1_3genE4ELNS1_11target_archE910ELNS1_3gpuE8ELNS1_3repE0EEENS1_30default_config_static_selectorELNS0_4arch9wavefront6targetE0EEEvSQ_.numbered_sgpr, 0
	.set _ZN7rocprim17ROCPRIM_400000_NS6detail17trampoline_kernelINS0_14default_configENS1_22reduce_config_selectorIiEEZNS1_11reduce_implILb1ES3_N6hipcub16HIPCUB_304000_NS22TransformInputIteratorIiN2at6native8internal21MapNumberOfTrueValuesEPKhlEEPiiNS8_6detail34convert_binary_result_type_wrapperISt4plusIvESG_iEEEE10hipError_tPvRmT1_T2_T3_mT4_P12ihipStream_tbEUlT_E0_NS1_11comp_targetILNS1_3genE4ELNS1_11target_archE910ELNS1_3gpuE8ELNS1_3repE0EEENS1_30default_config_static_selectorELNS0_4arch9wavefront6targetE0EEEvSQ_.num_named_barrier, 0
	.set _ZN7rocprim17ROCPRIM_400000_NS6detail17trampoline_kernelINS0_14default_configENS1_22reduce_config_selectorIiEEZNS1_11reduce_implILb1ES3_N6hipcub16HIPCUB_304000_NS22TransformInputIteratorIiN2at6native8internal21MapNumberOfTrueValuesEPKhlEEPiiNS8_6detail34convert_binary_result_type_wrapperISt4plusIvESG_iEEEE10hipError_tPvRmT1_T2_T3_mT4_P12ihipStream_tbEUlT_E0_NS1_11comp_targetILNS1_3genE4ELNS1_11target_archE910ELNS1_3gpuE8ELNS1_3repE0EEENS1_30default_config_static_selectorELNS0_4arch9wavefront6targetE0EEEvSQ_.private_seg_size, 0
	.set _ZN7rocprim17ROCPRIM_400000_NS6detail17trampoline_kernelINS0_14default_configENS1_22reduce_config_selectorIiEEZNS1_11reduce_implILb1ES3_N6hipcub16HIPCUB_304000_NS22TransformInputIteratorIiN2at6native8internal21MapNumberOfTrueValuesEPKhlEEPiiNS8_6detail34convert_binary_result_type_wrapperISt4plusIvESG_iEEEE10hipError_tPvRmT1_T2_T3_mT4_P12ihipStream_tbEUlT_E0_NS1_11comp_targetILNS1_3genE4ELNS1_11target_archE910ELNS1_3gpuE8ELNS1_3repE0EEENS1_30default_config_static_selectorELNS0_4arch9wavefront6targetE0EEEvSQ_.uses_vcc, 0
	.set _ZN7rocprim17ROCPRIM_400000_NS6detail17trampoline_kernelINS0_14default_configENS1_22reduce_config_selectorIiEEZNS1_11reduce_implILb1ES3_N6hipcub16HIPCUB_304000_NS22TransformInputIteratorIiN2at6native8internal21MapNumberOfTrueValuesEPKhlEEPiiNS8_6detail34convert_binary_result_type_wrapperISt4plusIvESG_iEEEE10hipError_tPvRmT1_T2_T3_mT4_P12ihipStream_tbEUlT_E0_NS1_11comp_targetILNS1_3genE4ELNS1_11target_archE910ELNS1_3gpuE8ELNS1_3repE0EEENS1_30default_config_static_selectorELNS0_4arch9wavefront6targetE0EEEvSQ_.uses_flat_scratch, 0
	.set _ZN7rocprim17ROCPRIM_400000_NS6detail17trampoline_kernelINS0_14default_configENS1_22reduce_config_selectorIiEEZNS1_11reduce_implILb1ES3_N6hipcub16HIPCUB_304000_NS22TransformInputIteratorIiN2at6native8internal21MapNumberOfTrueValuesEPKhlEEPiiNS8_6detail34convert_binary_result_type_wrapperISt4plusIvESG_iEEEE10hipError_tPvRmT1_T2_T3_mT4_P12ihipStream_tbEUlT_E0_NS1_11comp_targetILNS1_3genE4ELNS1_11target_archE910ELNS1_3gpuE8ELNS1_3repE0EEENS1_30default_config_static_selectorELNS0_4arch9wavefront6targetE0EEEvSQ_.has_dyn_sized_stack, 0
	.set _ZN7rocprim17ROCPRIM_400000_NS6detail17trampoline_kernelINS0_14default_configENS1_22reduce_config_selectorIiEEZNS1_11reduce_implILb1ES3_N6hipcub16HIPCUB_304000_NS22TransformInputIteratorIiN2at6native8internal21MapNumberOfTrueValuesEPKhlEEPiiNS8_6detail34convert_binary_result_type_wrapperISt4plusIvESG_iEEEE10hipError_tPvRmT1_T2_T3_mT4_P12ihipStream_tbEUlT_E0_NS1_11comp_targetILNS1_3genE4ELNS1_11target_archE910ELNS1_3gpuE8ELNS1_3repE0EEENS1_30default_config_static_selectorELNS0_4arch9wavefront6targetE0EEEvSQ_.has_recursion, 0
	.set _ZN7rocprim17ROCPRIM_400000_NS6detail17trampoline_kernelINS0_14default_configENS1_22reduce_config_selectorIiEEZNS1_11reduce_implILb1ES3_N6hipcub16HIPCUB_304000_NS22TransformInputIteratorIiN2at6native8internal21MapNumberOfTrueValuesEPKhlEEPiiNS8_6detail34convert_binary_result_type_wrapperISt4plusIvESG_iEEEE10hipError_tPvRmT1_T2_T3_mT4_P12ihipStream_tbEUlT_E0_NS1_11comp_targetILNS1_3genE4ELNS1_11target_archE910ELNS1_3gpuE8ELNS1_3repE0EEENS1_30default_config_static_selectorELNS0_4arch9wavefront6targetE0EEEvSQ_.has_indirect_call, 0
	.section	.AMDGPU.csdata,"",@progbits
; Kernel info:
; codeLenInByte = 0
; TotalNumSgprs: 0
; NumVgprs: 0
; ScratchSize: 0
; MemoryBound: 0
; FloatMode: 240
; IeeeMode: 1
; LDSByteSize: 0 bytes/workgroup (compile time only)
; SGPRBlocks: 0
; VGPRBlocks: 0
; NumSGPRsForWavesPerEU: 1
; NumVGPRsForWavesPerEU: 1
; NamedBarCnt: 0
; Occupancy: 16
; WaveLimiterHint : 0
; COMPUTE_PGM_RSRC2:SCRATCH_EN: 0
; COMPUTE_PGM_RSRC2:USER_SGPR: 2
; COMPUTE_PGM_RSRC2:TRAP_HANDLER: 0
; COMPUTE_PGM_RSRC2:TGID_X_EN: 1
; COMPUTE_PGM_RSRC2:TGID_Y_EN: 0
; COMPUTE_PGM_RSRC2:TGID_Z_EN: 0
; COMPUTE_PGM_RSRC2:TIDIG_COMP_CNT: 0
	.section	.text._ZN7rocprim17ROCPRIM_400000_NS6detail17trampoline_kernelINS0_14default_configENS1_22reduce_config_selectorIiEEZNS1_11reduce_implILb1ES3_N6hipcub16HIPCUB_304000_NS22TransformInputIteratorIiN2at6native8internal21MapNumberOfTrueValuesEPKhlEEPiiNS8_6detail34convert_binary_result_type_wrapperISt4plusIvESG_iEEEE10hipError_tPvRmT1_T2_T3_mT4_P12ihipStream_tbEUlT_E0_NS1_11comp_targetILNS1_3genE3ELNS1_11target_archE908ELNS1_3gpuE7ELNS1_3repE0EEENS1_30default_config_static_selectorELNS0_4arch9wavefront6targetE0EEEvSQ_,"axG",@progbits,_ZN7rocprim17ROCPRIM_400000_NS6detail17trampoline_kernelINS0_14default_configENS1_22reduce_config_selectorIiEEZNS1_11reduce_implILb1ES3_N6hipcub16HIPCUB_304000_NS22TransformInputIteratorIiN2at6native8internal21MapNumberOfTrueValuesEPKhlEEPiiNS8_6detail34convert_binary_result_type_wrapperISt4plusIvESG_iEEEE10hipError_tPvRmT1_T2_T3_mT4_P12ihipStream_tbEUlT_E0_NS1_11comp_targetILNS1_3genE3ELNS1_11target_archE908ELNS1_3gpuE7ELNS1_3repE0EEENS1_30default_config_static_selectorELNS0_4arch9wavefront6targetE0EEEvSQ_,comdat
	.protected	_ZN7rocprim17ROCPRIM_400000_NS6detail17trampoline_kernelINS0_14default_configENS1_22reduce_config_selectorIiEEZNS1_11reduce_implILb1ES3_N6hipcub16HIPCUB_304000_NS22TransformInputIteratorIiN2at6native8internal21MapNumberOfTrueValuesEPKhlEEPiiNS8_6detail34convert_binary_result_type_wrapperISt4plusIvESG_iEEEE10hipError_tPvRmT1_T2_T3_mT4_P12ihipStream_tbEUlT_E0_NS1_11comp_targetILNS1_3genE3ELNS1_11target_archE908ELNS1_3gpuE7ELNS1_3repE0EEENS1_30default_config_static_selectorELNS0_4arch9wavefront6targetE0EEEvSQ_ ; -- Begin function _ZN7rocprim17ROCPRIM_400000_NS6detail17trampoline_kernelINS0_14default_configENS1_22reduce_config_selectorIiEEZNS1_11reduce_implILb1ES3_N6hipcub16HIPCUB_304000_NS22TransformInputIteratorIiN2at6native8internal21MapNumberOfTrueValuesEPKhlEEPiiNS8_6detail34convert_binary_result_type_wrapperISt4plusIvESG_iEEEE10hipError_tPvRmT1_T2_T3_mT4_P12ihipStream_tbEUlT_E0_NS1_11comp_targetILNS1_3genE3ELNS1_11target_archE908ELNS1_3gpuE7ELNS1_3repE0EEENS1_30default_config_static_selectorELNS0_4arch9wavefront6targetE0EEEvSQ_
	.globl	_ZN7rocprim17ROCPRIM_400000_NS6detail17trampoline_kernelINS0_14default_configENS1_22reduce_config_selectorIiEEZNS1_11reduce_implILb1ES3_N6hipcub16HIPCUB_304000_NS22TransformInputIteratorIiN2at6native8internal21MapNumberOfTrueValuesEPKhlEEPiiNS8_6detail34convert_binary_result_type_wrapperISt4plusIvESG_iEEEE10hipError_tPvRmT1_T2_T3_mT4_P12ihipStream_tbEUlT_E0_NS1_11comp_targetILNS1_3genE3ELNS1_11target_archE908ELNS1_3gpuE7ELNS1_3repE0EEENS1_30default_config_static_selectorELNS0_4arch9wavefront6targetE0EEEvSQ_
	.p2align	8
	.type	_ZN7rocprim17ROCPRIM_400000_NS6detail17trampoline_kernelINS0_14default_configENS1_22reduce_config_selectorIiEEZNS1_11reduce_implILb1ES3_N6hipcub16HIPCUB_304000_NS22TransformInputIteratorIiN2at6native8internal21MapNumberOfTrueValuesEPKhlEEPiiNS8_6detail34convert_binary_result_type_wrapperISt4plusIvESG_iEEEE10hipError_tPvRmT1_T2_T3_mT4_P12ihipStream_tbEUlT_E0_NS1_11comp_targetILNS1_3genE3ELNS1_11target_archE908ELNS1_3gpuE7ELNS1_3repE0EEENS1_30default_config_static_selectorELNS0_4arch9wavefront6targetE0EEEvSQ_,@function
_ZN7rocprim17ROCPRIM_400000_NS6detail17trampoline_kernelINS0_14default_configENS1_22reduce_config_selectorIiEEZNS1_11reduce_implILb1ES3_N6hipcub16HIPCUB_304000_NS22TransformInputIteratorIiN2at6native8internal21MapNumberOfTrueValuesEPKhlEEPiiNS8_6detail34convert_binary_result_type_wrapperISt4plusIvESG_iEEEE10hipError_tPvRmT1_T2_T3_mT4_P12ihipStream_tbEUlT_E0_NS1_11comp_targetILNS1_3genE3ELNS1_11target_archE908ELNS1_3gpuE7ELNS1_3repE0EEENS1_30default_config_static_selectorELNS0_4arch9wavefront6targetE0EEEvSQ_: ; @_ZN7rocprim17ROCPRIM_400000_NS6detail17trampoline_kernelINS0_14default_configENS1_22reduce_config_selectorIiEEZNS1_11reduce_implILb1ES3_N6hipcub16HIPCUB_304000_NS22TransformInputIteratorIiN2at6native8internal21MapNumberOfTrueValuesEPKhlEEPiiNS8_6detail34convert_binary_result_type_wrapperISt4plusIvESG_iEEEE10hipError_tPvRmT1_T2_T3_mT4_P12ihipStream_tbEUlT_E0_NS1_11comp_targetILNS1_3genE3ELNS1_11target_archE908ELNS1_3gpuE7ELNS1_3repE0EEENS1_30default_config_static_selectorELNS0_4arch9wavefront6targetE0EEEvSQ_
; %bb.0:
	.section	.rodata,"a",@progbits
	.p2align	6, 0x0
	.amdhsa_kernel _ZN7rocprim17ROCPRIM_400000_NS6detail17trampoline_kernelINS0_14default_configENS1_22reduce_config_selectorIiEEZNS1_11reduce_implILb1ES3_N6hipcub16HIPCUB_304000_NS22TransformInputIteratorIiN2at6native8internal21MapNumberOfTrueValuesEPKhlEEPiiNS8_6detail34convert_binary_result_type_wrapperISt4plusIvESG_iEEEE10hipError_tPvRmT1_T2_T3_mT4_P12ihipStream_tbEUlT_E0_NS1_11comp_targetILNS1_3genE3ELNS1_11target_archE908ELNS1_3gpuE7ELNS1_3repE0EEENS1_30default_config_static_selectorELNS0_4arch9wavefront6targetE0EEEvSQ_
		.amdhsa_group_segment_fixed_size 0
		.amdhsa_private_segment_fixed_size 0
		.amdhsa_kernarg_size 64
		.amdhsa_user_sgpr_count 2
		.amdhsa_user_sgpr_dispatch_ptr 0
		.amdhsa_user_sgpr_queue_ptr 0
		.amdhsa_user_sgpr_kernarg_segment_ptr 1
		.amdhsa_user_sgpr_dispatch_id 0
		.amdhsa_user_sgpr_kernarg_preload_length 0
		.amdhsa_user_sgpr_kernarg_preload_offset 0
		.amdhsa_user_sgpr_private_segment_size 0
		.amdhsa_wavefront_size32 1
		.amdhsa_uses_dynamic_stack 0
		.amdhsa_enable_private_segment 0
		.amdhsa_system_sgpr_workgroup_id_x 1
		.amdhsa_system_sgpr_workgroup_id_y 0
		.amdhsa_system_sgpr_workgroup_id_z 0
		.amdhsa_system_sgpr_workgroup_info 0
		.amdhsa_system_vgpr_workitem_id 0
		.amdhsa_next_free_vgpr 1
		.amdhsa_next_free_sgpr 1
		.amdhsa_named_barrier_count 0
		.amdhsa_reserve_vcc 0
		.amdhsa_float_round_mode_32 0
		.amdhsa_float_round_mode_16_64 0
		.amdhsa_float_denorm_mode_32 3
		.amdhsa_float_denorm_mode_16_64 3
		.amdhsa_fp16_overflow 0
		.amdhsa_memory_ordered 1
		.amdhsa_forward_progress 1
		.amdhsa_inst_pref_size 0
		.amdhsa_round_robin_scheduling 0
		.amdhsa_exception_fp_ieee_invalid_op 0
		.amdhsa_exception_fp_denorm_src 0
		.amdhsa_exception_fp_ieee_div_zero 0
		.amdhsa_exception_fp_ieee_overflow 0
		.amdhsa_exception_fp_ieee_underflow 0
		.amdhsa_exception_fp_ieee_inexact 0
		.amdhsa_exception_int_div_zero 0
	.end_amdhsa_kernel
	.section	.text._ZN7rocprim17ROCPRIM_400000_NS6detail17trampoline_kernelINS0_14default_configENS1_22reduce_config_selectorIiEEZNS1_11reduce_implILb1ES3_N6hipcub16HIPCUB_304000_NS22TransformInputIteratorIiN2at6native8internal21MapNumberOfTrueValuesEPKhlEEPiiNS8_6detail34convert_binary_result_type_wrapperISt4plusIvESG_iEEEE10hipError_tPvRmT1_T2_T3_mT4_P12ihipStream_tbEUlT_E0_NS1_11comp_targetILNS1_3genE3ELNS1_11target_archE908ELNS1_3gpuE7ELNS1_3repE0EEENS1_30default_config_static_selectorELNS0_4arch9wavefront6targetE0EEEvSQ_,"axG",@progbits,_ZN7rocprim17ROCPRIM_400000_NS6detail17trampoline_kernelINS0_14default_configENS1_22reduce_config_selectorIiEEZNS1_11reduce_implILb1ES3_N6hipcub16HIPCUB_304000_NS22TransformInputIteratorIiN2at6native8internal21MapNumberOfTrueValuesEPKhlEEPiiNS8_6detail34convert_binary_result_type_wrapperISt4plusIvESG_iEEEE10hipError_tPvRmT1_T2_T3_mT4_P12ihipStream_tbEUlT_E0_NS1_11comp_targetILNS1_3genE3ELNS1_11target_archE908ELNS1_3gpuE7ELNS1_3repE0EEENS1_30default_config_static_selectorELNS0_4arch9wavefront6targetE0EEEvSQ_,comdat
.Lfunc_end118:
	.size	_ZN7rocprim17ROCPRIM_400000_NS6detail17trampoline_kernelINS0_14default_configENS1_22reduce_config_selectorIiEEZNS1_11reduce_implILb1ES3_N6hipcub16HIPCUB_304000_NS22TransformInputIteratorIiN2at6native8internal21MapNumberOfTrueValuesEPKhlEEPiiNS8_6detail34convert_binary_result_type_wrapperISt4plusIvESG_iEEEE10hipError_tPvRmT1_T2_T3_mT4_P12ihipStream_tbEUlT_E0_NS1_11comp_targetILNS1_3genE3ELNS1_11target_archE908ELNS1_3gpuE7ELNS1_3repE0EEENS1_30default_config_static_selectorELNS0_4arch9wavefront6targetE0EEEvSQ_, .Lfunc_end118-_ZN7rocprim17ROCPRIM_400000_NS6detail17trampoline_kernelINS0_14default_configENS1_22reduce_config_selectorIiEEZNS1_11reduce_implILb1ES3_N6hipcub16HIPCUB_304000_NS22TransformInputIteratorIiN2at6native8internal21MapNumberOfTrueValuesEPKhlEEPiiNS8_6detail34convert_binary_result_type_wrapperISt4plusIvESG_iEEEE10hipError_tPvRmT1_T2_T3_mT4_P12ihipStream_tbEUlT_E0_NS1_11comp_targetILNS1_3genE3ELNS1_11target_archE908ELNS1_3gpuE7ELNS1_3repE0EEENS1_30default_config_static_selectorELNS0_4arch9wavefront6targetE0EEEvSQ_
                                        ; -- End function
	.set _ZN7rocprim17ROCPRIM_400000_NS6detail17trampoline_kernelINS0_14default_configENS1_22reduce_config_selectorIiEEZNS1_11reduce_implILb1ES3_N6hipcub16HIPCUB_304000_NS22TransformInputIteratorIiN2at6native8internal21MapNumberOfTrueValuesEPKhlEEPiiNS8_6detail34convert_binary_result_type_wrapperISt4plusIvESG_iEEEE10hipError_tPvRmT1_T2_T3_mT4_P12ihipStream_tbEUlT_E0_NS1_11comp_targetILNS1_3genE3ELNS1_11target_archE908ELNS1_3gpuE7ELNS1_3repE0EEENS1_30default_config_static_selectorELNS0_4arch9wavefront6targetE0EEEvSQ_.num_vgpr, 0
	.set _ZN7rocprim17ROCPRIM_400000_NS6detail17trampoline_kernelINS0_14default_configENS1_22reduce_config_selectorIiEEZNS1_11reduce_implILb1ES3_N6hipcub16HIPCUB_304000_NS22TransformInputIteratorIiN2at6native8internal21MapNumberOfTrueValuesEPKhlEEPiiNS8_6detail34convert_binary_result_type_wrapperISt4plusIvESG_iEEEE10hipError_tPvRmT1_T2_T3_mT4_P12ihipStream_tbEUlT_E0_NS1_11comp_targetILNS1_3genE3ELNS1_11target_archE908ELNS1_3gpuE7ELNS1_3repE0EEENS1_30default_config_static_selectorELNS0_4arch9wavefront6targetE0EEEvSQ_.num_agpr, 0
	.set _ZN7rocprim17ROCPRIM_400000_NS6detail17trampoline_kernelINS0_14default_configENS1_22reduce_config_selectorIiEEZNS1_11reduce_implILb1ES3_N6hipcub16HIPCUB_304000_NS22TransformInputIteratorIiN2at6native8internal21MapNumberOfTrueValuesEPKhlEEPiiNS8_6detail34convert_binary_result_type_wrapperISt4plusIvESG_iEEEE10hipError_tPvRmT1_T2_T3_mT4_P12ihipStream_tbEUlT_E0_NS1_11comp_targetILNS1_3genE3ELNS1_11target_archE908ELNS1_3gpuE7ELNS1_3repE0EEENS1_30default_config_static_selectorELNS0_4arch9wavefront6targetE0EEEvSQ_.numbered_sgpr, 0
	.set _ZN7rocprim17ROCPRIM_400000_NS6detail17trampoline_kernelINS0_14default_configENS1_22reduce_config_selectorIiEEZNS1_11reduce_implILb1ES3_N6hipcub16HIPCUB_304000_NS22TransformInputIteratorIiN2at6native8internal21MapNumberOfTrueValuesEPKhlEEPiiNS8_6detail34convert_binary_result_type_wrapperISt4plusIvESG_iEEEE10hipError_tPvRmT1_T2_T3_mT4_P12ihipStream_tbEUlT_E0_NS1_11comp_targetILNS1_3genE3ELNS1_11target_archE908ELNS1_3gpuE7ELNS1_3repE0EEENS1_30default_config_static_selectorELNS0_4arch9wavefront6targetE0EEEvSQ_.num_named_barrier, 0
	.set _ZN7rocprim17ROCPRIM_400000_NS6detail17trampoline_kernelINS0_14default_configENS1_22reduce_config_selectorIiEEZNS1_11reduce_implILb1ES3_N6hipcub16HIPCUB_304000_NS22TransformInputIteratorIiN2at6native8internal21MapNumberOfTrueValuesEPKhlEEPiiNS8_6detail34convert_binary_result_type_wrapperISt4plusIvESG_iEEEE10hipError_tPvRmT1_T2_T3_mT4_P12ihipStream_tbEUlT_E0_NS1_11comp_targetILNS1_3genE3ELNS1_11target_archE908ELNS1_3gpuE7ELNS1_3repE0EEENS1_30default_config_static_selectorELNS0_4arch9wavefront6targetE0EEEvSQ_.private_seg_size, 0
	.set _ZN7rocprim17ROCPRIM_400000_NS6detail17trampoline_kernelINS0_14default_configENS1_22reduce_config_selectorIiEEZNS1_11reduce_implILb1ES3_N6hipcub16HIPCUB_304000_NS22TransformInputIteratorIiN2at6native8internal21MapNumberOfTrueValuesEPKhlEEPiiNS8_6detail34convert_binary_result_type_wrapperISt4plusIvESG_iEEEE10hipError_tPvRmT1_T2_T3_mT4_P12ihipStream_tbEUlT_E0_NS1_11comp_targetILNS1_3genE3ELNS1_11target_archE908ELNS1_3gpuE7ELNS1_3repE0EEENS1_30default_config_static_selectorELNS0_4arch9wavefront6targetE0EEEvSQ_.uses_vcc, 0
	.set _ZN7rocprim17ROCPRIM_400000_NS6detail17trampoline_kernelINS0_14default_configENS1_22reduce_config_selectorIiEEZNS1_11reduce_implILb1ES3_N6hipcub16HIPCUB_304000_NS22TransformInputIteratorIiN2at6native8internal21MapNumberOfTrueValuesEPKhlEEPiiNS8_6detail34convert_binary_result_type_wrapperISt4plusIvESG_iEEEE10hipError_tPvRmT1_T2_T3_mT4_P12ihipStream_tbEUlT_E0_NS1_11comp_targetILNS1_3genE3ELNS1_11target_archE908ELNS1_3gpuE7ELNS1_3repE0EEENS1_30default_config_static_selectorELNS0_4arch9wavefront6targetE0EEEvSQ_.uses_flat_scratch, 0
	.set _ZN7rocprim17ROCPRIM_400000_NS6detail17trampoline_kernelINS0_14default_configENS1_22reduce_config_selectorIiEEZNS1_11reduce_implILb1ES3_N6hipcub16HIPCUB_304000_NS22TransformInputIteratorIiN2at6native8internal21MapNumberOfTrueValuesEPKhlEEPiiNS8_6detail34convert_binary_result_type_wrapperISt4plusIvESG_iEEEE10hipError_tPvRmT1_T2_T3_mT4_P12ihipStream_tbEUlT_E0_NS1_11comp_targetILNS1_3genE3ELNS1_11target_archE908ELNS1_3gpuE7ELNS1_3repE0EEENS1_30default_config_static_selectorELNS0_4arch9wavefront6targetE0EEEvSQ_.has_dyn_sized_stack, 0
	.set _ZN7rocprim17ROCPRIM_400000_NS6detail17trampoline_kernelINS0_14default_configENS1_22reduce_config_selectorIiEEZNS1_11reduce_implILb1ES3_N6hipcub16HIPCUB_304000_NS22TransformInputIteratorIiN2at6native8internal21MapNumberOfTrueValuesEPKhlEEPiiNS8_6detail34convert_binary_result_type_wrapperISt4plusIvESG_iEEEE10hipError_tPvRmT1_T2_T3_mT4_P12ihipStream_tbEUlT_E0_NS1_11comp_targetILNS1_3genE3ELNS1_11target_archE908ELNS1_3gpuE7ELNS1_3repE0EEENS1_30default_config_static_selectorELNS0_4arch9wavefront6targetE0EEEvSQ_.has_recursion, 0
	.set _ZN7rocprim17ROCPRIM_400000_NS6detail17trampoline_kernelINS0_14default_configENS1_22reduce_config_selectorIiEEZNS1_11reduce_implILb1ES3_N6hipcub16HIPCUB_304000_NS22TransformInputIteratorIiN2at6native8internal21MapNumberOfTrueValuesEPKhlEEPiiNS8_6detail34convert_binary_result_type_wrapperISt4plusIvESG_iEEEE10hipError_tPvRmT1_T2_T3_mT4_P12ihipStream_tbEUlT_E0_NS1_11comp_targetILNS1_3genE3ELNS1_11target_archE908ELNS1_3gpuE7ELNS1_3repE0EEENS1_30default_config_static_selectorELNS0_4arch9wavefront6targetE0EEEvSQ_.has_indirect_call, 0
	.section	.AMDGPU.csdata,"",@progbits
; Kernel info:
; codeLenInByte = 0
; TotalNumSgprs: 0
; NumVgprs: 0
; ScratchSize: 0
; MemoryBound: 0
; FloatMode: 240
; IeeeMode: 1
; LDSByteSize: 0 bytes/workgroup (compile time only)
; SGPRBlocks: 0
; VGPRBlocks: 0
; NumSGPRsForWavesPerEU: 1
; NumVGPRsForWavesPerEU: 1
; NamedBarCnt: 0
; Occupancy: 16
; WaveLimiterHint : 0
; COMPUTE_PGM_RSRC2:SCRATCH_EN: 0
; COMPUTE_PGM_RSRC2:USER_SGPR: 2
; COMPUTE_PGM_RSRC2:TRAP_HANDLER: 0
; COMPUTE_PGM_RSRC2:TGID_X_EN: 1
; COMPUTE_PGM_RSRC2:TGID_Y_EN: 0
; COMPUTE_PGM_RSRC2:TGID_Z_EN: 0
; COMPUTE_PGM_RSRC2:TIDIG_COMP_CNT: 0
	.section	.text._ZN7rocprim17ROCPRIM_400000_NS6detail17trampoline_kernelINS0_14default_configENS1_22reduce_config_selectorIiEEZNS1_11reduce_implILb1ES3_N6hipcub16HIPCUB_304000_NS22TransformInputIteratorIiN2at6native8internal21MapNumberOfTrueValuesEPKhlEEPiiNS8_6detail34convert_binary_result_type_wrapperISt4plusIvESG_iEEEE10hipError_tPvRmT1_T2_T3_mT4_P12ihipStream_tbEUlT_E0_NS1_11comp_targetILNS1_3genE2ELNS1_11target_archE906ELNS1_3gpuE6ELNS1_3repE0EEENS1_30default_config_static_selectorELNS0_4arch9wavefront6targetE0EEEvSQ_,"axG",@progbits,_ZN7rocprim17ROCPRIM_400000_NS6detail17trampoline_kernelINS0_14default_configENS1_22reduce_config_selectorIiEEZNS1_11reduce_implILb1ES3_N6hipcub16HIPCUB_304000_NS22TransformInputIteratorIiN2at6native8internal21MapNumberOfTrueValuesEPKhlEEPiiNS8_6detail34convert_binary_result_type_wrapperISt4plusIvESG_iEEEE10hipError_tPvRmT1_T2_T3_mT4_P12ihipStream_tbEUlT_E0_NS1_11comp_targetILNS1_3genE2ELNS1_11target_archE906ELNS1_3gpuE6ELNS1_3repE0EEENS1_30default_config_static_selectorELNS0_4arch9wavefront6targetE0EEEvSQ_,comdat
	.protected	_ZN7rocprim17ROCPRIM_400000_NS6detail17trampoline_kernelINS0_14default_configENS1_22reduce_config_selectorIiEEZNS1_11reduce_implILb1ES3_N6hipcub16HIPCUB_304000_NS22TransformInputIteratorIiN2at6native8internal21MapNumberOfTrueValuesEPKhlEEPiiNS8_6detail34convert_binary_result_type_wrapperISt4plusIvESG_iEEEE10hipError_tPvRmT1_T2_T3_mT4_P12ihipStream_tbEUlT_E0_NS1_11comp_targetILNS1_3genE2ELNS1_11target_archE906ELNS1_3gpuE6ELNS1_3repE0EEENS1_30default_config_static_selectorELNS0_4arch9wavefront6targetE0EEEvSQ_ ; -- Begin function _ZN7rocprim17ROCPRIM_400000_NS6detail17trampoline_kernelINS0_14default_configENS1_22reduce_config_selectorIiEEZNS1_11reduce_implILb1ES3_N6hipcub16HIPCUB_304000_NS22TransformInputIteratorIiN2at6native8internal21MapNumberOfTrueValuesEPKhlEEPiiNS8_6detail34convert_binary_result_type_wrapperISt4plusIvESG_iEEEE10hipError_tPvRmT1_T2_T3_mT4_P12ihipStream_tbEUlT_E0_NS1_11comp_targetILNS1_3genE2ELNS1_11target_archE906ELNS1_3gpuE6ELNS1_3repE0EEENS1_30default_config_static_selectorELNS0_4arch9wavefront6targetE0EEEvSQ_
	.globl	_ZN7rocprim17ROCPRIM_400000_NS6detail17trampoline_kernelINS0_14default_configENS1_22reduce_config_selectorIiEEZNS1_11reduce_implILb1ES3_N6hipcub16HIPCUB_304000_NS22TransformInputIteratorIiN2at6native8internal21MapNumberOfTrueValuesEPKhlEEPiiNS8_6detail34convert_binary_result_type_wrapperISt4plusIvESG_iEEEE10hipError_tPvRmT1_T2_T3_mT4_P12ihipStream_tbEUlT_E0_NS1_11comp_targetILNS1_3genE2ELNS1_11target_archE906ELNS1_3gpuE6ELNS1_3repE0EEENS1_30default_config_static_selectorELNS0_4arch9wavefront6targetE0EEEvSQ_
	.p2align	8
	.type	_ZN7rocprim17ROCPRIM_400000_NS6detail17trampoline_kernelINS0_14default_configENS1_22reduce_config_selectorIiEEZNS1_11reduce_implILb1ES3_N6hipcub16HIPCUB_304000_NS22TransformInputIteratorIiN2at6native8internal21MapNumberOfTrueValuesEPKhlEEPiiNS8_6detail34convert_binary_result_type_wrapperISt4plusIvESG_iEEEE10hipError_tPvRmT1_T2_T3_mT4_P12ihipStream_tbEUlT_E0_NS1_11comp_targetILNS1_3genE2ELNS1_11target_archE906ELNS1_3gpuE6ELNS1_3repE0EEENS1_30default_config_static_selectorELNS0_4arch9wavefront6targetE0EEEvSQ_,@function
_ZN7rocprim17ROCPRIM_400000_NS6detail17trampoline_kernelINS0_14default_configENS1_22reduce_config_selectorIiEEZNS1_11reduce_implILb1ES3_N6hipcub16HIPCUB_304000_NS22TransformInputIteratorIiN2at6native8internal21MapNumberOfTrueValuesEPKhlEEPiiNS8_6detail34convert_binary_result_type_wrapperISt4plusIvESG_iEEEE10hipError_tPvRmT1_T2_T3_mT4_P12ihipStream_tbEUlT_E0_NS1_11comp_targetILNS1_3genE2ELNS1_11target_archE906ELNS1_3gpuE6ELNS1_3repE0EEENS1_30default_config_static_selectorELNS0_4arch9wavefront6targetE0EEEvSQ_: ; @_ZN7rocprim17ROCPRIM_400000_NS6detail17trampoline_kernelINS0_14default_configENS1_22reduce_config_selectorIiEEZNS1_11reduce_implILb1ES3_N6hipcub16HIPCUB_304000_NS22TransformInputIteratorIiN2at6native8internal21MapNumberOfTrueValuesEPKhlEEPiiNS8_6detail34convert_binary_result_type_wrapperISt4plusIvESG_iEEEE10hipError_tPvRmT1_T2_T3_mT4_P12ihipStream_tbEUlT_E0_NS1_11comp_targetILNS1_3genE2ELNS1_11target_archE906ELNS1_3gpuE6ELNS1_3repE0EEENS1_30default_config_static_selectorELNS0_4arch9wavefront6targetE0EEEvSQ_
; %bb.0:
	.section	.rodata,"a",@progbits
	.p2align	6, 0x0
	.amdhsa_kernel _ZN7rocprim17ROCPRIM_400000_NS6detail17trampoline_kernelINS0_14default_configENS1_22reduce_config_selectorIiEEZNS1_11reduce_implILb1ES3_N6hipcub16HIPCUB_304000_NS22TransformInputIteratorIiN2at6native8internal21MapNumberOfTrueValuesEPKhlEEPiiNS8_6detail34convert_binary_result_type_wrapperISt4plusIvESG_iEEEE10hipError_tPvRmT1_T2_T3_mT4_P12ihipStream_tbEUlT_E0_NS1_11comp_targetILNS1_3genE2ELNS1_11target_archE906ELNS1_3gpuE6ELNS1_3repE0EEENS1_30default_config_static_selectorELNS0_4arch9wavefront6targetE0EEEvSQ_
		.amdhsa_group_segment_fixed_size 0
		.amdhsa_private_segment_fixed_size 0
		.amdhsa_kernarg_size 64
		.amdhsa_user_sgpr_count 2
		.amdhsa_user_sgpr_dispatch_ptr 0
		.amdhsa_user_sgpr_queue_ptr 0
		.amdhsa_user_sgpr_kernarg_segment_ptr 1
		.amdhsa_user_sgpr_dispatch_id 0
		.amdhsa_user_sgpr_kernarg_preload_length 0
		.amdhsa_user_sgpr_kernarg_preload_offset 0
		.amdhsa_user_sgpr_private_segment_size 0
		.amdhsa_wavefront_size32 1
		.amdhsa_uses_dynamic_stack 0
		.amdhsa_enable_private_segment 0
		.amdhsa_system_sgpr_workgroup_id_x 1
		.amdhsa_system_sgpr_workgroup_id_y 0
		.amdhsa_system_sgpr_workgroup_id_z 0
		.amdhsa_system_sgpr_workgroup_info 0
		.amdhsa_system_vgpr_workitem_id 0
		.amdhsa_next_free_vgpr 1
		.amdhsa_next_free_sgpr 1
		.amdhsa_named_barrier_count 0
		.amdhsa_reserve_vcc 0
		.amdhsa_float_round_mode_32 0
		.amdhsa_float_round_mode_16_64 0
		.amdhsa_float_denorm_mode_32 3
		.amdhsa_float_denorm_mode_16_64 3
		.amdhsa_fp16_overflow 0
		.amdhsa_memory_ordered 1
		.amdhsa_forward_progress 1
		.amdhsa_inst_pref_size 0
		.amdhsa_round_robin_scheduling 0
		.amdhsa_exception_fp_ieee_invalid_op 0
		.amdhsa_exception_fp_denorm_src 0
		.amdhsa_exception_fp_ieee_div_zero 0
		.amdhsa_exception_fp_ieee_overflow 0
		.amdhsa_exception_fp_ieee_underflow 0
		.amdhsa_exception_fp_ieee_inexact 0
		.amdhsa_exception_int_div_zero 0
	.end_amdhsa_kernel
	.section	.text._ZN7rocprim17ROCPRIM_400000_NS6detail17trampoline_kernelINS0_14default_configENS1_22reduce_config_selectorIiEEZNS1_11reduce_implILb1ES3_N6hipcub16HIPCUB_304000_NS22TransformInputIteratorIiN2at6native8internal21MapNumberOfTrueValuesEPKhlEEPiiNS8_6detail34convert_binary_result_type_wrapperISt4plusIvESG_iEEEE10hipError_tPvRmT1_T2_T3_mT4_P12ihipStream_tbEUlT_E0_NS1_11comp_targetILNS1_3genE2ELNS1_11target_archE906ELNS1_3gpuE6ELNS1_3repE0EEENS1_30default_config_static_selectorELNS0_4arch9wavefront6targetE0EEEvSQ_,"axG",@progbits,_ZN7rocprim17ROCPRIM_400000_NS6detail17trampoline_kernelINS0_14default_configENS1_22reduce_config_selectorIiEEZNS1_11reduce_implILb1ES3_N6hipcub16HIPCUB_304000_NS22TransformInputIteratorIiN2at6native8internal21MapNumberOfTrueValuesEPKhlEEPiiNS8_6detail34convert_binary_result_type_wrapperISt4plusIvESG_iEEEE10hipError_tPvRmT1_T2_T3_mT4_P12ihipStream_tbEUlT_E0_NS1_11comp_targetILNS1_3genE2ELNS1_11target_archE906ELNS1_3gpuE6ELNS1_3repE0EEENS1_30default_config_static_selectorELNS0_4arch9wavefront6targetE0EEEvSQ_,comdat
.Lfunc_end119:
	.size	_ZN7rocprim17ROCPRIM_400000_NS6detail17trampoline_kernelINS0_14default_configENS1_22reduce_config_selectorIiEEZNS1_11reduce_implILb1ES3_N6hipcub16HIPCUB_304000_NS22TransformInputIteratorIiN2at6native8internal21MapNumberOfTrueValuesEPKhlEEPiiNS8_6detail34convert_binary_result_type_wrapperISt4plusIvESG_iEEEE10hipError_tPvRmT1_T2_T3_mT4_P12ihipStream_tbEUlT_E0_NS1_11comp_targetILNS1_3genE2ELNS1_11target_archE906ELNS1_3gpuE6ELNS1_3repE0EEENS1_30default_config_static_selectorELNS0_4arch9wavefront6targetE0EEEvSQ_, .Lfunc_end119-_ZN7rocprim17ROCPRIM_400000_NS6detail17trampoline_kernelINS0_14default_configENS1_22reduce_config_selectorIiEEZNS1_11reduce_implILb1ES3_N6hipcub16HIPCUB_304000_NS22TransformInputIteratorIiN2at6native8internal21MapNumberOfTrueValuesEPKhlEEPiiNS8_6detail34convert_binary_result_type_wrapperISt4plusIvESG_iEEEE10hipError_tPvRmT1_T2_T3_mT4_P12ihipStream_tbEUlT_E0_NS1_11comp_targetILNS1_3genE2ELNS1_11target_archE906ELNS1_3gpuE6ELNS1_3repE0EEENS1_30default_config_static_selectorELNS0_4arch9wavefront6targetE0EEEvSQ_
                                        ; -- End function
	.set _ZN7rocprim17ROCPRIM_400000_NS6detail17trampoline_kernelINS0_14default_configENS1_22reduce_config_selectorIiEEZNS1_11reduce_implILb1ES3_N6hipcub16HIPCUB_304000_NS22TransformInputIteratorIiN2at6native8internal21MapNumberOfTrueValuesEPKhlEEPiiNS8_6detail34convert_binary_result_type_wrapperISt4plusIvESG_iEEEE10hipError_tPvRmT1_T2_T3_mT4_P12ihipStream_tbEUlT_E0_NS1_11comp_targetILNS1_3genE2ELNS1_11target_archE906ELNS1_3gpuE6ELNS1_3repE0EEENS1_30default_config_static_selectorELNS0_4arch9wavefront6targetE0EEEvSQ_.num_vgpr, 0
	.set _ZN7rocprim17ROCPRIM_400000_NS6detail17trampoline_kernelINS0_14default_configENS1_22reduce_config_selectorIiEEZNS1_11reduce_implILb1ES3_N6hipcub16HIPCUB_304000_NS22TransformInputIteratorIiN2at6native8internal21MapNumberOfTrueValuesEPKhlEEPiiNS8_6detail34convert_binary_result_type_wrapperISt4plusIvESG_iEEEE10hipError_tPvRmT1_T2_T3_mT4_P12ihipStream_tbEUlT_E0_NS1_11comp_targetILNS1_3genE2ELNS1_11target_archE906ELNS1_3gpuE6ELNS1_3repE0EEENS1_30default_config_static_selectorELNS0_4arch9wavefront6targetE0EEEvSQ_.num_agpr, 0
	.set _ZN7rocprim17ROCPRIM_400000_NS6detail17trampoline_kernelINS0_14default_configENS1_22reduce_config_selectorIiEEZNS1_11reduce_implILb1ES3_N6hipcub16HIPCUB_304000_NS22TransformInputIteratorIiN2at6native8internal21MapNumberOfTrueValuesEPKhlEEPiiNS8_6detail34convert_binary_result_type_wrapperISt4plusIvESG_iEEEE10hipError_tPvRmT1_T2_T3_mT4_P12ihipStream_tbEUlT_E0_NS1_11comp_targetILNS1_3genE2ELNS1_11target_archE906ELNS1_3gpuE6ELNS1_3repE0EEENS1_30default_config_static_selectorELNS0_4arch9wavefront6targetE0EEEvSQ_.numbered_sgpr, 0
	.set _ZN7rocprim17ROCPRIM_400000_NS6detail17trampoline_kernelINS0_14default_configENS1_22reduce_config_selectorIiEEZNS1_11reduce_implILb1ES3_N6hipcub16HIPCUB_304000_NS22TransformInputIteratorIiN2at6native8internal21MapNumberOfTrueValuesEPKhlEEPiiNS8_6detail34convert_binary_result_type_wrapperISt4plusIvESG_iEEEE10hipError_tPvRmT1_T2_T3_mT4_P12ihipStream_tbEUlT_E0_NS1_11comp_targetILNS1_3genE2ELNS1_11target_archE906ELNS1_3gpuE6ELNS1_3repE0EEENS1_30default_config_static_selectorELNS0_4arch9wavefront6targetE0EEEvSQ_.num_named_barrier, 0
	.set _ZN7rocprim17ROCPRIM_400000_NS6detail17trampoline_kernelINS0_14default_configENS1_22reduce_config_selectorIiEEZNS1_11reduce_implILb1ES3_N6hipcub16HIPCUB_304000_NS22TransformInputIteratorIiN2at6native8internal21MapNumberOfTrueValuesEPKhlEEPiiNS8_6detail34convert_binary_result_type_wrapperISt4plusIvESG_iEEEE10hipError_tPvRmT1_T2_T3_mT4_P12ihipStream_tbEUlT_E0_NS1_11comp_targetILNS1_3genE2ELNS1_11target_archE906ELNS1_3gpuE6ELNS1_3repE0EEENS1_30default_config_static_selectorELNS0_4arch9wavefront6targetE0EEEvSQ_.private_seg_size, 0
	.set _ZN7rocprim17ROCPRIM_400000_NS6detail17trampoline_kernelINS0_14default_configENS1_22reduce_config_selectorIiEEZNS1_11reduce_implILb1ES3_N6hipcub16HIPCUB_304000_NS22TransformInputIteratorIiN2at6native8internal21MapNumberOfTrueValuesEPKhlEEPiiNS8_6detail34convert_binary_result_type_wrapperISt4plusIvESG_iEEEE10hipError_tPvRmT1_T2_T3_mT4_P12ihipStream_tbEUlT_E0_NS1_11comp_targetILNS1_3genE2ELNS1_11target_archE906ELNS1_3gpuE6ELNS1_3repE0EEENS1_30default_config_static_selectorELNS0_4arch9wavefront6targetE0EEEvSQ_.uses_vcc, 0
	.set _ZN7rocprim17ROCPRIM_400000_NS6detail17trampoline_kernelINS0_14default_configENS1_22reduce_config_selectorIiEEZNS1_11reduce_implILb1ES3_N6hipcub16HIPCUB_304000_NS22TransformInputIteratorIiN2at6native8internal21MapNumberOfTrueValuesEPKhlEEPiiNS8_6detail34convert_binary_result_type_wrapperISt4plusIvESG_iEEEE10hipError_tPvRmT1_T2_T3_mT4_P12ihipStream_tbEUlT_E0_NS1_11comp_targetILNS1_3genE2ELNS1_11target_archE906ELNS1_3gpuE6ELNS1_3repE0EEENS1_30default_config_static_selectorELNS0_4arch9wavefront6targetE0EEEvSQ_.uses_flat_scratch, 0
	.set _ZN7rocprim17ROCPRIM_400000_NS6detail17trampoline_kernelINS0_14default_configENS1_22reduce_config_selectorIiEEZNS1_11reduce_implILb1ES3_N6hipcub16HIPCUB_304000_NS22TransformInputIteratorIiN2at6native8internal21MapNumberOfTrueValuesEPKhlEEPiiNS8_6detail34convert_binary_result_type_wrapperISt4plusIvESG_iEEEE10hipError_tPvRmT1_T2_T3_mT4_P12ihipStream_tbEUlT_E0_NS1_11comp_targetILNS1_3genE2ELNS1_11target_archE906ELNS1_3gpuE6ELNS1_3repE0EEENS1_30default_config_static_selectorELNS0_4arch9wavefront6targetE0EEEvSQ_.has_dyn_sized_stack, 0
	.set _ZN7rocprim17ROCPRIM_400000_NS6detail17trampoline_kernelINS0_14default_configENS1_22reduce_config_selectorIiEEZNS1_11reduce_implILb1ES3_N6hipcub16HIPCUB_304000_NS22TransformInputIteratorIiN2at6native8internal21MapNumberOfTrueValuesEPKhlEEPiiNS8_6detail34convert_binary_result_type_wrapperISt4plusIvESG_iEEEE10hipError_tPvRmT1_T2_T3_mT4_P12ihipStream_tbEUlT_E0_NS1_11comp_targetILNS1_3genE2ELNS1_11target_archE906ELNS1_3gpuE6ELNS1_3repE0EEENS1_30default_config_static_selectorELNS0_4arch9wavefront6targetE0EEEvSQ_.has_recursion, 0
	.set _ZN7rocprim17ROCPRIM_400000_NS6detail17trampoline_kernelINS0_14default_configENS1_22reduce_config_selectorIiEEZNS1_11reduce_implILb1ES3_N6hipcub16HIPCUB_304000_NS22TransformInputIteratorIiN2at6native8internal21MapNumberOfTrueValuesEPKhlEEPiiNS8_6detail34convert_binary_result_type_wrapperISt4plusIvESG_iEEEE10hipError_tPvRmT1_T2_T3_mT4_P12ihipStream_tbEUlT_E0_NS1_11comp_targetILNS1_3genE2ELNS1_11target_archE906ELNS1_3gpuE6ELNS1_3repE0EEENS1_30default_config_static_selectorELNS0_4arch9wavefront6targetE0EEEvSQ_.has_indirect_call, 0
	.section	.AMDGPU.csdata,"",@progbits
; Kernel info:
; codeLenInByte = 0
; TotalNumSgprs: 0
; NumVgprs: 0
; ScratchSize: 0
; MemoryBound: 0
; FloatMode: 240
; IeeeMode: 1
; LDSByteSize: 0 bytes/workgroup (compile time only)
; SGPRBlocks: 0
; VGPRBlocks: 0
; NumSGPRsForWavesPerEU: 1
; NumVGPRsForWavesPerEU: 1
; NamedBarCnt: 0
; Occupancy: 16
; WaveLimiterHint : 0
; COMPUTE_PGM_RSRC2:SCRATCH_EN: 0
; COMPUTE_PGM_RSRC2:USER_SGPR: 2
; COMPUTE_PGM_RSRC2:TRAP_HANDLER: 0
; COMPUTE_PGM_RSRC2:TGID_X_EN: 1
; COMPUTE_PGM_RSRC2:TGID_Y_EN: 0
; COMPUTE_PGM_RSRC2:TGID_Z_EN: 0
; COMPUTE_PGM_RSRC2:TIDIG_COMP_CNT: 0
	.section	.text._ZN7rocprim17ROCPRIM_400000_NS6detail17trampoline_kernelINS0_14default_configENS1_22reduce_config_selectorIiEEZNS1_11reduce_implILb1ES3_N6hipcub16HIPCUB_304000_NS22TransformInputIteratorIiN2at6native8internal21MapNumberOfTrueValuesEPKhlEEPiiNS8_6detail34convert_binary_result_type_wrapperISt4plusIvESG_iEEEE10hipError_tPvRmT1_T2_T3_mT4_P12ihipStream_tbEUlT_E0_NS1_11comp_targetILNS1_3genE10ELNS1_11target_archE1201ELNS1_3gpuE5ELNS1_3repE0EEENS1_30default_config_static_selectorELNS0_4arch9wavefront6targetE0EEEvSQ_,"axG",@progbits,_ZN7rocprim17ROCPRIM_400000_NS6detail17trampoline_kernelINS0_14default_configENS1_22reduce_config_selectorIiEEZNS1_11reduce_implILb1ES3_N6hipcub16HIPCUB_304000_NS22TransformInputIteratorIiN2at6native8internal21MapNumberOfTrueValuesEPKhlEEPiiNS8_6detail34convert_binary_result_type_wrapperISt4plusIvESG_iEEEE10hipError_tPvRmT1_T2_T3_mT4_P12ihipStream_tbEUlT_E0_NS1_11comp_targetILNS1_3genE10ELNS1_11target_archE1201ELNS1_3gpuE5ELNS1_3repE0EEENS1_30default_config_static_selectorELNS0_4arch9wavefront6targetE0EEEvSQ_,comdat
	.protected	_ZN7rocprim17ROCPRIM_400000_NS6detail17trampoline_kernelINS0_14default_configENS1_22reduce_config_selectorIiEEZNS1_11reduce_implILb1ES3_N6hipcub16HIPCUB_304000_NS22TransformInputIteratorIiN2at6native8internal21MapNumberOfTrueValuesEPKhlEEPiiNS8_6detail34convert_binary_result_type_wrapperISt4plusIvESG_iEEEE10hipError_tPvRmT1_T2_T3_mT4_P12ihipStream_tbEUlT_E0_NS1_11comp_targetILNS1_3genE10ELNS1_11target_archE1201ELNS1_3gpuE5ELNS1_3repE0EEENS1_30default_config_static_selectorELNS0_4arch9wavefront6targetE0EEEvSQ_ ; -- Begin function _ZN7rocprim17ROCPRIM_400000_NS6detail17trampoline_kernelINS0_14default_configENS1_22reduce_config_selectorIiEEZNS1_11reduce_implILb1ES3_N6hipcub16HIPCUB_304000_NS22TransformInputIteratorIiN2at6native8internal21MapNumberOfTrueValuesEPKhlEEPiiNS8_6detail34convert_binary_result_type_wrapperISt4plusIvESG_iEEEE10hipError_tPvRmT1_T2_T3_mT4_P12ihipStream_tbEUlT_E0_NS1_11comp_targetILNS1_3genE10ELNS1_11target_archE1201ELNS1_3gpuE5ELNS1_3repE0EEENS1_30default_config_static_selectorELNS0_4arch9wavefront6targetE0EEEvSQ_
	.globl	_ZN7rocprim17ROCPRIM_400000_NS6detail17trampoline_kernelINS0_14default_configENS1_22reduce_config_selectorIiEEZNS1_11reduce_implILb1ES3_N6hipcub16HIPCUB_304000_NS22TransformInputIteratorIiN2at6native8internal21MapNumberOfTrueValuesEPKhlEEPiiNS8_6detail34convert_binary_result_type_wrapperISt4plusIvESG_iEEEE10hipError_tPvRmT1_T2_T3_mT4_P12ihipStream_tbEUlT_E0_NS1_11comp_targetILNS1_3genE10ELNS1_11target_archE1201ELNS1_3gpuE5ELNS1_3repE0EEENS1_30default_config_static_selectorELNS0_4arch9wavefront6targetE0EEEvSQ_
	.p2align	8
	.type	_ZN7rocprim17ROCPRIM_400000_NS6detail17trampoline_kernelINS0_14default_configENS1_22reduce_config_selectorIiEEZNS1_11reduce_implILb1ES3_N6hipcub16HIPCUB_304000_NS22TransformInputIteratorIiN2at6native8internal21MapNumberOfTrueValuesEPKhlEEPiiNS8_6detail34convert_binary_result_type_wrapperISt4plusIvESG_iEEEE10hipError_tPvRmT1_T2_T3_mT4_P12ihipStream_tbEUlT_E0_NS1_11comp_targetILNS1_3genE10ELNS1_11target_archE1201ELNS1_3gpuE5ELNS1_3repE0EEENS1_30default_config_static_selectorELNS0_4arch9wavefront6targetE0EEEvSQ_,@function
_ZN7rocprim17ROCPRIM_400000_NS6detail17trampoline_kernelINS0_14default_configENS1_22reduce_config_selectorIiEEZNS1_11reduce_implILb1ES3_N6hipcub16HIPCUB_304000_NS22TransformInputIteratorIiN2at6native8internal21MapNumberOfTrueValuesEPKhlEEPiiNS8_6detail34convert_binary_result_type_wrapperISt4plusIvESG_iEEEE10hipError_tPvRmT1_T2_T3_mT4_P12ihipStream_tbEUlT_E0_NS1_11comp_targetILNS1_3genE10ELNS1_11target_archE1201ELNS1_3gpuE5ELNS1_3repE0EEENS1_30default_config_static_selectorELNS0_4arch9wavefront6targetE0EEEvSQ_: ; @_ZN7rocprim17ROCPRIM_400000_NS6detail17trampoline_kernelINS0_14default_configENS1_22reduce_config_selectorIiEEZNS1_11reduce_implILb1ES3_N6hipcub16HIPCUB_304000_NS22TransformInputIteratorIiN2at6native8internal21MapNumberOfTrueValuesEPKhlEEPiiNS8_6detail34convert_binary_result_type_wrapperISt4plusIvESG_iEEEE10hipError_tPvRmT1_T2_T3_mT4_P12ihipStream_tbEUlT_E0_NS1_11comp_targetILNS1_3genE10ELNS1_11target_archE1201ELNS1_3gpuE5ELNS1_3repE0EEENS1_30default_config_static_selectorELNS0_4arch9wavefront6targetE0EEEvSQ_
; %bb.0:
	.section	.rodata,"a",@progbits
	.p2align	6, 0x0
	.amdhsa_kernel _ZN7rocprim17ROCPRIM_400000_NS6detail17trampoline_kernelINS0_14default_configENS1_22reduce_config_selectorIiEEZNS1_11reduce_implILb1ES3_N6hipcub16HIPCUB_304000_NS22TransformInputIteratorIiN2at6native8internal21MapNumberOfTrueValuesEPKhlEEPiiNS8_6detail34convert_binary_result_type_wrapperISt4plusIvESG_iEEEE10hipError_tPvRmT1_T2_T3_mT4_P12ihipStream_tbEUlT_E0_NS1_11comp_targetILNS1_3genE10ELNS1_11target_archE1201ELNS1_3gpuE5ELNS1_3repE0EEENS1_30default_config_static_selectorELNS0_4arch9wavefront6targetE0EEEvSQ_
		.amdhsa_group_segment_fixed_size 0
		.amdhsa_private_segment_fixed_size 0
		.amdhsa_kernarg_size 64
		.amdhsa_user_sgpr_count 2
		.amdhsa_user_sgpr_dispatch_ptr 0
		.amdhsa_user_sgpr_queue_ptr 0
		.amdhsa_user_sgpr_kernarg_segment_ptr 1
		.amdhsa_user_sgpr_dispatch_id 0
		.amdhsa_user_sgpr_kernarg_preload_length 0
		.amdhsa_user_sgpr_kernarg_preload_offset 0
		.amdhsa_user_sgpr_private_segment_size 0
		.amdhsa_wavefront_size32 1
		.amdhsa_uses_dynamic_stack 0
		.amdhsa_enable_private_segment 0
		.amdhsa_system_sgpr_workgroup_id_x 1
		.amdhsa_system_sgpr_workgroup_id_y 0
		.amdhsa_system_sgpr_workgroup_id_z 0
		.amdhsa_system_sgpr_workgroup_info 0
		.amdhsa_system_vgpr_workitem_id 0
		.amdhsa_next_free_vgpr 1
		.amdhsa_next_free_sgpr 1
		.amdhsa_named_barrier_count 0
		.amdhsa_reserve_vcc 0
		.amdhsa_float_round_mode_32 0
		.amdhsa_float_round_mode_16_64 0
		.amdhsa_float_denorm_mode_32 3
		.amdhsa_float_denorm_mode_16_64 3
		.amdhsa_fp16_overflow 0
		.amdhsa_memory_ordered 1
		.amdhsa_forward_progress 1
		.amdhsa_inst_pref_size 0
		.amdhsa_round_robin_scheduling 0
		.amdhsa_exception_fp_ieee_invalid_op 0
		.amdhsa_exception_fp_denorm_src 0
		.amdhsa_exception_fp_ieee_div_zero 0
		.amdhsa_exception_fp_ieee_overflow 0
		.amdhsa_exception_fp_ieee_underflow 0
		.amdhsa_exception_fp_ieee_inexact 0
		.amdhsa_exception_int_div_zero 0
	.end_amdhsa_kernel
	.section	.text._ZN7rocprim17ROCPRIM_400000_NS6detail17trampoline_kernelINS0_14default_configENS1_22reduce_config_selectorIiEEZNS1_11reduce_implILb1ES3_N6hipcub16HIPCUB_304000_NS22TransformInputIteratorIiN2at6native8internal21MapNumberOfTrueValuesEPKhlEEPiiNS8_6detail34convert_binary_result_type_wrapperISt4plusIvESG_iEEEE10hipError_tPvRmT1_T2_T3_mT4_P12ihipStream_tbEUlT_E0_NS1_11comp_targetILNS1_3genE10ELNS1_11target_archE1201ELNS1_3gpuE5ELNS1_3repE0EEENS1_30default_config_static_selectorELNS0_4arch9wavefront6targetE0EEEvSQ_,"axG",@progbits,_ZN7rocprim17ROCPRIM_400000_NS6detail17trampoline_kernelINS0_14default_configENS1_22reduce_config_selectorIiEEZNS1_11reduce_implILb1ES3_N6hipcub16HIPCUB_304000_NS22TransformInputIteratorIiN2at6native8internal21MapNumberOfTrueValuesEPKhlEEPiiNS8_6detail34convert_binary_result_type_wrapperISt4plusIvESG_iEEEE10hipError_tPvRmT1_T2_T3_mT4_P12ihipStream_tbEUlT_E0_NS1_11comp_targetILNS1_3genE10ELNS1_11target_archE1201ELNS1_3gpuE5ELNS1_3repE0EEENS1_30default_config_static_selectorELNS0_4arch9wavefront6targetE0EEEvSQ_,comdat
.Lfunc_end120:
	.size	_ZN7rocprim17ROCPRIM_400000_NS6detail17trampoline_kernelINS0_14default_configENS1_22reduce_config_selectorIiEEZNS1_11reduce_implILb1ES3_N6hipcub16HIPCUB_304000_NS22TransformInputIteratorIiN2at6native8internal21MapNumberOfTrueValuesEPKhlEEPiiNS8_6detail34convert_binary_result_type_wrapperISt4plusIvESG_iEEEE10hipError_tPvRmT1_T2_T3_mT4_P12ihipStream_tbEUlT_E0_NS1_11comp_targetILNS1_3genE10ELNS1_11target_archE1201ELNS1_3gpuE5ELNS1_3repE0EEENS1_30default_config_static_selectorELNS0_4arch9wavefront6targetE0EEEvSQ_, .Lfunc_end120-_ZN7rocprim17ROCPRIM_400000_NS6detail17trampoline_kernelINS0_14default_configENS1_22reduce_config_selectorIiEEZNS1_11reduce_implILb1ES3_N6hipcub16HIPCUB_304000_NS22TransformInputIteratorIiN2at6native8internal21MapNumberOfTrueValuesEPKhlEEPiiNS8_6detail34convert_binary_result_type_wrapperISt4plusIvESG_iEEEE10hipError_tPvRmT1_T2_T3_mT4_P12ihipStream_tbEUlT_E0_NS1_11comp_targetILNS1_3genE10ELNS1_11target_archE1201ELNS1_3gpuE5ELNS1_3repE0EEENS1_30default_config_static_selectorELNS0_4arch9wavefront6targetE0EEEvSQ_
                                        ; -- End function
	.set _ZN7rocprim17ROCPRIM_400000_NS6detail17trampoline_kernelINS0_14default_configENS1_22reduce_config_selectorIiEEZNS1_11reduce_implILb1ES3_N6hipcub16HIPCUB_304000_NS22TransformInputIteratorIiN2at6native8internal21MapNumberOfTrueValuesEPKhlEEPiiNS8_6detail34convert_binary_result_type_wrapperISt4plusIvESG_iEEEE10hipError_tPvRmT1_T2_T3_mT4_P12ihipStream_tbEUlT_E0_NS1_11comp_targetILNS1_3genE10ELNS1_11target_archE1201ELNS1_3gpuE5ELNS1_3repE0EEENS1_30default_config_static_selectorELNS0_4arch9wavefront6targetE0EEEvSQ_.num_vgpr, 0
	.set _ZN7rocprim17ROCPRIM_400000_NS6detail17trampoline_kernelINS0_14default_configENS1_22reduce_config_selectorIiEEZNS1_11reduce_implILb1ES3_N6hipcub16HIPCUB_304000_NS22TransformInputIteratorIiN2at6native8internal21MapNumberOfTrueValuesEPKhlEEPiiNS8_6detail34convert_binary_result_type_wrapperISt4plusIvESG_iEEEE10hipError_tPvRmT1_T2_T3_mT4_P12ihipStream_tbEUlT_E0_NS1_11comp_targetILNS1_3genE10ELNS1_11target_archE1201ELNS1_3gpuE5ELNS1_3repE0EEENS1_30default_config_static_selectorELNS0_4arch9wavefront6targetE0EEEvSQ_.num_agpr, 0
	.set _ZN7rocprim17ROCPRIM_400000_NS6detail17trampoline_kernelINS0_14default_configENS1_22reduce_config_selectorIiEEZNS1_11reduce_implILb1ES3_N6hipcub16HIPCUB_304000_NS22TransformInputIteratorIiN2at6native8internal21MapNumberOfTrueValuesEPKhlEEPiiNS8_6detail34convert_binary_result_type_wrapperISt4plusIvESG_iEEEE10hipError_tPvRmT1_T2_T3_mT4_P12ihipStream_tbEUlT_E0_NS1_11comp_targetILNS1_3genE10ELNS1_11target_archE1201ELNS1_3gpuE5ELNS1_3repE0EEENS1_30default_config_static_selectorELNS0_4arch9wavefront6targetE0EEEvSQ_.numbered_sgpr, 0
	.set _ZN7rocprim17ROCPRIM_400000_NS6detail17trampoline_kernelINS0_14default_configENS1_22reduce_config_selectorIiEEZNS1_11reduce_implILb1ES3_N6hipcub16HIPCUB_304000_NS22TransformInputIteratorIiN2at6native8internal21MapNumberOfTrueValuesEPKhlEEPiiNS8_6detail34convert_binary_result_type_wrapperISt4plusIvESG_iEEEE10hipError_tPvRmT1_T2_T3_mT4_P12ihipStream_tbEUlT_E0_NS1_11comp_targetILNS1_3genE10ELNS1_11target_archE1201ELNS1_3gpuE5ELNS1_3repE0EEENS1_30default_config_static_selectorELNS0_4arch9wavefront6targetE0EEEvSQ_.num_named_barrier, 0
	.set _ZN7rocprim17ROCPRIM_400000_NS6detail17trampoline_kernelINS0_14default_configENS1_22reduce_config_selectorIiEEZNS1_11reduce_implILb1ES3_N6hipcub16HIPCUB_304000_NS22TransformInputIteratorIiN2at6native8internal21MapNumberOfTrueValuesEPKhlEEPiiNS8_6detail34convert_binary_result_type_wrapperISt4plusIvESG_iEEEE10hipError_tPvRmT1_T2_T3_mT4_P12ihipStream_tbEUlT_E0_NS1_11comp_targetILNS1_3genE10ELNS1_11target_archE1201ELNS1_3gpuE5ELNS1_3repE0EEENS1_30default_config_static_selectorELNS0_4arch9wavefront6targetE0EEEvSQ_.private_seg_size, 0
	.set _ZN7rocprim17ROCPRIM_400000_NS6detail17trampoline_kernelINS0_14default_configENS1_22reduce_config_selectorIiEEZNS1_11reduce_implILb1ES3_N6hipcub16HIPCUB_304000_NS22TransformInputIteratorIiN2at6native8internal21MapNumberOfTrueValuesEPKhlEEPiiNS8_6detail34convert_binary_result_type_wrapperISt4plusIvESG_iEEEE10hipError_tPvRmT1_T2_T3_mT4_P12ihipStream_tbEUlT_E0_NS1_11comp_targetILNS1_3genE10ELNS1_11target_archE1201ELNS1_3gpuE5ELNS1_3repE0EEENS1_30default_config_static_selectorELNS0_4arch9wavefront6targetE0EEEvSQ_.uses_vcc, 0
	.set _ZN7rocprim17ROCPRIM_400000_NS6detail17trampoline_kernelINS0_14default_configENS1_22reduce_config_selectorIiEEZNS1_11reduce_implILb1ES3_N6hipcub16HIPCUB_304000_NS22TransformInputIteratorIiN2at6native8internal21MapNumberOfTrueValuesEPKhlEEPiiNS8_6detail34convert_binary_result_type_wrapperISt4plusIvESG_iEEEE10hipError_tPvRmT1_T2_T3_mT4_P12ihipStream_tbEUlT_E0_NS1_11comp_targetILNS1_3genE10ELNS1_11target_archE1201ELNS1_3gpuE5ELNS1_3repE0EEENS1_30default_config_static_selectorELNS0_4arch9wavefront6targetE0EEEvSQ_.uses_flat_scratch, 0
	.set _ZN7rocprim17ROCPRIM_400000_NS6detail17trampoline_kernelINS0_14default_configENS1_22reduce_config_selectorIiEEZNS1_11reduce_implILb1ES3_N6hipcub16HIPCUB_304000_NS22TransformInputIteratorIiN2at6native8internal21MapNumberOfTrueValuesEPKhlEEPiiNS8_6detail34convert_binary_result_type_wrapperISt4plusIvESG_iEEEE10hipError_tPvRmT1_T2_T3_mT4_P12ihipStream_tbEUlT_E0_NS1_11comp_targetILNS1_3genE10ELNS1_11target_archE1201ELNS1_3gpuE5ELNS1_3repE0EEENS1_30default_config_static_selectorELNS0_4arch9wavefront6targetE0EEEvSQ_.has_dyn_sized_stack, 0
	.set _ZN7rocprim17ROCPRIM_400000_NS6detail17trampoline_kernelINS0_14default_configENS1_22reduce_config_selectorIiEEZNS1_11reduce_implILb1ES3_N6hipcub16HIPCUB_304000_NS22TransformInputIteratorIiN2at6native8internal21MapNumberOfTrueValuesEPKhlEEPiiNS8_6detail34convert_binary_result_type_wrapperISt4plusIvESG_iEEEE10hipError_tPvRmT1_T2_T3_mT4_P12ihipStream_tbEUlT_E0_NS1_11comp_targetILNS1_3genE10ELNS1_11target_archE1201ELNS1_3gpuE5ELNS1_3repE0EEENS1_30default_config_static_selectorELNS0_4arch9wavefront6targetE0EEEvSQ_.has_recursion, 0
	.set _ZN7rocprim17ROCPRIM_400000_NS6detail17trampoline_kernelINS0_14default_configENS1_22reduce_config_selectorIiEEZNS1_11reduce_implILb1ES3_N6hipcub16HIPCUB_304000_NS22TransformInputIteratorIiN2at6native8internal21MapNumberOfTrueValuesEPKhlEEPiiNS8_6detail34convert_binary_result_type_wrapperISt4plusIvESG_iEEEE10hipError_tPvRmT1_T2_T3_mT4_P12ihipStream_tbEUlT_E0_NS1_11comp_targetILNS1_3genE10ELNS1_11target_archE1201ELNS1_3gpuE5ELNS1_3repE0EEENS1_30default_config_static_selectorELNS0_4arch9wavefront6targetE0EEEvSQ_.has_indirect_call, 0
	.section	.AMDGPU.csdata,"",@progbits
; Kernel info:
; codeLenInByte = 0
; TotalNumSgprs: 0
; NumVgprs: 0
; ScratchSize: 0
; MemoryBound: 0
; FloatMode: 240
; IeeeMode: 1
; LDSByteSize: 0 bytes/workgroup (compile time only)
; SGPRBlocks: 0
; VGPRBlocks: 0
; NumSGPRsForWavesPerEU: 1
; NumVGPRsForWavesPerEU: 1
; NamedBarCnt: 0
; Occupancy: 16
; WaveLimiterHint : 0
; COMPUTE_PGM_RSRC2:SCRATCH_EN: 0
; COMPUTE_PGM_RSRC2:USER_SGPR: 2
; COMPUTE_PGM_RSRC2:TRAP_HANDLER: 0
; COMPUTE_PGM_RSRC2:TGID_X_EN: 1
; COMPUTE_PGM_RSRC2:TGID_Y_EN: 0
; COMPUTE_PGM_RSRC2:TGID_Z_EN: 0
; COMPUTE_PGM_RSRC2:TIDIG_COMP_CNT: 0
	.section	.text._ZN7rocprim17ROCPRIM_400000_NS6detail17trampoline_kernelINS0_14default_configENS1_22reduce_config_selectorIiEEZNS1_11reduce_implILb1ES3_N6hipcub16HIPCUB_304000_NS22TransformInputIteratorIiN2at6native8internal21MapNumberOfTrueValuesEPKhlEEPiiNS8_6detail34convert_binary_result_type_wrapperISt4plusIvESG_iEEEE10hipError_tPvRmT1_T2_T3_mT4_P12ihipStream_tbEUlT_E0_NS1_11comp_targetILNS1_3genE10ELNS1_11target_archE1200ELNS1_3gpuE4ELNS1_3repE0EEENS1_30default_config_static_selectorELNS0_4arch9wavefront6targetE0EEEvSQ_,"axG",@progbits,_ZN7rocprim17ROCPRIM_400000_NS6detail17trampoline_kernelINS0_14default_configENS1_22reduce_config_selectorIiEEZNS1_11reduce_implILb1ES3_N6hipcub16HIPCUB_304000_NS22TransformInputIteratorIiN2at6native8internal21MapNumberOfTrueValuesEPKhlEEPiiNS8_6detail34convert_binary_result_type_wrapperISt4plusIvESG_iEEEE10hipError_tPvRmT1_T2_T3_mT4_P12ihipStream_tbEUlT_E0_NS1_11comp_targetILNS1_3genE10ELNS1_11target_archE1200ELNS1_3gpuE4ELNS1_3repE0EEENS1_30default_config_static_selectorELNS0_4arch9wavefront6targetE0EEEvSQ_,comdat
	.protected	_ZN7rocprim17ROCPRIM_400000_NS6detail17trampoline_kernelINS0_14default_configENS1_22reduce_config_selectorIiEEZNS1_11reduce_implILb1ES3_N6hipcub16HIPCUB_304000_NS22TransformInputIteratorIiN2at6native8internal21MapNumberOfTrueValuesEPKhlEEPiiNS8_6detail34convert_binary_result_type_wrapperISt4plusIvESG_iEEEE10hipError_tPvRmT1_T2_T3_mT4_P12ihipStream_tbEUlT_E0_NS1_11comp_targetILNS1_3genE10ELNS1_11target_archE1200ELNS1_3gpuE4ELNS1_3repE0EEENS1_30default_config_static_selectorELNS0_4arch9wavefront6targetE0EEEvSQ_ ; -- Begin function _ZN7rocprim17ROCPRIM_400000_NS6detail17trampoline_kernelINS0_14default_configENS1_22reduce_config_selectorIiEEZNS1_11reduce_implILb1ES3_N6hipcub16HIPCUB_304000_NS22TransformInputIteratorIiN2at6native8internal21MapNumberOfTrueValuesEPKhlEEPiiNS8_6detail34convert_binary_result_type_wrapperISt4plusIvESG_iEEEE10hipError_tPvRmT1_T2_T3_mT4_P12ihipStream_tbEUlT_E0_NS1_11comp_targetILNS1_3genE10ELNS1_11target_archE1200ELNS1_3gpuE4ELNS1_3repE0EEENS1_30default_config_static_selectorELNS0_4arch9wavefront6targetE0EEEvSQ_
	.globl	_ZN7rocprim17ROCPRIM_400000_NS6detail17trampoline_kernelINS0_14default_configENS1_22reduce_config_selectorIiEEZNS1_11reduce_implILb1ES3_N6hipcub16HIPCUB_304000_NS22TransformInputIteratorIiN2at6native8internal21MapNumberOfTrueValuesEPKhlEEPiiNS8_6detail34convert_binary_result_type_wrapperISt4plusIvESG_iEEEE10hipError_tPvRmT1_T2_T3_mT4_P12ihipStream_tbEUlT_E0_NS1_11comp_targetILNS1_3genE10ELNS1_11target_archE1200ELNS1_3gpuE4ELNS1_3repE0EEENS1_30default_config_static_selectorELNS0_4arch9wavefront6targetE0EEEvSQ_
	.p2align	8
	.type	_ZN7rocprim17ROCPRIM_400000_NS6detail17trampoline_kernelINS0_14default_configENS1_22reduce_config_selectorIiEEZNS1_11reduce_implILb1ES3_N6hipcub16HIPCUB_304000_NS22TransformInputIteratorIiN2at6native8internal21MapNumberOfTrueValuesEPKhlEEPiiNS8_6detail34convert_binary_result_type_wrapperISt4plusIvESG_iEEEE10hipError_tPvRmT1_T2_T3_mT4_P12ihipStream_tbEUlT_E0_NS1_11comp_targetILNS1_3genE10ELNS1_11target_archE1200ELNS1_3gpuE4ELNS1_3repE0EEENS1_30default_config_static_selectorELNS0_4arch9wavefront6targetE0EEEvSQ_,@function
_ZN7rocprim17ROCPRIM_400000_NS6detail17trampoline_kernelINS0_14default_configENS1_22reduce_config_selectorIiEEZNS1_11reduce_implILb1ES3_N6hipcub16HIPCUB_304000_NS22TransformInputIteratorIiN2at6native8internal21MapNumberOfTrueValuesEPKhlEEPiiNS8_6detail34convert_binary_result_type_wrapperISt4plusIvESG_iEEEE10hipError_tPvRmT1_T2_T3_mT4_P12ihipStream_tbEUlT_E0_NS1_11comp_targetILNS1_3genE10ELNS1_11target_archE1200ELNS1_3gpuE4ELNS1_3repE0EEENS1_30default_config_static_selectorELNS0_4arch9wavefront6targetE0EEEvSQ_: ; @_ZN7rocprim17ROCPRIM_400000_NS6detail17trampoline_kernelINS0_14default_configENS1_22reduce_config_selectorIiEEZNS1_11reduce_implILb1ES3_N6hipcub16HIPCUB_304000_NS22TransformInputIteratorIiN2at6native8internal21MapNumberOfTrueValuesEPKhlEEPiiNS8_6detail34convert_binary_result_type_wrapperISt4plusIvESG_iEEEE10hipError_tPvRmT1_T2_T3_mT4_P12ihipStream_tbEUlT_E0_NS1_11comp_targetILNS1_3genE10ELNS1_11target_archE1200ELNS1_3gpuE4ELNS1_3repE0EEENS1_30default_config_static_selectorELNS0_4arch9wavefront6targetE0EEEvSQ_
; %bb.0:
	.section	.rodata,"a",@progbits
	.p2align	6, 0x0
	.amdhsa_kernel _ZN7rocprim17ROCPRIM_400000_NS6detail17trampoline_kernelINS0_14default_configENS1_22reduce_config_selectorIiEEZNS1_11reduce_implILb1ES3_N6hipcub16HIPCUB_304000_NS22TransformInputIteratorIiN2at6native8internal21MapNumberOfTrueValuesEPKhlEEPiiNS8_6detail34convert_binary_result_type_wrapperISt4plusIvESG_iEEEE10hipError_tPvRmT1_T2_T3_mT4_P12ihipStream_tbEUlT_E0_NS1_11comp_targetILNS1_3genE10ELNS1_11target_archE1200ELNS1_3gpuE4ELNS1_3repE0EEENS1_30default_config_static_selectorELNS0_4arch9wavefront6targetE0EEEvSQ_
		.amdhsa_group_segment_fixed_size 0
		.amdhsa_private_segment_fixed_size 0
		.amdhsa_kernarg_size 64
		.amdhsa_user_sgpr_count 2
		.amdhsa_user_sgpr_dispatch_ptr 0
		.amdhsa_user_sgpr_queue_ptr 0
		.amdhsa_user_sgpr_kernarg_segment_ptr 1
		.amdhsa_user_sgpr_dispatch_id 0
		.amdhsa_user_sgpr_kernarg_preload_length 0
		.amdhsa_user_sgpr_kernarg_preload_offset 0
		.amdhsa_user_sgpr_private_segment_size 0
		.amdhsa_wavefront_size32 1
		.amdhsa_uses_dynamic_stack 0
		.amdhsa_enable_private_segment 0
		.amdhsa_system_sgpr_workgroup_id_x 1
		.amdhsa_system_sgpr_workgroup_id_y 0
		.amdhsa_system_sgpr_workgroup_id_z 0
		.amdhsa_system_sgpr_workgroup_info 0
		.amdhsa_system_vgpr_workitem_id 0
		.amdhsa_next_free_vgpr 1
		.amdhsa_next_free_sgpr 1
		.amdhsa_named_barrier_count 0
		.amdhsa_reserve_vcc 0
		.amdhsa_float_round_mode_32 0
		.amdhsa_float_round_mode_16_64 0
		.amdhsa_float_denorm_mode_32 3
		.amdhsa_float_denorm_mode_16_64 3
		.amdhsa_fp16_overflow 0
		.amdhsa_memory_ordered 1
		.amdhsa_forward_progress 1
		.amdhsa_inst_pref_size 0
		.amdhsa_round_robin_scheduling 0
		.amdhsa_exception_fp_ieee_invalid_op 0
		.amdhsa_exception_fp_denorm_src 0
		.amdhsa_exception_fp_ieee_div_zero 0
		.amdhsa_exception_fp_ieee_overflow 0
		.amdhsa_exception_fp_ieee_underflow 0
		.amdhsa_exception_fp_ieee_inexact 0
		.amdhsa_exception_int_div_zero 0
	.end_amdhsa_kernel
	.section	.text._ZN7rocprim17ROCPRIM_400000_NS6detail17trampoline_kernelINS0_14default_configENS1_22reduce_config_selectorIiEEZNS1_11reduce_implILb1ES3_N6hipcub16HIPCUB_304000_NS22TransformInputIteratorIiN2at6native8internal21MapNumberOfTrueValuesEPKhlEEPiiNS8_6detail34convert_binary_result_type_wrapperISt4plusIvESG_iEEEE10hipError_tPvRmT1_T2_T3_mT4_P12ihipStream_tbEUlT_E0_NS1_11comp_targetILNS1_3genE10ELNS1_11target_archE1200ELNS1_3gpuE4ELNS1_3repE0EEENS1_30default_config_static_selectorELNS0_4arch9wavefront6targetE0EEEvSQ_,"axG",@progbits,_ZN7rocprim17ROCPRIM_400000_NS6detail17trampoline_kernelINS0_14default_configENS1_22reduce_config_selectorIiEEZNS1_11reduce_implILb1ES3_N6hipcub16HIPCUB_304000_NS22TransformInputIteratorIiN2at6native8internal21MapNumberOfTrueValuesEPKhlEEPiiNS8_6detail34convert_binary_result_type_wrapperISt4plusIvESG_iEEEE10hipError_tPvRmT1_T2_T3_mT4_P12ihipStream_tbEUlT_E0_NS1_11comp_targetILNS1_3genE10ELNS1_11target_archE1200ELNS1_3gpuE4ELNS1_3repE0EEENS1_30default_config_static_selectorELNS0_4arch9wavefront6targetE0EEEvSQ_,comdat
.Lfunc_end121:
	.size	_ZN7rocprim17ROCPRIM_400000_NS6detail17trampoline_kernelINS0_14default_configENS1_22reduce_config_selectorIiEEZNS1_11reduce_implILb1ES3_N6hipcub16HIPCUB_304000_NS22TransformInputIteratorIiN2at6native8internal21MapNumberOfTrueValuesEPKhlEEPiiNS8_6detail34convert_binary_result_type_wrapperISt4plusIvESG_iEEEE10hipError_tPvRmT1_T2_T3_mT4_P12ihipStream_tbEUlT_E0_NS1_11comp_targetILNS1_3genE10ELNS1_11target_archE1200ELNS1_3gpuE4ELNS1_3repE0EEENS1_30default_config_static_selectorELNS0_4arch9wavefront6targetE0EEEvSQ_, .Lfunc_end121-_ZN7rocprim17ROCPRIM_400000_NS6detail17trampoline_kernelINS0_14default_configENS1_22reduce_config_selectorIiEEZNS1_11reduce_implILb1ES3_N6hipcub16HIPCUB_304000_NS22TransformInputIteratorIiN2at6native8internal21MapNumberOfTrueValuesEPKhlEEPiiNS8_6detail34convert_binary_result_type_wrapperISt4plusIvESG_iEEEE10hipError_tPvRmT1_T2_T3_mT4_P12ihipStream_tbEUlT_E0_NS1_11comp_targetILNS1_3genE10ELNS1_11target_archE1200ELNS1_3gpuE4ELNS1_3repE0EEENS1_30default_config_static_selectorELNS0_4arch9wavefront6targetE0EEEvSQ_
                                        ; -- End function
	.set _ZN7rocprim17ROCPRIM_400000_NS6detail17trampoline_kernelINS0_14default_configENS1_22reduce_config_selectorIiEEZNS1_11reduce_implILb1ES3_N6hipcub16HIPCUB_304000_NS22TransformInputIteratorIiN2at6native8internal21MapNumberOfTrueValuesEPKhlEEPiiNS8_6detail34convert_binary_result_type_wrapperISt4plusIvESG_iEEEE10hipError_tPvRmT1_T2_T3_mT4_P12ihipStream_tbEUlT_E0_NS1_11comp_targetILNS1_3genE10ELNS1_11target_archE1200ELNS1_3gpuE4ELNS1_3repE0EEENS1_30default_config_static_selectorELNS0_4arch9wavefront6targetE0EEEvSQ_.num_vgpr, 0
	.set _ZN7rocprim17ROCPRIM_400000_NS6detail17trampoline_kernelINS0_14default_configENS1_22reduce_config_selectorIiEEZNS1_11reduce_implILb1ES3_N6hipcub16HIPCUB_304000_NS22TransformInputIteratorIiN2at6native8internal21MapNumberOfTrueValuesEPKhlEEPiiNS8_6detail34convert_binary_result_type_wrapperISt4plusIvESG_iEEEE10hipError_tPvRmT1_T2_T3_mT4_P12ihipStream_tbEUlT_E0_NS1_11comp_targetILNS1_3genE10ELNS1_11target_archE1200ELNS1_3gpuE4ELNS1_3repE0EEENS1_30default_config_static_selectorELNS0_4arch9wavefront6targetE0EEEvSQ_.num_agpr, 0
	.set _ZN7rocprim17ROCPRIM_400000_NS6detail17trampoline_kernelINS0_14default_configENS1_22reduce_config_selectorIiEEZNS1_11reduce_implILb1ES3_N6hipcub16HIPCUB_304000_NS22TransformInputIteratorIiN2at6native8internal21MapNumberOfTrueValuesEPKhlEEPiiNS8_6detail34convert_binary_result_type_wrapperISt4plusIvESG_iEEEE10hipError_tPvRmT1_T2_T3_mT4_P12ihipStream_tbEUlT_E0_NS1_11comp_targetILNS1_3genE10ELNS1_11target_archE1200ELNS1_3gpuE4ELNS1_3repE0EEENS1_30default_config_static_selectorELNS0_4arch9wavefront6targetE0EEEvSQ_.numbered_sgpr, 0
	.set _ZN7rocprim17ROCPRIM_400000_NS6detail17trampoline_kernelINS0_14default_configENS1_22reduce_config_selectorIiEEZNS1_11reduce_implILb1ES3_N6hipcub16HIPCUB_304000_NS22TransformInputIteratorIiN2at6native8internal21MapNumberOfTrueValuesEPKhlEEPiiNS8_6detail34convert_binary_result_type_wrapperISt4plusIvESG_iEEEE10hipError_tPvRmT1_T2_T3_mT4_P12ihipStream_tbEUlT_E0_NS1_11comp_targetILNS1_3genE10ELNS1_11target_archE1200ELNS1_3gpuE4ELNS1_3repE0EEENS1_30default_config_static_selectorELNS0_4arch9wavefront6targetE0EEEvSQ_.num_named_barrier, 0
	.set _ZN7rocprim17ROCPRIM_400000_NS6detail17trampoline_kernelINS0_14default_configENS1_22reduce_config_selectorIiEEZNS1_11reduce_implILb1ES3_N6hipcub16HIPCUB_304000_NS22TransformInputIteratorIiN2at6native8internal21MapNumberOfTrueValuesEPKhlEEPiiNS8_6detail34convert_binary_result_type_wrapperISt4plusIvESG_iEEEE10hipError_tPvRmT1_T2_T3_mT4_P12ihipStream_tbEUlT_E0_NS1_11comp_targetILNS1_3genE10ELNS1_11target_archE1200ELNS1_3gpuE4ELNS1_3repE0EEENS1_30default_config_static_selectorELNS0_4arch9wavefront6targetE0EEEvSQ_.private_seg_size, 0
	.set _ZN7rocprim17ROCPRIM_400000_NS6detail17trampoline_kernelINS0_14default_configENS1_22reduce_config_selectorIiEEZNS1_11reduce_implILb1ES3_N6hipcub16HIPCUB_304000_NS22TransformInputIteratorIiN2at6native8internal21MapNumberOfTrueValuesEPKhlEEPiiNS8_6detail34convert_binary_result_type_wrapperISt4plusIvESG_iEEEE10hipError_tPvRmT1_T2_T3_mT4_P12ihipStream_tbEUlT_E0_NS1_11comp_targetILNS1_3genE10ELNS1_11target_archE1200ELNS1_3gpuE4ELNS1_3repE0EEENS1_30default_config_static_selectorELNS0_4arch9wavefront6targetE0EEEvSQ_.uses_vcc, 0
	.set _ZN7rocprim17ROCPRIM_400000_NS6detail17trampoline_kernelINS0_14default_configENS1_22reduce_config_selectorIiEEZNS1_11reduce_implILb1ES3_N6hipcub16HIPCUB_304000_NS22TransformInputIteratorIiN2at6native8internal21MapNumberOfTrueValuesEPKhlEEPiiNS8_6detail34convert_binary_result_type_wrapperISt4plusIvESG_iEEEE10hipError_tPvRmT1_T2_T3_mT4_P12ihipStream_tbEUlT_E0_NS1_11comp_targetILNS1_3genE10ELNS1_11target_archE1200ELNS1_3gpuE4ELNS1_3repE0EEENS1_30default_config_static_selectorELNS0_4arch9wavefront6targetE0EEEvSQ_.uses_flat_scratch, 0
	.set _ZN7rocprim17ROCPRIM_400000_NS6detail17trampoline_kernelINS0_14default_configENS1_22reduce_config_selectorIiEEZNS1_11reduce_implILb1ES3_N6hipcub16HIPCUB_304000_NS22TransformInputIteratorIiN2at6native8internal21MapNumberOfTrueValuesEPKhlEEPiiNS8_6detail34convert_binary_result_type_wrapperISt4plusIvESG_iEEEE10hipError_tPvRmT1_T2_T3_mT4_P12ihipStream_tbEUlT_E0_NS1_11comp_targetILNS1_3genE10ELNS1_11target_archE1200ELNS1_3gpuE4ELNS1_3repE0EEENS1_30default_config_static_selectorELNS0_4arch9wavefront6targetE0EEEvSQ_.has_dyn_sized_stack, 0
	.set _ZN7rocprim17ROCPRIM_400000_NS6detail17trampoline_kernelINS0_14default_configENS1_22reduce_config_selectorIiEEZNS1_11reduce_implILb1ES3_N6hipcub16HIPCUB_304000_NS22TransformInputIteratorIiN2at6native8internal21MapNumberOfTrueValuesEPKhlEEPiiNS8_6detail34convert_binary_result_type_wrapperISt4plusIvESG_iEEEE10hipError_tPvRmT1_T2_T3_mT4_P12ihipStream_tbEUlT_E0_NS1_11comp_targetILNS1_3genE10ELNS1_11target_archE1200ELNS1_3gpuE4ELNS1_3repE0EEENS1_30default_config_static_selectorELNS0_4arch9wavefront6targetE0EEEvSQ_.has_recursion, 0
	.set _ZN7rocprim17ROCPRIM_400000_NS6detail17trampoline_kernelINS0_14default_configENS1_22reduce_config_selectorIiEEZNS1_11reduce_implILb1ES3_N6hipcub16HIPCUB_304000_NS22TransformInputIteratorIiN2at6native8internal21MapNumberOfTrueValuesEPKhlEEPiiNS8_6detail34convert_binary_result_type_wrapperISt4plusIvESG_iEEEE10hipError_tPvRmT1_T2_T3_mT4_P12ihipStream_tbEUlT_E0_NS1_11comp_targetILNS1_3genE10ELNS1_11target_archE1200ELNS1_3gpuE4ELNS1_3repE0EEENS1_30default_config_static_selectorELNS0_4arch9wavefront6targetE0EEEvSQ_.has_indirect_call, 0
	.section	.AMDGPU.csdata,"",@progbits
; Kernel info:
; codeLenInByte = 0
; TotalNumSgprs: 0
; NumVgprs: 0
; ScratchSize: 0
; MemoryBound: 0
; FloatMode: 240
; IeeeMode: 1
; LDSByteSize: 0 bytes/workgroup (compile time only)
; SGPRBlocks: 0
; VGPRBlocks: 0
; NumSGPRsForWavesPerEU: 1
; NumVGPRsForWavesPerEU: 1
; NamedBarCnt: 0
; Occupancy: 16
; WaveLimiterHint : 0
; COMPUTE_PGM_RSRC2:SCRATCH_EN: 0
; COMPUTE_PGM_RSRC2:USER_SGPR: 2
; COMPUTE_PGM_RSRC2:TRAP_HANDLER: 0
; COMPUTE_PGM_RSRC2:TGID_X_EN: 1
; COMPUTE_PGM_RSRC2:TGID_Y_EN: 0
; COMPUTE_PGM_RSRC2:TGID_Z_EN: 0
; COMPUTE_PGM_RSRC2:TIDIG_COMP_CNT: 0
	.section	.text._ZN7rocprim17ROCPRIM_400000_NS6detail17trampoline_kernelINS0_14default_configENS1_22reduce_config_selectorIiEEZNS1_11reduce_implILb1ES3_N6hipcub16HIPCUB_304000_NS22TransformInputIteratorIiN2at6native8internal21MapNumberOfTrueValuesEPKhlEEPiiNS8_6detail34convert_binary_result_type_wrapperISt4plusIvESG_iEEEE10hipError_tPvRmT1_T2_T3_mT4_P12ihipStream_tbEUlT_E0_NS1_11comp_targetILNS1_3genE9ELNS1_11target_archE1100ELNS1_3gpuE3ELNS1_3repE0EEENS1_30default_config_static_selectorELNS0_4arch9wavefront6targetE0EEEvSQ_,"axG",@progbits,_ZN7rocprim17ROCPRIM_400000_NS6detail17trampoline_kernelINS0_14default_configENS1_22reduce_config_selectorIiEEZNS1_11reduce_implILb1ES3_N6hipcub16HIPCUB_304000_NS22TransformInputIteratorIiN2at6native8internal21MapNumberOfTrueValuesEPKhlEEPiiNS8_6detail34convert_binary_result_type_wrapperISt4plusIvESG_iEEEE10hipError_tPvRmT1_T2_T3_mT4_P12ihipStream_tbEUlT_E0_NS1_11comp_targetILNS1_3genE9ELNS1_11target_archE1100ELNS1_3gpuE3ELNS1_3repE0EEENS1_30default_config_static_selectorELNS0_4arch9wavefront6targetE0EEEvSQ_,comdat
	.protected	_ZN7rocprim17ROCPRIM_400000_NS6detail17trampoline_kernelINS0_14default_configENS1_22reduce_config_selectorIiEEZNS1_11reduce_implILb1ES3_N6hipcub16HIPCUB_304000_NS22TransformInputIteratorIiN2at6native8internal21MapNumberOfTrueValuesEPKhlEEPiiNS8_6detail34convert_binary_result_type_wrapperISt4plusIvESG_iEEEE10hipError_tPvRmT1_T2_T3_mT4_P12ihipStream_tbEUlT_E0_NS1_11comp_targetILNS1_3genE9ELNS1_11target_archE1100ELNS1_3gpuE3ELNS1_3repE0EEENS1_30default_config_static_selectorELNS0_4arch9wavefront6targetE0EEEvSQ_ ; -- Begin function _ZN7rocprim17ROCPRIM_400000_NS6detail17trampoline_kernelINS0_14default_configENS1_22reduce_config_selectorIiEEZNS1_11reduce_implILb1ES3_N6hipcub16HIPCUB_304000_NS22TransformInputIteratorIiN2at6native8internal21MapNumberOfTrueValuesEPKhlEEPiiNS8_6detail34convert_binary_result_type_wrapperISt4plusIvESG_iEEEE10hipError_tPvRmT1_T2_T3_mT4_P12ihipStream_tbEUlT_E0_NS1_11comp_targetILNS1_3genE9ELNS1_11target_archE1100ELNS1_3gpuE3ELNS1_3repE0EEENS1_30default_config_static_selectorELNS0_4arch9wavefront6targetE0EEEvSQ_
	.globl	_ZN7rocprim17ROCPRIM_400000_NS6detail17trampoline_kernelINS0_14default_configENS1_22reduce_config_selectorIiEEZNS1_11reduce_implILb1ES3_N6hipcub16HIPCUB_304000_NS22TransformInputIteratorIiN2at6native8internal21MapNumberOfTrueValuesEPKhlEEPiiNS8_6detail34convert_binary_result_type_wrapperISt4plusIvESG_iEEEE10hipError_tPvRmT1_T2_T3_mT4_P12ihipStream_tbEUlT_E0_NS1_11comp_targetILNS1_3genE9ELNS1_11target_archE1100ELNS1_3gpuE3ELNS1_3repE0EEENS1_30default_config_static_selectorELNS0_4arch9wavefront6targetE0EEEvSQ_
	.p2align	8
	.type	_ZN7rocprim17ROCPRIM_400000_NS6detail17trampoline_kernelINS0_14default_configENS1_22reduce_config_selectorIiEEZNS1_11reduce_implILb1ES3_N6hipcub16HIPCUB_304000_NS22TransformInputIteratorIiN2at6native8internal21MapNumberOfTrueValuesEPKhlEEPiiNS8_6detail34convert_binary_result_type_wrapperISt4plusIvESG_iEEEE10hipError_tPvRmT1_T2_T3_mT4_P12ihipStream_tbEUlT_E0_NS1_11comp_targetILNS1_3genE9ELNS1_11target_archE1100ELNS1_3gpuE3ELNS1_3repE0EEENS1_30default_config_static_selectorELNS0_4arch9wavefront6targetE0EEEvSQ_,@function
_ZN7rocprim17ROCPRIM_400000_NS6detail17trampoline_kernelINS0_14default_configENS1_22reduce_config_selectorIiEEZNS1_11reduce_implILb1ES3_N6hipcub16HIPCUB_304000_NS22TransformInputIteratorIiN2at6native8internal21MapNumberOfTrueValuesEPKhlEEPiiNS8_6detail34convert_binary_result_type_wrapperISt4plusIvESG_iEEEE10hipError_tPvRmT1_T2_T3_mT4_P12ihipStream_tbEUlT_E0_NS1_11comp_targetILNS1_3genE9ELNS1_11target_archE1100ELNS1_3gpuE3ELNS1_3repE0EEENS1_30default_config_static_selectorELNS0_4arch9wavefront6targetE0EEEvSQ_: ; @_ZN7rocprim17ROCPRIM_400000_NS6detail17trampoline_kernelINS0_14default_configENS1_22reduce_config_selectorIiEEZNS1_11reduce_implILb1ES3_N6hipcub16HIPCUB_304000_NS22TransformInputIteratorIiN2at6native8internal21MapNumberOfTrueValuesEPKhlEEPiiNS8_6detail34convert_binary_result_type_wrapperISt4plusIvESG_iEEEE10hipError_tPvRmT1_T2_T3_mT4_P12ihipStream_tbEUlT_E0_NS1_11comp_targetILNS1_3genE9ELNS1_11target_archE1100ELNS1_3gpuE3ELNS1_3repE0EEENS1_30default_config_static_selectorELNS0_4arch9wavefront6targetE0EEEvSQ_
; %bb.0:
	.section	.rodata,"a",@progbits
	.p2align	6, 0x0
	.amdhsa_kernel _ZN7rocprim17ROCPRIM_400000_NS6detail17trampoline_kernelINS0_14default_configENS1_22reduce_config_selectorIiEEZNS1_11reduce_implILb1ES3_N6hipcub16HIPCUB_304000_NS22TransformInputIteratorIiN2at6native8internal21MapNumberOfTrueValuesEPKhlEEPiiNS8_6detail34convert_binary_result_type_wrapperISt4plusIvESG_iEEEE10hipError_tPvRmT1_T2_T3_mT4_P12ihipStream_tbEUlT_E0_NS1_11comp_targetILNS1_3genE9ELNS1_11target_archE1100ELNS1_3gpuE3ELNS1_3repE0EEENS1_30default_config_static_selectorELNS0_4arch9wavefront6targetE0EEEvSQ_
		.amdhsa_group_segment_fixed_size 0
		.amdhsa_private_segment_fixed_size 0
		.amdhsa_kernarg_size 64
		.amdhsa_user_sgpr_count 2
		.amdhsa_user_sgpr_dispatch_ptr 0
		.amdhsa_user_sgpr_queue_ptr 0
		.amdhsa_user_sgpr_kernarg_segment_ptr 1
		.amdhsa_user_sgpr_dispatch_id 0
		.amdhsa_user_sgpr_kernarg_preload_length 0
		.amdhsa_user_sgpr_kernarg_preload_offset 0
		.amdhsa_user_sgpr_private_segment_size 0
		.amdhsa_wavefront_size32 1
		.amdhsa_uses_dynamic_stack 0
		.amdhsa_enable_private_segment 0
		.amdhsa_system_sgpr_workgroup_id_x 1
		.amdhsa_system_sgpr_workgroup_id_y 0
		.amdhsa_system_sgpr_workgroup_id_z 0
		.amdhsa_system_sgpr_workgroup_info 0
		.amdhsa_system_vgpr_workitem_id 0
		.amdhsa_next_free_vgpr 1
		.amdhsa_next_free_sgpr 1
		.amdhsa_named_barrier_count 0
		.amdhsa_reserve_vcc 0
		.amdhsa_float_round_mode_32 0
		.amdhsa_float_round_mode_16_64 0
		.amdhsa_float_denorm_mode_32 3
		.amdhsa_float_denorm_mode_16_64 3
		.amdhsa_fp16_overflow 0
		.amdhsa_memory_ordered 1
		.amdhsa_forward_progress 1
		.amdhsa_inst_pref_size 0
		.amdhsa_round_robin_scheduling 0
		.amdhsa_exception_fp_ieee_invalid_op 0
		.amdhsa_exception_fp_denorm_src 0
		.amdhsa_exception_fp_ieee_div_zero 0
		.amdhsa_exception_fp_ieee_overflow 0
		.amdhsa_exception_fp_ieee_underflow 0
		.amdhsa_exception_fp_ieee_inexact 0
		.amdhsa_exception_int_div_zero 0
	.end_amdhsa_kernel
	.section	.text._ZN7rocprim17ROCPRIM_400000_NS6detail17trampoline_kernelINS0_14default_configENS1_22reduce_config_selectorIiEEZNS1_11reduce_implILb1ES3_N6hipcub16HIPCUB_304000_NS22TransformInputIteratorIiN2at6native8internal21MapNumberOfTrueValuesEPKhlEEPiiNS8_6detail34convert_binary_result_type_wrapperISt4plusIvESG_iEEEE10hipError_tPvRmT1_T2_T3_mT4_P12ihipStream_tbEUlT_E0_NS1_11comp_targetILNS1_3genE9ELNS1_11target_archE1100ELNS1_3gpuE3ELNS1_3repE0EEENS1_30default_config_static_selectorELNS0_4arch9wavefront6targetE0EEEvSQ_,"axG",@progbits,_ZN7rocprim17ROCPRIM_400000_NS6detail17trampoline_kernelINS0_14default_configENS1_22reduce_config_selectorIiEEZNS1_11reduce_implILb1ES3_N6hipcub16HIPCUB_304000_NS22TransformInputIteratorIiN2at6native8internal21MapNumberOfTrueValuesEPKhlEEPiiNS8_6detail34convert_binary_result_type_wrapperISt4plusIvESG_iEEEE10hipError_tPvRmT1_T2_T3_mT4_P12ihipStream_tbEUlT_E0_NS1_11comp_targetILNS1_3genE9ELNS1_11target_archE1100ELNS1_3gpuE3ELNS1_3repE0EEENS1_30default_config_static_selectorELNS0_4arch9wavefront6targetE0EEEvSQ_,comdat
.Lfunc_end122:
	.size	_ZN7rocprim17ROCPRIM_400000_NS6detail17trampoline_kernelINS0_14default_configENS1_22reduce_config_selectorIiEEZNS1_11reduce_implILb1ES3_N6hipcub16HIPCUB_304000_NS22TransformInputIteratorIiN2at6native8internal21MapNumberOfTrueValuesEPKhlEEPiiNS8_6detail34convert_binary_result_type_wrapperISt4plusIvESG_iEEEE10hipError_tPvRmT1_T2_T3_mT4_P12ihipStream_tbEUlT_E0_NS1_11comp_targetILNS1_3genE9ELNS1_11target_archE1100ELNS1_3gpuE3ELNS1_3repE0EEENS1_30default_config_static_selectorELNS0_4arch9wavefront6targetE0EEEvSQ_, .Lfunc_end122-_ZN7rocprim17ROCPRIM_400000_NS6detail17trampoline_kernelINS0_14default_configENS1_22reduce_config_selectorIiEEZNS1_11reduce_implILb1ES3_N6hipcub16HIPCUB_304000_NS22TransformInputIteratorIiN2at6native8internal21MapNumberOfTrueValuesEPKhlEEPiiNS8_6detail34convert_binary_result_type_wrapperISt4plusIvESG_iEEEE10hipError_tPvRmT1_T2_T3_mT4_P12ihipStream_tbEUlT_E0_NS1_11comp_targetILNS1_3genE9ELNS1_11target_archE1100ELNS1_3gpuE3ELNS1_3repE0EEENS1_30default_config_static_selectorELNS0_4arch9wavefront6targetE0EEEvSQ_
                                        ; -- End function
	.set _ZN7rocprim17ROCPRIM_400000_NS6detail17trampoline_kernelINS0_14default_configENS1_22reduce_config_selectorIiEEZNS1_11reduce_implILb1ES3_N6hipcub16HIPCUB_304000_NS22TransformInputIteratorIiN2at6native8internal21MapNumberOfTrueValuesEPKhlEEPiiNS8_6detail34convert_binary_result_type_wrapperISt4plusIvESG_iEEEE10hipError_tPvRmT1_T2_T3_mT4_P12ihipStream_tbEUlT_E0_NS1_11comp_targetILNS1_3genE9ELNS1_11target_archE1100ELNS1_3gpuE3ELNS1_3repE0EEENS1_30default_config_static_selectorELNS0_4arch9wavefront6targetE0EEEvSQ_.num_vgpr, 0
	.set _ZN7rocprim17ROCPRIM_400000_NS6detail17trampoline_kernelINS0_14default_configENS1_22reduce_config_selectorIiEEZNS1_11reduce_implILb1ES3_N6hipcub16HIPCUB_304000_NS22TransformInputIteratorIiN2at6native8internal21MapNumberOfTrueValuesEPKhlEEPiiNS8_6detail34convert_binary_result_type_wrapperISt4plusIvESG_iEEEE10hipError_tPvRmT1_T2_T3_mT4_P12ihipStream_tbEUlT_E0_NS1_11comp_targetILNS1_3genE9ELNS1_11target_archE1100ELNS1_3gpuE3ELNS1_3repE0EEENS1_30default_config_static_selectorELNS0_4arch9wavefront6targetE0EEEvSQ_.num_agpr, 0
	.set _ZN7rocprim17ROCPRIM_400000_NS6detail17trampoline_kernelINS0_14default_configENS1_22reduce_config_selectorIiEEZNS1_11reduce_implILb1ES3_N6hipcub16HIPCUB_304000_NS22TransformInputIteratorIiN2at6native8internal21MapNumberOfTrueValuesEPKhlEEPiiNS8_6detail34convert_binary_result_type_wrapperISt4plusIvESG_iEEEE10hipError_tPvRmT1_T2_T3_mT4_P12ihipStream_tbEUlT_E0_NS1_11comp_targetILNS1_3genE9ELNS1_11target_archE1100ELNS1_3gpuE3ELNS1_3repE0EEENS1_30default_config_static_selectorELNS0_4arch9wavefront6targetE0EEEvSQ_.numbered_sgpr, 0
	.set _ZN7rocprim17ROCPRIM_400000_NS6detail17trampoline_kernelINS0_14default_configENS1_22reduce_config_selectorIiEEZNS1_11reduce_implILb1ES3_N6hipcub16HIPCUB_304000_NS22TransformInputIteratorIiN2at6native8internal21MapNumberOfTrueValuesEPKhlEEPiiNS8_6detail34convert_binary_result_type_wrapperISt4plusIvESG_iEEEE10hipError_tPvRmT1_T2_T3_mT4_P12ihipStream_tbEUlT_E0_NS1_11comp_targetILNS1_3genE9ELNS1_11target_archE1100ELNS1_3gpuE3ELNS1_3repE0EEENS1_30default_config_static_selectorELNS0_4arch9wavefront6targetE0EEEvSQ_.num_named_barrier, 0
	.set _ZN7rocprim17ROCPRIM_400000_NS6detail17trampoline_kernelINS0_14default_configENS1_22reduce_config_selectorIiEEZNS1_11reduce_implILb1ES3_N6hipcub16HIPCUB_304000_NS22TransformInputIteratorIiN2at6native8internal21MapNumberOfTrueValuesEPKhlEEPiiNS8_6detail34convert_binary_result_type_wrapperISt4plusIvESG_iEEEE10hipError_tPvRmT1_T2_T3_mT4_P12ihipStream_tbEUlT_E0_NS1_11comp_targetILNS1_3genE9ELNS1_11target_archE1100ELNS1_3gpuE3ELNS1_3repE0EEENS1_30default_config_static_selectorELNS0_4arch9wavefront6targetE0EEEvSQ_.private_seg_size, 0
	.set _ZN7rocprim17ROCPRIM_400000_NS6detail17trampoline_kernelINS0_14default_configENS1_22reduce_config_selectorIiEEZNS1_11reduce_implILb1ES3_N6hipcub16HIPCUB_304000_NS22TransformInputIteratorIiN2at6native8internal21MapNumberOfTrueValuesEPKhlEEPiiNS8_6detail34convert_binary_result_type_wrapperISt4plusIvESG_iEEEE10hipError_tPvRmT1_T2_T3_mT4_P12ihipStream_tbEUlT_E0_NS1_11comp_targetILNS1_3genE9ELNS1_11target_archE1100ELNS1_3gpuE3ELNS1_3repE0EEENS1_30default_config_static_selectorELNS0_4arch9wavefront6targetE0EEEvSQ_.uses_vcc, 0
	.set _ZN7rocprim17ROCPRIM_400000_NS6detail17trampoline_kernelINS0_14default_configENS1_22reduce_config_selectorIiEEZNS1_11reduce_implILb1ES3_N6hipcub16HIPCUB_304000_NS22TransformInputIteratorIiN2at6native8internal21MapNumberOfTrueValuesEPKhlEEPiiNS8_6detail34convert_binary_result_type_wrapperISt4plusIvESG_iEEEE10hipError_tPvRmT1_T2_T3_mT4_P12ihipStream_tbEUlT_E0_NS1_11comp_targetILNS1_3genE9ELNS1_11target_archE1100ELNS1_3gpuE3ELNS1_3repE0EEENS1_30default_config_static_selectorELNS0_4arch9wavefront6targetE0EEEvSQ_.uses_flat_scratch, 0
	.set _ZN7rocprim17ROCPRIM_400000_NS6detail17trampoline_kernelINS0_14default_configENS1_22reduce_config_selectorIiEEZNS1_11reduce_implILb1ES3_N6hipcub16HIPCUB_304000_NS22TransformInputIteratorIiN2at6native8internal21MapNumberOfTrueValuesEPKhlEEPiiNS8_6detail34convert_binary_result_type_wrapperISt4plusIvESG_iEEEE10hipError_tPvRmT1_T2_T3_mT4_P12ihipStream_tbEUlT_E0_NS1_11comp_targetILNS1_3genE9ELNS1_11target_archE1100ELNS1_3gpuE3ELNS1_3repE0EEENS1_30default_config_static_selectorELNS0_4arch9wavefront6targetE0EEEvSQ_.has_dyn_sized_stack, 0
	.set _ZN7rocprim17ROCPRIM_400000_NS6detail17trampoline_kernelINS0_14default_configENS1_22reduce_config_selectorIiEEZNS1_11reduce_implILb1ES3_N6hipcub16HIPCUB_304000_NS22TransformInputIteratorIiN2at6native8internal21MapNumberOfTrueValuesEPKhlEEPiiNS8_6detail34convert_binary_result_type_wrapperISt4plusIvESG_iEEEE10hipError_tPvRmT1_T2_T3_mT4_P12ihipStream_tbEUlT_E0_NS1_11comp_targetILNS1_3genE9ELNS1_11target_archE1100ELNS1_3gpuE3ELNS1_3repE0EEENS1_30default_config_static_selectorELNS0_4arch9wavefront6targetE0EEEvSQ_.has_recursion, 0
	.set _ZN7rocprim17ROCPRIM_400000_NS6detail17trampoline_kernelINS0_14default_configENS1_22reduce_config_selectorIiEEZNS1_11reduce_implILb1ES3_N6hipcub16HIPCUB_304000_NS22TransformInputIteratorIiN2at6native8internal21MapNumberOfTrueValuesEPKhlEEPiiNS8_6detail34convert_binary_result_type_wrapperISt4plusIvESG_iEEEE10hipError_tPvRmT1_T2_T3_mT4_P12ihipStream_tbEUlT_E0_NS1_11comp_targetILNS1_3genE9ELNS1_11target_archE1100ELNS1_3gpuE3ELNS1_3repE0EEENS1_30default_config_static_selectorELNS0_4arch9wavefront6targetE0EEEvSQ_.has_indirect_call, 0
	.section	.AMDGPU.csdata,"",@progbits
; Kernel info:
; codeLenInByte = 0
; TotalNumSgprs: 0
; NumVgprs: 0
; ScratchSize: 0
; MemoryBound: 0
; FloatMode: 240
; IeeeMode: 1
; LDSByteSize: 0 bytes/workgroup (compile time only)
; SGPRBlocks: 0
; VGPRBlocks: 0
; NumSGPRsForWavesPerEU: 1
; NumVGPRsForWavesPerEU: 1
; NamedBarCnt: 0
; Occupancy: 16
; WaveLimiterHint : 0
; COMPUTE_PGM_RSRC2:SCRATCH_EN: 0
; COMPUTE_PGM_RSRC2:USER_SGPR: 2
; COMPUTE_PGM_RSRC2:TRAP_HANDLER: 0
; COMPUTE_PGM_RSRC2:TGID_X_EN: 1
; COMPUTE_PGM_RSRC2:TGID_Y_EN: 0
; COMPUTE_PGM_RSRC2:TGID_Z_EN: 0
; COMPUTE_PGM_RSRC2:TIDIG_COMP_CNT: 0
	.section	.text._ZN7rocprim17ROCPRIM_400000_NS6detail17trampoline_kernelINS0_14default_configENS1_22reduce_config_selectorIiEEZNS1_11reduce_implILb1ES3_N6hipcub16HIPCUB_304000_NS22TransformInputIteratorIiN2at6native8internal21MapNumberOfTrueValuesEPKhlEEPiiNS8_6detail34convert_binary_result_type_wrapperISt4plusIvESG_iEEEE10hipError_tPvRmT1_T2_T3_mT4_P12ihipStream_tbEUlT_E0_NS1_11comp_targetILNS1_3genE8ELNS1_11target_archE1030ELNS1_3gpuE2ELNS1_3repE0EEENS1_30default_config_static_selectorELNS0_4arch9wavefront6targetE0EEEvSQ_,"axG",@progbits,_ZN7rocprim17ROCPRIM_400000_NS6detail17trampoline_kernelINS0_14default_configENS1_22reduce_config_selectorIiEEZNS1_11reduce_implILb1ES3_N6hipcub16HIPCUB_304000_NS22TransformInputIteratorIiN2at6native8internal21MapNumberOfTrueValuesEPKhlEEPiiNS8_6detail34convert_binary_result_type_wrapperISt4plusIvESG_iEEEE10hipError_tPvRmT1_T2_T3_mT4_P12ihipStream_tbEUlT_E0_NS1_11comp_targetILNS1_3genE8ELNS1_11target_archE1030ELNS1_3gpuE2ELNS1_3repE0EEENS1_30default_config_static_selectorELNS0_4arch9wavefront6targetE0EEEvSQ_,comdat
	.protected	_ZN7rocprim17ROCPRIM_400000_NS6detail17trampoline_kernelINS0_14default_configENS1_22reduce_config_selectorIiEEZNS1_11reduce_implILb1ES3_N6hipcub16HIPCUB_304000_NS22TransformInputIteratorIiN2at6native8internal21MapNumberOfTrueValuesEPKhlEEPiiNS8_6detail34convert_binary_result_type_wrapperISt4plusIvESG_iEEEE10hipError_tPvRmT1_T2_T3_mT4_P12ihipStream_tbEUlT_E0_NS1_11comp_targetILNS1_3genE8ELNS1_11target_archE1030ELNS1_3gpuE2ELNS1_3repE0EEENS1_30default_config_static_selectorELNS0_4arch9wavefront6targetE0EEEvSQ_ ; -- Begin function _ZN7rocprim17ROCPRIM_400000_NS6detail17trampoline_kernelINS0_14default_configENS1_22reduce_config_selectorIiEEZNS1_11reduce_implILb1ES3_N6hipcub16HIPCUB_304000_NS22TransformInputIteratorIiN2at6native8internal21MapNumberOfTrueValuesEPKhlEEPiiNS8_6detail34convert_binary_result_type_wrapperISt4plusIvESG_iEEEE10hipError_tPvRmT1_T2_T3_mT4_P12ihipStream_tbEUlT_E0_NS1_11comp_targetILNS1_3genE8ELNS1_11target_archE1030ELNS1_3gpuE2ELNS1_3repE0EEENS1_30default_config_static_selectorELNS0_4arch9wavefront6targetE0EEEvSQ_
	.globl	_ZN7rocprim17ROCPRIM_400000_NS6detail17trampoline_kernelINS0_14default_configENS1_22reduce_config_selectorIiEEZNS1_11reduce_implILb1ES3_N6hipcub16HIPCUB_304000_NS22TransformInputIteratorIiN2at6native8internal21MapNumberOfTrueValuesEPKhlEEPiiNS8_6detail34convert_binary_result_type_wrapperISt4plusIvESG_iEEEE10hipError_tPvRmT1_T2_T3_mT4_P12ihipStream_tbEUlT_E0_NS1_11comp_targetILNS1_3genE8ELNS1_11target_archE1030ELNS1_3gpuE2ELNS1_3repE0EEENS1_30default_config_static_selectorELNS0_4arch9wavefront6targetE0EEEvSQ_
	.p2align	8
	.type	_ZN7rocprim17ROCPRIM_400000_NS6detail17trampoline_kernelINS0_14default_configENS1_22reduce_config_selectorIiEEZNS1_11reduce_implILb1ES3_N6hipcub16HIPCUB_304000_NS22TransformInputIteratorIiN2at6native8internal21MapNumberOfTrueValuesEPKhlEEPiiNS8_6detail34convert_binary_result_type_wrapperISt4plusIvESG_iEEEE10hipError_tPvRmT1_T2_T3_mT4_P12ihipStream_tbEUlT_E0_NS1_11comp_targetILNS1_3genE8ELNS1_11target_archE1030ELNS1_3gpuE2ELNS1_3repE0EEENS1_30default_config_static_selectorELNS0_4arch9wavefront6targetE0EEEvSQ_,@function
_ZN7rocprim17ROCPRIM_400000_NS6detail17trampoline_kernelINS0_14default_configENS1_22reduce_config_selectorIiEEZNS1_11reduce_implILb1ES3_N6hipcub16HIPCUB_304000_NS22TransformInputIteratorIiN2at6native8internal21MapNumberOfTrueValuesEPKhlEEPiiNS8_6detail34convert_binary_result_type_wrapperISt4plusIvESG_iEEEE10hipError_tPvRmT1_T2_T3_mT4_P12ihipStream_tbEUlT_E0_NS1_11comp_targetILNS1_3genE8ELNS1_11target_archE1030ELNS1_3gpuE2ELNS1_3repE0EEENS1_30default_config_static_selectorELNS0_4arch9wavefront6targetE0EEEvSQ_: ; @_ZN7rocprim17ROCPRIM_400000_NS6detail17trampoline_kernelINS0_14default_configENS1_22reduce_config_selectorIiEEZNS1_11reduce_implILb1ES3_N6hipcub16HIPCUB_304000_NS22TransformInputIteratorIiN2at6native8internal21MapNumberOfTrueValuesEPKhlEEPiiNS8_6detail34convert_binary_result_type_wrapperISt4plusIvESG_iEEEE10hipError_tPvRmT1_T2_T3_mT4_P12ihipStream_tbEUlT_E0_NS1_11comp_targetILNS1_3genE8ELNS1_11target_archE1030ELNS1_3gpuE2ELNS1_3repE0EEENS1_30default_config_static_selectorELNS0_4arch9wavefront6targetE0EEEvSQ_
; %bb.0:
	.section	.rodata,"a",@progbits
	.p2align	6, 0x0
	.amdhsa_kernel _ZN7rocprim17ROCPRIM_400000_NS6detail17trampoline_kernelINS0_14default_configENS1_22reduce_config_selectorIiEEZNS1_11reduce_implILb1ES3_N6hipcub16HIPCUB_304000_NS22TransformInputIteratorIiN2at6native8internal21MapNumberOfTrueValuesEPKhlEEPiiNS8_6detail34convert_binary_result_type_wrapperISt4plusIvESG_iEEEE10hipError_tPvRmT1_T2_T3_mT4_P12ihipStream_tbEUlT_E0_NS1_11comp_targetILNS1_3genE8ELNS1_11target_archE1030ELNS1_3gpuE2ELNS1_3repE0EEENS1_30default_config_static_selectorELNS0_4arch9wavefront6targetE0EEEvSQ_
		.amdhsa_group_segment_fixed_size 0
		.amdhsa_private_segment_fixed_size 0
		.amdhsa_kernarg_size 64
		.amdhsa_user_sgpr_count 2
		.amdhsa_user_sgpr_dispatch_ptr 0
		.amdhsa_user_sgpr_queue_ptr 0
		.amdhsa_user_sgpr_kernarg_segment_ptr 1
		.amdhsa_user_sgpr_dispatch_id 0
		.amdhsa_user_sgpr_kernarg_preload_length 0
		.amdhsa_user_sgpr_kernarg_preload_offset 0
		.amdhsa_user_sgpr_private_segment_size 0
		.amdhsa_wavefront_size32 1
		.amdhsa_uses_dynamic_stack 0
		.amdhsa_enable_private_segment 0
		.amdhsa_system_sgpr_workgroup_id_x 1
		.amdhsa_system_sgpr_workgroup_id_y 0
		.amdhsa_system_sgpr_workgroup_id_z 0
		.amdhsa_system_sgpr_workgroup_info 0
		.amdhsa_system_vgpr_workitem_id 0
		.amdhsa_next_free_vgpr 1
		.amdhsa_next_free_sgpr 1
		.amdhsa_named_barrier_count 0
		.amdhsa_reserve_vcc 0
		.amdhsa_float_round_mode_32 0
		.amdhsa_float_round_mode_16_64 0
		.amdhsa_float_denorm_mode_32 3
		.amdhsa_float_denorm_mode_16_64 3
		.amdhsa_fp16_overflow 0
		.amdhsa_memory_ordered 1
		.amdhsa_forward_progress 1
		.amdhsa_inst_pref_size 0
		.amdhsa_round_robin_scheduling 0
		.amdhsa_exception_fp_ieee_invalid_op 0
		.amdhsa_exception_fp_denorm_src 0
		.amdhsa_exception_fp_ieee_div_zero 0
		.amdhsa_exception_fp_ieee_overflow 0
		.amdhsa_exception_fp_ieee_underflow 0
		.amdhsa_exception_fp_ieee_inexact 0
		.amdhsa_exception_int_div_zero 0
	.end_amdhsa_kernel
	.section	.text._ZN7rocprim17ROCPRIM_400000_NS6detail17trampoline_kernelINS0_14default_configENS1_22reduce_config_selectorIiEEZNS1_11reduce_implILb1ES3_N6hipcub16HIPCUB_304000_NS22TransformInputIteratorIiN2at6native8internal21MapNumberOfTrueValuesEPKhlEEPiiNS8_6detail34convert_binary_result_type_wrapperISt4plusIvESG_iEEEE10hipError_tPvRmT1_T2_T3_mT4_P12ihipStream_tbEUlT_E0_NS1_11comp_targetILNS1_3genE8ELNS1_11target_archE1030ELNS1_3gpuE2ELNS1_3repE0EEENS1_30default_config_static_selectorELNS0_4arch9wavefront6targetE0EEEvSQ_,"axG",@progbits,_ZN7rocprim17ROCPRIM_400000_NS6detail17trampoline_kernelINS0_14default_configENS1_22reduce_config_selectorIiEEZNS1_11reduce_implILb1ES3_N6hipcub16HIPCUB_304000_NS22TransformInputIteratorIiN2at6native8internal21MapNumberOfTrueValuesEPKhlEEPiiNS8_6detail34convert_binary_result_type_wrapperISt4plusIvESG_iEEEE10hipError_tPvRmT1_T2_T3_mT4_P12ihipStream_tbEUlT_E0_NS1_11comp_targetILNS1_3genE8ELNS1_11target_archE1030ELNS1_3gpuE2ELNS1_3repE0EEENS1_30default_config_static_selectorELNS0_4arch9wavefront6targetE0EEEvSQ_,comdat
.Lfunc_end123:
	.size	_ZN7rocprim17ROCPRIM_400000_NS6detail17trampoline_kernelINS0_14default_configENS1_22reduce_config_selectorIiEEZNS1_11reduce_implILb1ES3_N6hipcub16HIPCUB_304000_NS22TransformInputIteratorIiN2at6native8internal21MapNumberOfTrueValuesEPKhlEEPiiNS8_6detail34convert_binary_result_type_wrapperISt4plusIvESG_iEEEE10hipError_tPvRmT1_T2_T3_mT4_P12ihipStream_tbEUlT_E0_NS1_11comp_targetILNS1_3genE8ELNS1_11target_archE1030ELNS1_3gpuE2ELNS1_3repE0EEENS1_30default_config_static_selectorELNS0_4arch9wavefront6targetE0EEEvSQ_, .Lfunc_end123-_ZN7rocprim17ROCPRIM_400000_NS6detail17trampoline_kernelINS0_14default_configENS1_22reduce_config_selectorIiEEZNS1_11reduce_implILb1ES3_N6hipcub16HIPCUB_304000_NS22TransformInputIteratorIiN2at6native8internal21MapNumberOfTrueValuesEPKhlEEPiiNS8_6detail34convert_binary_result_type_wrapperISt4plusIvESG_iEEEE10hipError_tPvRmT1_T2_T3_mT4_P12ihipStream_tbEUlT_E0_NS1_11comp_targetILNS1_3genE8ELNS1_11target_archE1030ELNS1_3gpuE2ELNS1_3repE0EEENS1_30default_config_static_selectorELNS0_4arch9wavefront6targetE0EEEvSQ_
                                        ; -- End function
	.set _ZN7rocprim17ROCPRIM_400000_NS6detail17trampoline_kernelINS0_14default_configENS1_22reduce_config_selectorIiEEZNS1_11reduce_implILb1ES3_N6hipcub16HIPCUB_304000_NS22TransformInputIteratorIiN2at6native8internal21MapNumberOfTrueValuesEPKhlEEPiiNS8_6detail34convert_binary_result_type_wrapperISt4plusIvESG_iEEEE10hipError_tPvRmT1_T2_T3_mT4_P12ihipStream_tbEUlT_E0_NS1_11comp_targetILNS1_3genE8ELNS1_11target_archE1030ELNS1_3gpuE2ELNS1_3repE0EEENS1_30default_config_static_selectorELNS0_4arch9wavefront6targetE0EEEvSQ_.num_vgpr, 0
	.set _ZN7rocprim17ROCPRIM_400000_NS6detail17trampoline_kernelINS0_14default_configENS1_22reduce_config_selectorIiEEZNS1_11reduce_implILb1ES3_N6hipcub16HIPCUB_304000_NS22TransformInputIteratorIiN2at6native8internal21MapNumberOfTrueValuesEPKhlEEPiiNS8_6detail34convert_binary_result_type_wrapperISt4plusIvESG_iEEEE10hipError_tPvRmT1_T2_T3_mT4_P12ihipStream_tbEUlT_E0_NS1_11comp_targetILNS1_3genE8ELNS1_11target_archE1030ELNS1_3gpuE2ELNS1_3repE0EEENS1_30default_config_static_selectorELNS0_4arch9wavefront6targetE0EEEvSQ_.num_agpr, 0
	.set _ZN7rocprim17ROCPRIM_400000_NS6detail17trampoline_kernelINS0_14default_configENS1_22reduce_config_selectorIiEEZNS1_11reduce_implILb1ES3_N6hipcub16HIPCUB_304000_NS22TransformInputIteratorIiN2at6native8internal21MapNumberOfTrueValuesEPKhlEEPiiNS8_6detail34convert_binary_result_type_wrapperISt4plusIvESG_iEEEE10hipError_tPvRmT1_T2_T3_mT4_P12ihipStream_tbEUlT_E0_NS1_11comp_targetILNS1_3genE8ELNS1_11target_archE1030ELNS1_3gpuE2ELNS1_3repE0EEENS1_30default_config_static_selectorELNS0_4arch9wavefront6targetE0EEEvSQ_.numbered_sgpr, 0
	.set _ZN7rocprim17ROCPRIM_400000_NS6detail17trampoline_kernelINS0_14default_configENS1_22reduce_config_selectorIiEEZNS1_11reduce_implILb1ES3_N6hipcub16HIPCUB_304000_NS22TransformInputIteratorIiN2at6native8internal21MapNumberOfTrueValuesEPKhlEEPiiNS8_6detail34convert_binary_result_type_wrapperISt4plusIvESG_iEEEE10hipError_tPvRmT1_T2_T3_mT4_P12ihipStream_tbEUlT_E0_NS1_11comp_targetILNS1_3genE8ELNS1_11target_archE1030ELNS1_3gpuE2ELNS1_3repE0EEENS1_30default_config_static_selectorELNS0_4arch9wavefront6targetE0EEEvSQ_.num_named_barrier, 0
	.set _ZN7rocprim17ROCPRIM_400000_NS6detail17trampoline_kernelINS0_14default_configENS1_22reduce_config_selectorIiEEZNS1_11reduce_implILb1ES3_N6hipcub16HIPCUB_304000_NS22TransformInputIteratorIiN2at6native8internal21MapNumberOfTrueValuesEPKhlEEPiiNS8_6detail34convert_binary_result_type_wrapperISt4plusIvESG_iEEEE10hipError_tPvRmT1_T2_T3_mT4_P12ihipStream_tbEUlT_E0_NS1_11comp_targetILNS1_3genE8ELNS1_11target_archE1030ELNS1_3gpuE2ELNS1_3repE0EEENS1_30default_config_static_selectorELNS0_4arch9wavefront6targetE0EEEvSQ_.private_seg_size, 0
	.set _ZN7rocprim17ROCPRIM_400000_NS6detail17trampoline_kernelINS0_14default_configENS1_22reduce_config_selectorIiEEZNS1_11reduce_implILb1ES3_N6hipcub16HIPCUB_304000_NS22TransformInputIteratorIiN2at6native8internal21MapNumberOfTrueValuesEPKhlEEPiiNS8_6detail34convert_binary_result_type_wrapperISt4plusIvESG_iEEEE10hipError_tPvRmT1_T2_T3_mT4_P12ihipStream_tbEUlT_E0_NS1_11comp_targetILNS1_3genE8ELNS1_11target_archE1030ELNS1_3gpuE2ELNS1_3repE0EEENS1_30default_config_static_selectorELNS0_4arch9wavefront6targetE0EEEvSQ_.uses_vcc, 0
	.set _ZN7rocprim17ROCPRIM_400000_NS6detail17trampoline_kernelINS0_14default_configENS1_22reduce_config_selectorIiEEZNS1_11reduce_implILb1ES3_N6hipcub16HIPCUB_304000_NS22TransformInputIteratorIiN2at6native8internal21MapNumberOfTrueValuesEPKhlEEPiiNS8_6detail34convert_binary_result_type_wrapperISt4plusIvESG_iEEEE10hipError_tPvRmT1_T2_T3_mT4_P12ihipStream_tbEUlT_E0_NS1_11comp_targetILNS1_3genE8ELNS1_11target_archE1030ELNS1_3gpuE2ELNS1_3repE0EEENS1_30default_config_static_selectorELNS0_4arch9wavefront6targetE0EEEvSQ_.uses_flat_scratch, 0
	.set _ZN7rocprim17ROCPRIM_400000_NS6detail17trampoline_kernelINS0_14default_configENS1_22reduce_config_selectorIiEEZNS1_11reduce_implILb1ES3_N6hipcub16HIPCUB_304000_NS22TransformInputIteratorIiN2at6native8internal21MapNumberOfTrueValuesEPKhlEEPiiNS8_6detail34convert_binary_result_type_wrapperISt4plusIvESG_iEEEE10hipError_tPvRmT1_T2_T3_mT4_P12ihipStream_tbEUlT_E0_NS1_11comp_targetILNS1_3genE8ELNS1_11target_archE1030ELNS1_3gpuE2ELNS1_3repE0EEENS1_30default_config_static_selectorELNS0_4arch9wavefront6targetE0EEEvSQ_.has_dyn_sized_stack, 0
	.set _ZN7rocprim17ROCPRIM_400000_NS6detail17trampoline_kernelINS0_14default_configENS1_22reduce_config_selectorIiEEZNS1_11reduce_implILb1ES3_N6hipcub16HIPCUB_304000_NS22TransformInputIteratorIiN2at6native8internal21MapNumberOfTrueValuesEPKhlEEPiiNS8_6detail34convert_binary_result_type_wrapperISt4plusIvESG_iEEEE10hipError_tPvRmT1_T2_T3_mT4_P12ihipStream_tbEUlT_E0_NS1_11comp_targetILNS1_3genE8ELNS1_11target_archE1030ELNS1_3gpuE2ELNS1_3repE0EEENS1_30default_config_static_selectorELNS0_4arch9wavefront6targetE0EEEvSQ_.has_recursion, 0
	.set _ZN7rocprim17ROCPRIM_400000_NS6detail17trampoline_kernelINS0_14default_configENS1_22reduce_config_selectorIiEEZNS1_11reduce_implILb1ES3_N6hipcub16HIPCUB_304000_NS22TransformInputIteratorIiN2at6native8internal21MapNumberOfTrueValuesEPKhlEEPiiNS8_6detail34convert_binary_result_type_wrapperISt4plusIvESG_iEEEE10hipError_tPvRmT1_T2_T3_mT4_P12ihipStream_tbEUlT_E0_NS1_11comp_targetILNS1_3genE8ELNS1_11target_archE1030ELNS1_3gpuE2ELNS1_3repE0EEENS1_30default_config_static_selectorELNS0_4arch9wavefront6targetE0EEEvSQ_.has_indirect_call, 0
	.section	.AMDGPU.csdata,"",@progbits
; Kernel info:
; codeLenInByte = 0
; TotalNumSgprs: 0
; NumVgprs: 0
; ScratchSize: 0
; MemoryBound: 0
; FloatMode: 240
; IeeeMode: 1
; LDSByteSize: 0 bytes/workgroup (compile time only)
; SGPRBlocks: 0
; VGPRBlocks: 0
; NumSGPRsForWavesPerEU: 1
; NumVGPRsForWavesPerEU: 1
; NamedBarCnt: 0
; Occupancy: 16
; WaveLimiterHint : 0
; COMPUTE_PGM_RSRC2:SCRATCH_EN: 0
; COMPUTE_PGM_RSRC2:USER_SGPR: 2
; COMPUTE_PGM_RSRC2:TRAP_HANDLER: 0
; COMPUTE_PGM_RSRC2:TGID_X_EN: 1
; COMPUTE_PGM_RSRC2:TGID_Y_EN: 0
; COMPUTE_PGM_RSRC2:TGID_Z_EN: 0
; COMPUTE_PGM_RSRC2:TIDIG_COMP_CNT: 0
	.section	.text._ZN7rocprim17ROCPRIM_400000_NS6detail17trampoline_kernelINS0_14default_configENS1_22reduce_config_selectorIiEEZNS1_11reduce_implILb1ES3_N6hipcub16HIPCUB_304000_NS22TransformInputIteratorIiN2at6native8internal21MapNumberOfTrueValuesEPKhlEEPiiNS8_6detail34convert_binary_result_type_wrapperISt4plusIvESG_iEEEE10hipError_tPvRmT1_T2_T3_mT4_P12ihipStream_tbEUlT_E1_NS1_11comp_targetILNS1_3genE0ELNS1_11target_archE4294967295ELNS1_3gpuE0ELNS1_3repE0EEENS1_30default_config_static_selectorELNS0_4arch9wavefront6targetE0EEEvSQ_,"axG",@progbits,_ZN7rocprim17ROCPRIM_400000_NS6detail17trampoline_kernelINS0_14default_configENS1_22reduce_config_selectorIiEEZNS1_11reduce_implILb1ES3_N6hipcub16HIPCUB_304000_NS22TransformInputIteratorIiN2at6native8internal21MapNumberOfTrueValuesEPKhlEEPiiNS8_6detail34convert_binary_result_type_wrapperISt4plusIvESG_iEEEE10hipError_tPvRmT1_T2_T3_mT4_P12ihipStream_tbEUlT_E1_NS1_11comp_targetILNS1_3genE0ELNS1_11target_archE4294967295ELNS1_3gpuE0ELNS1_3repE0EEENS1_30default_config_static_selectorELNS0_4arch9wavefront6targetE0EEEvSQ_,comdat
	.protected	_ZN7rocprim17ROCPRIM_400000_NS6detail17trampoline_kernelINS0_14default_configENS1_22reduce_config_selectorIiEEZNS1_11reduce_implILb1ES3_N6hipcub16HIPCUB_304000_NS22TransformInputIteratorIiN2at6native8internal21MapNumberOfTrueValuesEPKhlEEPiiNS8_6detail34convert_binary_result_type_wrapperISt4plusIvESG_iEEEE10hipError_tPvRmT1_T2_T3_mT4_P12ihipStream_tbEUlT_E1_NS1_11comp_targetILNS1_3genE0ELNS1_11target_archE4294967295ELNS1_3gpuE0ELNS1_3repE0EEENS1_30default_config_static_selectorELNS0_4arch9wavefront6targetE0EEEvSQ_ ; -- Begin function _ZN7rocprim17ROCPRIM_400000_NS6detail17trampoline_kernelINS0_14default_configENS1_22reduce_config_selectorIiEEZNS1_11reduce_implILb1ES3_N6hipcub16HIPCUB_304000_NS22TransformInputIteratorIiN2at6native8internal21MapNumberOfTrueValuesEPKhlEEPiiNS8_6detail34convert_binary_result_type_wrapperISt4plusIvESG_iEEEE10hipError_tPvRmT1_T2_T3_mT4_P12ihipStream_tbEUlT_E1_NS1_11comp_targetILNS1_3genE0ELNS1_11target_archE4294967295ELNS1_3gpuE0ELNS1_3repE0EEENS1_30default_config_static_selectorELNS0_4arch9wavefront6targetE0EEEvSQ_
	.globl	_ZN7rocprim17ROCPRIM_400000_NS6detail17trampoline_kernelINS0_14default_configENS1_22reduce_config_selectorIiEEZNS1_11reduce_implILb1ES3_N6hipcub16HIPCUB_304000_NS22TransformInputIteratorIiN2at6native8internal21MapNumberOfTrueValuesEPKhlEEPiiNS8_6detail34convert_binary_result_type_wrapperISt4plusIvESG_iEEEE10hipError_tPvRmT1_T2_T3_mT4_P12ihipStream_tbEUlT_E1_NS1_11comp_targetILNS1_3genE0ELNS1_11target_archE4294967295ELNS1_3gpuE0ELNS1_3repE0EEENS1_30default_config_static_selectorELNS0_4arch9wavefront6targetE0EEEvSQ_
	.p2align	8
	.type	_ZN7rocprim17ROCPRIM_400000_NS6detail17trampoline_kernelINS0_14default_configENS1_22reduce_config_selectorIiEEZNS1_11reduce_implILb1ES3_N6hipcub16HIPCUB_304000_NS22TransformInputIteratorIiN2at6native8internal21MapNumberOfTrueValuesEPKhlEEPiiNS8_6detail34convert_binary_result_type_wrapperISt4plusIvESG_iEEEE10hipError_tPvRmT1_T2_T3_mT4_P12ihipStream_tbEUlT_E1_NS1_11comp_targetILNS1_3genE0ELNS1_11target_archE4294967295ELNS1_3gpuE0ELNS1_3repE0EEENS1_30default_config_static_selectorELNS0_4arch9wavefront6targetE0EEEvSQ_,@function
_ZN7rocprim17ROCPRIM_400000_NS6detail17trampoline_kernelINS0_14default_configENS1_22reduce_config_selectorIiEEZNS1_11reduce_implILb1ES3_N6hipcub16HIPCUB_304000_NS22TransformInputIteratorIiN2at6native8internal21MapNumberOfTrueValuesEPKhlEEPiiNS8_6detail34convert_binary_result_type_wrapperISt4plusIvESG_iEEEE10hipError_tPvRmT1_T2_T3_mT4_P12ihipStream_tbEUlT_E1_NS1_11comp_targetILNS1_3genE0ELNS1_11target_archE4294967295ELNS1_3gpuE0ELNS1_3repE0EEENS1_30default_config_static_selectorELNS0_4arch9wavefront6targetE0EEEvSQ_: ; @_ZN7rocprim17ROCPRIM_400000_NS6detail17trampoline_kernelINS0_14default_configENS1_22reduce_config_selectorIiEEZNS1_11reduce_implILb1ES3_N6hipcub16HIPCUB_304000_NS22TransformInputIteratorIiN2at6native8internal21MapNumberOfTrueValuesEPKhlEEPiiNS8_6detail34convert_binary_result_type_wrapperISt4plusIvESG_iEEEE10hipError_tPvRmT1_T2_T3_mT4_P12ihipStream_tbEUlT_E1_NS1_11comp_targetILNS1_3genE0ELNS1_11target_archE4294967295ELNS1_3gpuE0ELNS1_3repE0EEENS1_30default_config_static_selectorELNS0_4arch9wavefront6targetE0EEEvSQ_
; %bb.0:
	s_clause 0x2
	s_load_b32 s44, s[0:1], 0x4
	s_load_b64 s[40:41], s[0:1], 0x8
	s_load_b128 s[36:39], s[0:1], 0x18
	s_wait_kmcnt 0x0
	s_cmp_lt_i32 s44, 8
	s_cbranch_scc1 .LBB124_11
; %bb.1:
	s_cmp_gt_i32 s44, 15
	s_cbranch_scc0 .LBB124_12
; %bb.2:
	s_cmp_gt_i32 s44, 31
	s_cbranch_scc0 .LBB124_13
; %bb.3:
	s_cmp_eq_u32 s44, 32
	s_mov_b32 s45, 0
	s_cbranch_scc0 .LBB124_14
; %bb.4:
	s_bfe_u32 s2, ttmp6, 0x4000c
	s_and_b32 s3, ttmp6, 15
	s_add_co_i32 s2, s2, 1
	s_getreg_b32 s4, hwreg(HW_REG_IB_STS2, 6, 4)
	s_mul_i32 s2, ttmp9, s2
	s_mov_b32 s35, 0
	s_add_co_i32 s3, s3, s2
	s_cmp_eq_u32 s4, 0
	s_cselect_b32 s34, ttmp9, s3
	s_lshr_b64 s[4:5], s[36:37], 13
	s_lshl_b32 s2, s34, 13
	s_mov_b32 s3, s35
	s_cmp_lg_u64 s[4:5], s[34:35]
	s_add_nc_u64 s[42:43], s[40:41], s[2:3]
	s_cbranch_scc0 .LBB124_23
; %bb.5:
	s_clause 0x1f
	global_load_u8 v1, v0, s[42:43]
	global_load_u8 v2, v0, s[42:43] offset:512
	global_load_u8 v3, v0, s[42:43] offset:256
	;; [unrolled: 1-line block ×31, first 2 shown]
	s_mov_b32 s3, exec_lo
	s_wait_loadcnt 0x1f
	v_cmp_ne_u16_e32 vcc_lo, 0, v1
	v_cndmask_b32_e64 v1, 0, 1, vcc_lo
	s_wait_loadcnt 0x1e
	v_cmp_ne_u16_e32 vcc_lo, 0, v2
	v_cndmask_b32_e64 v2, 0, 1, vcc_lo
	s_wait_loadcnt 0x1d
	v_cmp_ne_u16_e32 vcc_lo, 0, v3
	v_add_co_ci_u32_e64 v1, null, 0, v1, vcc_lo
	s_wait_loadcnt 0x1c
	v_cmp_ne_u16_e32 vcc_lo, 0, v4
	v_cndmask_b32_e64 v3, 0, 1, vcc_lo
	s_wait_loadcnt 0x1b
	v_cmp_ne_u16_e32 vcc_lo, 0, v5
	v_add_co_ci_u32_e64 v1, null, v1, v2, vcc_lo
	;; [unrolled: 6-line block ×15, first 2 shown]
	s_wait_loadcnt 0x0
	v_cmp_ne_u16_e32 vcc_lo, 0, v32
	s_delay_alu instid0(VALU_DEP_2) | instskip(NEXT) | instid1(VALU_DEP_1)
	v_add_co_ci_u32_e64 v1, null, v1, v2, vcc_lo
	v_mov_b32_dpp v2, v1 quad_perm:[1,0,3,2] row_mask:0xf bank_mask:0xf
	s_delay_alu instid0(VALU_DEP_1) | instskip(NEXT) | instid1(VALU_DEP_1)
	v_add_nc_u32_e32 v1, v1, v2
	v_mov_b32_dpp v2, v1 quad_perm:[2,3,0,1] row_mask:0xf bank_mask:0xf
	s_delay_alu instid0(VALU_DEP_1) | instskip(NEXT) | instid1(VALU_DEP_1)
	v_add_nc_u32_e32 v1, v1, v2
	v_mov_b32_dpp v2, v1 row_ror:4 row_mask:0xf bank_mask:0xf
	s_delay_alu instid0(VALU_DEP_1) | instskip(NEXT) | instid1(VALU_DEP_1)
	v_add_nc_u32_e32 v1, v1, v2
	v_mov_b32_dpp v2, v1 row_ror:8 row_mask:0xf bank_mask:0xf
	s_delay_alu instid0(VALU_DEP_1)
	v_add_nc_u32_e32 v1, v1, v2
	ds_swizzle_b32 v2, v1 offset:swizzle(BROADCAST,32,15)
	s_wait_dscnt 0x0
	v_dual_mov_b32 v2, 0 :: v_dual_add_nc_u32 v1, v1, v2
	ds_bpermute_b32 v1, v2, v1 offset:124
	v_mbcnt_lo_u32_b32 v2, -1, 0
	s_delay_alu instid0(VALU_DEP_1)
	v_cmpx_eq_u32_e32 0, v2
	s_cbranch_execz .LBB124_7
; %bb.6:
	v_lshrrev_b32_e32 v3, 3, v0
	s_delay_alu instid0(VALU_DEP_1)
	v_and_b32_e32 v3, 28, v3
	s_wait_dscnt 0x0
	ds_store_b32 v3, v1 offset:96
.LBB124_7:
	s_or_b32 exec_lo, exec_lo, s3
	s_delay_alu instid0(SALU_CYCLE_1)
	s_mov_b32 s3, exec_lo
	s_wait_dscnt 0x0
	s_barrier_signal -1
	s_barrier_wait -1
	v_cmpx_gt_u32_e32 32, v0
	s_cbranch_execz .LBB124_9
; %bb.8:
	v_lshl_or_b32 v1, v2, 2, 0x60
	v_and_b32_e32 v3, 7, v2
	ds_load_b32 v1, v1
	v_cmp_ne_u32_e32 vcc_lo, 7, v3
	v_add_co_ci_u32_e64 v4, null, 0, v2, vcc_lo
	s_delay_alu instid0(VALU_DEP_1)
	v_lshlrev_b32_e32 v4, 2, v4
	v_cmp_gt_u32_e32 vcc_lo, 6, v3
	v_cndmask_b32_e64 v3, 0, 2, vcc_lo
	s_wait_dscnt 0x0
	ds_bpermute_b32 v4, v4, v1
	v_add_lshl_u32 v3, v3, v2, 2
	v_lshlrev_b32_e32 v2, 2, v2
	s_wait_dscnt 0x0
	s_delay_alu instid0(VALU_DEP_1)
	v_dual_add_nc_u32 v1, v4, v1 :: v_dual_bitop2_b32 v2, 16, v2 bitop3:0x54
	ds_bpermute_b32 v3, v3, v1
	s_wait_dscnt 0x0
	v_add_nc_u32_e32 v1, v3, v1
	ds_bpermute_b32 v2, v2, v1
	s_wait_dscnt 0x0
	v_add_nc_u32_e32 v1, v2, v1
.LBB124_9:
	s_or_b32 exec_lo, exec_lo, s3
.LBB124_10:
	v_cmp_eq_u32_e64 s2, 0, v0
	s_and_b32 vcc_lo, exec_lo, s45
	s_cbranch_vccnz .LBB124_15
	s_branch .LBB124_93
.LBB124_11:
	s_mov_b32 s2, 0
                                        ; implicit-def: $vgpr1
                                        ; implicit-def: $sgpr34_sgpr35
	s_cbranch_execnz .LBB124_166
	s_branch .LBB124_224
.LBB124_12:
	s_mov_b32 s2, 0
                                        ; implicit-def: $vgpr1
                                        ; implicit-def: $sgpr34_sgpr35
	s_cbranch_execnz .LBB124_134
	s_branch .LBB124_142
.LBB124_13:
	s_mov_b32 s45, -1
.LBB124_14:
	s_mov_b32 s2, 0
                                        ; implicit-def: $vgpr1
                                        ; implicit-def: $sgpr34_sgpr35
	s_and_b32 vcc_lo, exec_lo, s45
	s_cbranch_vccz .LBB124_93
.LBB124_15:
	s_cmp_eq_u32 s44, 16
	s_cbranch_scc0 .LBB124_22
; %bb.16:
	s_bfe_u32 s2, ttmp6, 0x4000c
	s_and_b32 s3, ttmp6, 15
	s_add_co_i32 s2, s2, 1
	s_getreg_b32 s4, hwreg(HW_REG_IB_STS2, 6, 4)
	s_mul_i32 s2, ttmp9, s2
	s_mov_b32 s35, 0
	s_add_co_i32 s3, s3, s2
	s_cmp_eq_u32 s4, 0
	s_cselect_b32 s34, ttmp9, s3
	s_lshr_b64 s[4:5], s[36:37], 12
	s_lshl_b32 s2, s34, 12
	s_mov_b32 s3, s35
	s_cmp_lg_u64 s[4:5], s[34:35]
	s_add_nc_u64 s[16:17], s[40:41], s[2:3]
	s_cbranch_scc0 .LBB124_94
; %bb.17:
	s_clause 0xf
	global_load_u8 v1, v0, s[16:17]
	global_load_u8 v2, v0, s[16:17] offset:512
	global_load_u8 v3, v0, s[16:17] offset:256
	;; [unrolled: 1-line block ×15, first 2 shown]
	s_mov_b32 s3, exec_lo
	s_wait_loadcnt 0xf
	v_cmp_ne_u16_e32 vcc_lo, 0, v1
	v_cndmask_b32_e64 v1, 0, 1, vcc_lo
	s_wait_loadcnt 0xe
	v_cmp_ne_u16_e32 vcc_lo, 0, v2
	v_cndmask_b32_e64 v2, 0, 1, vcc_lo
	s_wait_loadcnt 0xd
	v_cmp_ne_u16_e32 vcc_lo, 0, v3
	v_add_co_ci_u32_e64 v1, null, 0, v1, vcc_lo
	s_wait_loadcnt 0xc
	v_cmp_ne_u16_e32 vcc_lo, 0, v4
	v_cndmask_b32_e64 v3, 0, 1, vcc_lo
	s_wait_loadcnt 0xb
	v_cmp_ne_u16_e32 vcc_lo, 0, v5
	v_add_co_ci_u32_e64 v1, null, v1, v2, vcc_lo
	;; [unrolled: 6-line block ×7, first 2 shown]
	s_wait_loadcnt 0x0
	v_cmp_ne_u16_e32 vcc_lo, 0, v16
	s_delay_alu instid0(VALU_DEP_2) | instskip(NEXT) | instid1(VALU_DEP_1)
	v_add_co_ci_u32_e64 v1, null, v1, v2, vcc_lo
	v_mov_b32_dpp v2, v1 quad_perm:[1,0,3,2] row_mask:0xf bank_mask:0xf
	s_delay_alu instid0(VALU_DEP_1) | instskip(NEXT) | instid1(VALU_DEP_1)
	v_add_nc_u32_e32 v1, v1, v2
	v_mov_b32_dpp v2, v1 quad_perm:[2,3,0,1] row_mask:0xf bank_mask:0xf
	s_delay_alu instid0(VALU_DEP_1) | instskip(NEXT) | instid1(VALU_DEP_1)
	v_add_nc_u32_e32 v1, v1, v2
	v_mov_b32_dpp v2, v1 row_ror:4 row_mask:0xf bank_mask:0xf
	s_delay_alu instid0(VALU_DEP_1) | instskip(NEXT) | instid1(VALU_DEP_1)
	v_add_nc_u32_e32 v1, v1, v2
	v_mov_b32_dpp v2, v1 row_ror:8 row_mask:0xf bank_mask:0xf
	s_delay_alu instid0(VALU_DEP_1)
	v_add_nc_u32_e32 v1, v1, v2
	ds_swizzle_b32 v2, v1 offset:swizzle(BROADCAST,32,15)
	s_wait_dscnt 0x0
	v_dual_mov_b32 v2, 0 :: v_dual_add_nc_u32 v1, v1, v2
	ds_bpermute_b32 v1, v2, v1 offset:124
	v_mbcnt_lo_u32_b32 v2, -1, 0
	s_delay_alu instid0(VALU_DEP_1)
	v_cmpx_eq_u32_e32 0, v2
	s_cbranch_execz .LBB124_19
; %bb.18:
	v_lshrrev_b32_e32 v3, 3, v0
	s_delay_alu instid0(VALU_DEP_1)
	v_and_b32_e32 v3, 28, v3
	s_wait_dscnt 0x0
	ds_store_b32 v3, v1
.LBB124_19:
	s_or_b32 exec_lo, exec_lo, s3
	s_delay_alu instid0(SALU_CYCLE_1)
	s_mov_b32 s3, exec_lo
	s_wait_dscnt 0x0
	s_barrier_signal -1
	s_barrier_wait -1
	v_cmpx_gt_u32_e32 32, v0
	s_cbranch_execz .LBB124_21
; %bb.20:
	v_and_b32_e32 v1, 7, v2
	s_delay_alu instid0(VALU_DEP_1) | instskip(SKIP_1) | instid1(VALU_DEP_1)
	v_cmp_ne_u32_e32 vcc_lo, 7, v1
	v_add_co_ci_u32_e64 v4, null, 0, v2, vcc_lo
	v_lshlrev_b32_e32 v4, 2, v4
	v_cmp_gt_u32_e32 vcc_lo, 6, v1
	v_lshlrev_b32_e32 v3, 2, v1
	v_cndmask_b32_e64 v1, 0, 2, vcc_lo
	s_delay_alu instid0(VALU_DEP_1)
	v_add_lshl_u32 v1, v1, v2, 2
	v_lshlrev_b32_e32 v2, 2, v2
	ds_load_b32 v3, v3
	v_or_b32_e32 v2, 16, v2
	s_wait_dscnt 0x0
	ds_bpermute_b32 v4, v4, v3
	s_wait_dscnt 0x0
	v_add_nc_u32_e32 v3, v4, v3
	ds_bpermute_b32 v1, v1, v3
	s_wait_dscnt 0x0
	v_add_nc_u32_e32 v1, v1, v3
	ds_bpermute_b32 v2, v2, v1
	s_wait_dscnt 0x0
	v_add_nc_u32_e32 v1, v2, v1
.LBB124_21:
	s_or_b32 exec_lo, exec_lo, s3
	s_mov_b32 s3, 0
	s_branch .LBB124_95
.LBB124_22:
                                        ; implicit-def: $vgpr1
                                        ; implicit-def: $sgpr34_sgpr35
	s_branch .LBB124_142
.LBB124_23:
                                        ; implicit-def: $vgpr1
	s_cbranch_execz .LBB124_10
; %bb.24:
	v_mov_b32_e32 v2, 0
	s_sub_co_i32 s46, s36, s2
	s_delay_alu instid0(SALU_CYCLE_1) | instskip(NEXT) | instid1(VALU_DEP_2)
	v_cmp_gt_u32_e32 vcc_lo, s46, v0
	v_dual_mov_b32 v3, v2 :: v_dual_mov_b32 v4, v2
	v_dual_mov_b32 v5, v2 :: v_dual_mov_b32 v6, v2
	;; [unrolled: 1-line block ×15, first 2 shown]
	v_mov_b32_e32 v33, v2
	s_and_saveexec_b32 s2, vcc_lo
	s_cbranch_execz .LBB124_26
; %bb.25:
	global_load_u8 v1, v0, s[42:43]
	v_dual_mov_b32 v3, v2 :: v_dual_mov_b32 v4, v2
	v_dual_mov_b32 v5, v2 :: v_dual_mov_b32 v6, v2
	;; [unrolled: 1-line block ×15, first 2 shown]
	v_mov_b32_e32 v33, v2
	s_wait_loadcnt 0x0
	v_cmp_ne_u16_e32 vcc_lo, 0, v1
	v_cndmask_b32_e64 v2, 0, 1, vcc_lo
.LBB124_26:
	s_or_b32 exec_lo, exec_lo, s2
	v_or_b32_e32 v1, 0x100, v0
	s_delay_alu instid0(VALU_DEP_1)
	v_cmp_gt_u32_e32 vcc_lo, s46, v1
	s_and_saveexec_b32 s3, vcc_lo
	s_cbranch_execz .LBB124_28
; %bb.27:
	global_load_u8 v1, v0, s[42:43] offset:256
	s_wait_loadcnt 0x0
	v_cmp_ne_u16_e64 s2, 0, v1
	s_delay_alu instid0(VALU_DEP_1)
	v_cndmask_b32_e64 v3, 0, 1, s2
.LBB124_28:
	s_or_b32 exec_lo, exec_lo, s3
	v_or_b32_e32 v1, 0x200, v0
	s_delay_alu instid0(VALU_DEP_1)
	v_cmp_gt_u32_e64 s2, s46, v1
	s_and_saveexec_b32 s4, s2
	s_cbranch_execz .LBB124_30
; %bb.29:
	global_load_u8 v1, v0, s[42:43] offset:512
	s_wait_loadcnt 0x0
	v_cmp_ne_u16_e64 s3, 0, v1
	s_delay_alu instid0(VALU_DEP_1)
	v_cndmask_b32_e64 v4, 0, 1, s3
.LBB124_30:
	s_or_b32 exec_lo, exec_lo, s4
	v_or_b32_e32 v1, 0x300, v0
	s_delay_alu instid0(VALU_DEP_1)
	v_cmp_gt_u32_e64 s3, s46, v1
	s_and_saveexec_b32 s5, s3
	;; [unrolled: 13-line block ×30, first 2 shown]
	s_cbranch_execz .LBB124_88
; %bb.87:
	global_load_u8 v1, v0, s[42:43] offset:7936
	s_wait_loadcnt 0x0
	v_cmp_ne_u16_e64 s33, 0, v1
	s_delay_alu instid0(VALU_DEP_1)
	v_cndmask_b32_e64 v33, 0, 1, s33
.LBB124_88:
	s_or_b32 exec_lo, exec_lo, s47
	v_dual_cndmask_b32 v1, 0, v3, vcc_lo :: v_dual_cndmask_b32 v3, 0, v4, s2
	v_cndmask_b32_e64 v4, 0, v5, s3
	s_min_u32 s2, s46, 0x100
	s_mov_b32 s3, exec_lo
	s_delay_alu instid0(VALU_DEP_2) | instskip(SKIP_2) | instid1(VALU_DEP_3)
	v_add_nc_u32_e32 v1, v1, v2
	v_dual_cndmask_b32 v2, 0, v6, s4 :: v_dual_cndmask_b32 v5, 0, v7, s5
	v_dual_cndmask_b32 v7, 0, v32, s30 :: v_dual_cndmask_b32 v6, 0, v31, s29
	v_add3_u32 v1, v1, v3, v4
	v_dual_cndmask_b32 v3, 0, v8, s6 :: v_dual_cndmask_b32 v4, 0, v9, s7
	s_delay_alu instid0(VALU_DEP_2) | instskip(SKIP_1) | instid1(VALU_DEP_2)
	v_add3_u32 v1, v1, v2, v5
	v_dual_cndmask_b32 v2, 0, v10, s8 :: v_dual_cndmask_b32 v5, 0, v11, s9
	v_add3_u32 v1, v1, v3, v4
	v_dual_cndmask_b32 v3, 0, v12, s10 :: v_dual_cndmask_b32 v4, 0, v13, s11
	s_delay_alu instid0(VALU_DEP_2) | instskip(SKIP_1) | instid1(VALU_DEP_2)
	v_add3_u32 v1, v1, v2, v5
	;; [unrolled: 5-line block ×5, first 2 shown]
	v_dual_cndmask_b32 v2, 0, v26, s24 :: v_dual_cndmask_b32 v5, 0, v27, s25
	v_add3_u32 v1, v1, v3, v4
	v_dual_cndmask_b32 v3, 0, v28, s26 :: v_dual_cndmask_b32 v4, 0, v29, s27
	s_delay_alu instid0(VALU_DEP_2) | instskip(SKIP_2) | instid1(VALU_DEP_3)
	v_add3_u32 v1, v1, v2, v5
	v_mbcnt_lo_u32_b32 v2, -1, 0
	v_cndmask_b32_e64 v5, 0, v30, s28
	v_add3_u32 v1, v1, v3, v4
	s_delay_alu instid0(VALU_DEP_3) | instskip(SKIP_1) | instid1(VALU_DEP_3)
	v_cmp_ne_u32_e32 vcc_lo, 31, v2
	v_cndmask_b32_e64 v3, 0, v33, s31
	v_add3_u32 v1, v1, v5, v6
	v_add_co_ci_u32_e64 v4, null, 0, v2, vcc_lo
	v_cmp_gt_u32_e32 vcc_lo, 30, v2
	v_add_nc_u32_e32 v5, 1, v2
	s_delay_alu instid0(VALU_DEP_4) | instskip(NEXT) | instid1(VALU_DEP_4)
	v_add3_u32 v1, v1, v7, v3
	v_lshlrev_b32_e32 v4, 2, v4
	v_cndmask_b32_e64 v6, 0, 2, vcc_lo
	ds_bpermute_b32 v3, v4, v1
	v_and_b32_e32 v4, 0xe0, v0
	s_delay_alu instid0(VALU_DEP_1) | instskip(NEXT) | instid1(VALU_DEP_1)
	v_sub_nc_u32_e64 v4, s2, v4 clamp
	v_cmp_lt_u32_e32 vcc_lo, v5, v4
	v_add_lshl_u32 v5, v6, v2, 2
	s_wait_dscnt 0x0
	v_cndmask_b32_e32 v3, 0, v3, vcc_lo
	v_cmp_gt_u32_e32 vcc_lo, 28, v2
	s_delay_alu instid0(VALU_DEP_2) | instskip(SKIP_3) | instid1(VALU_DEP_1)
	v_add_nc_u32_e32 v1, v1, v3
	v_cndmask_b32_e64 v6, 0, 4, vcc_lo
	ds_bpermute_b32 v3, v5, v1
	v_add_nc_u32_e32 v5, 2, v2
	v_cmp_lt_u32_e32 vcc_lo, v5, v4
	v_add_lshl_u32 v5, v6, v2, 2
	s_wait_dscnt 0x0
	v_cndmask_b32_e32 v3, 0, v3, vcc_lo
	v_cmp_gt_u32_e32 vcc_lo, 24, v2
	s_delay_alu instid0(VALU_DEP_2) | instskip(SKIP_3) | instid1(VALU_DEP_1)
	v_add_nc_u32_e32 v1, v1, v3
	v_cndmask_b32_e64 v6, 0, 8, vcc_lo
	ds_bpermute_b32 v3, v5, v1
	v_add_nc_u32_e32 v5, 4, v2
	v_cmp_lt_u32_e32 vcc_lo, v5, v4
	v_add_lshl_u32 v5, v6, v2, 2
	s_wait_dscnt 0x0
	v_dual_cndmask_b32 v3, 0, v3 :: v_dual_add_nc_u32 v6, 8, v2
	s_delay_alu instid0(VALU_DEP_1) | instskip(NEXT) | instid1(VALU_DEP_2)
	v_cmp_lt_u32_e32 vcc_lo, v6, v4
	v_dual_add_nc_u32 v1, v1, v3 :: v_dual_lshlrev_b32 v3, 2, v2
	ds_bpermute_b32 v5, v5, v1
	s_wait_dscnt 0x0
	v_dual_cndmask_b32 v5, 0, v5, vcc_lo :: v_dual_bitop2_b32 v6, 64, v3 bitop3:0x54
	s_delay_alu instid0(VALU_DEP_1) | instskip(SKIP_2) | instid1(VALU_DEP_1)
	v_add_nc_u32_e32 v1, v1, v5
	ds_bpermute_b32 v5, v6, v1
	v_add_nc_u32_e32 v6, 16, v2
	v_cmp_lt_u32_e32 vcc_lo, v6, v4
	s_wait_dscnt 0x0
	v_cndmask_b32_e32 v4, 0, v5, vcc_lo
	s_delay_alu instid0(VALU_DEP_1)
	v_add_nc_u32_e32 v1, v1, v4
	v_cmpx_eq_u32_e32 0, v2
; %bb.89:
	v_lshrrev_b32_e32 v4, 3, v0
	s_delay_alu instid0(VALU_DEP_1)
	v_and_b32_e32 v4, 28, v4
	ds_store_b32 v4, v1 offset:192
; %bb.90:
	s_or_b32 exec_lo, exec_lo, s3
	s_delay_alu instid0(SALU_CYCLE_1)
	s_mov_b32 s3, exec_lo
	s_wait_dscnt 0x0
	s_barrier_signal -1
	s_barrier_wait -1
	v_cmpx_gt_u32_e32 8, v0
	s_cbranch_execz .LBB124_92
; %bb.91:
	ds_load_b32 v1, v3 offset:192
	v_and_b32_e32 v4, 7, v2
	s_add_co_i32 s2, s2, 31
	s_delay_alu instid0(SALU_CYCLE_1) | instskip(NEXT) | instid1(VALU_DEP_1)
	s_lshr_b32 s2, s2, 5
	v_cmp_ne_u32_e32 vcc_lo, 7, v4
	v_add_co_ci_u32_e64 v5, null, 0, v2, vcc_lo
	s_delay_alu instid0(VALU_DEP_1)
	v_lshlrev_b32_e32 v5, 2, v5
	v_cmp_gt_u32_e32 vcc_lo, 6, v4
	s_wait_dscnt 0x0
	ds_bpermute_b32 v5, v5, v1
	v_add_nc_u32_e32 v6, 1, v4
	v_cndmask_b32_e64 v7, 0, 2, vcc_lo
	s_delay_alu instid0(VALU_DEP_2) | instskip(NEXT) | instid1(VALU_DEP_2)
	v_cmp_gt_u32_e32 vcc_lo, s2, v6
	v_add_lshl_u32 v2, v7, v2, 2
	s_wait_dscnt 0x0
	v_cndmask_b32_e32 v5, 0, v5, vcc_lo
	s_delay_alu instid0(VALU_DEP_1) | instskip(SKIP_4) | instid1(VALU_DEP_1)
	v_dual_add_nc_u32 v1, v5, v1 :: v_dual_add_nc_u32 v5, 2, v4
	ds_bpermute_b32 v2, v2, v1
	v_cmp_gt_u32_e32 vcc_lo, s2, v5
	s_wait_dscnt 0x0
	v_cndmask_b32_e32 v2, 0, v2, vcc_lo
	v_dual_add_nc_u32 v1, v1, v2 :: v_dual_bitop2_b32 v2, 16, v3 bitop3:0x54
	v_add_nc_u32_e32 v3, 4, v4
	ds_bpermute_b32 v2, v2, v1
	v_cmp_gt_u32_e32 vcc_lo, s2, v3
	s_wait_dscnt 0x0
	v_cndmask_b32_e32 v2, 0, v2, vcc_lo
	s_delay_alu instid0(VALU_DEP_1)
	v_add_nc_u32_e32 v1, v1, v2
.LBB124_92:
	s_or_b32 exec_lo, exec_lo, s3
	v_cmp_eq_u32_e64 s2, 0, v0
	s_and_b32 vcc_lo, exec_lo, s45
	s_cbranch_vccnz .LBB124_15
.LBB124_93:
	s_branch .LBB124_142
.LBB124_94:
	s_mov_b32 s3, -1
                                        ; implicit-def: $vgpr1
.LBB124_95:
	s_delay_alu instid0(SALU_CYCLE_1)
	s_and_b32 vcc_lo, exec_lo, s3
	s_cbranch_vccz .LBB124_133
; %bb.96:
	v_mov_b32_e32 v2, 0
	s_sub_co_i32 s18, s36, s2
	s_mov_b32 s2, exec_lo
	s_delay_alu instid0(VALU_DEP_1)
	v_dual_mov_b32 v3, v2 :: v_dual_mov_b32 v4, v2
	v_dual_mov_b32 v5, v2 :: v_dual_mov_b32 v6, v2
	;; [unrolled: 1-line block ×7, first 2 shown]
	v_mov_b32_e32 v17, v2
	v_cmpx_gt_u32_e64 s18, v0
	s_cbranch_execz .LBB124_98
; %bb.97:
	global_load_u8 v1, v0, s[16:17]
	v_dual_mov_b32 v5, v2 :: v_dual_mov_b32 v6, v2
	v_dual_mov_b32 v17, v2 :: v_dual_mov_b32 v18, v2
	;; [unrolled: 1-line block ×7, first 2 shown]
	v_mov_b32_e32 v16, v2
	s_wait_loadcnt 0x0
	v_cmp_ne_u16_e32 vcc_lo, 0, v1
	v_cndmask_b32_e64 v1, 0, 1, vcc_lo
	s_delay_alu instid0(VALU_DEP_1) | instskip(NEXT) | instid1(VALU_DEP_1)
	v_and_b32_e32 v4, 0xffff, v1
	v_mov_b64_e32 v[2:3], v[4:5]
	v_mov_b64_e32 v[4:5], v[6:7]
	;; [unrolled: 1-line block ×8, first 2 shown]
.LBB124_98:
	s_or_b32 exec_lo, exec_lo, s2
	v_or_b32_e32 v1, 0x100, v0
	s_delay_alu instid0(VALU_DEP_1)
	v_cmp_gt_u32_e32 vcc_lo, s18, v1
	s_and_saveexec_b32 s3, vcc_lo
	s_cbranch_execz .LBB124_100
; %bb.99:
	global_load_u8 v1, v0, s[16:17] offset:256
	s_wait_loadcnt 0x0
	v_cmp_ne_u16_e64 s2, 0, v1
	s_delay_alu instid0(VALU_DEP_1)
	v_cndmask_b32_e64 v3, 0, 1, s2
.LBB124_100:
	s_or_b32 exec_lo, exec_lo, s3
	v_or_b32_e32 v1, 0x200, v0
	s_delay_alu instid0(VALU_DEP_1)
	v_cmp_gt_u32_e64 s2, s18, v1
	s_and_saveexec_b32 s4, s2
	s_cbranch_execz .LBB124_102
; %bb.101:
	global_load_u8 v1, v0, s[16:17] offset:512
	s_wait_loadcnt 0x0
	v_cmp_ne_u16_e64 s3, 0, v1
	s_delay_alu instid0(VALU_DEP_1)
	v_cndmask_b32_e64 v4, 0, 1, s3
.LBB124_102:
	s_or_b32 exec_lo, exec_lo, s4
	v_or_b32_e32 v1, 0x300, v0
	s_delay_alu instid0(VALU_DEP_1)
	v_cmp_gt_u32_e64 s3, s18, v1
	s_and_saveexec_b32 s5, s3
	;; [unrolled: 13-line block ×14, first 2 shown]
	s_cbranch_execz .LBB124_128
; %bb.127:
	global_load_u8 v1, v0, s[16:17] offset:3840
	s_wait_loadcnt 0x0
	v_cmp_ne_u16_e64 s16, 0, v1
	s_delay_alu instid0(VALU_DEP_1)
	v_cndmask_b32_e64 v17, 0, 1, s16
.LBB124_128:
	s_or_b32 exec_lo, exec_lo, s19
	v_dual_cndmask_b32 v1, 0, v3, vcc_lo :: v_dual_cndmask_b32 v3, 0, v4, s2
	v_cndmask_b32_e64 v4, 0, v5, s3
	s_min_u32 s2, s18, 0x100
	s_mov_b32 s3, exec_lo
	s_delay_alu instid0(VALU_DEP_2) | instskip(SKIP_2) | instid1(VALU_DEP_3)
	v_add_nc_u32_e32 v1, v1, v2
	v_dual_cndmask_b32 v2, 0, v6, s4 :: v_dual_cndmask_b32 v5, 0, v7, s5
	v_dual_cndmask_b32 v7, 0, v16, s14 :: v_dual_cndmask_b32 v6, 0, v15, s13
	v_add3_u32 v1, v1, v3, v4
	v_dual_cndmask_b32 v3, 0, v8, s6 :: v_dual_cndmask_b32 v4, 0, v9, s7
	s_delay_alu instid0(VALU_DEP_2) | instskip(SKIP_1) | instid1(VALU_DEP_2)
	v_add3_u32 v1, v1, v2, v5
	v_dual_cndmask_b32 v2, 0, v10, s8 :: v_dual_cndmask_b32 v5, 0, v11, s9
	v_add3_u32 v1, v1, v3, v4
	v_dual_cndmask_b32 v3, 0, v12, s10 :: v_dual_cndmask_b32 v4, 0, v13, s11
	s_delay_alu instid0(VALU_DEP_2) | instskip(SKIP_2) | instid1(VALU_DEP_3)
	v_add3_u32 v1, v1, v2, v5
	v_mbcnt_lo_u32_b32 v2, -1, 0
	v_cndmask_b32_e64 v5, 0, v14, s12
	v_add3_u32 v1, v1, v3, v4
	s_delay_alu instid0(VALU_DEP_3) | instskip(SKIP_1) | instid1(VALU_DEP_3)
	v_cmp_ne_u32_e32 vcc_lo, 31, v2
	v_cndmask_b32_e64 v3, 0, v17, s15
	v_add3_u32 v1, v1, v5, v6
	v_add_co_ci_u32_e64 v4, null, 0, v2, vcc_lo
	v_cmp_gt_u32_e32 vcc_lo, 30, v2
	v_add_nc_u32_e32 v5, 1, v2
	s_delay_alu instid0(VALU_DEP_4) | instskip(NEXT) | instid1(VALU_DEP_4)
	v_add3_u32 v1, v1, v7, v3
	v_lshlrev_b32_e32 v4, 2, v4
	v_cndmask_b32_e64 v6, 0, 2, vcc_lo
	ds_bpermute_b32 v3, v4, v1
	v_and_b32_e32 v4, 0xe0, v0
	s_delay_alu instid0(VALU_DEP_1) | instskip(NEXT) | instid1(VALU_DEP_1)
	v_sub_nc_u32_e64 v4, s2, v4 clamp
	v_cmp_lt_u32_e32 vcc_lo, v5, v4
	v_add_lshl_u32 v5, v6, v2, 2
	s_wait_dscnt 0x0
	v_cndmask_b32_e32 v3, 0, v3, vcc_lo
	v_cmp_gt_u32_e32 vcc_lo, 28, v2
	s_delay_alu instid0(VALU_DEP_2) | instskip(SKIP_3) | instid1(VALU_DEP_1)
	v_add_nc_u32_e32 v1, v1, v3
	v_cndmask_b32_e64 v6, 0, 4, vcc_lo
	ds_bpermute_b32 v3, v5, v1
	v_add_nc_u32_e32 v5, 2, v2
	v_cmp_lt_u32_e32 vcc_lo, v5, v4
	v_add_lshl_u32 v5, v6, v2, 2
	s_wait_dscnt 0x0
	v_cndmask_b32_e32 v3, 0, v3, vcc_lo
	v_cmp_gt_u32_e32 vcc_lo, 24, v2
	s_delay_alu instid0(VALU_DEP_2) | instskip(SKIP_3) | instid1(VALU_DEP_1)
	v_add_nc_u32_e32 v1, v1, v3
	v_cndmask_b32_e64 v6, 0, 8, vcc_lo
	ds_bpermute_b32 v3, v5, v1
	v_add_nc_u32_e32 v5, 4, v2
	v_cmp_lt_u32_e32 vcc_lo, v5, v4
	v_add_lshl_u32 v5, v6, v2, 2
	s_wait_dscnt 0x0
	v_dual_cndmask_b32 v3, 0, v3 :: v_dual_add_nc_u32 v6, 8, v2
	s_delay_alu instid0(VALU_DEP_1) | instskip(NEXT) | instid1(VALU_DEP_2)
	v_cmp_lt_u32_e32 vcc_lo, v6, v4
	v_dual_add_nc_u32 v1, v1, v3 :: v_dual_lshlrev_b32 v3, 2, v2
	ds_bpermute_b32 v5, v5, v1
	s_wait_dscnt 0x0
	v_dual_cndmask_b32 v5, 0, v5, vcc_lo :: v_dual_bitop2_b32 v6, 64, v3 bitop3:0x54
	s_delay_alu instid0(VALU_DEP_1) | instskip(SKIP_2) | instid1(VALU_DEP_1)
	v_add_nc_u32_e32 v1, v1, v5
	ds_bpermute_b32 v5, v6, v1
	v_add_nc_u32_e32 v6, 16, v2
	v_cmp_lt_u32_e32 vcc_lo, v6, v4
	s_wait_dscnt 0x0
	v_cndmask_b32_e32 v4, 0, v5, vcc_lo
	s_delay_alu instid0(VALU_DEP_1)
	v_add_nc_u32_e32 v1, v1, v4
	v_cmpx_eq_u32_e32 0, v2
; %bb.129:
	v_lshrrev_b32_e32 v4, 3, v0
	s_delay_alu instid0(VALU_DEP_1)
	v_and_b32_e32 v4, 28, v4
	ds_store_b32 v4, v1 offset:192
; %bb.130:
	s_or_b32 exec_lo, exec_lo, s3
	s_delay_alu instid0(SALU_CYCLE_1)
	s_mov_b32 s3, exec_lo
	s_wait_dscnt 0x0
	s_barrier_signal -1
	s_barrier_wait -1
	v_cmpx_gt_u32_e32 8, v0
	s_cbranch_execz .LBB124_132
; %bb.131:
	ds_load_b32 v1, v3 offset:192
	v_and_b32_e32 v4, 7, v2
	s_add_co_i32 s2, s2, 31
	s_delay_alu instid0(SALU_CYCLE_1) | instskip(NEXT) | instid1(VALU_DEP_1)
	s_lshr_b32 s2, s2, 5
	v_cmp_ne_u32_e32 vcc_lo, 7, v4
	v_add_co_ci_u32_e64 v5, null, 0, v2, vcc_lo
	s_delay_alu instid0(VALU_DEP_1)
	v_lshlrev_b32_e32 v5, 2, v5
	v_cmp_gt_u32_e32 vcc_lo, 6, v4
	s_wait_dscnt 0x0
	ds_bpermute_b32 v5, v5, v1
	v_add_nc_u32_e32 v6, 1, v4
	v_cndmask_b32_e64 v7, 0, 2, vcc_lo
	s_delay_alu instid0(VALU_DEP_2) | instskip(NEXT) | instid1(VALU_DEP_2)
	v_cmp_gt_u32_e32 vcc_lo, s2, v6
	v_add_lshl_u32 v2, v7, v2, 2
	s_wait_dscnt 0x0
	v_cndmask_b32_e32 v5, 0, v5, vcc_lo
	s_delay_alu instid0(VALU_DEP_1) | instskip(SKIP_4) | instid1(VALU_DEP_1)
	v_dual_add_nc_u32 v1, v5, v1 :: v_dual_add_nc_u32 v5, 2, v4
	ds_bpermute_b32 v2, v2, v1
	v_cmp_gt_u32_e32 vcc_lo, s2, v5
	s_wait_dscnt 0x0
	v_cndmask_b32_e32 v2, 0, v2, vcc_lo
	v_dual_add_nc_u32 v1, v1, v2 :: v_dual_bitop2_b32 v2, 16, v3 bitop3:0x54
	v_add_nc_u32_e32 v3, 4, v4
	ds_bpermute_b32 v2, v2, v1
	v_cmp_gt_u32_e32 vcc_lo, s2, v3
	s_wait_dscnt 0x0
	v_cndmask_b32_e32 v2, 0, v2, vcc_lo
	s_delay_alu instid0(VALU_DEP_1)
	v_add_nc_u32_e32 v1, v1, v2
.LBB124_132:
	s_or_b32 exec_lo, exec_lo, s3
.LBB124_133:
	v_cmp_eq_u32_e64 s2, 0, v0
	s_branch .LBB124_142
.LBB124_134:
	s_cmp_eq_u32 s44, 8
	s_cbranch_scc0 .LBB124_141
; %bb.135:
	s_bfe_u32 s2, ttmp6, 0x4000c
	s_and_b32 s3, ttmp6, 15
	s_add_co_i32 s2, s2, 1
	s_getreg_b32 s4, hwreg(HW_REG_IB_STS2, 6, 4)
	s_mul_i32 s2, ttmp9, s2
	s_mov_b32 s35, 0
	s_add_co_i32 s3, s3, s2
	s_cmp_eq_u32 s4, 0
	s_cselect_b32 s34, ttmp9, s3
	s_lshr_b64 s[4:5], s[36:37], 11
	s_lshl_b32 s2, s34, 11
	s_mov_b32 s3, s35
	s_cmp_lg_u64 s[4:5], s[34:35]
	s_add_nc_u64 s[8:9], s[40:41], s[2:3]
	s_cbranch_scc0 .LBB124_143
; %bb.136:
	s_clause 0x7
	global_load_u8 v1, v0, s[8:9]
	global_load_u8 v2, v0, s[8:9] offset:512
	global_load_u8 v3, v0, s[8:9] offset:256
	;; [unrolled: 1-line block ×7, first 2 shown]
	s_mov_b32 s3, exec_lo
	s_wait_loadcnt 0x7
	v_cmp_ne_u16_e32 vcc_lo, 0, v1
	v_cndmask_b32_e64 v1, 0, 1, vcc_lo
	s_wait_loadcnt 0x6
	v_cmp_ne_u16_e32 vcc_lo, 0, v2
	v_cndmask_b32_e64 v2, 0, 1, vcc_lo
	s_wait_loadcnt 0x5
	v_cmp_ne_u16_e32 vcc_lo, 0, v3
	v_add_co_ci_u32_e64 v1, null, 0, v1, vcc_lo
	s_wait_loadcnt 0x4
	v_cmp_ne_u16_e32 vcc_lo, 0, v4
	v_cndmask_b32_e64 v3, 0, 1, vcc_lo
	s_wait_loadcnt 0x3
	v_cmp_ne_u16_e32 vcc_lo, 0, v5
	v_add_co_ci_u32_e64 v1, null, v1, v2, vcc_lo
	;; [unrolled: 6-line block ×3, first 2 shown]
	s_wait_loadcnt 0x0
	v_cmp_ne_u16_e32 vcc_lo, 0, v8
	s_delay_alu instid0(VALU_DEP_2) | instskip(NEXT) | instid1(VALU_DEP_1)
	v_add_co_ci_u32_e64 v1, null, v1, v2, vcc_lo
	v_mov_b32_dpp v2, v1 quad_perm:[1,0,3,2] row_mask:0xf bank_mask:0xf
	s_delay_alu instid0(VALU_DEP_1) | instskip(NEXT) | instid1(VALU_DEP_1)
	v_add_nc_u32_e32 v1, v1, v2
	v_mov_b32_dpp v2, v1 quad_perm:[2,3,0,1] row_mask:0xf bank_mask:0xf
	s_delay_alu instid0(VALU_DEP_1) | instskip(NEXT) | instid1(VALU_DEP_1)
	v_add_nc_u32_e32 v1, v1, v2
	v_mov_b32_dpp v2, v1 row_ror:4 row_mask:0xf bank_mask:0xf
	s_delay_alu instid0(VALU_DEP_1) | instskip(NEXT) | instid1(VALU_DEP_1)
	v_add_nc_u32_e32 v1, v1, v2
	v_mov_b32_dpp v2, v1 row_ror:8 row_mask:0xf bank_mask:0xf
	s_delay_alu instid0(VALU_DEP_1)
	v_add_nc_u32_e32 v1, v1, v2
	ds_swizzle_b32 v2, v1 offset:swizzle(BROADCAST,32,15)
	s_wait_dscnt 0x0
	v_dual_mov_b32 v2, 0 :: v_dual_add_nc_u32 v1, v1, v2
	ds_bpermute_b32 v1, v2, v1 offset:124
	v_mbcnt_lo_u32_b32 v2, -1, 0
	s_delay_alu instid0(VALU_DEP_1)
	v_cmpx_eq_u32_e32 0, v2
	s_cbranch_execz .LBB124_138
; %bb.137:
	v_lshrrev_b32_e32 v3, 3, v0
	s_delay_alu instid0(VALU_DEP_1)
	v_and_b32_e32 v3, 28, v3
	s_wait_dscnt 0x0
	ds_store_b32 v3, v1 offset:160
.LBB124_138:
	s_or_b32 exec_lo, exec_lo, s3
	s_delay_alu instid0(SALU_CYCLE_1)
	s_mov_b32 s3, exec_lo
	s_wait_dscnt 0x0
	s_barrier_signal -1
	s_barrier_wait -1
	v_cmpx_gt_u32_e32 32, v0
	s_cbranch_execz .LBB124_140
; %bb.139:
	v_and_b32_e32 v1, 7, v2
	s_delay_alu instid0(VALU_DEP_1) | instskip(SKIP_1) | instid1(VALU_DEP_1)
	v_cmp_ne_u32_e32 vcc_lo, 7, v1
	v_add_co_ci_u32_e64 v4, null, 0, v2, vcc_lo
	v_lshlrev_b32_e32 v4, 2, v4
	v_cmp_gt_u32_e32 vcc_lo, 6, v1
	v_lshlrev_b32_e32 v3, 2, v1
	v_cndmask_b32_e64 v1, 0, 2, vcc_lo
	s_delay_alu instid0(VALU_DEP_1)
	v_add_lshl_u32 v1, v1, v2, 2
	v_lshlrev_b32_e32 v2, 2, v2
	ds_load_b32 v3, v3 offset:160
	v_or_b32_e32 v2, 16, v2
	s_wait_dscnt 0x0
	ds_bpermute_b32 v4, v4, v3
	s_wait_dscnt 0x0
	v_add_nc_u32_e32 v3, v4, v3
	ds_bpermute_b32 v1, v1, v3
	s_wait_dscnt 0x0
	v_add_nc_u32_e32 v1, v1, v3
	;; [unrolled: 3-line block ×3, first 2 shown]
.LBB124_140:
	s_or_b32 exec_lo, exec_lo, s3
	s_branch .LBB124_165
.LBB124_141:
                                        ; implicit-def: $vgpr1
                                        ; implicit-def: $sgpr34_sgpr35
.LBB124_142:
	s_branch .LBB124_224
.LBB124_143:
                                        ; implicit-def: $vgpr1
	s_cbranch_execz .LBB124_165
; %bb.144:
	v_mov_b32_e32 v2, 0
	s_sub_co_i32 s10, s36, s2
	s_mov_b32 s2, exec_lo
	s_delay_alu instid0(VALU_DEP_1)
	v_dual_mov_b32 v3, v2 :: v_dual_mov_b32 v4, v2
	v_dual_mov_b32 v5, v2 :: v_dual_mov_b32 v6, v2
	;; [unrolled: 1-line block ×3, first 2 shown]
	v_mov_b32_e32 v9, v2
	v_cmpx_gt_u32_e64 s10, v0
	s_cbranch_execz .LBB124_146
; %bb.145:
	global_load_u8 v1, v0, s[8:9]
	v_dual_mov_b32 v5, v2 :: v_dual_mov_b32 v6, v2
	v_dual_mov_b32 v9, v2 :: v_dual_mov_b32 v10, v2
	;; [unrolled: 1-line block ×3, first 2 shown]
	v_mov_b32_e32 v8, v2
	s_wait_loadcnt 0x0
	v_cmp_ne_u16_e32 vcc_lo, 0, v1
	v_cndmask_b32_e64 v1, 0, 1, vcc_lo
	s_delay_alu instid0(VALU_DEP_1) | instskip(NEXT) | instid1(VALU_DEP_1)
	v_and_b32_e32 v4, 0xffff, v1
	v_mov_b64_e32 v[2:3], v[4:5]
	v_mov_b64_e32 v[4:5], v[6:7]
	;; [unrolled: 1-line block ×4, first 2 shown]
.LBB124_146:
	s_or_b32 exec_lo, exec_lo, s2
	v_or_b32_e32 v1, 0x100, v0
	s_delay_alu instid0(VALU_DEP_1)
	v_cmp_gt_u32_e32 vcc_lo, s10, v1
	s_and_saveexec_b32 s3, vcc_lo
	s_cbranch_execz .LBB124_148
; %bb.147:
	global_load_u8 v1, v0, s[8:9] offset:256
	s_wait_loadcnt 0x0
	v_cmp_ne_u16_e64 s2, 0, v1
	s_delay_alu instid0(VALU_DEP_1)
	v_cndmask_b32_e64 v3, 0, 1, s2
.LBB124_148:
	s_or_b32 exec_lo, exec_lo, s3
	v_or_b32_e32 v1, 0x200, v0
	s_delay_alu instid0(VALU_DEP_1)
	v_cmp_gt_u32_e64 s2, s10, v1
	s_and_saveexec_b32 s4, s2
	s_cbranch_execz .LBB124_150
; %bb.149:
	global_load_u8 v1, v0, s[8:9] offset:512
	s_wait_loadcnt 0x0
	v_cmp_ne_u16_e64 s3, 0, v1
	s_delay_alu instid0(VALU_DEP_1)
	v_cndmask_b32_e64 v4, 0, 1, s3
.LBB124_150:
	s_or_b32 exec_lo, exec_lo, s4
	v_or_b32_e32 v1, 0x300, v0
	s_delay_alu instid0(VALU_DEP_1)
	v_cmp_gt_u32_e64 s3, s10, v1
	s_and_saveexec_b32 s5, s3
	;; [unrolled: 13-line block ×6, first 2 shown]
	s_cbranch_execz .LBB124_160
; %bb.159:
	global_load_u8 v1, v0, s[8:9] offset:1792
	s_wait_loadcnt 0x0
	v_cmp_ne_u16_e64 s8, 0, v1
	s_delay_alu instid0(VALU_DEP_1)
	v_cndmask_b32_e64 v9, 0, 1, s8
.LBB124_160:
	s_or_b32 exec_lo, exec_lo, s11
	v_dual_cndmask_b32 v1, 0, v3, vcc_lo :: v_dual_cndmask_b32 v3, 0, v4, s2
	v_dual_cndmask_b32 v4, 0, v5, s3 :: v_dual_cndmask_b32 v5, 0, v6, s4
	s_delay_alu instid0(VALU_DEP_2)
	v_dual_cndmask_b32 v6, 0, v7, s5 :: v_dual_add_nc_u32 v1, v1, v2
	v_mbcnt_lo_u32_b32 v2, -1, 0
	v_cndmask_b32_e64 v7, 0, v8, s6
	s_min_u32 s2, s10, 0x100
	s_mov_b32 s3, exec_lo
	v_add3_u32 v1, v1, v3, v4
	v_cmp_ne_u32_e32 vcc_lo, 31, v2
	v_cndmask_b32_e64 v3, 0, v9, s7
	s_delay_alu instid0(VALU_DEP_3) | instskip(SKIP_3) | instid1(VALU_DEP_4)
	v_add3_u32 v1, v1, v5, v6
	v_add_co_ci_u32_e64 v4, null, 0, v2, vcc_lo
	v_cmp_gt_u32_e32 vcc_lo, 30, v2
	v_add_nc_u32_e32 v5, 1, v2
	v_add3_u32 v1, v1, v7, v3
	s_delay_alu instid0(VALU_DEP_4) | instskip(SKIP_3) | instid1(VALU_DEP_1)
	v_lshlrev_b32_e32 v4, 2, v4
	v_cndmask_b32_e64 v6, 0, 2, vcc_lo
	ds_bpermute_b32 v3, v4, v1
	v_and_b32_e32 v4, 0xe0, v0
	v_sub_nc_u32_e64 v4, s2, v4 clamp
	s_delay_alu instid0(VALU_DEP_1) | instskip(SKIP_4) | instid1(VALU_DEP_2)
	v_cmp_lt_u32_e32 vcc_lo, v5, v4
	v_add_lshl_u32 v5, v6, v2, 2
	s_wait_dscnt 0x0
	v_cndmask_b32_e32 v3, 0, v3, vcc_lo
	v_cmp_gt_u32_e32 vcc_lo, 28, v2
	v_add_nc_u32_e32 v1, v1, v3
	v_cndmask_b32_e64 v6, 0, 4, vcc_lo
	ds_bpermute_b32 v3, v5, v1
	v_add_nc_u32_e32 v5, 2, v2
	s_delay_alu instid0(VALU_DEP_1) | instskip(SKIP_4) | instid1(VALU_DEP_2)
	v_cmp_lt_u32_e32 vcc_lo, v5, v4
	v_add_lshl_u32 v5, v6, v2, 2
	s_wait_dscnt 0x0
	v_cndmask_b32_e32 v3, 0, v3, vcc_lo
	v_cmp_gt_u32_e32 vcc_lo, 24, v2
	v_add_nc_u32_e32 v1, v1, v3
	v_cndmask_b32_e64 v6, 0, 8, vcc_lo
	ds_bpermute_b32 v3, v5, v1
	v_add_nc_u32_e32 v5, 4, v2
	s_delay_alu instid0(VALU_DEP_1) | instskip(SKIP_3) | instid1(VALU_DEP_1)
	v_cmp_lt_u32_e32 vcc_lo, v5, v4
	v_add_lshl_u32 v5, v6, v2, 2
	s_wait_dscnt 0x0
	v_dual_cndmask_b32 v3, 0, v3 :: v_dual_add_nc_u32 v6, 8, v2
	v_cmp_lt_u32_e32 vcc_lo, v6, v4
	s_delay_alu instid0(VALU_DEP_2) | instskip(SKIP_3) | instid1(VALU_DEP_1)
	v_dual_add_nc_u32 v1, v1, v3 :: v_dual_lshlrev_b32 v3, 2, v2
	ds_bpermute_b32 v5, v5, v1
	s_wait_dscnt 0x0
	v_dual_cndmask_b32 v5, 0, v5, vcc_lo :: v_dual_bitop2_b32 v6, 64, v3 bitop3:0x54
	v_add_nc_u32_e32 v1, v1, v5
	ds_bpermute_b32 v5, v6, v1
	v_add_nc_u32_e32 v6, 16, v2
	s_delay_alu instid0(VALU_DEP_1) | instskip(SKIP_2) | instid1(VALU_DEP_1)
	v_cmp_lt_u32_e32 vcc_lo, v6, v4
	s_wait_dscnt 0x0
	v_cndmask_b32_e32 v4, 0, v5, vcc_lo
	v_add_nc_u32_e32 v1, v1, v4
	v_cmpx_eq_u32_e32 0, v2
; %bb.161:
	v_lshrrev_b32_e32 v4, 3, v0
	s_delay_alu instid0(VALU_DEP_1)
	v_and_b32_e32 v4, 28, v4
	ds_store_b32 v4, v1 offset:192
; %bb.162:
	s_or_b32 exec_lo, exec_lo, s3
	s_delay_alu instid0(SALU_CYCLE_1)
	s_mov_b32 s3, exec_lo
	s_wait_dscnt 0x0
	s_barrier_signal -1
	s_barrier_wait -1
	v_cmpx_gt_u32_e32 8, v0
	s_cbranch_execz .LBB124_164
; %bb.163:
	ds_load_b32 v1, v3 offset:192
	v_and_b32_e32 v4, 7, v2
	s_add_co_i32 s2, s2, 31
	s_delay_alu instid0(SALU_CYCLE_1) | instskip(NEXT) | instid1(VALU_DEP_1)
	s_lshr_b32 s2, s2, 5
	v_cmp_ne_u32_e32 vcc_lo, 7, v4
	v_add_co_ci_u32_e64 v5, null, 0, v2, vcc_lo
	s_delay_alu instid0(VALU_DEP_1)
	v_lshlrev_b32_e32 v5, 2, v5
	v_cmp_gt_u32_e32 vcc_lo, 6, v4
	s_wait_dscnt 0x0
	ds_bpermute_b32 v5, v5, v1
	v_add_nc_u32_e32 v6, 1, v4
	v_cndmask_b32_e64 v7, 0, 2, vcc_lo
	s_delay_alu instid0(VALU_DEP_2) | instskip(NEXT) | instid1(VALU_DEP_2)
	v_cmp_gt_u32_e32 vcc_lo, s2, v6
	v_add_lshl_u32 v2, v7, v2, 2
	s_wait_dscnt 0x0
	v_cndmask_b32_e32 v5, 0, v5, vcc_lo
	s_delay_alu instid0(VALU_DEP_1) | instskip(SKIP_4) | instid1(VALU_DEP_1)
	v_dual_add_nc_u32 v1, v5, v1 :: v_dual_add_nc_u32 v5, 2, v4
	ds_bpermute_b32 v2, v2, v1
	v_cmp_gt_u32_e32 vcc_lo, s2, v5
	s_wait_dscnt 0x0
	v_cndmask_b32_e32 v2, 0, v2, vcc_lo
	v_dual_add_nc_u32 v1, v1, v2 :: v_dual_bitop2_b32 v2, 16, v3 bitop3:0x54
	v_add_nc_u32_e32 v3, 4, v4
	ds_bpermute_b32 v2, v2, v1
	v_cmp_gt_u32_e32 vcc_lo, s2, v3
	s_wait_dscnt 0x0
	v_cndmask_b32_e32 v2, 0, v2, vcc_lo
	s_delay_alu instid0(VALU_DEP_1)
	v_add_nc_u32_e32 v1, v1, v2
.LBB124_164:
	s_or_b32 exec_lo, exec_lo, s3
.LBB124_165:
	v_cmp_eq_u32_e64 s2, 0, v0
	s_branch .LBB124_224
.LBB124_166:
	s_cmp_gt_i32 s44, 1
	s_cbranch_scc0 .LBB124_175
; %bb.167:
	s_cmp_gt_i32 s44, 3
	s_cbranch_scc0 .LBB124_176
; %bb.168:
	s_cmp_eq_u32 s44, 4
	s_cbranch_scc0 .LBB124_177
; %bb.169:
	s_bfe_u32 s2, ttmp6, 0x4000c
	s_and_b32 s3, ttmp6, 15
	s_add_co_i32 s2, s2, 1
	s_getreg_b32 s4, hwreg(HW_REG_IB_STS2, 6, 4)
	s_mul_i32 s2, ttmp9, s2
	s_mov_b32 s35, 0
	s_add_co_i32 s3, s3, s2
	s_cmp_eq_u32 s4, 0
	s_cselect_b32 s34, ttmp9, s3
	s_lshr_b64 s[4:5], s[36:37], 10
	s_lshl_b32 s2, s34, 10
	s_mov_b32 s3, s35
	s_cmp_lg_u64 s[4:5], s[34:35]
	s_add_nc_u64 s[4:5], s[40:41], s[2:3]
	s_cbranch_scc0 .LBB124_179
; %bb.170:
	s_clause 0x3
	global_load_u8 v1, v0, s[4:5]
	global_load_u8 v2, v0, s[4:5] offset:512
	global_load_u8 v3, v0, s[4:5] offset:256
	;; [unrolled: 1-line block ×3, first 2 shown]
	s_mov_b32 s3, exec_lo
	s_wait_loadcnt 0x3
	v_cmp_ne_u16_e32 vcc_lo, 0, v1
	v_cndmask_b32_e64 v1, 0, 1, vcc_lo
	s_wait_loadcnt 0x2
	v_cmp_ne_u16_e32 vcc_lo, 0, v2
	v_cndmask_b32_e64 v2, 0, 1, vcc_lo
	s_wait_loadcnt 0x1
	v_cmp_ne_u16_e32 vcc_lo, 0, v3
	v_add_co_ci_u32_e64 v1, null, 0, v1, vcc_lo
	s_wait_loadcnt 0x0
	v_cmp_ne_u16_e32 vcc_lo, 0, v4
	s_delay_alu instid0(VALU_DEP_2) | instskip(NEXT) | instid1(VALU_DEP_1)
	v_add_co_ci_u32_e64 v1, null, v1, v2, vcc_lo
	v_mov_b32_dpp v2, v1 quad_perm:[1,0,3,2] row_mask:0xf bank_mask:0xf
	s_delay_alu instid0(VALU_DEP_1) | instskip(NEXT) | instid1(VALU_DEP_1)
	v_add_nc_u32_e32 v1, v1, v2
	v_mov_b32_dpp v2, v1 quad_perm:[2,3,0,1] row_mask:0xf bank_mask:0xf
	s_delay_alu instid0(VALU_DEP_1) | instskip(NEXT) | instid1(VALU_DEP_1)
	v_add_nc_u32_e32 v1, v1, v2
	v_mov_b32_dpp v2, v1 row_ror:4 row_mask:0xf bank_mask:0xf
	s_delay_alu instid0(VALU_DEP_1) | instskip(NEXT) | instid1(VALU_DEP_1)
	v_add_nc_u32_e32 v1, v1, v2
	v_mov_b32_dpp v2, v1 row_ror:8 row_mask:0xf bank_mask:0xf
	s_delay_alu instid0(VALU_DEP_1)
	v_add_nc_u32_e32 v1, v1, v2
	ds_swizzle_b32 v2, v1 offset:swizzle(BROADCAST,32,15)
	s_wait_dscnt 0x0
	v_dual_mov_b32 v2, 0 :: v_dual_add_nc_u32 v1, v1, v2
	ds_bpermute_b32 v1, v2, v1 offset:124
	v_mbcnt_lo_u32_b32 v2, -1, 0
	s_delay_alu instid0(VALU_DEP_1)
	v_cmpx_eq_u32_e32 0, v2
	s_cbranch_execz .LBB124_172
; %bb.171:
	v_lshrrev_b32_e32 v3, 3, v0
	s_delay_alu instid0(VALU_DEP_1)
	v_and_b32_e32 v3, 28, v3
	s_wait_dscnt 0x0
	ds_store_b32 v3, v1 offset:128
.LBB124_172:
	s_or_b32 exec_lo, exec_lo, s3
	s_delay_alu instid0(SALU_CYCLE_1)
	s_mov_b32 s3, exec_lo
	s_wait_dscnt 0x0
	s_barrier_signal -1
	s_barrier_wait -1
	v_cmpx_gt_u32_e32 32, v0
	s_cbranch_execz .LBB124_174
; %bb.173:
	v_and_b32_e32 v1, 7, v2
	s_delay_alu instid0(VALU_DEP_1) | instskip(SKIP_1) | instid1(VALU_DEP_1)
	v_cmp_ne_u32_e32 vcc_lo, 7, v1
	v_add_co_ci_u32_e64 v4, null, 0, v2, vcc_lo
	v_lshlrev_b32_e32 v4, 2, v4
	v_cmp_gt_u32_e32 vcc_lo, 6, v1
	v_lshlrev_b32_e32 v3, 2, v1
	v_cndmask_b32_e64 v1, 0, 2, vcc_lo
	s_delay_alu instid0(VALU_DEP_1)
	v_add_lshl_u32 v1, v1, v2, 2
	v_lshlrev_b32_e32 v2, 2, v2
	ds_load_b32 v3, v3 offset:128
	v_or_b32_e32 v2, 16, v2
	s_wait_dscnt 0x0
	ds_bpermute_b32 v4, v4, v3
	s_wait_dscnt 0x0
	v_add_nc_u32_e32 v3, v4, v3
	ds_bpermute_b32 v1, v1, v3
	s_wait_dscnt 0x0
	v_add_nc_u32_e32 v1, v1, v3
	;; [unrolled: 3-line block ×3, first 2 shown]
.LBB124_174:
	s_or_b32 exec_lo, exec_lo, s3
	s_mov_b32 s3, 0
	s_branch .LBB124_180
.LBB124_175:
                                        ; implicit-def: $vgpr1
                                        ; implicit-def: $sgpr34_sgpr35
	s_cbranch_execnz .LBB124_215
	s_branch .LBB124_224
.LBB124_176:
                                        ; implicit-def: $vgpr1
                                        ; implicit-def: $sgpr34_sgpr35
	s_cbranch_execz .LBB124_178
	s_branch .LBB124_195
.LBB124_177:
                                        ; implicit-def: $vgpr1
                                        ; implicit-def: $sgpr34_sgpr35
.LBB124_178:
	s_branch .LBB124_224
.LBB124_179:
	s_mov_b32 s3, -1
                                        ; implicit-def: $vgpr1
.LBB124_180:
	s_delay_alu instid0(SALU_CYCLE_1)
	s_and_b32 vcc_lo, exec_lo, s3
	s_cbranch_vccz .LBB124_194
; %bb.181:
	v_mov_b32_e32 v2, 0
	s_sub_co_i32 s6, s36, s2
	s_mov_b32 s2, exec_lo
	s_delay_alu instid0(VALU_DEP_1)
	v_dual_mov_b32 v3, v2 :: v_dual_mov_b32 v4, v2
	v_mov_b32_e32 v5, v2
	v_cmpx_gt_u32_e64 s6, v0
	s_cbranch_execz .LBB124_183
; %bb.182:
	global_load_u8 v1, v0, s[4:5]
	v_dual_mov_b32 v5, v2 :: v_dual_mov_b32 v6, v2
	v_mov_b32_e32 v7, v2
	s_wait_loadcnt 0x0
	v_cmp_ne_u16_e32 vcc_lo, 0, v1
	v_cndmask_b32_e64 v1, 0, 1, vcc_lo
	s_delay_alu instid0(VALU_DEP_1) | instskip(NEXT) | instid1(VALU_DEP_1)
	v_and_b32_e32 v4, 0xffff, v1
	v_mov_b64_e32 v[2:3], v[4:5]
	v_mov_b64_e32 v[4:5], v[6:7]
.LBB124_183:
	s_or_b32 exec_lo, exec_lo, s2
	v_or_b32_e32 v1, 0x100, v0
	s_delay_alu instid0(VALU_DEP_1)
	v_cmp_gt_u32_e32 vcc_lo, s6, v1
	s_and_saveexec_b32 s3, vcc_lo
	s_cbranch_execz .LBB124_185
; %bb.184:
	global_load_u8 v1, v0, s[4:5] offset:256
	s_wait_loadcnt 0x0
	v_cmp_ne_u16_e64 s2, 0, v1
	s_delay_alu instid0(VALU_DEP_1)
	v_cndmask_b32_e64 v3, 0, 1, s2
.LBB124_185:
	s_or_b32 exec_lo, exec_lo, s3
	v_or_b32_e32 v1, 0x200, v0
	s_delay_alu instid0(VALU_DEP_1)
	v_cmp_gt_u32_e64 s2, s6, v1
	s_and_saveexec_b32 s7, s2
	s_cbranch_execz .LBB124_187
; %bb.186:
	global_load_u8 v1, v0, s[4:5] offset:512
	s_wait_loadcnt 0x0
	v_cmp_ne_u16_e64 s3, 0, v1
	s_delay_alu instid0(VALU_DEP_1)
	v_cndmask_b32_e64 v4, 0, 1, s3
.LBB124_187:
	s_or_b32 exec_lo, exec_lo, s7
	v_or_b32_e32 v1, 0x300, v0
	s_delay_alu instid0(VALU_DEP_1)
	v_cmp_gt_u32_e64 s3, s6, v1
	s_and_saveexec_b32 s7, s3
	s_cbranch_execz .LBB124_189
; %bb.188:
	global_load_u8 v1, v0, s[4:5] offset:768
	s_wait_loadcnt 0x0
	v_cmp_ne_u16_e64 s4, 0, v1
	s_delay_alu instid0(VALU_DEP_1)
	v_cndmask_b32_e64 v5, 0, 1, s4
.LBB124_189:
	s_or_b32 exec_lo, exec_lo, s7
	v_dual_cndmask_b32 v1, 0, v3, vcc_lo :: v_dual_cndmask_b32 v4, 0, v4, s2
	v_mbcnt_lo_u32_b32 v3, -1, 0
	s_delay_alu instid0(VALU_DEP_3) | instskip(SKIP_1) | instid1(VALU_DEP_3)
	v_cndmask_b32_e64 v5, 0, v5, s3
	s_min_u32 s2, s6, 0x100
	v_add_nc_u32_e32 v1, v1, v2
	s_mov_b32 s3, exec_lo
	v_cmp_ne_u32_e32 vcc_lo, 31, v3
	s_delay_alu instid0(VALU_DEP_2) | instskip(SKIP_4) | instid1(VALU_DEP_4)
	v_add3_u32 v1, v1, v4, v5
	v_and_b32_e32 v4, 0xe0, v0
	v_add_co_ci_u32_e64 v2, null, 0, v3, vcc_lo
	v_cmp_gt_u32_e32 vcc_lo, 30, v3
	v_add_nc_u32_e32 v5, 1, v3
	v_sub_nc_u32_e64 v4, s2, v4 clamp
	s_delay_alu instid0(VALU_DEP_4) | instskip(SKIP_1) | instid1(VALU_DEP_3)
	v_lshlrev_b32_e32 v2, 2, v2
	v_cndmask_b32_e64 v6, 0, 2, vcc_lo
	v_cmp_lt_u32_e32 vcc_lo, v5, v4
	ds_bpermute_b32 v2, v2, v1
	v_add_lshl_u32 v5, v6, v3, 2
	s_wait_dscnt 0x0
	v_cndmask_b32_e32 v2, 0, v2, vcc_lo
	v_cmp_gt_u32_e32 vcc_lo, 28, v3
	s_delay_alu instid0(VALU_DEP_2) | instskip(SKIP_3) | instid1(VALU_DEP_1)
	v_add_nc_u32_e32 v1, v2, v1
	v_cndmask_b32_e64 v6, 0, 4, vcc_lo
	ds_bpermute_b32 v2, v5, v1
	v_add_nc_u32_e32 v5, 2, v3
	v_cmp_lt_u32_e32 vcc_lo, v5, v4
	v_add_lshl_u32 v5, v6, v3, 2
	s_wait_dscnt 0x0
	v_cndmask_b32_e32 v2, 0, v2, vcc_lo
	v_cmp_gt_u32_e32 vcc_lo, 24, v3
	s_delay_alu instid0(VALU_DEP_2) | instskip(SKIP_3) | instid1(VALU_DEP_1)
	v_add_nc_u32_e32 v1, v1, v2
	v_cndmask_b32_e64 v6, 0, 8, vcc_lo
	ds_bpermute_b32 v2, v5, v1
	v_add_nc_u32_e32 v5, 4, v3
	v_cmp_lt_u32_e32 vcc_lo, v5, v4
	v_add_lshl_u32 v5, v6, v3, 2
	s_wait_dscnt 0x0
	v_dual_add_nc_u32 v6, 8, v3 :: v_dual_cndmask_b32 v2, 0, v2, vcc_lo
	s_delay_alu instid0(VALU_DEP_1) | instskip(NEXT) | instid1(VALU_DEP_2)
	v_cmp_lt_u32_e32 vcc_lo, v6, v4
	v_dual_add_nc_u32 v1, v1, v2 :: v_dual_lshlrev_b32 v2, 2, v3
	ds_bpermute_b32 v5, v5, v1
	s_wait_dscnt 0x0
	v_dual_cndmask_b32 v5, 0, v5, vcc_lo :: v_dual_bitop2_b32 v6, 64, v2 bitop3:0x54
	s_delay_alu instid0(VALU_DEP_1) | instskip(SKIP_2) | instid1(VALU_DEP_1)
	v_add_nc_u32_e32 v1, v1, v5
	ds_bpermute_b32 v5, v6, v1
	v_add_nc_u32_e32 v6, 16, v3
	v_cmp_lt_u32_e32 vcc_lo, v6, v4
	s_wait_dscnt 0x0
	v_cndmask_b32_e32 v4, 0, v5, vcc_lo
	s_delay_alu instid0(VALU_DEP_1)
	v_add_nc_u32_e32 v1, v1, v4
	v_cmpx_eq_u32_e32 0, v3
; %bb.190:
	v_lshrrev_b32_e32 v4, 3, v0
	s_delay_alu instid0(VALU_DEP_1)
	v_and_b32_e32 v4, 28, v4
	ds_store_b32 v4, v1 offset:192
; %bb.191:
	s_or_b32 exec_lo, exec_lo, s3
	s_delay_alu instid0(SALU_CYCLE_1)
	s_mov_b32 s3, exec_lo
	s_wait_dscnt 0x0
	s_barrier_signal -1
	s_barrier_wait -1
	v_cmpx_gt_u32_e32 8, v0
	s_cbranch_execz .LBB124_193
; %bb.192:
	ds_load_b32 v1, v2 offset:192
	v_and_b32_e32 v4, 7, v3
	s_add_co_i32 s2, s2, 31
	v_or_b32_e32 v2, 16, v2
	s_lshr_b32 s2, s2, 5
	s_delay_alu instid0(VALU_DEP_2) | instskip(SKIP_1) | instid1(VALU_DEP_1)
	v_cmp_ne_u32_e32 vcc_lo, 7, v4
	v_add_co_ci_u32_e64 v5, null, 0, v3, vcc_lo
	v_lshlrev_b32_e32 v5, 2, v5
	v_cmp_gt_u32_e32 vcc_lo, 6, v4
	s_wait_dscnt 0x0
	ds_bpermute_b32 v5, v5, v1
	v_add_nc_u32_e32 v6, 1, v4
	v_cndmask_b32_e64 v7, 0, 2, vcc_lo
	s_delay_alu instid0(VALU_DEP_2) | instskip(NEXT) | instid1(VALU_DEP_2)
	v_cmp_gt_u32_e32 vcc_lo, s2, v6
	v_add_lshl_u32 v3, v7, v3, 2
	s_wait_dscnt 0x0
	v_cndmask_b32_e32 v5, 0, v5, vcc_lo
	s_delay_alu instid0(VALU_DEP_1) | instskip(SKIP_4) | instid1(VALU_DEP_1)
	v_dual_add_nc_u32 v1, v5, v1 :: v_dual_add_nc_u32 v5, 2, v4
	ds_bpermute_b32 v3, v3, v1
	v_cmp_gt_u32_e32 vcc_lo, s2, v5
	s_wait_dscnt 0x0
	v_cndmask_b32_e32 v3, 0, v3, vcc_lo
	v_dual_add_nc_u32 v1, v1, v3 :: v_dual_add_nc_u32 v3, 4, v4
	ds_bpermute_b32 v2, v2, v1
	v_cmp_gt_u32_e32 vcc_lo, s2, v3
	s_wait_dscnt 0x0
	v_cndmask_b32_e32 v2, 0, v2, vcc_lo
	s_delay_alu instid0(VALU_DEP_1)
	v_add_nc_u32_e32 v1, v1, v2
.LBB124_193:
	s_or_b32 exec_lo, exec_lo, s3
.LBB124_194:
	v_cmp_eq_u32_e64 s2, 0, v0
	s_branch .LBB124_178
.LBB124_195:
	s_cmp_eq_u32 s44, 2
	s_cbranch_scc0 .LBB124_202
; %bb.196:
	s_bfe_u32 s2, ttmp6, 0x4000c
	s_and_b32 s3, ttmp6, 15
	s_add_co_i32 s2, s2, 1
	s_getreg_b32 s4, hwreg(HW_REG_IB_STS2, 6, 4)
	s_mul_i32 s2, ttmp9, s2
	s_mov_b32 s35, 0
	s_add_co_i32 s3, s3, s2
	s_cmp_eq_u32 s4, 0
	s_mov_b32 s5, s35
	s_cselect_b32 s34, ttmp9, s3
	s_lshr_b64 s[2:3], s[36:37], 9
	s_lshl_b32 s4, s34, 9
	s_cmp_lg_u64 s[2:3], s[34:35]
	s_add_nc_u64 s[2:3], s[40:41], s[4:5]
	s_cbranch_scc0 .LBB124_203
; %bb.197:
	s_clause 0x1
	global_load_u8 v1, v0, s[2:3]
	global_load_u8 v2, v0, s[2:3] offset:256
	s_mov_b32 s5, exec_lo
	s_wait_loadcnt 0x1
	v_cmp_ne_u16_e32 vcc_lo, 0, v1
	v_cndmask_b32_e64 v1, 0, 1, vcc_lo
	s_wait_loadcnt 0x0
	v_cmp_ne_u16_e32 vcc_lo, 0, v2
	s_delay_alu instid0(VALU_DEP_2) | instskip(NEXT) | instid1(VALU_DEP_1)
	v_add_co_ci_u32_e64 v2, null, 0, v1, vcc_lo
	v_mov_b32_dpp v2, v2 quad_perm:[1,0,3,2] row_mask:0xf bank_mask:0xf
	s_delay_alu instid0(VALU_DEP_1) | instskip(NEXT) | instid1(VALU_DEP_1)
	v_add_co_ci_u32_e64 v1, null, v2, v1, vcc_lo
	v_mov_b32_dpp v2, v1 quad_perm:[2,3,0,1] row_mask:0xf bank_mask:0xf
	s_delay_alu instid0(VALU_DEP_1) | instskip(NEXT) | instid1(VALU_DEP_1)
	v_add_nc_u32_e32 v1, v1, v2
	v_mov_b32_dpp v2, v1 row_ror:4 row_mask:0xf bank_mask:0xf
	s_delay_alu instid0(VALU_DEP_1) | instskip(NEXT) | instid1(VALU_DEP_1)
	v_add_nc_u32_e32 v1, v1, v2
	v_mov_b32_dpp v2, v1 row_ror:8 row_mask:0xf bank_mask:0xf
	s_delay_alu instid0(VALU_DEP_1)
	v_add_nc_u32_e32 v1, v1, v2
	ds_swizzle_b32 v2, v1 offset:swizzle(BROADCAST,32,15)
	s_wait_dscnt 0x0
	v_dual_mov_b32 v2, 0 :: v_dual_add_nc_u32 v1, v1, v2
	ds_bpermute_b32 v1, v2, v1 offset:124
	v_mbcnt_lo_u32_b32 v2, -1, 0
	s_delay_alu instid0(VALU_DEP_1)
	v_cmpx_eq_u32_e32 0, v2
	s_cbranch_execz .LBB124_199
; %bb.198:
	v_lshrrev_b32_e32 v3, 3, v0
	s_delay_alu instid0(VALU_DEP_1)
	v_and_b32_e32 v3, 28, v3
	s_wait_dscnt 0x0
	ds_store_b32 v3, v1 offset:64
.LBB124_199:
	s_or_b32 exec_lo, exec_lo, s5
	s_delay_alu instid0(SALU_CYCLE_1)
	s_mov_b32 s5, exec_lo
	s_wait_dscnt 0x0
	s_barrier_signal -1
	s_barrier_wait -1
	v_cmpx_gt_u32_e32 32, v0
	s_cbranch_execz .LBB124_201
; %bb.200:
	v_and_b32_e32 v1, 7, v2
	s_delay_alu instid0(VALU_DEP_1) | instskip(SKIP_1) | instid1(VALU_DEP_1)
	v_cmp_ne_u32_e32 vcc_lo, 7, v1
	v_add_co_ci_u32_e64 v4, null, 0, v2, vcc_lo
	v_lshlrev_b32_e32 v4, 2, v4
	v_cmp_gt_u32_e32 vcc_lo, 6, v1
	v_lshlrev_b32_e32 v3, 2, v1
	v_cndmask_b32_e64 v1, 0, 2, vcc_lo
	s_delay_alu instid0(VALU_DEP_1)
	v_add_lshl_u32 v1, v1, v2, 2
	v_lshlrev_b32_e32 v2, 2, v2
	ds_load_b32 v3, v3 offset:64
	v_or_b32_e32 v2, 16, v2
	s_wait_dscnt 0x0
	ds_bpermute_b32 v4, v4, v3
	s_wait_dscnt 0x0
	v_add_nc_u32_e32 v3, v4, v3
	ds_bpermute_b32 v1, v1, v3
	s_wait_dscnt 0x0
	v_add_nc_u32_e32 v1, v1, v3
	;; [unrolled: 3-line block ×3, first 2 shown]
.LBB124_201:
	s_or_b32 exec_lo, exec_lo, s5
	s_mov_b32 s5, 0
	s_branch .LBB124_204
.LBB124_202:
                                        ; implicit-def: $vgpr1
                                        ; implicit-def: $sgpr34_sgpr35
	s_branch .LBB124_224
.LBB124_203:
	s_mov_b32 s5, -1
                                        ; implicit-def: $vgpr1
.LBB124_204:
	s_delay_alu instid0(SALU_CYCLE_1)
	s_and_b32 vcc_lo, exec_lo, s5
	s_cbranch_vccz .LBB124_214
; %bb.205:
	v_mov_b64_e32 v[2:3], 0
	s_sub_co_i32 s4, s36, s4
	s_mov_b32 s5, exec_lo
	v_cmpx_gt_u32_e64 s4, v0
	s_cbranch_execz .LBB124_207
; %bb.206:
	global_load_u8 v1, v0, s[2:3]
	v_mov_b32_e32 v3, 0
	s_wait_loadcnt 0x0
	v_cmp_ne_u16_e32 vcc_lo, 0, v1
	v_cndmask_b32_e64 v1, 0, 1, vcc_lo
	s_delay_alu instid0(VALU_DEP_1)
	v_and_b32_e32 v2, 0xffff, v1
.LBB124_207:
	s_or_b32 exec_lo, exec_lo, s5
	v_or_b32_e32 v1, 0x100, v0
	s_delay_alu instid0(VALU_DEP_1)
	v_cmp_gt_u32_e32 vcc_lo, s4, v1
	s_and_saveexec_b32 s5, vcc_lo
	s_cbranch_execz .LBB124_209
; %bb.208:
	global_load_u8 v1, v0, s[2:3] offset:256
	s_wait_loadcnt 0x0
	v_cmp_ne_u16_e64 s2, 0, v1
	s_delay_alu instid0(VALU_DEP_1)
	v_cndmask_b32_e64 v3, 0, 1, s2
.LBB124_209:
	s_or_b32 exec_lo, exec_lo, s5
	v_mbcnt_lo_u32_b32 v4, -1, 0
	s_delay_alu instid0(VALU_DEP_2) | instskip(SKIP_2) | instid1(VALU_DEP_2)
	v_cndmask_b32_e32 v1, 0, v3, vcc_lo
	s_min_u32 s2, s4, 0x100
	s_mov_b32 s3, exec_lo
	v_cmp_ne_u32_e32 vcc_lo, 31, v4
	s_delay_alu instid0(VALU_DEP_2) | instskip(SKIP_2) | instid1(VALU_DEP_2)
	v_dual_add_nc_u32 v1, v1, v2 :: v_dual_add_nc_u32 v5, 1, v4
	v_add_co_ci_u32_e64 v3, null, 0, v4, vcc_lo
	v_cmp_gt_u32_e32 vcc_lo, 30, v4
	v_lshlrev_b32_e32 v2, 2, v3
	v_and_b32_e32 v3, 0xe0, v0
	v_cndmask_b32_e64 v6, 0, 2, vcc_lo
	ds_bpermute_b32 v2, v2, v1
	v_sub_nc_u32_e64 v3, s2, v3 clamp
	s_delay_alu instid0(VALU_DEP_1) | instskip(SKIP_4) | instid1(VALU_DEP_2)
	v_cmp_lt_u32_e32 vcc_lo, v5, v3
	v_add_lshl_u32 v5, v6, v4, 2
	s_wait_dscnt 0x0
	v_cndmask_b32_e32 v2, 0, v2, vcc_lo
	v_cmp_gt_u32_e32 vcc_lo, 28, v4
	v_add_nc_u32_e32 v1, v2, v1
	v_cndmask_b32_e64 v6, 0, 4, vcc_lo
	ds_bpermute_b32 v2, v5, v1
	v_add_nc_u32_e32 v5, 2, v4
	s_delay_alu instid0(VALU_DEP_1) | instskip(SKIP_4) | instid1(VALU_DEP_2)
	v_cmp_lt_u32_e32 vcc_lo, v5, v3
	v_add_lshl_u32 v5, v6, v4, 2
	s_wait_dscnt 0x0
	v_cndmask_b32_e32 v2, 0, v2, vcc_lo
	v_cmp_gt_u32_e32 vcc_lo, 24, v4
	v_add_nc_u32_e32 v1, v1, v2
	v_cndmask_b32_e64 v6, 0, 8, vcc_lo
	ds_bpermute_b32 v2, v5, v1
	v_add_nc_u32_e32 v5, 4, v4
	s_delay_alu instid0(VALU_DEP_1) | instskip(SKIP_3) | instid1(VALU_DEP_1)
	v_cmp_lt_u32_e32 vcc_lo, v5, v3
	v_add_lshl_u32 v5, v6, v4, 2
	s_wait_dscnt 0x0
	v_dual_add_nc_u32 v6, 8, v4 :: v_dual_cndmask_b32 v2, 0, v2, vcc_lo
	v_cmp_lt_u32_e32 vcc_lo, v6, v3
	s_delay_alu instid0(VALU_DEP_2) | instskip(SKIP_3) | instid1(VALU_DEP_1)
	v_dual_add_nc_u32 v1, v1, v2 :: v_dual_lshlrev_b32 v2, 2, v4
	ds_bpermute_b32 v5, v5, v1
	s_wait_dscnt 0x0
	v_dual_cndmask_b32 v5, 0, v5, vcc_lo :: v_dual_bitop2_b32 v6, 64, v2 bitop3:0x54
	v_add_nc_u32_e32 v1, v1, v5
	ds_bpermute_b32 v5, v6, v1
	v_add_nc_u32_e32 v6, 16, v4
	s_delay_alu instid0(VALU_DEP_1) | instskip(SKIP_2) | instid1(VALU_DEP_1)
	v_cmp_lt_u32_e32 vcc_lo, v6, v3
	s_wait_dscnt 0x0
	v_cndmask_b32_e32 v3, 0, v5, vcc_lo
	v_add_nc_u32_e32 v1, v1, v3
	v_cmpx_eq_u32_e32 0, v4
; %bb.210:
	v_lshrrev_b32_e32 v3, 3, v0
	s_delay_alu instid0(VALU_DEP_1)
	v_and_b32_e32 v3, 28, v3
	ds_store_b32 v3, v1 offset:192
; %bb.211:
	s_or_b32 exec_lo, exec_lo, s3
	s_delay_alu instid0(SALU_CYCLE_1)
	s_mov_b32 s3, exec_lo
	s_wait_dscnt 0x0
	s_barrier_signal -1
	s_barrier_wait -1
	v_cmpx_gt_u32_e32 8, v0
	s_cbranch_execz .LBB124_213
; %bb.212:
	ds_load_b32 v1, v2 offset:192
	v_and_b32_e32 v3, 7, v4
	s_add_co_i32 s2, s2, 31
	v_or_b32_e32 v2, 16, v2
	s_lshr_b32 s2, s2, 5
	s_delay_alu instid0(VALU_DEP_2) | instskip(SKIP_1) | instid1(VALU_DEP_1)
	v_cmp_ne_u32_e32 vcc_lo, 7, v3
	v_add_co_ci_u32_e64 v5, null, 0, v4, vcc_lo
	v_lshlrev_b32_e32 v5, 2, v5
	v_cmp_gt_u32_e32 vcc_lo, 6, v3
	s_wait_dscnt 0x0
	ds_bpermute_b32 v5, v5, v1
	v_add_nc_u32_e32 v6, 1, v3
	v_cndmask_b32_e64 v7, 0, 2, vcc_lo
	s_delay_alu instid0(VALU_DEP_2) | instskip(NEXT) | instid1(VALU_DEP_2)
	v_cmp_gt_u32_e32 vcc_lo, s2, v6
	v_add_lshl_u32 v4, v7, v4, 2
	s_wait_dscnt 0x0
	v_cndmask_b32_e32 v5, 0, v5, vcc_lo
	s_delay_alu instid0(VALU_DEP_1)
	v_dual_add_nc_u32 v1, v5, v1 :: v_dual_add_nc_u32 v5, 2, v3
	v_add_nc_u32_e32 v3, 4, v3
	ds_bpermute_b32 v4, v4, v1
	v_cmp_gt_u32_e32 vcc_lo, s2, v5
	s_wait_dscnt 0x0
	v_cndmask_b32_e32 v4, 0, v4, vcc_lo
	v_cmp_gt_u32_e32 vcc_lo, s2, v3
	s_delay_alu instid0(VALU_DEP_2) | instskip(SKIP_3) | instid1(VALU_DEP_1)
	v_add_nc_u32_e32 v1, v1, v4
	ds_bpermute_b32 v2, v2, v1
	s_wait_dscnt 0x0
	v_cndmask_b32_e32 v2, 0, v2, vcc_lo
	v_add_nc_u32_e32 v1, v1, v2
.LBB124_213:
	s_or_b32 exec_lo, exec_lo, s3
.LBB124_214:
	v_cmp_eq_u32_e64 s2, 0, v0
	s_branch .LBB124_224
.LBB124_215:
	s_cmp_eq_u32 s44, 1
	s_cbranch_scc0 .LBB124_223
; %bb.216:
	s_bfe_u32 s2, ttmp6, 0x4000c
	s_and_b32 s4, ttmp6, 15
	s_add_co_i32 s2, s2, 1
	s_getreg_b32 s5, hwreg(HW_REG_IB_STS2, 6, 4)
	s_mul_i32 s2, ttmp9, s2
	s_mov_b32 s3, 0
	s_add_co_i32 s4, s4, s2
	s_cmp_eq_u32 s5, 0
	v_mbcnt_lo_u32_b32 v2, -1, 0
	s_cselect_b32 s34, ttmp9, s4
	s_mov_b32 s35, s3
	s_lshr_b64 s[4:5], s[36:37], 8
	s_lshl_b32 s2, s34, 8
	s_cmp_lg_u64 s[4:5], s[34:35]
	s_cbranch_scc0 .LBB124_227
; %bb.217:
	s_add_nc_u64 s[4:5], s[40:41], s[2:3]
	global_load_u8 v1, v0, s[4:5]
	s_wait_xcnt 0x0
	s_mov_b32 s4, exec_lo
	s_wait_loadcnt 0x0
	v_cmp_ne_u16_e32 vcc_lo, 0, v1
	v_cndmask_b32_e64 v1, 0, 1, vcc_lo
	s_delay_alu instid0(VALU_DEP_1) | instskip(NEXT) | instid1(VALU_DEP_1)
	v_mov_b32_dpp v1, v1 quad_perm:[1,0,3,2] row_mask:0xf bank_mask:0xf
	v_add_co_ci_u32_e64 v3, null, 0, v1, vcc_lo
	s_delay_alu instid0(VALU_DEP_1) | instskip(NEXT) | instid1(VALU_DEP_1)
	v_mov_b32_dpp v3, v3 quad_perm:[2,3,0,1] row_mask:0xf bank_mask:0xf
	v_add_co_ci_u32_e64 v1, null, v3, v1, vcc_lo
	s_delay_alu instid0(VALU_DEP_1) | instskip(NEXT) | instid1(VALU_DEP_1)
	v_mov_b32_dpp v3, v1 row_ror:4 row_mask:0xf bank_mask:0xf
	v_add_nc_u32_e32 v1, v1, v3
	s_delay_alu instid0(VALU_DEP_1) | instskip(NEXT) | instid1(VALU_DEP_1)
	v_mov_b32_dpp v3, v1 row_ror:8 row_mask:0xf bank_mask:0xf
	v_add_nc_u32_e32 v1, v1, v3
	ds_swizzle_b32 v3, v1 offset:swizzle(BROADCAST,32,15)
	s_wait_dscnt 0x0
	v_dual_add_nc_u32 v1, v1, v3 :: v_dual_mov_b32 v3, 0
	ds_bpermute_b32 v1, v3, v1 offset:124
	v_cmpx_eq_u32_e32 0, v2
	s_cbranch_execz .LBB124_219
; %bb.218:
	v_lshrrev_b32_e32 v3, 3, v0
	s_delay_alu instid0(VALU_DEP_1)
	v_and_b32_e32 v3, 28, v3
	s_wait_dscnt 0x0
	ds_store_b32 v3, v1 offset:32
.LBB124_219:
	s_or_b32 exec_lo, exec_lo, s4
	s_delay_alu instid0(SALU_CYCLE_1)
	s_mov_b32 s4, exec_lo
	s_wait_dscnt 0x0
	s_barrier_signal -1
	s_barrier_wait -1
	v_cmpx_gt_u32_e32 32, v0
	s_cbranch_execz .LBB124_221
; %bb.220:
	v_and_b32_e32 v1, 7, v2
	s_delay_alu instid0(VALU_DEP_1) | instskip(SKIP_1) | instid1(VALU_DEP_1)
	v_cmp_ne_u32_e32 vcc_lo, 7, v1
	v_add_co_ci_u32_e64 v4, null, 0, v2, vcc_lo
	v_dual_lshlrev_b32 v4, 2, v4 :: v_dual_lshlrev_b32 v3, 2, v1
	v_cmp_gt_u32_e32 vcc_lo, 6, v1
	ds_load_b32 v3, v3 offset:32
	v_cndmask_b32_e64 v1, 0, 2, vcc_lo
	s_delay_alu instid0(VALU_DEP_1)
	v_add_lshl_u32 v1, v1, v2, 2
	s_wait_dscnt 0x0
	ds_bpermute_b32 v4, v4, v3
	s_wait_dscnt 0x0
	v_dual_add_nc_u32 v3, v4, v3 :: v_dual_lshlrev_b32 v4, 2, v2
	ds_bpermute_b32 v1, v1, v3
	s_wait_dscnt 0x0
	v_dual_add_nc_u32 v1, v1, v3 :: v_dual_bitop2_b32 v3, 16, v4 bitop3:0x54
	ds_bpermute_b32 v3, v3, v1
	s_wait_dscnt 0x0
	v_add_nc_u32_e32 v1, v3, v1
.LBB124_221:
	s_or_b32 exec_lo, exec_lo, s4
.LBB124_222:
	v_cmp_eq_u32_e64 s2, 0, v0
	s_and_saveexec_b32 s3, s2
	s_cbranch_execnz .LBB124_225
	s_branch .LBB124_226
.LBB124_223:
                                        ; implicit-def: $vgpr1
                                        ; implicit-def: $sgpr34_sgpr35
.LBB124_224:
	s_delay_alu instid0(VALU_DEP_1)
	s_and_saveexec_b32 s3, s2
	s_cbranch_execz .LBB124_226
.LBB124_225:
	s_load_b32 s2, s[0:1], 0x28
	s_wait_xcnt 0x0
	s_lshl_b64 s[0:1], s[34:35], 2
	s_cmp_lg_u64 s[36:37], 0
	s_add_nc_u64 s[0:1], s[38:39], s[0:1]
	s_cselect_b32 vcc_lo, -1, 0
	v_dual_cndmask_b32 v0, 0, v1 :: v_dual_mov_b32 v1, 0
	s_wait_kmcnt 0x0
	s_delay_alu instid0(VALU_DEP_1)
	v_add_nc_u32_e32 v0, s2, v0
	global_store_b32 v1, v0, s[0:1]
.LBB124_226:
	s_endpgm
.LBB124_227:
                                        ; implicit-def: $vgpr1
	s_cbranch_execz .LBB124_222
; %bb.228:
	s_sub_co_i32 s4, s36, s2
	s_mov_b32 s5, exec_lo
                                        ; implicit-def: $vgpr1
	v_cmpx_gt_u32_e64 s4, v0
	s_cbranch_execz .LBB124_230
; %bb.229:
	s_add_nc_u64 s[2:3], s[40:41], s[2:3]
	global_load_u8 v1, v0, s[2:3]
	s_wait_loadcnt 0x0
	v_cmp_ne_u16_e32 vcc_lo, 0, v1
	v_cndmask_b32_e64 v1, 0, 1, vcc_lo
.LBB124_230:
	s_or_b32 exec_lo, exec_lo, s5
	v_cmp_ne_u32_e32 vcc_lo, 31, v2
	v_and_b32_e32 v4, 0xe0, v0
	s_min_u32 s2, s4, 0x100
	s_mov_b32 s3, exec_lo
	v_add_nc_u32_e32 v5, 1, v2
	v_add_co_ci_u32_e64 v3, null, 0, v2, vcc_lo
	v_sub_nc_u32_e64 v4, s2, v4 clamp
	v_cmp_gt_u32_e32 vcc_lo, 30, v2
	s_delay_alu instid0(VALU_DEP_3) | instskip(SKIP_1) | instid1(VALU_DEP_4)
	v_lshlrev_b32_e32 v3, 2, v3
	v_cndmask_b32_e64 v6, 0, 2, vcc_lo
	v_cmp_lt_u32_e32 vcc_lo, v5, v4
	ds_bpermute_b32 v3, v3, v1
	v_add_lshl_u32 v5, v6, v2, 2
	s_wait_dscnt 0x0
	v_cndmask_b32_e32 v3, 0, v3, vcc_lo
	v_cmp_gt_u32_e32 vcc_lo, 28, v2
	s_delay_alu instid0(VALU_DEP_2) | instskip(SKIP_3) | instid1(VALU_DEP_1)
	v_add_nc_u32_e32 v1, v3, v1
	v_cndmask_b32_e64 v6, 0, 4, vcc_lo
	ds_bpermute_b32 v3, v5, v1
	v_add_nc_u32_e32 v5, 2, v2
	v_cmp_lt_u32_e32 vcc_lo, v5, v4
	v_add_lshl_u32 v5, v6, v2, 2
	s_wait_dscnt 0x0
	v_cndmask_b32_e32 v3, 0, v3, vcc_lo
	v_cmp_gt_u32_e32 vcc_lo, 24, v2
	s_delay_alu instid0(VALU_DEP_2) | instskip(SKIP_3) | instid1(VALU_DEP_1)
	v_add_nc_u32_e32 v1, v1, v3
	v_cndmask_b32_e64 v6, 0, 8, vcc_lo
	ds_bpermute_b32 v3, v5, v1
	v_add_nc_u32_e32 v5, 4, v2
	v_cmp_lt_u32_e32 vcc_lo, v5, v4
	v_add_lshl_u32 v5, v6, v2, 2
	s_wait_dscnt 0x0
	v_dual_cndmask_b32 v3, 0, v3 :: v_dual_add_nc_u32 v6, 8, v2
	s_delay_alu instid0(VALU_DEP_1) | instskip(NEXT) | instid1(VALU_DEP_2)
	v_cmp_lt_u32_e32 vcc_lo, v6, v4
	v_dual_add_nc_u32 v1, v1, v3 :: v_dual_lshlrev_b32 v3, 2, v2
	ds_bpermute_b32 v5, v5, v1
	s_wait_dscnt 0x0
	v_dual_cndmask_b32 v5, 0, v5, vcc_lo :: v_dual_bitop2_b32 v6, 64, v3 bitop3:0x54
	s_delay_alu instid0(VALU_DEP_1) | instskip(SKIP_2) | instid1(VALU_DEP_1)
	v_add_nc_u32_e32 v1, v1, v5
	ds_bpermute_b32 v5, v6, v1
	v_add_nc_u32_e32 v6, 16, v2
	v_cmp_lt_u32_e32 vcc_lo, v6, v4
	s_wait_dscnt 0x0
	v_cndmask_b32_e32 v4, 0, v5, vcc_lo
	s_delay_alu instid0(VALU_DEP_1)
	v_add_nc_u32_e32 v1, v1, v4
	v_cmpx_eq_u32_e32 0, v2
; %bb.231:
	v_lshrrev_b32_e32 v4, 3, v0
	s_delay_alu instid0(VALU_DEP_1)
	v_and_b32_e32 v4, 28, v4
	ds_store_b32 v4, v1 offset:192
; %bb.232:
	s_or_b32 exec_lo, exec_lo, s3
	s_delay_alu instid0(SALU_CYCLE_1)
	s_mov_b32 s3, exec_lo
	s_wait_dscnt 0x0
	s_barrier_signal -1
	s_barrier_wait -1
	v_cmpx_gt_u32_e32 8, v0
	s_cbranch_execz .LBB124_234
; %bb.233:
	ds_load_b32 v1, v3 offset:192
	v_and_b32_e32 v4, 7, v2
	s_add_co_i32 s2, s2, 31
	s_delay_alu instid0(SALU_CYCLE_1) | instskip(NEXT) | instid1(VALU_DEP_1)
	s_lshr_b32 s2, s2, 5
	v_cmp_ne_u32_e32 vcc_lo, 7, v4
	v_add_co_ci_u32_e64 v5, null, 0, v2, vcc_lo
	s_delay_alu instid0(VALU_DEP_1)
	v_lshlrev_b32_e32 v5, 2, v5
	v_cmp_gt_u32_e32 vcc_lo, 6, v4
	s_wait_dscnt 0x0
	ds_bpermute_b32 v5, v5, v1
	v_add_nc_u32_e32 v6, 1, v4
	v_cndmask_b32_e64 v7, 0, 2, vcc_lo
	s_delay_alu instid0(VALU_DEP_2) | instskip(NEXT) | instid1(VALU_DEP_2)
	v_cmp_gt_u32_e32 vcc_lo, s2, v6
	v_add_lshl_u32 v2, v7, v2, 2
	s_wait_dscnt 0x0
	v_cndmask_b32_e32 v5, 0, v5, vcc_lo
	s_delay_alu instid0(VALU_DEP_1) | instskip(SKIP_4) | instid1(VALU_DEP_1)
	v_dual_add_nc_u32 v1, v5, v1 :: v_dual_add_nc_u32 v5, 2, v4
	ds_bpermute_b32 v2, v2, v1
	v_cmp_gt_u32_e32 vcc_lo, s2, v5
	s_wait_dscnt 0x0
	v_cndmask_b32_e32 v2, 0, v2, vcc_lo
	v_dual_add_nc_u32 v1, v1, v2 :: v_dual_bitop2_b32 v2, 16, v3 bitop3:0x54
	v_add_nc_u32_e32 v3, 4, v4
	ds_bpermute_b32 v2, v2, v1
	v_cmp_gt_u32_e32 vcc_lo, s2, v3
	s_wait_dscnt 0x0
	v_cndmask_b32_e32 v2, 0, v2, vcc_lo
	s_delay_alu instid0(VALU_DEP_1)
	v_add_nc_u32_e32 v1, v1, v2
.LBB124_234:
	s_or_b32 exec_lo, exec_lo, s3
	v_cmp_eq_u32_e64 s2, 0, v0
	s_and_saveexec_b32 s3, s2
	s_cbranch_execnz .LBB124_225
	s_branch .LBB124_226
	.section	.rodata,"a",@progbits
	.p2align	6, 0x0
	.amdhsa_kernel _ZN7rocprim17ROCPRIM_400000_NS6detail17trampoline_kernelINS0_14default_configENS1_22reduce_config_selectorIiEEZNS1_11reduce_implILb1ES3_N6hipcub16HIPCUB_304000_NS22TransformInputIteratorIiN2at6native8internal21MapNumberOfTrueValuesEPKhlEEPiiNS8_6detail34convert_binary_result_type_wrapperISt4plusIvESG_iEEEE10hipError_tPvRmT1_T2_T3_mT4_P12ihipStream_tbEUlT_E1_NS1_11comp_targetILNS1_3genE0ELNS1_11target_archE4294967295ELNS1_3gpuE0ELNS1_3repE0EEENS1_30default_config_static_selectorELNS0_4arch9wavefront6targetE0EEEvSQ_
		.amdhsa_group_segment_fixed_size 224
		.amdhsa_private_segment_fixed_size 0
		.amdhsa_kernarg_size 48
		.amdhsa_user_sgpr_count 2
		.amdhsa_user_sgpr_dispatch_ptr 0
		.amdhsa_user_sgpr_queue_ptr 0
		.amdhsa_user_sgpr_kernarg_segment_ptr 1
		.amdhsa_user_sgpr_dispatch_id 0
		.amdhsa_user_sgpr_kernarg_preload_length 0
		.amdhsa_user_sgpr_kernarg_preload_offset 0
		.amdhsa_user_sgpr_private_segment_size 0
		.amdhsa_wavefront_size32 1
		.amdhsa_uses_dynamic_stack 0
		.amdhsa_enable_private_segment 0
		.amdhsa_system_sgpr_workgroup_id_x 1
		.amdhsa_system_sgpr_workgroup_id_y 0
		.amdhsa_system_sgpr_workgroup_id_z 0
		.amdhsa_system_sgpr_workgroup_info 0
		.amdhsa_system_vgpr_workitem_id 0
		.amdhsa_next_free_vgpr 34
		.amdhsa_next_free_sgpr 48
		.amdhsa_named_barrier_count 0
		.amdhsa_reserve_vcc 1
		.amdhsa_float_round_mode_32 0
		.amdhsa_float_round_mode_16_64 0
		.amdhsa_float_denorm_mode_32 3
		.amdhsa_float_denorm_mode_16_64 3
		.amdhsa_fp16_overflow 0
		.amdhsa_memory_ordered 1
		.amdhsa_forward_progress 1
		.amdhsa_inst_pref_size 103
		.amdhsa_round_robin_scheduling 0
		.amdhsa_exception_fp_ieee_invalid_op 0
		.amdhsa_exception_fp_denorm_src 0
		.amdhsa_exception_fp_ieee_div_zero 0
		.amdhsa_exception_fp_ieee_overflow 0
		.amdhsa_exception_fp_ieee_underflow 0
		.amdhsa_exception_fp_ieee_inexact 0
		.amdhsa_exception_int_div_zero 0
	.end_amdhsa_kernel
	.section	.text._ZN7rocprim17ROCPRIM_400000_NS6detail17trampoline_kernelINS0_14default_configENS1_22reduce_config_selectorIiEEZNS1_11reduce_implILb1ES3_N6hipcub16HIPCUB_304000_NS22TransformInputIteratorIiN2at6native8internal21MapNumberOfTrueValuesEPKhlEEPiiNS8_6detail34convert_binary_result_type_wrapperISt4plusIvESG_iEEEE10hipError_tPvRmT1_T2_T3_mT4_P12ihipStream_tbEUlT_E1_NS1_11comp_targetILNS1_3genE0ELNS1_11target_archE4294967295ELNS1_3gpuE0ELNS1_3repE0EEENS1_30default_config_static_selectorELNS0_4arch9wavefront6targetE0EEEvSQ_,"axG",@progbits,_ZN7rocprim17ROCPRIM_400000_NS6detail17trampoline_kernelINS0_14default_configENS1_22reduce_config_selectorIiEEZNS1_11reduce_implILb1ES3_N6hipcub16HIPCUB_304000_NS22TransformInputIteratorIiN2at6native8internal21MapNumberOfTrueValuesEPKhlEEPiiNS8_6detail34convert_binary_result_type_wrapperISt4plusIvESG_iEEEE10hipError_tPvRmT1_T2_T3_mT4_P12ihipStream_tbEUlT_E1_NS1_11comp_targetILNS1_3genE0ELNS1_11target_archE4294967295ELNS1_3gpuE0ELNS1_3repE0EEENS1_30default_config_static_selectorELNS0_4arch9wavefront6targetE0EEEvSQ_,comdat
.Lfunc_end124:
	.size	_ZN7rocprim17ROCPRIM_400000_NS6detail17trampoline_kernelINS0_14default_configENS1_22reduce_config_selectorIiEEZNS1_11reduce_implILb1ES3_N6hipcub16HIPCUB_304000_NS22TransformInputIteratorIiN2at6native8internal21MapNumberOfTrueValuesEPKhlEEPiiNS8_6detail34convert_binary_result_type_wrapperISt4plusIvESG_iEEEE10hipError_tPvRmT1_T2_T3_mT4_P12ihipStream_tbEUlT_E1_NS1_11comp_targetILNS1_3genE0ELNS1_11target_archE4294967295ELNS1_3gpuE0ELNS1_3repE0EEENS1_30default_config_static_selectorELNS0_4arch9wavefront6targetE0EEEvSQ_, .Lfunc_end124-_ZN7rocprim17ROCPRIM_400000_NS6detail17trampoline_kernelINS0_14default_configENS1_22reduce_config_selectorIiEEZNS1_11reduce_implILb1ES3_N6hipcub16HIPCUB_304000_NS22TransformInputIteratorIiN2at6native8internal21MapNumberOfTrueValuesEPKhlEEPiiNS8_6detail34convert_binary_result_type_wrapperISt4plusIvESG_iEEEE10hipError_tPvRmT1_T2_T3_mT4_P12ihipStream_tbEUlT_E1_NS1_11comp_targetILNS1_3genE0ELNS1_11target_archE4294967295ELNS1_3gpuE0ELNS1_3repE0EEENS1_30default_config_static_selectorELNS0_4arch9wavefront6targetE0EEEvSQ_
                                        ; -- End function
	.set _ZN7rocprim17ROCPRIM_400000_NS6detail17trampoline_kernelINS0_14default_configENS1_22reduce_config_selectorIiEEZNS1_11reduce_implILb1ES3_N6hipcub16HIPCUB_304000_NS22TransformInputIteratorIiN2at6native8internal21MapNumberOfTrueValuesEPKhlEEPiiNS8_6detail34convert_binary_result_type_wrapperISt4plusIvESG_iEEEE10hipError_tPvRmT1_T2_T3_mT4_P12ihipStream_tbEUlT_E1_NS1_11comp_targetILNS1_3genE0ELNS1_11target_archE4294967295ELNS1_3gpuE0ELNS1_3repE0EEENS1_30default_config_static_selectorELNS0_4arch9wavefront6targetE0EEEvSQ_.num_vgpr, 34
	.set _ZN7rocprim17ROCPRIM_400000_NS6detail17trampoline_kernelINS0_14default_configENS1_22reduce_config_selectorIiEEZNS1_11reduce_implILb1ES3_N6hipcub16HIPCUB_304000_NS22TransformInputIteratorIiN2at6native8internal21MapNumberOfTrueValuesEPKhlEEPiiNS8_6detail34convert_binary_result_type_wrapperISt4plusIvESG_iEEEE10hipError_tPvRmT1_T2_T3_mT4_P12ihipStream_tbEUlT_E1_NS1_11comp_targetILNS1_3genE0ELNS1_11target_archE4294967295ELNS1_3gpuE0ELNS1_3repE0EEENS1_30default_config_static_selectorELNS0_4arch9wavefront6targetE0EEEvSQ_.num_agpr, 0
	.set _ZN7rocprim17ROCPRIM_400000_NS6detail17trampoline_kernelINS0_14default_configENS1_22reduce_config_selectorIiEEZNS1_11reduce_implILb1ES3_N6hipcub16HIPCUB_304000_NS22TransformInputIteratorIiN2at6native8internal21MapNumberOfTrueValuesEPKhlEEPiiNS8_6detail34convert_binary_result_type_wrapperISt4plusIvESG_iEEEE10hipError_tPvRmT1_T2_T3_mT4_P12ihipStream_tbEUlT_E1_NS1_11comp_targetILNS1_3genE0ELNS1_11target_archE4294967295ELNS1_3gpuE0ELNS1_3repE0EEENS1_30default_config_static_selectorELNS0_4arch9wavefront6targetE0EEEvSQ_.numbered_sgpr, 48
	.set _ZN7rocprim17ROCPRIM_400000_NS6detail17trampoline_kernelINS0_14default_configENS1_22reduce_config_selectorIiEEZNS1_11reduce_implILb1ES3_N6hipcub16HIPCUB_304000_NS22TransformInputIteratorIiN2at6native8internal21MapNumberOfTrueValuesEPKhlEEPiiNS8_6detail34convert_binary_result_type_wrapperISt4plusIvESG_iEEEE10hipError_tPvRmT1_T2_T3_mT4_P12ihipStream_tbEUlT_E1_NS1_11comp_targetILNS1_3genE0ELNS1_11target_archE4294967295ELNS1_3gpuE0ELNS1_3repE0EEENS1_30default_config_static_selectorELNS0_4arch9wavefront6targetE0EEEvSQ_.num_named_barrier, 0
	.set _ZN7rocprim17ROCPRIM_400000_NS6detail17trampoline_kernelINS0_14default_configENS1_22reduce_config_selectorIiEEZNS1_11reduce_implILb1ES3_N6hipcub16HIPCUB_304000_NS22TransformInputIteratorIiN2at6native8internal21MapNumberOfTrueValuesEPKhlEEPiiNS8_6detail34convert_binary_result_type_wrapperISt4plusIvESG_iEEEE10hipError_tPvRmT1_T2_T3_mT4_P12ihipStream_tbEUlT_E1_NS1_11comp_targetILNS1_3genE0ELNS1_11target_archE4294967295ELNS1_3gpuE0ELNS1_3repE0EEENS1_30default_config_static_selectorELNS0_4arch9wavefront6targetE0EEEvSQ_.private_seg_size, 0
	.set _ZN7rocprim17ROCPRIM_400000_NS6detail17trampoline_kernelINS0_14default_configENS1_22reduce_config_selectorIiEEZNS1_11reduce_implILb1ES3_N6hipcub16HIPCUB_304000_NS22TransformInputIteratorIiN2at6native8internal21MapNumberOfTrueValuesEPKhlEEPiiNS8_6detail34convert_binary_result_type_wrapperISt4plusIvESG_iEEEE10hipError_tPvRmT1_T2_T3_mT4_P12ihipStream_tbEUlT_E1_NS1_11comp_targetILNS1_3genE0ELNS1_11target_archE4294967295ELNS1_3gpuE0ELNS1_3repE0EEENS1_30default_config_static_selectorELNS0_4arch9wavefront6targetE0EEEvSQ_.uses_vcc, 1
	.set _ZN7rocprim17ROCPRIM_400000_NS6detail17trampoline_kernelINS0_14default_configENS1_22reduce_config_selectorIiEEZNS1_11reduce_implILb1ES3_N6hipcub16HIPCUB_304000_NS22TransformInputIteratorIiN2at6native8internal21MapNumberOfTrueValuesEPKhlEEPiiNS8_6detail34convert_binary_result_type_wrapperISt4plusIvESG_iEEEE10hipError_tPvRmT1_T2_T3_mT4_P12ihipStream_tbEUlT_E1_NS1_11comp_targetILNS1_3genE0ELNS1_11target_archE4294967295ELNS1_3gpuE0ELNS1_3repE0EEENS1_30default_config_static_selectorELNS0_4arch9wavefront6targetE0EEEvSQ_.uses_flat_scratch, 0
	.set _ZN7rocprim17ROCPRIM_400000_NS6detail17trampoline_kernelINS0_14default_configENS1_22reduce_config_selectorIiEEZNS1_11reduce_implILb1ES3_N6hipcub16HIPCUB_304000_NS22TransformInputIteratorIiN2at6native8internal21MapNumberOfTrueValuesEPKhlEEPiiNS8_6detail34convert_binary_result_type_wrapperISt4plusIvESG_iEEEE10hipError_tPvRmT1_T2_T3_mT4_P12ihipStream_tbEUlT_E1_NS1_11comp_targetILNS1_3genE0ELNS1_11target_archE4294967295ELNS1_3gpuE0ELNS1_3repE0EEENS1_30default_config_static_selectorELNS0_4arch9wavefront6targetE0EEEvSQ_.has_dyn_sized_stack, 0
	.set _ZN7rocprim17ROCPRIM_400000_NS6detail17trampoline_kernelINS0_14default_configENS1_22reduce_config_selectorIiEEZNS1_11reduce_implILb1ES3_N6hipcub16HIPCUB_304000_NS22TransformInputIteratorIiN2at6native8internal21MapNumberOfTrueValuesEPKhlEEPiiNS8_6detail34convert_binary_result_type_wrapperISt4plusIvESG_iEEEE10hipError_tPvRmT1_T2_T3_mT4_P12ihipStream_tbEUlT_E1_NS1_11comp_targetILNS1_3genE0ELNS1_11target_archE4294967295ELNS1_3gpuE0ELNS1_3repE0EEENS1_30default_config_static_selectorELNS0_4arch9wavefront6targetE0EEEvSQ_.has_recursion, 0
	.set _ZN7rocprim17ROCPRIM_400000_NS6detail17trampoline_kernelINS0_14default_configENS1_22reduce_config_selectorIiEEZNS1_11reduce_implILb1ES3_N6hipcub16HIPCUB_304000_NS22TransformInputIteratorIiN2at6native8internal21MapNumberOfTrueValuesEPKhlEEPiiNS8_6detail34convert_binary_result_type_wrapperISt4plusIvESG_iEEEE10hipError_tPvRmT1_T2_T3_mT4_P12ihipStream_tbEUlT_E1_NS1_11comp_targetILNS1_3genE0ELNS1_11target_archE4294967295ELNS1_3gpuE0ELNS1_3repE0EEENS1_30default_config_static_selectorELNS0_4arch9wavefront6targetE0EEEvSQ_.has_indirect_call, 0
	.section	.AMDGPU.csdata,"",@progbits
; Kernel info:
; codeLenInByte = 13084
; TotalNumSgprs: 50
; NumVgprs: 34
; ScratchSize: 0
; MemoryBound: 0
; FloatMode: 240
; IeeeMode: 1
; LDSByteSize: 224 bytes/workgroup (compile time only)
; SGPRBlocks: 0
; VGPRBlocks: 2
; NumSGPRsForWavesPerEU: 50
; NumVGPRsForWavesPerEU: 34
; NamedBarCnt: 0
; Occupancy: 16
; WaveLimiterHint : 1
; COMPUTE_PGM_RSRC2:SCRATCH_EN: 0
; COMPUTE_PGM_RSRC2:USER_SGPR: 2
; COMPUTE_PGM_RSRC2:TRAP_HANDLER: 0
; COMPUTE_PGM_RSRC2:TGID_X_EN: 1
; COMPUTE_PGM_RSRC2:TGID_Y_EN: 0
; COMPUTE_PGM_RSRC2:TGID_Z_EN: 0
; COMPUTE_PGM_RSRC2:TIDIG_COMP_CNT: 0
	.section	.text._ZN7rocprim17ROCPRIM_400000_NS6detail17trampoline_kernelINS0_14default_configENS1_22reduce_config_selectorIiEEZNS1_11reduce_implILb1ES3_N6hipcub16HIPCUB_304000_NS22TransformInputIteratorIiN2at6native8internal21MapNumberOfTrueValuesEPKhlEEPiiNS8_6detail34convert_binary_result_type_wrapperISt4plusIvESG_iEEEE10hipError_tPvRmT1_T2_T3_mT4_P12ihipStream_tbEUlT_E1_NS1_11comp_targetILNS1_3genE5ELNS1_11target_archE942ELNS1_3gpuE9ELNS1_3repE0EEENS1_30default_config_static_selectorELNS0_4arch9wavefront6targetE0EEEvSQ_,"axG",@progbits,_ZN7rocprim17ROCPRIM_400000_NS6detail17trampoline_kernelINS0_14default_configENS1_22reduce_config_selectorIiEEZNS1_11reduce_implILb1ES3_N6hipcub16HIPCUB_304000_NS22TransformInputIteratorIiN2at6native8internal21MapNumberOfTrueValuesEPKhlEEPiiNS8_6detail34convert_binary_result_type_wrapperISt4plusIvESG_iEEEE10hipError_tPvRmT1_T2_T3_mT4_P12ihipStream_tbEUlT_E1_NS1_11comp_targetILNS1_3genE5ELNS1_11target_archE942ELNS1_3gpuE9ELNS1_3repE0EEENS1_30default_config_static_selectorELNS0_4arch9wavefront6targetE0EEEvSQ_,comdat
	.protected	_ZN7rocprim17ROCPRIM_400000_NS6detail17trampoline_kernelINS0_14default_configENS1_22reduce_config_selectorIiEEZNS1_11reduce_implILb1ES3_N6hipcub16HIPCUB_304000_NS22TransformInputIteratorIiN2at6native8internal21MapNumberOfTrueValuesEPKhlEEPiiNS8_6detail34convert_binary_result_type_wrapperISt4plusIvESG_iEEEE10hipError_tPvRmT1_T2_T3_mT4_P12ihipStream_tbEUlT_E1_NS1_11comp_targetILNS1_3genE5ELNS1_11target_archE942ELNS1_3gpuE9ELNS1_3repE0EEENS1_30default_config_static_selectorELNS0_4arch9wavefront6targetE0EEEvSQ_ ; -- Begin function _ZN7rocprim17ROCPRIM_400000_NS6detail17trampoline_kernelINS0_14default_configENS1_22reduce_config_selectorIiEEZNS1_11reduce_implILb1ES3_N6hipcub16HIPCUB_304000_NS22TransformInputIteratorIiN2at6native8internal21MapNumberOfTrueValuesEPKhlEEPiiNS8_6detail34convert_binary_result_type_wrapperISt4plusIvESG_iEEEE10hipError_tPvRmT1_T2_T3_mT4_P12ihipStream_tbEUlT_E1_NS1_11comp_targetILNS1_3genE5ELNS1_11target_archE942ELNS1_3gpuE9ELNS1_3repE0EEENS1_30default_config_static_selectorELNS0_4arch9wavefront6targetE0EEEvSQ_
	.globl	_ZN7rocprim17ROCPRIM_400000_NS6detail17trampoline_kernelINS0_14default_configENS1_22reduce_config_selectorIiEEZNS1_11reduce_implILb1ES3_N6hipcub16HIPCUB_304000_NS22TransformInputIteratorIiN2at6native8internal21MapNumberOfTrueValuesEPKhlEEPiiNS8_6detail34convert_binary_result_type_wrapperISt4plusIvESG_iEEEE10hipError_tPvRmT1_T2_T3_mT4_P12ihipStream_tbEUlT_E1_NS1_11comp_targetILNS1_3genE5ELNS1_11target_archE942ELNS1_3gpuE9ELNS1_3repE0EEENS1_30default_config_static_selectorELNS0_4arch9wavefront6targetE0EEEvSQ_
	.p2align	8
	.type	_ZN7rocprim17ROCPRIM_400000_NS6detail17trampoline_kernelINS0_14default_configENS1_22reduce_config_selectorIiEEZNS1_11reduce_implILb1ES3_N6hipcub16HIPCUB_304000_NS22TransformInputIteratorIiN2at6native8internal21MapNumberOfTrueValuesEPKhlEEPiiNS8_6detail34convert_binary_result_type_wrapperISt4plusIvESG_iEEEE10hipError_tPvRmT1_T2_T3_mT4_P12ihipStream_tbEUlT_E1_NS1_11comp_targetILNS1_3genE5ELNS1_11target_archE942ELNS1_3gpuE9ELNS1_3repE0EEENS1_30default_config_static_selectorELNS0_4arch9wavefront6targetE0EEEvSQ_,@function
_ZN7rocprim17ROCPRIM_400000_NS6detail17trampoline_kernelINS0_14default_configENS1_22reduce_config_selectorIiEEZNS1_11reduce_implILb1ES3_N6hipcub16HIPCUB_304000_NS22TransformInputIteratorIiN2at6native8internal21MapNumberOfTrueValuesEPKhlEEPiiNS8_6detail34convert_binary_result_type_wrapperISt4plusIvESG_iEEEE10hipError_tPvRmT1_T2_T3_mT4_P12ihipStream_tbEUlT_E1_NS1_11comp_targetILNS1_3genE5ELNS1_11target_archE942ELNS1_3gpuE9ELNS1_3repE0EEENS1_30default_config_static_selectorELNS0_4arch9wavefront6targetE0EEEvSQ_: ; @_ZN7rocprim17ROCPRIM_400000_NS6detail17trampoline_kernelINS0_14default_configENS1_22reduce_config_selectorIiEEZNS1_11reduce_implILb1ES3_N6hipcub16HIPCUB_304000_NS22TransformInputIteratorIiN2at6native8internal21MapNumberOfTrueValuesEPKhlEEPiiNS8_6detail34convert_binary_result_type_wrapperISt4plusIvESG_iEEEE10hipError_tPvRmT1_T2_T3_mT4_P12ihipStream_tbEUlT_E1_NS1_11comp_targetILNS1_3genE5ELNS1_11target_archE942ELNS1_3gpuE9ELNS1_3repE0EEENS1_30default_config_static_selectorELNS0_4arch9wavefront6targetE0EEEvSQ_
; %bb.0:
	.section	.rodata,"a",@progbits
	.p2align	6, 0x0
	.amdhsa_kernel _ZN7rocprim17ROCPRIM_400000_NS6detail17trampoline_kernelINS0_14default_configENS1_22reduce_config_selectorIiEEZNS1_11reduce_implILb1ES3_N6hipcub16HIPCUB_304000_NS22TransformInputIteratorIiN2at6native8internal21MapNumberOfTrueValuesEPKhlEEPiiNS8_6detail34convert_binary_result_type_wrapperISt4plusIvESG_iEEEE10hipError_tPvRmT1_T2_T3_mT4_P12ihipStream_tbEUlT_E1_NS1_11comp_targetILNS1_3genE5ELNS1_11target_archE942ELNS1_3gpuE9ELNS1_3repE0EEENS1_30default_config_static_selectorELNS0_4arch9wavefront6targetE0EEEvSQ_
		.amdhsa_group_segment_fixed_size 0
		.amdhsa_private_segment_fixed_size 0
		.amdhsa_kernarg_size 48
		.amdhsa_user_sgpr_count 2
		.amdhsa_user_sgpr_dispatch_ptr 0
		.amdhsa_user_sgpr_queue_ptr 0
		.amdhsa_user_sgpr_kernarg_segment_ptr 1
		.amdhsa_user_sgpr_dispatch_id 0
		.amdhsa_user_sgpr_kernarg_preload_length 0
		.amdhsa_user_sgpr_kernarg_preload_offset 0
		.amdhsa_user_sgpr_private_segment_size 0
		.amdhsa_wavefront_size32 1
		.amdhsa_uses_dynamic_stack 0
		.amdhsa_enable_private_segment 0
		.amdhsa_system_sgpr_workgroup_id_x 1
		.amdhsa_system_sgpr_workgroup_id_y 0
		.amdhsa_system_sgpr_workgroup_id_z 0
		.amdhsa_system_sgpr_workgroup_info 0
		.amdhsa_system_vgpr_workitem_id 0
		.amdhsa_next_free_vgpr 1
		.amdhsa_next_free_sgpr 1
		.amdhsa_named_barrier_count 0
		.amdhsa_reserve_vcc 0
		.amdhsa_float_round_mode_32 0
		.amdhsa_float_round_mode_16_64 0
		.amdhsa_float_denorm_mode_32 3
		.amdhsa_float_denorm_mode_16_64 3
		.amdhsa_fp16_overflow 0
		.amdhsa_memory_ordered 1
		.amdhsa_forward_progress 1
		.amdhsa_inst_pref_size 0
		.amdhsa_round_robin_scheduling 0
		.amdhsa_exception_fp_ieee_invalid_op 0
		.amdhsa_exception_fp_denorm_src 0
		.amdhsa_exception_fp_ieee_div_zero 0
		.amdhsa_exception_fp_ieee_overflow 0
		.amdhsa_exception_fp_ieee_underflow 0
		.amdhsa_exception_fp_ieee_inexact 0
		.amdhsa_exception_int_div_zero 0
	.end_amdhsa_kernel
	.section	.text._ZN7rocprim17ROCPRIM_400000_NS6detail17trampoline_kernelINS0_14default_configENS1_22reduce_config_selectorIiEEZNS1_11reduce_implILb1ES3_N6hipcub16HIPCUB_304000_NS22TransformInputIteratorIiN2at6native8internal21MapNumberOfTrueValuesEPKhlEEPiiNS8_6detail34convert_binary_result_type_wrapperISt4plusIvESG_iEEEE10hipError_tPvRmT1_T2_T3_mT4_P12ihipStream_tbEUlT_E1_NS1_11comp_targetILNS1_3genE5ELNS1_11target_archE942ELNS1_3gpuE9ELNS1_3repE0EEENS1_30default_config_static_selectorELNS0_4arch9wavefront6targetE0EEEvSQ_,"axG",@progbits,_ZN7rocprim17ROCPRIM_400000_NS6detail17trampoline_kernelINS0_14default_configENS1_22reduce_config_selectorIiEEZNS1_11reduce_implILb1ES3_N6hipcub16HIPCUB_304000_NS22TransformInputIteratorIiN2at6native8internal21MapNumberOfTrueValuesEPKhlEEPiiNS8_6detail34convert_binary_result_type_wrapperISt4plusIvESG_iEEEE10hipError_tPvRmT1_T2_T3_mT4_P12ihipStream_tbEUlT_E1_NS1_11comp_targetILNS1_3genE5ELNS1_11target_archE942ELNS1_3gpuE9ELNS1_3repE0EEENS1_30default_config_static_selectorELNS0_4arch9wavefront6targetE0EEEvSQ_,comdat
.Lfunc_end125:
	.size	_ZN7rocprim17ROCPRIM_400000_NS6detail17trampoline_kernelINS0_14default_configENS1_22reduce_config_selectorIiEEZNS1_11reduce_implILb1ES3_N6hipcub16HIPCUB_304000_NS22TransformInputIteratorIiN2at6native8internal21MapNumberOfTrueValuesEPKhlEEPiiNS8_6detail34convert_binary_result_type_wrapperISt4plusIvESG_iEEEE10hipError_tPvRmT1_T2_T3_mT4_P12ihipStream_tbEUlT_E1_NS1_11comp_targetILNS1_3genE5ELNS1_11target_archE942ELNS1_3gpuE9ELNS1_3repE0EEENS1_30default_config_static_selectorELNS0_4arch9wavefront6targetE0EEEvSQ_, .Lfunc_end125-_ZN7rocprim17ROCPRIM_400000_NS6detail17trampoline_kernelINS0_14default_configENS1_22reduce_config_selectorIiEEZNS1_11reduce_implILb1ES3_N6hipcub16HIPCUB_304000_NS22TransformInputIteratorIiN2at6native8internal21MapNumberOfTrueValuesEPKhlEEPiiNS8_6detail34convert_binary_result_type_wrapperISt4plusIvESG_iEEEE10hipError_tPvRmT1_T2_T3_mT4_P12ihipStream_tbEUlT_E1_NS1_11comp_targetILNS1_3genE5ELNS1_11target_archE942ELNS1_3gpuE9ELNS1_3repE0EEENS1_30default_config_static_selectorELNS0_4arch9wavefront6targetE0EEEvSQ_
                                        ; -- End function
	.set _ZN7rocprim17ROCPRIM_400000_NS6detail17trampoline_kernelINS0_14default_configENS1_22reduce_config_selectorIiEEZNS1_11reduce_implILb1ES3_N6hipcub16HIPCUB_304000_NS22TransformInputIteratorIiN2at6native8internal21MapNumberOfTrueValuesEPKhlEEPiiNS8_6detail34convert_binary_result_type_wrapperISt4plusIvESG_iEEEE10hipError_tPvRmT1_T2_T3_mT4_P12ihipStream_tbEUlT_E1_NS1_11comp_targetILNS1_3genE5ELNS1_11target_archE942ELNS1_3gpuE9ELNS1_3repE0EEENS1_30default_config_static_selectorELNS0_4arch9wavefront6targetE0EEEvSQ_.num_vgpr, 0
	.set _ZN7rocprim17ROCPRIM_400000_NS6detail17trampoline_kernelINS0_14default_configENS1_22reduce_config_selectorIiEEZNS1_11reduce_implILb1ES3_N6hipcub16HIPCUB_304000_NS22TransformInputIteratorIiN2at6native8internal21MapNumberOfTrueValuesEPKhlEEPiiNS8_6detail34convert_binary_result_type_wrapperISt4plusIvESG_iEEEE10hipError_tPvRmT1_T2_T3_mT4_P12ihipStream_tbEUlT_E1_NS1_11comp_targetILNS1_3genE5ELNS1_11target_archE942ELNS1_3gpuE9ELNS1_3repE0EEENS1_30default_config_static_selectorELNS0_4arch9wavefront6targetE0EEEvSQ_.num_agpr, 0
	.set _ZN7rocprim17ROCPRIM_400000_NS6detail17trampoline_kernelINS0_14default_configENS1_22reduce_config_selectorIiEEZNS1_11reduce_implILb1ES3_N6hipcub16HIPCUB_304000_NS22TransformInputIteratorIiN2at6native8internal21MapNumberOfTrueValuesEPKhlEEPiiNS8_6detail34convert_binary_result_type_wrapperISt4plusIvESG_iEEEE10hipError_tPvRmT1_T2_T3_mT4_P12ihipStream_tbEUlT_E1_NS1_11comp_targetILNS1_3genE5ELNS1_11target_archE942ELNS1_3gpuE9ELNS1_3repE0EEENS1_30default_config_static_selectorELNS0_4arch9wavefront6targetE0EEEvSQ_.numbered_sgpr, 0
	.set _ZN7rocprim17ROCPRIM_400000_NS6detail17trampoline_kernelINS0_14default_configENS1_22reduce_config_selectorIiEEZNS1_11reduce_implILb1ES3_N6hipcub16HIPCUB_304000_NS22TransformInputIteratorIiN2at6native8internal21MapNumberOfTrueValuesEPKhlEEPiiNS8_6detail34convert_binary_result_type_wrapperISt4plusIvESG_iEEEE10hipError_tPvRmT1_T2_T3_mT4_P12ihipStream_tbEUlT_E1_NS1_11comp_targetILNS1_3genE5ELNS1_11target_archE942ELNS1_3gpuE9ELNS1_3repE0EEENS1_30default_config_static_selectorELNS0_4arch9wavefront6targetE0EEEvSQ_.num_named_barrier, 0
	.set _ZN7rocprim17ROCPRIM_400000_NS6detail17trampoline_kernelINS0_14default_configENS1_22reduce_config_selectorIiEEZNS1_11reduce_implILb1ES3_N6hipcub16HIPCUB_304000_NS22TransformInputIteratorIiN2at6native8internal21MapNumberOfTrueValuesEPKhlEEPiiNS8_6detail34convert_binary_result_type_wrapperISt4plusIvESG_iEEEE10hipError_tPvRmT1_T2_T3_mT4_P12ihipStream_tbEUlT_E1_NS1_11comp_targetILNS1_3genE5ELNS1_11target_archE942ELNS1_3gpuE9ELNS1_3repE0EEENS1_30default_config_static_selectorELNS0_4arch9wavefront6targetE0EEEvSQ_.private_seg_size, 0
	.set _ZN7rocprim17ROCPRIM_400000_NS6detail17trampoline_kernelINS0_14default_configENS1_22reduce_config_selectorIiEEZNS1_11reduce_implILb1ES3_N6hipcub16HIPCUB_304000_NS22TransformInputIteratorIiN2at6native8internal21MapNumberOfTrueValuesEPKhlEEPiiNS8_6detail34convert_binary_result_type_wrapperISt4plusIvESG_iEEEE10hipError_tPvRmT1_T2_T3_mT4_P12ihipStream_tbEUlT_E1_NS1_11comp_targetILNS1_3genE5ELNS1_11target_archE942ELNS1_3gpuE9ELNS1_3repE0EEENS1_30default_config_static_selectorELNS0_4arch9wavefront6targetE0EEEvSQ_.uses_vcc, 0
	.set _ZN7rocprim17ROCPRIM_400000_NS6detail17trampoline_kernelINS0_14default_configENS1_22reduce_config_selectorIiEEZNS1_11reduce_implILb1ES3_N6hipcub16HIPCUB_304000_NS22TransformInputIteratorIiN2at6native8internal21MapNumberOfTrueValuesEPKhlEEPiiNS8_6detail34convert_binary_result_type_wrapperISt4plusIvESG_iEEEE10hipError_tPvRmT1_T2_T3_mT4_P12ihipStream_tbEUlT_E1_NS1_11comp_targetILNS1_3genE5ELNS1_11target_archE942ELNS1_3gpuE9ELNS1_3repE0EEENS1_30default_config_static_selectorELNS0_4arch9wavefront6targetE0EEEvSQ_.uses_flat_scratch, 0
	.set _ZN7rocprim17ROCPRIM_400000_NS6detail17trampoline_kernelINS0_14default_configENS1_22reduce_config_selectorIiEEZNS1_11reduce_implILb1ES3_N6hipcub16HIPCUB_304000_NS22TransformInputIteratorIiN2at6native8internal21MapNumberOfTrueValuesEPKhlEEPiiNS8_6detail34convert_binary_result_type_wrapperISt4plusIvESG_iEEEE10hipError_tPvRmT1_T2_T3_mT4_P12ihipStream_tbEUlT_E1_NS1_11comp_targetILNS1_3genE5ELNS1_11target_archE942ELNS1_3gpuE9ELNS1_3repE0EEENS1_30default_config_static_selectorELNS0_4arch9wavefront6targetE0EEEvSQ_.has_dyn_sized_stack, 0
	.set _ZN7rocprim17ROCPRIM_400000_NS6detail17trampoline_kernelINS0_14default_configENS1_22reduce_config_selectorIiEEZNS1_11reduce_implILb1ES3_N6hipcub16HIPCUB_304000_NS22TransformInputIteratorIiN2at6native8internal21MapNumberOfTrueValuesEPKhlEEPiiNS8_6detail34convert_binary_result_type_wrapperISt4plusIvESG_iEEEE10hipError_tPvRmT1_T2_T3_mT4_P12ihipStream_tbEUlT_E1_NS1_11comp_targetILNS1_3genE5ELNS1_11target_archE942ELNS1_3gpuE9ELNS1_3repE0EEENS1_30default_config_static_selectorELNS0_4arch9wavefront6targetE0EEEvSQ_.has_recursion, 0
	.set _ZN7rocprim17ROCPRIM_400000_NS6detail17trampoline_kernelINS0_14default_configENS1_22reduce_config_selectorIiEEZNS1_11reduce_implILb1ES3_N6hipcub16HIPCUB_304000_NS22TransformInputIteratorIiN2at6native8internal21MapNumberOfTrueValuesEPKhlEEPiiNS8_6detail34convert_binary_result_type_wrapperISt4plusIvESG_iEEEE10hipError_tPvRmT1_T2_T3_mT4_P12ihipStream_tbEUlT_E1_NS1_11comp_targetILNS1_3genE5ELNS1_11target_archE942ELNS1_3gpuE9ELNS1_3repE0EEENS1_30default_config_static_selectorELNS0_4arch9wavefront6targetE0EEEvSQ_.has_indirect_call, 0
	.section	.AMDGPU.csdata,"",@progbits
; Kernel info:
; codeLenInByte = 0
; TotalNumSgprs: 0
; NumVgprs: 0
; ScratchSize: 0
; MemoryBound: 0
; FloatMode: 240
; IeeeMode: 1
; LDSByteSize: 0 bytes/workgroup (compile time only)
; SGPRBlocks: 0
; VGPRBlocks: 0
; NumSGPRsForWavesPerEU: 1
; NumVGPRsForWavesPerEU: 1
; NamedBarCnt: 0
; Occupancy: 16
; WaveLimiterHint : 0
; COMPUTE_PGM_RSRC2:SCRATCH_EN: 0
; COMPUTE_PGM_RSRC2:USER_SGPR: 2
; COMPUTE_PGM_RSRC2:TRAP_HANDLER: 0
; COMPUTE_PGM_RSRC2:TGID_X_EN: 1
; COMPUTE_PGM_RSRC2:TGID_Y_EN: 0
; COMPUTE_PGM_RSRC2:TGID_Z_EN: 0
; COMPUTE_PGM_RSRC2:TIDIG_COMP_CNT: 0
	.section	.text._ZN7rocprim17ROCPRIM_400000_NS6detail17trampoline_kernelINS0_14default_configENS1_22reduce_config_selectorIiEEZNS1_11reduce_implILb1ES3_N6hipcub16HIPCUB_304000_NS22TransformInputIteratorIiN2at6native8internal21MapNumberOfTrueValuesEPKhlEEPiiNS8_6detail34convert_binary_result_type_wrapperISt4plusIvESG_iEEEE10hipError_tPvRmT1_T2_T3_mT4_P12ihipStream_tbEUlT_E1_NS1_11comp_targetILNS1_3genE4ELNS1_11target_archE910ELNS1_3gpuE8ELNS1_3repE0EEENS1_30default_config_static_selectorELNS0_4arch9wavefront6targetE0EEEvSQ_,"axG",@progbits,_ZN7rocprim17ROCPRIM_400000_NS6detail17trampoline_kernelINS0_14default_configENS1_22reduce_config_selectorIiEEZNS1_11reduce_implILb1ES3_N6hipcub16HIPCUB_304000_NS22TransformInputIteratorIiN2at6native8internal21MapNumberOfTrueValuesEPKhlEEPiiNS8_6detail34convert_binary_result_type_wrapperISt4plusIvESG_iEEEE10hipError_tPvRmT1_T2_T3_mT4_P12ihipStream_tbEUlT_E1_NS1_11comp_targetILNS1_3genE4ELNS1_11target_archE910ELNS1_3gpuE8ELNS1_3repE0EEENS1_30default_config_static_selectorELNS0_4arch9wavefront6targetE0EEEvSQ_,comdat
	.protected	_ZN7rocprim17ROCPRIM_400000_NS6detail17trampoline_kernelINS0_14default_configENS1_22reduce_config_selectorIiEEZNS1_11reduce_implILb1ES3_N6hipcub16HIPCUB_304000_NS22TransformInputIteratorIiN2at6native8internal21MapNumberOfTrueValuesEPKhlEEPiiNS8_6detail34convert_binary_result_type_wrapperISt4plusIvESG_iEEEE10hipError_tPvRmT1_T2_T3_mT4_P12ihipStream_tbEUlT_E1_NS1_11comp_targetILNS1_3genE4ELNS1_11target_archE910ELNS1_3gpuE8ELNS1_3repE0EEENS1_30default_config_static_selectorELNS0_4arch9wavefront6targetE0EEEvSQ_ ; -- Begin function _ZN7rocprim17ROCPRIM_400000_NS6detail17trampoline_kernelINS0_14default_configENS1_22reduce_config_selectorIiEEZNS1_11reduce_implILb1ES3_N6hipcub16HIPCUB_304000_NS22TransformInputIteratorIiN2at6native8internal21MapNumberOfTrueValuesEPKhlEEPiiNS8_6detail34convert_binary_result_type_wrapperISt4plusIvESG_iEEEE10hipError_tPvRmT1_T2_T3_mT4_P12ihipStream_tbEUlT_E1_NS1_11comp_targetILNS1_3genE4ELNS1_11target_archE910ELNS1_3gpuE8ELNS1_3repE0EEENS1_30default_config_static_selectorELNS0_4arch9wavefront6targetE0EEEvSQ_
	.globl	_ZN7rocprim17ROCPRIM_400000_NS6detail17trampoline_kernelINS0_14default_configENS1_22reduce_config_selectorIiEEZNS1_11reduce_implILb1ES3_N6hipcub16HIPCUB_304000_NS22TransformInputIteratorIiN2at6native8internal21MapNumberOfTrueValuesEPKhlEEPiiNS8_6detail34convert_binary_result_type_wrapperISt4plusIvESG_iEEEE10hipError_tPvRmT1_T2_T3_mT4_P12ihipStream_tbEUlT_E1_NS1_11comp_targetILNS1_3genE4ELNS1_11target_archE910ELNS1_3gpuE8ELNS1_3repE0EEENS1_30default_config_static_selectorELNS0_4arch9wavefront6targetE0EEEvSQ_
	.p2align	8
	.type	_ZN7rocprim17ROCPRIM_400000_NS6detail17trampoline_kernelINS0_14default_configENS1_22reduce_config_selectorIiEEZNS1_11reduce_implILb1ES3_N6hipcub16HIPCUB_304000_NS22TransformInputIteratorIiN2at6native8internal21MapNumberOfTrueValuesEPKhlEEPiiNS8_6detail34convert_binary_result_type_wrapperISt4plusIvESG_iEEEE10hipError_tPvRmT1_T2_T3_mT4_P12ihipStream_tbEUlT_E1_NS1_11comp_targetILNS1_3genE4ELNS1_11target_archE910ELNS1_3gpuE8ELNS1_3repE0EEENS1_30default_config_static_selectorELNS0_4arch9wavefront6targetE0EEEvSQ_,@function
_ZN7rocprim17ROCPRIM_400000_NS6detail17trampoline_kernelINS0_14default_configENS1_22reduce_config_selectorIiEEZNS1_11reduce_implILb1ES3_N6hipcub16HIPCUB_304000_NS22TransformInputIteratorIiN2at6native8internal21MapNumberOfTrueValuesEPKhlEEPiiNS8_6detail34convert_binary_result_type_wrapperISt4plusIvESG_iEEEE10hipError_tPvRmT1_T2_T3_mT4_P12ihipStream_tbEUlT_E1_NS1_11comp_targetILNS1_3genE4ELNS1_11target_archE910ELNS1_3gpuE8ELNS1_3repE0EEENS1_30default_config_static_selectorELNS0_4arch9wavefront6targetE0EEEvSQ_: ; @_ZN7rocprim17ROCPRIM_400000_NS6detail17trampoline_kernelINS0_14default_configENS1_22reduce_config_selectorIiEEZNS1_11reduce_implILb1ES3_N6hipcub16HIPCUB_304000_NS22TransformInputIteratorIiN2at6native8internal21MapNumberOfTrueValuesEPKhlEEPiiNS8_6detail34convert_binary_result_type_wrapperISt4plusIvESG_iEEEE10hipError_tPvRmT1_T2_T3_mT4_P12ihipStream_tbEUlT_E1_NS1_11comp_targetILNS1_3genE4ELNS1_11target_archE910ELNS1_3gpuE8ELNS1_3repE0EEENS1_30default_config_static_selectorELNS0_4arch9wavefront6targetE0EEEvSQ_
; %bb.0:
	.section	.rodata,"a",@progbits
	.p2align	6, 0x0
	.amdhsa_kernel _ZN7rocprim17ROCPRIM_400000_NS6detail17trampoline_kernelINS0_14default_configENS1_22reduce_config_selectorIiEEZNS1_11reduce_implILb1ES3_N6hipcub16HIPCUB_304000_NS22TransformInputIteratorIiN2at6native8internal21MapNumberOfTrueValuesEPKhlEEPiiNS8_6detail34convert_binary_result_type_wrapperISt4plusIvESG_iEEEE10hipError_tPvRmT1_T2_T3_mT4_P12ihipStream_tbEUlT_E1_NS1_11comp_targetILNS1_3genE4ELNS1_11target_archE910ELNS1_3gpuE8ELNS1_3repE0EEENS1_30default_config_static_selectorELNS0_4arch9wavefront6targetE0EEEvSQ_
		.amdhsa_group_segment_fixed_size 0
		.amdhsa_private_segment_fixed_size 0
		.amdhsa_kernarg_size 48
		.amdhsa_user_sgpr_count 2
		.amdhsa_user_sgpr_dispatch_ptr 0
		.amdhsa_user_sgpr_queue_ptr 0
		.amdhsa_user_sgpr_kernarg_segment_ptr 1
		.amdhsa_user_sgpr_dispatch_id 0
		.amdhsa_user_sgpr_kernarg_preload_length 0
		.amdhsa_user_sgpr_kernarg_preload_offset 0
		.amdhsa_user_sgpr_private_segment_size 0
		.amdhsa_wavefront_size32 1
		.amdhsa_uses_dynamic_stack 0
		.amdhsa_enable_private_segment 0
		.amdhsa_system_sgpr_workgroup_id_x 1
		.amdhsa_system_sgpr_workgroup_id_y 0
		.amdhsa_system_sgpr_workgroup_id_z 0
		.amdhsa_system_sgpr_workgroup_info 0
		.amdhsa_system_vgpr_workitem_id 0
		.amdhsa_next_free_vgpr 1
		.amdhsa_next_free_sgpr 1
		.amdhsa_named_barrier_count 0
		.amdhsa_reserve_vcc 0
		.amdhsa_float_round_mode_32 0
		.amdhsa_float_round_mode_16_64 0
		.amdhsa_float_denorm_mode_32 3
		.amdhsa_float_denorm_mode_16_64 3
		.amdhsa_fp16_overflow 0
		.amdhsa_memory_ordered 1
		.amdhsa_forward_progress 1
		.amdhsa_inst_pref_size 0
		.amdhsa_round_robin_scheduling 0
		.amdhsa_exception_fp_ieee_invalid_op 0
		.amdhsa_exception_fp_denorm_src 0
		.amdhsa_exception_fp_ieee_div_zero 0
		.amdhsa_exception_fp_ieee_overflow 0
		.amdhsa_exception_fp_ieee_underflow 0
		.amdhsa_exception_fp_ieee_inexact 0
		.amdhsa_exception_int_div_zero 0
	.end_amdhsa_kernel
	.section	.text._ZN7rocprim17ROCPRIM_400000_NS6detail17trampoline_kernelINS0_14default_configENS1_22reduce_config_selectorIiEEZNS1_11reduce_implILb1ES3_N6hipcub16HIPCUB_304000_NS22TransformInputIteratorIiN2at6native8internal21MapNumberOfTrueValuesEPKhlEEPiiNS8_6detail34convert_binary_result_type_wrapperISt4plusIvESG_iEEEE10hipError_tPvRmT1_T2_T3_mT4_P12ihipStream_tbEUlT_E1_NS1_11comp_targetILNS1_3genE4ELNS1_11target_archE910ELNS1_3gpuE8ELNS1_3repE0EEENS1_30default_config_static_selectorELNS0_4arch9wavefront6targetE0EEEvSQ_,"axG",@progbits,_ZN7rocprim17ROCPRIM_400000_NS6detail17trampoline_kernelINS0_14default_configENS1_22reduce_config_selectorIiEEZNS1_11reduce_implILb1ES3_N6hipcub16HIPCUB_304000_NS22TransformInputIteratorIiN2at6native8internal21MapNumberOfTrueValuesEPKhlEEPiiNS8_6detail34convert_binary_result_type_wrapperISt4plusIvESG_iEEEE10hipError_tPvRmT1_T2_T3_mT4_P12ihipStream_tbEUlT_E1_NS1_11comp_targetILNS1_3genE4ELNS1_11target_archE910ELNS1_3gpuE8ELNS1_3repE0EEENS1_30default_config_static_selectorELNS0_4arch9wavefront6targetE0EEEvSQ_,comdat
.Lfunc_end126:
	.size	_ZN7rocprim17ROCPRIM_400000_NS6detail17trampoline_kernelINS0_14default_configENS1_22reduce_config_selectorIiEEZNS1_11reduce_implILb1ES3_N6hipcub16HIPCUB_304000_NS22TransformInputIteratorIiN2at6native8internal21MapNumberOfTrueValuesEPKhlEEPiiNS8_6detail34convert_binary_result_type_wrapperISt4plusIvESG_iEEEE10hipError_tPvRmT1_T2_T3_mT4_P12ihipStream_tbEUlT_E1_NS1_11comp_targetILNS1_3genE4ELNS1_11target_archE910ELNS1_3gpuE8ELNS1_3repE0EEENS1_30default_config_static_selectorELNS0_4arch9wavefront6targetE0EEEvSQ_, .Lfunc_end126-_ZN7rocprim17ROCPRIM_400000_NS6detail17trampoline_kernelINS0_14default_configENS1_22reduce_config_selectorIiEEZNS1_11reduce_implILb1ES3_N6hipcub16HIPCUB_304000_NS22TransformInputIteratorIiN2at6native8internal21MapNumberOfTrueValuesEPKhlEEPiiNS8_6detail34convert_binary_result_type_wrapperISt4plusIvESG_iEEEE10hipError_tPvRmT1_T2_T3_mT4_P12ihipStream_tbEUlT_E1_NS1_11comp_targetILNS1_3genE4ELNS1_11target_archE910ELNS1_3gpuE8ELNS1_3repE0EEENS1_30default_config_static_selectorELNS0_4arch9wavefront6targetE0EEEvSQ_
                                        ; -- End function
	.set _ZN7rocprim17ROCPRIM_400000_NS6detail17trampoline_kernelINS0_14default_configENS1_22reduce_config_selectorIiEEZNS1_11reduce_implILb1ES3_N6hipcub16HIPCUB_304000_NS22TransformInputIteratorIiN2at6native8internal21MapNumberOfTrueValuesEPKhlEEPiiNS8_6detail34convert_binary_result_type_wrapperISt4plusIvESG_iEEEE10hipError_tPvRmT1_T2_T3_mT4_P12ihipStream_tbEUlT_E1_NS1_11comp_targetILNS1_3genE4ELNS1_11target_archE910ELNS1_3gpuE8ELNS1_3repE0EEENS1_30default_config_static_selectorELNS0_4arch9wavefront6targetE0EEEvSQ_.num_vgpr, 0
	.set _ZN7rocprim17ROCPRIM_400000_NS6detail17trampoline_kernelINS0_14default_configENS1_22reduce_config_selectorIiEEZNS1_11reduce_implILb1ES3_N6hipcub16HIPCUB_304000_NS22TransformInputIteratorIiN2at6native8internal21MapNumberOfTrueValuesEPKhlEEPiiNS8_6detail34convert_binary_result_type_wrapperISt4plusIvESG_iEEEE10hipError_tPvRmT1_T2_T3_mT4_P12ihipStream_tbEUlT_E1_NS1_11comp_targetILNS1_3genE4ELNS1_11target_archE910ELNS1_3gpuE8ELNS1_3repE0EEENS1_30default_config_static_selectorELNS0_4arch9wavefront6targetE0EEEvSQ_.num_agpr, 0
	.set _ZN7rocprim17ROCPRIM_400000_NS6detail17trampoline_kernelINS0_14default_configENS1_22reduce_config_selectorIiEEZNS1_11reduce_implILb1ES3_N6hipcub16HIPCUB_304000_NS22TransformInputIteratorIiN2at6native8internal21MapNumberOfTrueValuesEPKhlEEPiiNS8_6detail34convert_binary_result_type_wrapperISt4plusIvESG_iEEEE10hipError_tPvRmT1_T2_T3_mT4_P12ihipStream_tbEUlT_E1_NS1_11comp_targetILNS1_3genE4ELNS1_11target_archE910ELNS1_3gpuE8ELNS1_3repE0EEENS1_30default_config_static_selectorELNS0_4arch9wavefront6targetE0EEEvSQ_.numbered_sgpr, 0
	.set _ZN7rocprim17ROCPRIM_400000_NS6detail17trampoline_kernelINS0_14default_configENS1_22reduce_config_selectorIiEEZNS1_11reduce_implILb1ES3_N6hipcub16HIPCUB_304000_NS22TransformInputIteratorIiN2at6native8internal21MapNumberOfTrueValuesEPKhlEEPiiNS8_6detail34convert_binary_result_type_wrapperISt4plusIvESG_iEEEE10hipError_tPvRmT1_T2_T3_mT4_P12ihipStream_tbEUlT_E1_NS1_11comp_targetILNS1_3genE4ELNS1_11target_archE910ELNS1_3gpuE8ELNS1_3repE0EEENS1_30default_config_static_selectorELNS0_4arch9wavefront6targetE0EEEvSQ_.num_named_barrier, 0
	.set _ZN7rocprim17ROCPRIM_400000_NS6detail17trampoline_kernelINS0_14default_configENS1_22reduce_config_selectorIiEEZNS1_11reduce_implILb1ES3_N6hipcub16HIPCUB_304000_NS22TransformInputIteratorIiN2at6native8internal21MapNumberOfTrueValuesEPKhlEEPiiNS8_6detail34convert_binary_result_type_wrapperISt4plusIvESG_iEEEE10hipError_tPvRmT1_T2_T3_mT4_P12ihipStream_tbEUlT_E1_NS1_11comp_targetILNS1_3genE4ELNS1_11target_archE910ELNS1_3gpuE8ELNS1_3repE0EEENS1_30default_config_static_selectorELNS0_4arch9wavefront6targetE0EEEvSQ_.private_seg_size, 0
	.set _ZN7rocprim17ROCPRIM_400000_NS6detail17trampoline_kernelINS0_14default_configENS1_22reduce_config_selectorIiEEZNS1_11reduce_implILb1ES3_N6hipcub16HIPCUB_304000_NS22TransformInputIteratorIiN2at6native8internal21MapNumberOfTrueValuesEPKhlEEPiiNS8_6detail34convert_binary_result_type_wrapperISt4plusIvESG_iEEEE10hipError_tPvRmT1_T2_T3_mT4_P12ihipStream_tbEUlT_E1_NS1_11comp_targetILNS1_3genE4ELNS1_11target_archE910ELNS1_3gpuE8ELNS1_3repE0EEENS1_30default_config_static_selectorELNS0_4arch9wavefront6targetE0EEEvSQ_.uses_vcc, 0
	.set _ZN7rocprim17ROCPRIM_400000_NS6detail17trampoline_kernelINS0_14default_configENS1_22reduce_config_selectorIiEEZNS1_11reduce_implILb1ES3_N6hipcub16HIPCUB_304000_NS22TransformInputIteratorIiN2at6native8internal21MapNumberOfTrueValuesEPKhlEEPiiNS8_6detail34convert_binary_result_type_wrapperISt4plusIvESG_iEEEE10hipError_tPvRmT1_T2_T3_mT4_P12ihipStream_tbEUlT_E1_NS1_11comp_targetILNS1_3genE4ELNS1_11target_archE910ELNS1_3gpuE8ELNS1_3repE0EEENS1_30default_config_static_selectorELNS0_4arch9wavefront6targetE0EEEvSQ_.uses_flat_scratch, 0
	.set _ZN7rocprim17ROCPRIM_400000_NS6detail17trampoline_kernelINS0_14default_configENS1_22reduce_config_selectorIiEEZNS1_11reduce_implILb1ES3_N6hipcub16HIPCUB_304000_NS22TransformInputIteratorIiN2at6native8internal21MapNumberOfTrueValuesEPKhlEEPiiNS8_6detail34convert_binary_result_type_wrapperISt4plusIvESG_iEEEE10hipError_tPvRmT1_T2_T3_mT4_P12ihipStream_tbEUlT_E1_NS1_11comp_targetILNS1_3genE4ELNS1_11target_archE910ELNS1_3gpuE8ELNS1_3repE0EEENS1_30default_config_static_selectorELNS0_4arch9wavefront6targetE0EEEvSQ_.has_dyn_sized_stack, 0
	.set _ZN7rocprim17ROCPRIM_400000_NS6detail17trampoline_kernelINS0_14default_configENS1_22reduce_config_selectorIiEEZNS1_11reduce_implILb1ES3_N6hipcub16HIPCUB_304000_NS22TransformInputIteratorIiN2at6native8internal21MapNumberOfTrueValuesEPKhlEEPiiNS8_6detail34convert_binary_result_type_wrapperISt4plusIvESG_iEEEE10hipError_tPvRmT1_T2_T3_mT4_P12ihipStream_tbEUlT_E1_NS1_11comp_targetILNS1_3genE4ELNS1_11target_archE910ELNS1_3gpuE8ELNS1_3repE0EEENS1_30default_config_static_selectorELNS0_4arch9wavefront6targetE0EEEvSQ_.has_recursion, 0
	.set _ZN7rocprim17ROCPRIM_400000_NS6detail17trampoline_kernelINS0_14default_configENS1_22reduce_config_selectorIiEEZNS1_11reduce_implILb1ES3_N6hipcub16HIPCUB_304000_NS22TransformInputIteratorIiN2at6native8internal21MapNumberOfTrueValuesEPKhlEEPiiNS8_6detail34convert_binary_result_type_wrapperISt4plusIvESG_iEEEE10hipError_tPvRmT1_T2_T3_mT4_P12ihipStream_tbEUlT_E1_NS1_11comp_targetILNS1_3genE4ELNS1_11target_archE910ELNS1_3gpuE8ELNS1_3repE0EEENS1_30default_config_static_selectorELNS0_4arch9wavefront6targetE0EEEvSQ_.has_indirect_call, 0
	.section	.AMDGPU.csdata,"",@progbits
; Kernel info:
; codeLenInByte = 0
; TotalNumSgprs: 0
; NumVgprs: 0
; ScratchSize: 0
; MemoryBound: 0
; FloatMode: 240
; IeeeMode: 1
; LDSByteSize: 0 bytes/workgroup (compile time only)
; SGPRBlocks: 0
; VGPRBlocks: 0
; NumSGPRsForWavesPerEU: 1
; NumVGPRsForWavesPerEU: 1
; NamedBarCnt: 0
; Occupancy: 16
; WaveLimiterHint : 0
; COMPUTE_PGM_RSRC2:SCRATCH_EN: 0
; COMPUTE_PGM_RSRC2:USER_SGPR: 2
; COMPUTE_PGM_RSRC2:TRAP_HANDLER: 0
; COMPUTE_PGM_RSRC2:TGID_X_EN: 1
; COMPUTE_PGM_RSRC2:TGID_Y_EN: 0
; COMPUTE_PGM_RSRC2:TGID_Z_EN: 0
; COMPUTE_PGM_RSRC2:TIDIG_COMP_CNT: 0
	.section	.text._ZN7rocprim17ROCPRIM_400000_NS6detail17trampoline_kernelINS0_14default_configENS1_22reduce_config_selectorIiEEZNS1_11reduce_implILb1ES3_N6hipcub16HIPCUB_304000_NS22TransformInputIteratorIiN2at6native8internal21MapNumberOfTrueValuesEPKhlEEPiiNS8_6detail34convert_binary_result_type_wrapperISt4plusIvESG_iEEEE10hipError_tPvRmT1_T2_T3_mT4_P12ihipStream_tbEUlT_E1_NS1_11comp_targetILNS1_3genE3ELNS1_11target_archE908ELNS1_3gpuE7ELNS1_3repE0EEENS1_30default_config_static_selectorELNS0_4arch9wavefront6targetE0EEEvSQ_,"axG",@progbits,_ZN7rocprim17ROCPRIM_400000_NS6detail17trampoline_kernelINS0_14default_configENS1_22reduce_config_selectorIiEEZNS1_11reduce_implILb1ES3_N6hipcub16HIPCUB_304000_NS22TransformInputIteratorIiN2at6native8internal21MapNumberOfTrueValuesEPKhlEEPiiNS8_6detail34convert_binary_result_type_wrapperISt4plusIvESG_iEEEE10hipError_tPvRmT1_T2_T3_mT4_P12ihipStream_tbEUlT_E1_NS1_11comp_targetILNS1_3genE3ELNS1_11target_archE908ELNS1_3gpuE7ELNS1_3repE0EEENS1_30default_config_static_selectorELNS0_4arch9wavefront6targetE0EEEvSQ_,comdat
	.protected	_ZN7rocprim17ROCPRIM_400000_NS6detail17trampoline_kernelINS0_14default_configENS1_22reduce_config_selectorIiEEZNS1_11reduce_implILb1ES3_N6hipcub16HIPCUB_304000_NS22TransformInputIteratorIiN2at6native8internal21MapNumberOfTrueValuesEPKhlEEPiiNS8_6detail34convert_binary_result_type_wrapperISt4plusIvESG_iEEEE10hipError_tPvRmT1_T2_T3_mT4_P12ihipStream_tbEUlT_E1_NS1_11comp_targetILNS1_3genE3ELNS1_11target_archE908ELNS1_3gpuE7ELNS1_3repE0EEENS1_30default_config_static_selectorELNS0_4arch9wavefront6targetE0EEEvSQ_ ; -- Begin function _ZN7rocprim17ROCPRIM_400000_NS6detail17trampoline_kernelINS0_14default_configENS1_22reduce_config_selectorIiEEZNS1_11reduce_implILb1ES3_N6hipcub16HIPCUB_304000_NS22TransformInputIteratorIiN2at6native8internal21MapNumberOfTrueValuesEPKhlEEPiiNS8_6detail34convert_binary_result_type_wrapperISt4plusIvESG_iEEEE10hipError_tPvRmT1_T2_T3_mT4_P12ihipStream_tbEUlT_E1_NS1_11comp_targetILNS1_3genE3ELNS1_11target_archE908ELNS1_3gpuE7ELNS1_3repE0EEENS1_30default_config_static_selectorELNS0_4arch9wavefront6targetE0EEEvSQ_
	.globl	_ZN7rocprim17ROCPRIM_400000_NS6detail17trampoline_kernelINS0_14default_configENS1_22reduce_config_selectorIiEEZNS1_11reduce_implILb1ES3_N6hipcub16HIPCUB_304000_NS22TransformInputIteratorIiN2at6native8internal21MapNumberOfTrueValuesEPKhlEEPiiNS8_6detail34convert_binary_result_type_wrapperISt4plusIvESG_iEEEE10hipError_tPvRmT1_T2_T3_mT4_P12ihipStream_tbEUlT_E1_NS1_11comp_targetILNS1_3genE3ELNS1_11target_archE908ELNS1_3gpuE7ELNS1_3repE0EEENS1_30default_config_static_selectorELNS0_4arch9wavefront6targetE0EEEvSQ_
	.p2align	8
	.type	_ZN7rocprim17ROCPRIM_400000_NS6detail17trampoline_kernelINS0_14default_configENS1_22reduce_config_selectorIiEEZNS1_11reduce_implILb1ES3_N6hipcub16HIPCUB_304000_NS22TransformInputIteratorIiN2at6native8internal21MapNumberOfTrueValuesEPKhlEEPiiNS8_6detail34convert_binary_result_type_wrapperISt4plusIvESG_iEEEE10hipError_tPvRmT1_T2_T3_mT4_P12ihipStream_tbEUlT_E1_NS1_11comp_targetILNS1_3genE3ELNS1_11target_archE908ELNS1_3gpuE7ELNS1_3repE0EEENS1_30default_config_static_selectorELNS0_4arch9wavefront6targetE0EEEvSQ_,@function
_ZN7rocprim17ROCPRIM_400000_NS6detail17trampoline_kernelINS0_14default_configENS1_22reduce_config_selectorIiEEZNS1_11reduce_implILb1ES3_N6hipcub16HIPCUB_304000_NS22TransformInputIteratorIiN2at6native8internal21MapNumberOfTrueValuesEPKhlEEPiiNS8_6detail34convert_binary_result_type_wrapperISt4plusIvESG_iEEEE10hipError_tPvRmT1_T2_T3_mT4_P12ihipStream_tbEUlT_E1_NS1_11comp_targetILNS1_3genE3ELNS1_11target_archE908ELNS1_3gpuE7ELNS1_3repE0EEENS1_30default_config_static_selectorELNS0_4arch9wavefront6targetE0EEEvSQ_: ; @_ZN7rocprim17ROCPRIM_400000_NS6detail17trampoline_kernelINS0_14default_configENS1_22reduce_config_selectorIiEEZNS1_11reduce_implILb1ES3_N6hipcub16HIPCUB_304000_NS22TransformInputIteratorIiN2at6native8internal21MapNumberOfTrueValuesEPKhlEEPiiNS8_6detail34convert_binary_result_type_wrapperISt4plusIvESG_iEEEE10hipError_tPvRmT1_T2_T3_mT4_P12ihipStream_tbEUlT_E1_NS1_11comp_targetILNS1_3genE3ELNS1_11target_archE908ELNS1_3gpuE7ELNS1_3repE0EEENS1_30default_config_static_selectorELNS0_4arch9wavefront6targetE0EEEvSQ_
; %bb.0:
	.section	.rodata,"a",@progbits
	.p2align	6, 0x0
	.amdhsa_kernel _ZN7rocprim17ROCPRIM_400000_NS6detail17trampoline_kernelINS0_14default_configENS1_22reduce_config_selectorIiEEZNS1_11reduce_implILb1ES3_N6hipcub16HIPCUB_304000_NS22TransformInputIteratorIiN2at6native8internal21MapNumberOfTrueValuesEPKhlEEPiiNS8_6detail34convert_binary_result_type_wrapperISt4plusIvESG_iEEEE10hipError_tPvRmT1_T2_T3_mT4_P12ihipStream_tbEUlT_E1_NS1_11comp_targetILNS1_3genE3ELNS1_11target_archE908ELNS1_3gpuE7ELNS1_3repE0EEENS1_30default_config_static_selectorELNS0_4arch9wavefront6targetE0EEEvSQ_
		.amdhsa_group_segment_fixed_size 0
		.amdhsa_private_segment_fixed_size 0
		.amdhsa_kernarg_size 48
		.amdhsa_user_sgpr_count 2
		.amdhsa_user_sgpr_dispatch_ptr 0
		.amdhsa_user_sgpr_queue_ptr 0
		.amdhsa_user_sgpr_kernarg_segment_ptr 1
		.amdhsa_user_sgpr_dispatch_id 0
		.amdhsa_user_sgpr_kernarg_preload_length 0
		.amdhsa_user_sgpr_kernarg_preload_offset 0
		.amdhsa_user_sgpr_private_segment_size 0
		.amdhsa_wavefront_size32 1
		.amdhsa_uses_dynamic_stack 0
		.amdhsa_enable_private_segment 0
		.amdhsa_system_sgpr_workgroup_id_x 1
		.amdhsa_system_sgpr_workgroup_id_y 0
		.amdhsa_system_sgpr_workgroup_id_z 0
		.amdhsa_system_sgpr_workgroup_info 0
		.amdhsa_system_vgpr_workitem_id 0
		.amdhsa_next_free_vgpr 1
		.amdhsa_next_free_sgpr 1
		.amdhsa_named_barrier_count 0
		.amdhsa_reserve_vcc 0
		.amdhsa_float_round_mode_32 0
		.amdhsa_float_round_mode_16_64 0
		.amdhsa_float_denorm_mode_32 3
		.amdhsa_float_denorm_mode_16_64 3
		.amdhsa_fp16_overflow 0
		.amdhsa_memory_ordered 1
		.amdhsa_forward_progress 1
		.amdhsa_inst_pref_size 0
		.amdhsa_round_robin_scheduling 0
		.amdhsa_exception_fp_ieee_invalid_op 0
		.amdhsa_exception_fp_denorm_src 0
		.amdhsa_exception_fp_ieee_div_zero 0
		.amdhsa_exception_fp_ieee_overflow 0
		.amdhsa_exception_fp_ieee_underflow 0
		.amdhsa_exception_fp_ieee_inexact 0
		.amdhsa_exception_int_div_zero 0
	.end_amdhsa_kernel
	.section	.text._ZN7rocprim17ROCPRIM_400000_NS6detail17trampoline_kernelINS0_14default_configENS1_22reduce_config_selectorIiEEZNS1_11reduce_implILb1ES3_N6hipcub16HIPCUB_304000_NS22TransformInputIteratorIiN2at6native8internal21MapNumberOfTrueValuesEPKhlEEPiiNS8_6detail34convert_binary_result_type_wrapperISt4plusIvESG_iEEEE10hipError_tPvRmT1_T2_T3_mT4_P12ihipStream_tbEUlT_E1_NS1_11comp_targetILNS1_3genE3ELNS1_11target_archE908ELNS1_3gpuE7ELNS1_3repE0EEENS1_30default_config_static_selectorELNS0_4arch9wavefront6targetE0EEEvSQ_,"axG",@progbits,_ZN7rocprim17ROCPRIM_400000_NS6detail17trampoline_kernelINS0_14default_configENS1_22reduce_config_selectorIiEEZNS1_11reduce_implILb1ES3_N6hipcub16HIPCUB_304000_NS22TransformInputIteratorIiN2at6native8internal21MapNumberOfTrueValuesEPKhlEEPiiNS8_6detail34convert_binary_result_type_wrapperISt4plusIvESG_iEEEE10hipError_tPvRmT1_T2_T3_mT4_P12ihipStream_tbEUlT_E1_NS1_11comp_targetILNS1_3genE3ELNS1_11target_archE908ELNS1_3gpuE7ELNS1_3repE0EEENS1_30default_config_static_selectorELNS0_4arch9wavefront6targetE0EEEvSQ_,comdat
.Lfunc_end127:
	.size	_ZN7rocprim17ROCPRIM_400000_NS6detail17trampoline_kernelINS0_14default_configENS1_22reduce_config_selectorIiEEZNS1_11reduce_implILb1ES3_N6hipcub16HIPCUB_304000_NS22TransformInputIteratorIiN2at6native8internal21MapNumberOfTrueValuesEPKhlEEPiiNS8_6detail34convert_binary_result_type_wrapperISt4plusIvESG_iEEEE10hipError_tPvRmT1_T2_T3_mT4_P12ihipStream_tbEUlT_E1_NS1_11comp_targetILNS1_3genE3ELNS1_11target_archE908ELNS1_3gpuE7ELNS1_3repE0EEENS1_30default_config_static_selectorELNS0_4arch9wavefront6targetE0EEEvSQ_, .Lfunc_end127-_ZN7rocprim17ROCPRIM_400000_NS6detail17trampoline_kernelINS0_14default_configENS1_22reduce_config_selectorIiEEZNS1_11reduce_implILb1ES3_N6hipcub16HIPCUB_304000_NS22TransformInputIteratorIiN2at6native8internal21MapNumberOfTrueValuesEPKhlEEPiiNS8_6detail34convert_binary_result_type_wrapperISt4plusIvESG_iEEEE10hipError_tPvRmT1_T2_T3_mT4_P12ihipStream_tbEUlT_E1_NS1_11comp_targetILNS1_3genE3ELNS1_11target_archE908ELNS1_3gpuE7ELNS1_3repE0EEENS1_30default_config_static_selectorELNS0_4arch9wavefront6targetE0EEEvSQ_
                                        ; -- End function
	.set _ZN7rocprim17ROCPRIM_400000_NS6detail17trampoline_kernelINS0_14default_configENS1_22reduce_config_selectorIiEEZNS1_11reduce_implILb1ES3_N6hipcub16HIPCUB_304000_NS22TransformInputIteratorIiN2at6native8internal21MapNumberOfTrueValuesEPKhlEEPiiNS8_6detail34convert_binary_result_type_wrapperISt4plusIvESG_iEEEE10hipError_tPvRmT1_T2_T3_mT4_P12ihipStream_tbEUlT_E1_NS1_11comp_targetILNS1_3genE3ELNS1_11target_archE908ELNS1_3gpuE7ELNS1_3repE0EEENS1_30default_config_static_selectorELNS0_4arch9wavefront6targetE0EEEvSQ_.num_vgpr, 0
	.set _ZN7rocprim17ROCPRIM_400000_NS6detail17trampoline_kernelINS0_14default_configENS1_22reduce_config_selectorIiEEZNS1_11reduce_implILb1ES3_N6hipcub16HIPCUB_304000_NS22TransformInputIteratorIiN2at6native8internal21MapNumberOfTrueValuesEPKhlEEPiiNS8_6detail34convert_binary_result_type_wrapperISt4plusIvESG_iEEEE10hipError_tPvRmT1_T2_T3_mT4_P12ihipStream_tbEUlT_E1_NS1_11comp_targetILNS1_3genE3ELNS1_11target_archE908ELNS1_3gpuE7ELNS1_3repE0EEENS1_30default_config_static_selectorELNS0_4arch9wavefront6targetE0EEEvSQ_.num_agpr, 0
	.set _ZN7rocprim17ROCPRIM_400000_NS6detail17trampoline_kernelINS0_14default_configENS1_22reduce_config_selectorIiEEZNS1_11reduce_implILb1ES3_N6hipcub16HIPCUB_304000_NS22TransformInputIteratorIiN2at6native8internal21MapNumberOfTrueValuesEPKhlEEPiiNS8_6detail34convert_binary_result_type_wrapperISt4plusIvESG_iEEEE10hipError_tPvRmT1_T2_T3_mT4_P12ihipStream_tbEUlT_E1_NS1_11comp_targetILNS1_3genE3ELNS1_11target_archE908ELNS1_3gpuE7ELNS1_3repE0EEENS1_30default_config_static_selectorELNS0_4arch9wavefront6targetE0EEEvSQ_.numbered_sgpr, 0
	.set _ZN7rocprim17ROCPRIM_400000_NS6detail17trampoline_kernelINS0_14default_configENS1_22reduce_config_selectorIiEEZNS1_11reduce_implILb1ES3_N6hipcub16HIPCUB_304000_NS22TransformInputIteratorIiN2at6native8internal21MapNumberOfTrueValuesEPKhlEEPiiNS8_6detail34convert_binary_result_type_wrapperISt4plusIvESG_iEEEE10hipError_tPvRmT1_T2_T3_mT4_P12ihipStream_tbEUlT_E1_NS1_11comp_targetILNS1_3genE3ELNS1_11target_archE908ELNS1_3gpuE7ELNS1_3repE0EEENS1_30default_config_static_selectorELNS0_4arch9wavefront6targetE0EEEvSQ_.num_named_barrier, 0
	.set _ZN7rocprim17ROCPRIM_400000_NS6detail17trampoline_kernelINS0_14default_configENS1_22reduce_config_selectorIiEEZNS1_11reduce_implILb1ES3_N6hipcub16HIPCUB_304000_NS22TransformInputIteratorIiN2at6native8internal21MapNumberOfTrueValuesEPKhlEEPiiNS8_6detail34convert_binary_result_type_wrapperISt4plusIvESG_iEEEE10hipError_tPvRmT1_T2_T3_mT4_P12ihipStream_tbEUlT_E1_NS1_11comp_targetILNS1_3genE3ELNS1_11target_archE908ELNS1_3gpuE7ELNS1_3repE0EEENS1_30default_config_static_selectorELNS0_4arch9wavefront6targetE0EEEvSQ_.private_seg_size, 0
	.set _ZN7rocprim17ROCPRIM_400000_NS6detail17trampoline_kernelINS0_14default_configENS1_22reduce_config_selectorIiEEZNS1_11reduce_implILb1ES3_N6hipcub16HIPCUB_304000_NS22TransformInputIteratorIiN2at6native8internal21MapNumberOfTrueValuesEPKhlEEPiiNS8_6detail34convert_binary_result_type_wrapperISt4plusIvESG_iEEEE10hipError_tPvRmT1_T2_T3_mT4_P12ihipStream_tbEUlT_E1_NS1_11comp_targetILNS1_3genE3ELNS1_11target_archE908ELNS1_3gpuE7ELNS1_3repE0EEENS1_30default_config_static_selectorELNS0_4arch9wavefront6targetE0EEEvSQ_.uses_vcc, 0
	.set _ZN7rocprim17ROCPRIM_400000_NS6detail17trampoline_kernelINS0_14default_configENS1_22reduce_config_selectorIiEEZNS1_11reduce_implILb1ES3_N6hipcub16HIPCUB_304000_NS22TransformInputIteratorIiN2at6native8internal21MapNumberOfTrueValuesEPKhlEEPiiNS8_6detail34convert_binary_result_type_wrapperISt4plusIvESG_iEEEE10hipError_tPvRmT1_T2_T3_mT4_P12ihipStream_tbEUlT_E1_NS1_11comp_targetILNS1_3genE3ELNS1_11target_archE908ELNS1_3gpuE7ELNS1_3repE0EEENS1_30default_config_static_selectorELNS0_4arch9wavefront6targetE0EEEvSQ_.uses_flat_scratch, 0
	.set _ZN7rocprim17ROCPRIM_400000_NS6detail17trampoline_kernelINS0_14default_configENS1_22reduce_config_selectorIiEEZNS1_11reduce_implILb1ES3_N6hipcub16HIPCUB_304000_NS22TransformInputIteratorIiN2at6native8internal21MapNumberOfTrueValuesEPKhlEEPiiNS8_6detail34convert_binary_result_type_wrapperISt4plusIvESG_iEEEE10hipError_tPvRmT1_T2_T3_mT4_P12ihipStream_tbEUlT_E1_NS1_11comp_targetILNS1_3genE3ELNS1_11target_archE908ELNS1_3gpuE7ELNS1_3repE0EEENS1_30default_config_static_selectorELNS0_4arch9wavefront6targetE0EEEvSQ_.has_dyn_sized_stack, 0
	.set _ZN7rocprim17ROCPRIM_400000_NS6detail17trampoline_kernelINS0_14default_configENS1_22reduce_config_selectorIiEEZNS1_11reduce_implILb1ES3_N6hipcub16HIPCUB_304000_NS22TransformInputIteratorIiN2at6native8internal21MapNumberOfTrueValuesEPKhlEEPiiNS8_6detail34convert_binary_result_type_wrapperISt4plusIvESG_iEEEE10hipError_tPvRmT1_T2_T3_mT4_P12ihipStream_tbEUlT_E1_NS1_11comp_targetILNS1_3genE3ELNS1_11target_archE908ELNS1_3gpuE7ELNS1_3repE0EEENS1_30default_config_static_selectorELNS0_4arch9wavefront6targetE0EEEvSQ_.has_recursion, 0
	.set _ZN7rocprim17ROCPRIM_400000_NS6detail17trampoline_kernelINS0_14default_configENS1_22reduce_config_selectorIiEEZNS1_11reduce_implILb1ES3_N6hipcub16HIPCUB_304000_NS22TransformInputIteratorIiN2at6native8internal21MapNumberOfTrueValuesEPKhlEEPiiNS8_6detail34convert_binary_result_type_wrapperISt4plusIvESG_iEEEE10hipError_tPvRmT1_T2_T3_mT4_P12ihipStream_tbEUlT_E1_NS1_11comp_targetILNS1_3genE3ELNS1_11target_archE908ELNS1_3gpuE7ELNS1_3repE0EEENS1_30default_config_static_selectorELNS0_4arch9wavefront6targetE0EEEvSQ_.has_indirect_call, 0
	.section	.AMDGPU.csdata,"",@progbits
; Kernel info:
; codeLenInByte = 0
; TotalNumSgprs: 0
; NumVgprs: 0
; ScratchSize: 0
; MemoryBound: 0
; FloatMode: 240
; IeeeMode: 1
; LDSByteSize: 0 bytes/workgroup (compile time only)
; SGPRBlocks: 0
; VGPRBlocks: 0
; NumSGPRsForWavesPerEU: 1
; NumVGPRsForWavesPerEU: 1
; NamedBarCnt: 0
; Occupancy: 16
; WaveLimiterHint : 0
; COMPUTE_PGM_RSRC2:SCRATCH_EN: 0
; COMPUTE_PGM_RSRC2:USER_SGPR: 2
; COMPUTE_PGM_RSRC2:TRAP_HANDLER: 0
; COMPUTE_PGM_RSRC2:TGID_X_EN: 1
; COMPUTE_PGM_RSRC2:TGID_Y_EN: 0
; COMPUTE_PGM_RSRC2:TGID_Z_EN: 0
; COMPUTE_PGM_RSRC2:TIDIG_COMP_CNT: 0
	.section	.text._ZN7rocprim17ROCPRIM_400000_NS6detail17trampoline_kernelINS0_14default_configENS1_22reduce_config_selectorIiEEZNS1_11reduce_implILb1ES3_N6hipcub16HIPCUB_304000_NS22TransformInputIteratorIiN2at6native8internal21MapNumberOfTrueValuesEPKhlEEPiiNS8_6detail34convert_binary_result_type_wrapperISt4plusIvESG_iEEEE10hipError_tPvRmT1_T2_T3_mT4_P12ihipStream_tbEUlT_E1_NS1_11comp_targetILNS1_3genE2ELNS1_11target_archE906ELNS1_3gpuE6ELNS1_3repE0EEENS1_30default_config_static_selectorELNS0_4arch9wavefront6targetE0EEEvSQ_,"axG",@progbits,_ZN7rocprim17ROCPRIM_400000_NS6detail17trampoline_kernelINS0_14default_configENS1_22reduce_config_selectorIiEEZNS1_11reduce_implILb1ES3_N6hipcub16HIPCUB_304000_NS22TransformInputIteratorIiN2at6native8internal21MapNumberOfTrueValuesEPKhlEEPiiNS8_6detail34convert_binary_result_type_wrapperISt4plusIvESG_iEEEE10hipError_tPvRmT1_T2_T3_mT4_P12ihipStream_tbEUlT_E1_NS1_11comp_targetILNS1_3genE2ELNS1_11target_archE906ELNS1_3gpuE6ELNS1_3repE0EEENS1_30default_config_static_selectorELNS0_4arch9wavefront6targetE0EEEvSQ_,comdat
	.protected	_ZN7rocprim17ROCPRIM_400000_NS6detail17trampoline_kernelINS0_14default_configENS1_22reduce_config_selectorIiEEZNS1_11reduce_implILb1ES3_N6hipcub16HIPCUB_304000_NS22TransformInputIteratorIiN2at6native8internal21MapNumberOfTrueValuesEPKhlEEPiiNS8_6detail34convert_binary_result_type_wrapperISt4plusIvESG_iEEEE10hipError_tPvRmT1_T2_T3_mT4_P12ihipStream_tbEUlT_E1_NS1_11comp_targetILNS1_3genE2ELNS1_11target_archE906ELNS1_3gpuE6ELNS1_3repE0EEENS1_30default_config_static_selectorELNS0_4arch9wavefront6targetE0EEEvSQ_ ; -- Begin function _ZN7rocprim17ROCPRIM_400000_NS6detail17trampoline_kernelINS0_14default_configENS1_22reduce_config_selectorIiEEZNS1_11reduce_implILb1ES3_N6hipcub16HIPCUB_304000_NS22TransformInputIteratorIiN2at6native8internal21MapNumberOfTrueValuesEPKhlEEPiiNS8_6detail34convert_binary_result_type_wrapperISt4plusIvESG_iEEEE10hipError_tPvRmT1_T2_T3_mT4_P12ihipStream_tbEUlT_E1_NS1_11comp_targetILNS1_3genE2ELNS1_11target_archE906ELNS1_3gpuE6ELNS1_3repE0EEENS1_30default_config_static_selectorELNS0_4arch9wavefront6targetE0EEEvSQ_
	.globl	_ZN7rocprim17ROCPRIM_400000_NS6detail17trampoline_kernelINS0_14default_configENS1_22reduce_config_selectorIiEEZNS1_11reduce_implILb1ES3_N6hipcub16HIPCUB_304000_NS22TransformInputIteratorIiN2at6native8internal21MapNumberOfTrueValuesEPKhlEEPiiNS8_6detail34convert_binary_result_type_wrapperISt4plusIvESG_iEEEE10hipError_tPvRmT1_T2_T3_mT4_P12ihipStream_tbEUlT_E1_NS1_11comp_targetILNS1_3genE2ELNS1_11target_archE906ELNS1_3gpuE6ELNS1_3repE0EEENS1_30default_config_static_selectorELNS0_4arch9wavefront6targetE0EEEvSQ_
	.p2align	8
	.type	_ZN7rocprim17ROCPRIM_400000_NS6detail17trampoline_kernelINS0_14default_configENS1_22reduce_config_selectorIiEEZNS1_11reduce_implILb1ES3_N6hipcub16HIPCUB_304000_NS22TransformInputIteratorIiN2at6native8internal21MapNumberOfTrueValuesEPKhlEEPiiNS8_6detail34convert_binary_result_type_wrapperISt4plusIvESG_iEEEE10hipError_tPvRmT1_T2_T3_mT4_P12ihipStream_tbEUlT_E1_NS1_11comp_targetILNS1_3genE2ELNS1_11target_archE906ELNS1_3gpuE6ELNS1_3repE0EEENS1_30default_config_static_selectorELNS0_4arch9wavefront6targetE0EEEvSQ_,@function
_ZN7rocprim17ROCPRIM_400000_NS6detail17trampoline_kernelINS0_14default_configENS1_22reduce_config_selectorIiEEZNS1_11reduce_implILb1ES3_N6hipcub16HIPCUB_304000_NS22TransformInputIteratorIiN2at6native8internal21MapNumberOfTrueValuesEPKhlEEPiiNS8_6detail34convert_binary_result_type_wrapperISt4plusIvESG_iEEEE10hipError_tPvRmT1_T2_T3_mT4_P12ihipStream_tbEUlT_E1_NS1_11comp_targetILNS1_3genE2ELNS1_11target_archE906ELNS1_3gpuE6ELNS1_3repE0EEENS1_30default_config_static_selectorELNS0_4arch9wavefront6targetE0EEEvSQ_: ; @_ZN7rocprim17ROCPRIM_400000_NS6detail17trampoline_kernelINS0_14default_configENS1_22reduce_config_selectorIiEEZNS1_11reduce_implILb1ES3_N6hipcub16HIPCUB_304000_NS22TransformInputIteratorIiN2at6native8internal21MapNumberOfTrueValuesEPKhlEEPiiNS8_6detail34convert_binary_result_type_wrapperISt4plusIvESG_iEEEE10hipError_tPvRmT1_T2_T3_mT4_P12ihipStream_tbEUlT_E1_NS1_11comp_targetILNS1_3genE2ELNS1_11target_archE906ELNS1_3gpuE6ELNS1_3repE0EEENS1_30default_config_static_selectorELNS0_4arch9wavefront6targetE0EEEvSQ_
; %bb.0:
	.section	.rodata,"a",@progbits
	.p2align	6, 0x0
	.amdhsa_kernel _ZN7rocprim17ROCPRIM_400000_NS6detail17trampoline_kernelINS0_14default_configENS1_22reduce_config_selectorIiEEZNS1_11reduce_implILb1ES3_N6hipcub16HIPCUB_304000_NS22TransformInputIteratorIiN2at6native8internal21MapNumberOfTrueValuesEPKhlEEPiiNS8_6detail34convert_binary_result_type_wrapperISt4plusIvESG_iEEEE10hipError_tPvRmT1_T2_T3_mT4_P12ihipStream_tbEUlT_E1_NS1_11comp_targetILNS1_3genE2ELNS1_11target_archE906ELNS1_3gpuE6ELNS1_3repE0EEENS1_30default_config_static_selectorELNS0_4arch9wavefront6targetE0EEEvSQ_
		.amdhsa_group_segment_fixed_size 0
		.amdhsa_private_segment_fixed_size 0
		.amdhsa_kernarg_size 48
		.amdhsa_user_sgpr_count 2
		.amdhsa_user_sgpr_dispatch_ptr 0
		.amdhsa_user_sgpr_queue_ptr 0
		.amdhsa_user_sgpr_kernarg_segment_ptr 1
		.amdhsa_user_sgpr_dispatch_id 0
		.amdhsa_user_sgpr_kernarg_preload_length 0
		.amdhsa_user_sgpr_kernarg_preload_offset 0
		.amdhsa_user_sgpr_private_segment_size 0
		.amdhsa_wavefront_size32 1
		.amdhsa_uses_dynamic_stack 0
		.amdhsa_enable_private_segment 0
		.amdhsa_system_sgpr_workgroup_id_x 1
		.amdhsa_system_sgpr_workgroup_id_y 0
		.amdhsa_system_sgpr_workgroup_id_z 0
		.amdhsa_system_sgpr_workgroup_info 0
		.amdhsa_system_vgpr_workitem_id 0
		.amdhsa_next_free_vgpr 1
		.amdhsa_next_free_sgpr 1
		.amdhsa_named_barrier_count 0
		.amdhsa_reserve_vcc 0
		.amdhsa_float_round_mode_32 0
		.amdhsa_float_round_mode_16_64 0
		.amdhsa_float_denorm_mode_32 3
		.amdhsa_float_denorm_mode_16_64 3
		.amdhsa_fp16_overflow 0
		.amdhsa_memory_ordered 1
		.amdhsa_forward_progress 1
		.amdhsa_inst_pref_size 0
		.amdhsa_round_robin_scheduling 0
		.amdhsa_exception_fp_ieee_invalid_op 0
		.amdhsa_exception_fp_denorm_src 0
		.amdhsa_exception_fp_ieee_div_zero 0
		.amdhsa_exception_fp_ieee_overflow 0
		.amdhsa_exception_fp_ieee_underflow 0
		.amdhsa_exception_fp_ieee_inexact 0
		.amdhsa_exception_int_div_zero 0
	.end_amdhsa_kernel
	.section	.text._ZN7rocprim17ROCPRIM_400000_NS6detail17trampoline_kernelINS0_14default_configENS1_22reduce_config_selectorIiEEZNS1_11reduce_implILb1ES3_N6hipcub16HIPCUB_304000_NS22TransformInputIteratorIiN2at6native8internal21MapNumberOfTrueValuesEPKhlEEPiiNS8_6detail34convert_binary_result_type_wrapperISt4plusIvESG_iEEEE10hipError_tPvRmT1_T2_T3_mT4_P12ihipStream_tbEUlT_E1_NS1_11comp_targetILNS1_3genE2ELNS1_11target_archE906ELNS1_3gpuE6ELNS1_3repE0EEENS1_30default_config_static_selectorELNS0_4arch9wavefront6targetE0EEEvSQ_,"axG",@progbits,_ZN7rocprim17ROCPRIM_400000_NS6detail17trampoline_kernelINS0_14default_configENS1_22reduce_config_selectorIiEEZNS1_11reduce_implILb1ES3_N6hipcub16HIPCUB_304000_NS22TransformInputIteratorIiN2at6native8internal21MapNumberOfTrueValuesEPKhlEEPiiNS8_6detail34convert_binary_result_type_wrapperISt4plusIvESG_iEEEE10hipError_tPvRmT1_T2_T3_mT4_P12ihipStream_tbEUlT_E1_NS1_11comp_targetILNS1_3genE2ELNS1_11target_archE906ELNS1_3gpuE6ELNS1_3repE0EEENS1_30default_config_static_selectorELNS0_4arch9wavefront6targetE0EEEvSQ_,comdat
.Lfunc_end128:
	.size	_ZN7rocprim17ROCPRIM_400000_NS6detail17trampoline_kernelINS0_14default_configENS1_22reduce_config_selectorIiEEZNS1_11reduce_implILb1ES3_N6hipcub16HIPCUB_304000_NS22TransformInputIteratorIiN2at6native8internal21MapNumberOfTrueValuesEPKhlEEPiiNS8_6detail34convert_binary_result_type_wrapperISt4plusIvESG_iEEEE10hipError_tPvRmT1_T2_T3_mT4_P12ihipStream_tbEUlT_E1_NS1_11comp_targetILNS1_3genE2ELNS1_11target_archE906ELNS1_3gpuE6ELNS1_3repE0EEENS1_30default_config_static_selectorELNS0_4arch9wavefront6targetE0EEEvSQ_, .Lfunc_end128-_ZN7rocprim17ROCPRIM_400000_NS6detail17trampoline_kernelINS0_14default_configENS1_22reduce_config_selectorIiEEZNS1_11reduce_implILb1ES3_N6hipcub16HIPCUB_304000_NS22TransformInputIteratorIiN2at6native8internal21MapNumberOfTrueValuesEPKhlEEPiiNS8_6detail34convert_binary_result_type_wrapperISt4plusIvESG_iEEEE10hipError_tPvRmT1_T2_T3_mT4_P12ihipStream_tbEUlT_E1_NS1_11comp_targetILNS1_3genE2ELNS1_11target_archE906ELNS1_3gpuE6ELNS1_3repE0EEENS1_30default_config_static_selectorELNS0_4arch9wavefront6targetE0EEEvSQ_
                                        ; -- End function
	.set _ZN7rocprim17ROCPRIM_400000_NS6detail17trampoline_kernelINS0_14default_configENS1_22reduce_config_selectorIiEEZNS1_11reduce_implILb1ES3_N6hipcub16HIPCUB_304000_NS22TransformInputIteratorIiN2at6native8internal21MapNumberOfTrueValuesEPKhlEEPiiNS8_6detail34convert_binary_result_type_wrapperISt4plusIvESG_iEEEE10hipError_tPvRmT1_T2_T3_mT4_P12ihipStream_tbEUlT_E1_NS1_11comp_targetILNS1_3genE2ELNS1_11target_archE906ELNS1_3gpuE6ELNS1_3repE0EEENS1_30default_config_static_selectorELNS0_4arch9wavefront6targetE0EEEvSQ_.num_vgpr, 0
	.set _ZN7rocprim17ROCPRIM_400000_NS6detail17trampoline_kernelINS0_14default_configENS1_22reduce_config_selectorIiEEZNS1_11reduce_implILb1ES3_N6hipcub16HIPCUB_304000_NS22TransformInputIteratorIiN2at6native8internal21MapNumberOfTrueValuesEPKhlEEPiiNS8_6detail34convert_binary_result_type_wrapperISt4plusIvESG_iEEEE10hipError_tPvRmT1_T2_T3_mT4_P12ihipStream_tbEUlT_E1_NS1_11comp_targetILNS1_3genE2ELNS1_11target_archE906ELNS1_3gpuE6ELNS1_3repE0EEENS1_30default_config_static_selectorELNS0_4arch9wavefront6targetE0EEEvSQ_.num_agpr, 0
	.set _ZN7rocprim17ROCPRIM_400000_NS6detail17trampoline_kernelINS0_14default_configENS1_22reduce_config_selectorIiEEZNS1_11reduce_implILb1ES3_N6hipcub16HIPCUB_304000_NS22TransformInputIteratorIiN2at6native8internal21MapNumberOfTrueValuesEPKhlEEPiiNS8_6detail34convert_binary_result_type_wrapperISt4plusIvESG_iEEEE10hipError_tPvRmT1_T2_T3_mT4_P12ihipStream_tbEUlT_E1_NS1_11comp_targetILNS1_3genE2ELNS1_11target_archE906ELNS1_3gpuE6ELNS1_3repE0EEENS1_30default_config_static_selectorELNS0_4arch9wavefront6targetE0EEEvSQ_.numbered_sgpr, 0
	.set _ZN7rocprim17ROCPRIM_400000_NS6detail17trampoline_kernelINS0_14default_configENS1_22reduce_config_selectorIiEEZNS1_11reduce_implILb1ES3_N6hipcub16HIPCUB_304000_NS22TransformInputIteratorIiN2at6native8internal21MapNumberOfTrueValuesEPKhlEEPiiNS8_6detail34convert_binary_result_type_wrapperISt4plusIvESG_iEEEE10hipError_tPvRmT1_T2_T3_mT4_P12ihipStream_tbEUlT_E1_NS1_11comp_targetILNS1_3genE2ELNS1_11target_archE906ELNS1_3gpuE6ELNS1_3repE0EEENS1_30default_config_static_selectorELNS0_4arch9wavefront6targetE0EEEvSQ_.num_named_barrier, 0
	.set _ZN7rocprim17ROCPRIM_400000_NS6detail17trampoline_kernelINS0_14default_configENS1_22reduce_config_selectorIiEEZNS1_11reduce_implILb1ES3_N6hipcub16HIPCUB_304000_NS22TransformInputIteratorIiN2at6native8internal21MapNumberOfTrueValuesEPKhlEEPiiNS8_6detail34convert_binary_result_type_wrapperISt4plusIvESG_iEEEE10hipError_tPvRmT1_T2_T3_mT4_P12ihipStream_tbEUlT_E1_NS1_11comp_targetILNS1_3genE2ELNS1_11target_archE906ELNS1_3gpuE6ELNS1_3repE0EEENS1_30default_config_static_selectorELNS0_4arch9wavefront6targetE0EEEvSQ_.private_seg_size, 0
	.set _ZN7rocprim17ROCPRIM_400000_NS6detail17trampoline_kernelINS0_14default_configENS1_22reduce_config_selectorIiEEZNS1_11reduce_implILb1ES3_N6hipcub16HIPCUB_304000_NS22TransformInputIteratorIiN2at6native8internal21MapNumberOfTrueValuesEPKhlEEPiiNS8_6detail34convert_binary_result_type_wrapperISt4plusIvESG_iEEEE10hipError_tPvRmT1_T2_T3_mT4_P12ihipStream_tbEUlT_E1_NS1_11comp_targetILNS1_3genE2ELNS1_11target_archE906ELNS1_3gpuE6ELNS1_3repE0EEENS1_30default_config_static_selectorELNS0_4arch9wavefront6targetE0EEEvSQ_.uses_vcc, 0
	.set _ZN7rocprim17ROCPRIM_400000_NS6detail17trampoline_kernelINS0_14default_configENS1_22reduce_config_selectorIiEEZNS1_11reduce_implILb1ES3_N6hipcub16HIPCUB_304000_NS22TransformInputIteratorIiN2at6native8internal21MapNumberOfTrueValuesEPKhlEEPiiNS8_6detail34convert_binary_result_type_wrapperISt4plusIvESG_iEEEE10hipError_tPvRmT1_T2_T3_mT4_P12ihipStream_tbEUlT_E1_NS1_11comp_targetILNS1_3genE2ELNS1_11target_archE906ELNS1_3gpuE6ELNS1_3repE0EEENS1_30default_config_static_selectorELNS0_4arch9wavefront6targetE0EEEvSQ_.uses_flat_scratch, 0
	.set _ZN7rocprim17ROCPRIM_400000_NS6detail17trampoline_kernelINS0_14default_configENS1_22reduce_config_selectorIiEEZNS1_11reduce_implILb1ES3_N6hipcub16HIPCUB_304000_NS22TransformInputIteratorIiN2at6native8internal21MapNumberOfTrueValuesEPKhlEEPiiNS8_6detail34convert_binary_result_type_wrapperISt4plusIvESG_iEEEE10hipError_tPvRmT1_T2_T3_mT4_P12ihipStream_tbEUlT_E1_NS1_11comp_targetILNS1_3genE2ELNS1_11target_archE906ELNS1_3gpuE6ELNS1_3repE0EEENS1_30default_config_static_selectorELNS0_4arch9wavefront6targetE0EEEvSQ_.has_dyn_sized_stack, 0
	.set _ZN7rocprim17ROCPRIM_400000_NS6detail17trampoline_kernelINS0_14default_configENS1_22reduce_config_selectorIiEEZNS1_11reduce_implILb1ES3_N6hipcub16HIPCUB_304000_NS22TransformInputIteratorIiN2at6native8internal21MapNumberOfTrueValuesEPKhlEEPiiNS8_6detail34convert_binary_result_type_wrapperISt4plusIvESG_iEEEE10hipError_tPvRmT1_T2_T3_mT4_P12ihipStream_tbEUlT_E1_NS1_11comp_targetILNS1_3genE2ELNS1_11target_archE906ELNS1_3gpuE6ELNS1_3repE0EEENS1_30default_config_static_selectorELNS0_4arch9wavefront6targetE0EEEvSQ_.has_recursion, 0
	.set _ZN7rocprim17ROCPRIM_400000_NS6detail17trampoline_kernelINS0_14default_configENS1_22reduce_config_selectorIiEEZNS1_11reduce_implILb1ES3_N6hipcub16HIPCUB_304000_NS22TransformInputIteratorIiN2at6native8internal21MapNumberOfTrueValuesEPKhlEEPiiNS8_6detail34convert_binary_result_type_wrapperISt4plusIvESG_iEEEE10hipError_tPvRmT1_T2_T3_mT4_P12ihipStream_tbEUlT_E1_NS1_11comp_targetILNS1_3genE2ELNS1_11target_archE906ELNS1_3gpuE6ELNS1_3repE0EEENS1_30default_config_static_selectorELNS0_4arch9wavefront6targetE0EEEvSQ_.has_indirect_call, 0
	.section	.AMDGPU.csdata,"",@progbits
; Kernel info:
; codeLenInByte = 0
; TotalNumSgprs: 0
; NumVgprs: 0
; ScratchSize: 0
; MemoryBound: 0
; FloatMode: 240
; IeeeMode: 1
; LDSByteSize: 0 bytes/workgroup (compile time only)
; SGPRBlocks: 0
; VGPRBlocks: 0
; NumSGPRsForWavesPerEU: 1
; NumVGPRsForWavesPerEU: 1
; NamedBarCnt: 0
; Occupancy: 16
; WaveLimiterHint : 0
; COMPUTE_PGM_RSRC2:SCRATCH_EN: 0
; COMPUTE_PGM_RSRC2:USER_SGPR: 2
; COMPUTE_PGM_RSRC2:TRAP_HANDLER: 0
; COMPUTE_PGM_RSRC2:TGID_X_EN: 1
; COMPUTE_PGM_RSRC2:TGID_Y_EN: 0
; COMPUTE_PGM_RSRC2:TGID_Z_EN: 0
; COMPUTE_PGM_RSRC2:TIDIG_COMP_CNT: 0
	.section	.text._ZN7rocprim17ROCPRIM_400000_NS6detail17trampoline_kernelINS0_14default_configENS1_22reduce_config_selectorIiEEZNS1_11reduce_implILb1ES3_N6hipcub16HIPCUB_304000_NS22TransformInputIteratorIiN2at6native8internal21MapNumberOfTrueValuesEPKhlEEPiiNS8_6detail34convert_binary_result_type_wrapperISt4plusIvESG_iEEEE10hipError_tPvRmT1_T2_T3_mT4_P12ihipStream_tbEUlT_E1_NS1_11comp_targetILNS1_3genE10ELNS1_11target_archE1201ELNS1_3gpuE5ELNS1_3repE0EEENS1_30default_config_static_selectorELNS0_4arch9wavefront6targetE0EEEvSQ_,"axG",@progbits,_ZN7rocprim17ROCPRIM_400000_NS6detail17trampoline_kernelINS0_14default_configENS1_22reduce_config_selectorIiEEZNS1_11reduce_implILb1ES3_N6hipcub16HIPCUB_304000_NS22TransformInputIteratorIiN2at6native8internal21MapNumberOfTrueValuesEPKhlEEPiiNS8_6detail34convert_binary_result_type_wrapperISt4plusIvESG_iEEEE10hipError_tPvRmT1_T2_T3_mT4_P12ihipStream_tbEUlT_E1_NS1_11comp_targetILNS1_3genE10ELNS1_11target_archE1201ELNS1_3gpuE5ELNS1_3repE0EEENS1_30default_config_static_selectorELNS0_4arch9wavefront6targetE0EEEvSQ_,comdat
	.protected	_ZN7rocprim17ROCPRIM_400000_NS6detail17trampoline_kernelINS0_14default_configENS1_22reduce_config_selectorIiEEZNS1_11reduce_implILb1ES3_N6hipcub16HIPCUB_304000_NS22TransformInputIteratorIiN2at6native8internal21MapNumberOfTrueValuesEPKhlEEPiiNS8_6detail34convert_binary_result_type_wrapperISt4plusIvESG_iEEEE10hipError_tPvRmT1_T2_T3_mT4_P12ihipStream_tbEUlT_E1_NS1_11comp_targetILNS1_3genE10ELNS1_11target_archE1201ELNS1_3gpuE5ELNS1_3repE0EEENS1_30default_config_static_selectorELNS0_4arch9wavefront6targetE0EEEvSQ_ ; -- Begin function _ZN7rocprim17ROCPRIM_400000_NS6detail17trampoline_kernelINS0_14default_configENS1_22reduce_config_selectorIiEEZNS1_11reduce_implILb1ES3_N6hipcub16HIPCUB_304000_NS22TransformInputIteratorIiN2at6native8internal21MapNumberOfTrueValuesEPKhlEEPiiNS8_6detail34convert_binary_result_type_wrapperISt4plusIvESG_iEEEE10hipError_tPvRmT1_T2_T3_mT4_P12ihipStream_tbEUlT_E1_NS1_11comp_targetILNS1_3genE10ELNS1_11target_archE1201ELNS1_3gpuE5ELNS1_3repE0EEENS1_30default_config_static_selectorELNS0_4arch9wavefront6targetE0EEEvSQ_
	.globl	_ZN7rocprim17ROCPRIM_400000_NS6detail17trampoline_kernelINS0_14default_configENS1_22reduce_config_selectorIiEEZNS1_11reduce_implILb1ES3_N6hipcub16HIPCUB_304000_NS22TransformInputIteratorIiN2at6native8internal21MapNumberOfTrueValuesEPKhlEEPiiNS8_6detail34convert_binary_result_type_wrapperISt4plusIvESG_iEEEE10hipError_tPvRmT1_T2_T3_mT4_P12ihipStream_tbEUlT_E1_NS1_11comp_targetILNS1_3genE10ELNS1_11target_archE1201ELNS1_3gpuE5ELNS1_3repE0EEENS1_30default_config_static_selectorELNS0_4arch9wavefront6targetE0EEEvSQ_
	.p2align	8
	.type	_ZN7rocprim17ROCPRIM_400000_NS6detail17trampoline_kernelINS0_14default_configENS1_22reduce_config_selectorIiEEZNS1_11reduce_implILb1ES3_N6hipcub16HIPCUB_304000_NS22TransformInputIteratorIiN2at6native8internal21MapNumberOfTrueValuesEPKhlEEPiiNS8_6detail34convert_binary_result_type_wrapperISt4plusIvESG_iEEEE10hipError_tPvRmT1_T2_T3_mT4_P12ihipStream_tbEUlT_E1_NS1_11comp_targetILNS1_3genE10ELNS1_11target_archE1201ELNS1_3gpuE5ELNS1_3repE0EEENS1_30default_config_static_selectorELNS0_4arch9wavefront6targetE0EEEvSQ_,@function
_ZN7rocprim17ROCPRIM_400000_NS6detail17trampoline_kernelINS0_14default_configENS1_22reduce_config_selectorIiEEZNS1_11reduce_implILb1ES3_N6hipcub16HIPCUB_304000_NS22TransformInputIteratorIiN2at6native8internal21MapNumberOfTrueValuesEPKhlEEPiiNS8_6detail34convert_binary_result_type_wrapperISt4plusIvESG_iEEEE10hipError_tPvRmT1_T2_T3_mT4_P12ihipStream_tbEUlT_E1_NS1_11comp_targetILNS1_3genE10ELNS1_11target_archE1201ELNS1_3gpuE5ELNS1_3repE0EEENS1_30default_config_static_selectorELNS0_4arch9wavefront6targetE0EEEvSQ_: ; @_ZN7rocprim17ROCPRIM_400000_NS6detail17trampoline_kernelINS0_14default_configENS1_22reduce_config_selectorIiEEZNS1_11reduce_implILb1ES3_N6hipcub16HIPCUB_304000_NS22TransformInputIteratorIiN2at6native8internal21MapNumberOfTrueValuesEPKhlEEPiiNS8_6detail34convert_binary_result_type_wrapperISt4plusIvESG_iEEEE10hipError_tPvRmT1_T2_T3_mT4_P12ihipStream_tbEUlT_E1_NS1_11comp_targetILNS1_3genE10ELNS1_11target_archE1201ELNS1_3gpuE5ELNS1_3repE0EEENS1_30default_config_static_selectorELNS0_4arch9wavefront6targetE0EEEvSQ_
; %bb.0:
	.section	.rodata,"a",@progbits
	.p2align	6, 0x0
	.amdhsa_kernel _ZN7rocprim17ROCPRIM_400000_NS6detail17trampoline_kernelINS0_14default_configENS1_22reduce_config_selectorIiEEZNS1_11reduce_implILb1ES3_N6hipcub16HIPCUB_304000_NS22TransformInputIteratorIiN2at6native8internal21MapNumberOfTrueValuesEPKhlEEPiiNS8_6detail34convert_binary_result_type_wrapperISt4plusIvESG_iEEEE10hipError_tPvRmT1_T2_T3_mT4_P12ihipStream_tbEUlT_E1_NS1_11comp_targetILNS1_3genE10ELNS1_11target_archE1201ELNS1_3gpuE5ELNS1_3repE0EEENS1_30default_config_static_selectorELNS0_4arch9wavefront6targetE0EEEvSQ_
		.amdhsa_group_segment_fixed_size 0
		.amdhsa_private_segment_fixed_size 0
		.amdhsa_kernarg_size 48
		.amdhsa_user_sgpr_count 2
		.amdhsa_user_sgpr_dispatch_ptr 0
		.amdhsa_user_sgpr_queue_ptr 0
		.amdhsa_user_sgpr_kernarg_segment_ptr 1
		.amdhsa_user_sgpr_dispatch_id 0
		.amdhsa_user_sgpr_kernarg_preload_length 0
		.amdhsa_user_sgpr_kernarg_preload_offset 0
		.amdhsa_user_sgpr_private_segment_size 0
		.amdhsa_wavefront_size32 1
		.amdhsa_uses_dynamic_stack 0
		.amdhsa_enable_private_segment 0
		.amdhsa_system_sgpr_workgroup_id_x 1
		.amdhsa_system_sgpr_workgroup_id_y 0
		.amdhsa_system_sgpr_workgroup_id_z 0
		.amdhsa_system_sgpr_workgroup_info 0
		.amdhsa_system_vgpr_workitem_id 0
		.amdhsa_next_free_vgpr 1
		.amdhsa_next_free_sgpr 1
		.amdhsa_named_barrier_count 0
		.amdhsa_reserve_vcc 0
		.amdhsa_float_round_mode_32 0
		.amdhsa_float_round_mode_16_64 0
		.amdhsa_float_denorm_mode_32 3
		.amdhsa_float_denorm_mode_16_64 3
		.amdhsa_fp16_overflow 0
		.amdhsa_memory_ordered 1
		.amdhsa_forward_progress 1
		.amdhsa_inst_pref_size 0
		.amdhsa_round_robin_scheduling 0
		.amdhsa_exception_fp_ieee_invalid_op 0
		.amdhsa_exception_fp_denorm_src 0
		.amdhsa_exception_fp_ieee_div_zero 0
		.amdhsa_exception_fp_ieee_overflow 0
		.amdhsa_exception_fp_ieee_underflow 0
		.amdhsa_exception_fp_ieee_inexact 0
		.amdhsa_exception_int_div_zero 0
	.end_amdhsa_kernel
	.section	.text._ZN7rocprim17ROCPRIM_400000_NS6detail17trampoline_kernelINS0_14default_configENS1_22reduce_config_selectorIiEEZNS1_11reduce_implILb1ES3_N6hipcub16HIPCUB_304000_NS22TransformInputIteratorIiN2at6native8internal21MapNumberOfTrueValuesEPKhlEEPiiNS8_6detail34convert_binary_result_type_wrapperISt4plusIvESG_iEEEE10hipError_tPvRmT1_T2_T3_mT4_P12ihipStream_tbEUlT_E1_NS1_11comp_targetILNS1_3genE10ELNS1_11target_archE1201ELNS1_3gpuE5ELNS1_3repE0EEENS1_30default_config_static_selectorELNS0_4arch9wavefront6targetE0EEEvSQ_,"axG",@progbits,_ZN7rocprim17ROCPRIM_400000_NS6detail17trampoline_kernelINS0_14default_configENS1_22reduce_config_selectorIiEEZNS1_11reduce_implILb1ES3_N6hipcub16HIPCUB_304000_NS22TransformInputIteratorIiN2at6native8internal21MapNumberOfTrueValuesEPKhlEEPiiNS8_6detail34convert_binary_result_type_wrapperISt4plusIvESG_iEEEE10hipError_tPvRmT1_T2_T3_mT4_P12ihipStream_tbEUlT_E1_NS1_11comp_targetILNS1_3genE10ELNS1_11target_archE1201ELNS1_3gpuE5ELNS1_3repE0EEENS1_30default_config_static_selectorELNS0_4arch9wavefront6targetE0EEEvSQ_,comdat
.Lfunc_end129:
	.size	_ZN7rocprim17ROCPRIM_400000_NS6detail17trampoline_kernelINS0_14default_configENS1_22reduce_config_selectorIiEEZNS1_11reduce_implILb1ES3_N6hipcub16HIPCUB_304000_NS22TransformInputIteratorIiN2at6native8internal21MapNumberOfTrueValuesEPKhlEEPiiNS8_6detail34convert_binary_result_type_wrapperISt4plusIvESG_iEEEE10hipError_tPvRmT1_T2_T3_mT4_P12ihipStream_tbEUlT_E1_NS1_11comp_targetILNS1_3genE10ELNS1_11target_archE1201ELNS1_3gpuE5ELNS1_3repE0EEENS1_30default_config_static_selectorELNS0_4arch9wavefront6targetE0EEEvSQ_, .Lfunc_end129-_ZN7rocprim17ROCPRIM_400000_NS6detail17trampoline_kernelINS0_14default_configENS1_22reduce_config_selectorIiEEZNS1_11reduce_implILb1ES3_N6hipcub16HIPCUB_304000_NS22TransformInputIteratorIiN2at6native8internal21MapNumberOfTrueValuesEPKhlEEPiiNS8_6detail34convert_binary_result_type_wrapperISt4plusIvESG_iEEEE10hipError_tPvRmT1_T2_T3_mT4_P12ihipStream_tbEUlT_E1_NS1_11comp_targetILNS1_3genE10ELNS1_11target_archE1201ELNS1_3gpuE5ELNS1_3repE0EEENS1_30default_config_static_selectorELNS0_4arch9wavefront6targetE0EEEvSQ_
                                        ; -- End function
	.set _ZN7rocprim17ROCPRIM_400000_NS6detail17trampoline_kernelINS0_14default_configENS1_22reduce_config_selectorIiEEZNS1_11reduce_implILb1ES3_N6hipcub16HIPCUB_304000_NS22TransformInputIteratorIiN2at6native8internal21MapNumberOfTrueValuesEPKhlEEPiiNS8_6detail34convert_binary_result_type_wrapperISt4plusIvESG_iEEEE10hipError_tPvRmT1_T2_T3_mT4_P12ihipStream_tbEUlT_E1_NS1_11comp_targetILNS1_3genE10ELNS1_11target_archE1201ELNS1_3gpuE5ELNS1_3repE0EEENS1_30default_config_static_selectorELNS0_4arch9wavefront6targetE0EEEvSQ_.num_vgpr, 0
	.set _ZN7rocprim17ROCPRIM_400000_NS6detail17trampoline_kernelINS0_14default_configENS1_22reduce_config_selectorIiEEZNS1_11reduce_implILb1ES3_N6hipcub16HIPCUB_304000_NS22TransformInputIteratorIiN2at6native8internal21MapNumberOfTrueValuesEPKhlEEPiiNS8_6detail34convert_binary_result_type_wrapperISt4plusIvESG_iEEEE10hipError_tPvRmT1_T2_T3_mT4_P12ihipStream_tbEUlT_E1_NS1_11comp_targetILNS1_3genE10ELNS1_11target_archE1201ELNS1_3gpuE5ELNS1_3repE0EEENS1_30default_config_static_selectorELNS0_4arch9wavefront6targetE0EEEvSQ_.num_agpr, 0
	.set _ZN7rocprim17ROCPRIM_400000_NS6detail17trampoline_kernelINS0_14default_configENS1_22reduce_config_selectorIiEEZNS1_11reduce_implILb1ES3_N6hipcub16HIPCUB_304000_NS22TransformInputIteratorIiN2at6native8internal21MapNumberOfTrueValuesEPKhlEEPiiNS8_6detail34convert_binary_result_type_wrapperISt4plusIvESG_iEEEE10hipError_tPvRmT1_T2_T3_mT4_P12ihipStream_tbEUlT_E1_NS1_11comp_targetILNS1_3genE10ELNS1_11target_archE1201ELNS1_3gpuE5ELNS1_3repE0EEENS1_30default_config_static_selectorELNS0_4arch9wavefront6targetE0EEEvSQ_.numbered_sgpr, 0
	.set _ZN7rocprim17ROCPRIM_400000_NS6detail17trampoline_kernelINS0_14default_configENS1_22reduce_config_selectorIiEEZNS1_11reduce_implILb1ES3_N6hipcub16HIPCUB_304000_NS22TransformInputIteratorIiN2at6native8internal21MapNumberOfTrueValuesEPKhlEEPiiNS8_6detail34convert_binary_result_type_wrapperISt4plusIvESG_iEEEE10hipError_tPvRmT1_T2_T3_mT4_P12ihipStream_tbEUlT_E1_NS1_11comp_targetILNS1_3genE10ELNS1_11target_archE1201ELNS1_3gpuE5ELNS1_3repE0EEENS1_30default_config_static_selectorELNS0_4arch9wavefront6targetE0EEEvSQ_.num_named_barrier, 0
	.set _ZN7rocprim17ROCPRIM_400000_NS6detail17trampoline_kernelINS0_14default_configENS1_22reduce_config_selectorIiEEZNS1_11reduce_implILb1ES3_N6hipcub16HIPCUB_304000_NS22TransformInputIteratorIiN2at6native8internal21MapNumberOfTrueValuesEPKhlEEPiiNS8_6detail34convert_binary_result_type_wrapperISt4plusIvESG_iEEEE10hipError_tPvRmT1_T2_T3_mT4_P12ihipStream_tbEUlT_E1_NS1_11comp_targetILNS1_3genE10ELNS1_11target_archE1201ELNS1_3gpuE5ELNS1_3repE0EEENS1_30default_config_static_selectorELNS0_4arch9wavefront6targetE0EEEvSQ_.private_seg_size, 0
	.set _ZN7rocprim17ROCPRIM_400000_NS6detail17trampoline_kernelINS0_14default_configENS1_22reduce_config_selectorIiEEZNS1_11reduce_implILb1ES3_N6hipcub16HIPCUB_304000_NS22TransformInputIteratorIiN2at6native8internal21MapNumberOfTrueValuesEPKhlEEPiiNS8_6detail34convert_binary_result_type_wrapperISt4plusIvESG_iEEEE10hipError_tPvRmT1_T2_T3_mT4_P12ihipStream_tbEUlT_E1_NS1_11comp_targetILNS1_3genE10ELNS1_11target_archE1201ELNS1_3gpuE5ELNS1_3repE0EEENS1_30default_config_static_selectorELNS0_4arch9wavefront6targetE0EEEvSQ_.uses_vcc, 0
	.set _ZN7rocprim17ROCPRIM_400000_NS6detail17trampoline_kernelINS0_14default_configENS1_22reduce_config_selectorIiEEZNS1_11reduce_implILb1ES3_N6hipcub16HIPCUB_304000_NS22TransformInputIteratorIiN2at6native8internal21MapNumberOfTrueValuesEPKhlEEPiiNS8_6detail34convert_binary_result_type_wrapperISt4plusIvESG_iEEEE10hipError_tPvRmT1_T2_T3_mT4_P12ihipStream_tbEUlT_E1_NS1_11comp_targetILNS1_3genE10ELNS1_11target_archE1201ELNS1_3gpuE5ELNS1_3repE0EEENS1_30default_config_static_selectorELNS0_4arch9wavefront6targetE0EEEvSQ_.uses_flat_scratch, 0
	.set _ZN7rocprim17ROCPRIM_400000_NS6detail17trampoline_kernelINS0_14default_configENS1_22reduce_config_selectorIiEEZNS1_11reduce_implILb1ES3_N6hipcub16HIPCUB_304000_NS22TransformInputIteratorIiN2at6native8internal21MapNumberOfTrueValuesEPKhlEEPiiNS8_6detail34convert_binary_result_type_wrapperISt4plusIvESG_iEEEE10hipError_tPvRmT1_T2_T3_mT4_P12ihipStream_tbEUlT_E1_NS1_11comp_targetILNS1_3genE10ELNS1_11target_archE1201ELNS1_3gpuE5ELNS1_3repE0EEENS1_30default_config_static_selectorELNS0_4arch9wavefront6targetE0EEEvSQ_.has_dyn_sized_stack, 0
	.set _ZN7rocprim17ROCPRIM_400000_NS6detail17trampoline_kernelINS0_14default_configENS1_22reduce_config_selectorIiEEZNS1_11reduce_implILb1ES3_N6hipcub16HIPCUB_304000_NS22TransformInputIteratorIiN2at6native8internal21MapNumberOfTrueValuesEPKhlEEPiiNS8_6detail34convert_binary_result_type_wrapperISt4plusIvESG_iEEEE10hipError_tPvRmT1_T2_T3_mT4_P12ihipStream_tbEUlT_E1_NS1_11comp_targetILNS1_3genE10ELNS1_11target_archE1201ELNS1_3gpuE5ELNS1_3repE0EEENS1_30default_config_static_selectorELNS0_4arch9wavefront6targetE0EEEvSQ_.has_recursion, 0
	.set _ZN7rocprim17ROCPRIM_400000_NS6detail17trampoline_kernelINS0_14default_configENS1_22reduce_config_selectorIiEEZNS1_11reduce_implILb1ES3_N6hipcub16HIPCUB_304000_NS22TransformInputIteratorIiN2at6native8internal21MapNumberOfTrueValuesEPKhlEEPiiNS8_6detail34convert_binary_result_type_wrapperISt4plusIvESG_iEEEE10hipError_tPvRmT1_T2_T3_mT4_P12ihipStream_tbEUlT_E1_NS1_11comp_targetILNS1_3genE10ELNS1_11target_archE1201ELNS1_3gpuE5ELNS1_3repE0EEENS1_30default_config_static_selectorELNS0_4arch9wavefront6targetE0EEEvSQ_.has_indirect_call, 0
	.section	.AMDGPU.csdata,"",@progbits
; Kernel info:
; codeLenInByte = 0
; TotalNumSgprs: 0
; NumVgprs: 0
; ScratchSize: 0
; MemoryBound: 0
; FloatMode: 240
; IeeeMode: 1
; LDSByteSize: 0 bytes/workgroup (compile time only)
; SGPRBlocks: 0
; VGPRBlocks: 0
; NumSGPRsForWavesPerEU: 1
; NumVGPRsForWavesPerEU: 1
; NamedBarCnt: 0
; Occupancy: 16
; WaveLimiterHint : 0
; COMPUTE_PGM_RSRC2:SCRATCH_EN: 0
; COMPUTE_PGM_RSRC2:USER_SGPR: 2
; COMPUTE_PGM_RSRC2:TRAP_HANDLER: 0
; COMPUTE_PGM_RSRC2:TGID_X_EN: 1
; COMPUTE_PGM_RSRC2:TGID_Y_EN: 0
; COMPUTE_PGM_RSRC2:TGID_Z_EN: 0
; COMPUTE_PGM_RSRC2:TIDIG_COMP_CNT: 0
	.section	.text._ZN7rocprim17ROCPRIM_400000_NS6detail17trampoline_kernelINS0_14default_configENS1_22reduce_config_selectorIiEEZNS1_11reduce_implILb1ES3_N6hipcub16HIPCUB_304000_NS22TransformInputIteratorIiN2at6native8internal21MapNumberOfTrueValuesEPKhlEEPiiNS8_6detail34convert_binary_result_type_wrapperISt4plusIvESG_iEEEE10hipError_tPvRmT1_T2_T3_mT4_P12ihipStream_tbEUlT_E1_NS1_11comp_targetILNS1_3genE10ELNS1_11target_archE1200ELNS1_3gpuE4ELNS1_3repE0EEENS1_30default_config_static_selectorELNS0_4arch9wavefront6targetE0EEEvSQ_,"axG",@progbits,_ZN7rocprim17ROCPRIM_400000_NS6detail17trampoline_kernelINS0_14default_configENS1_22reduce_config_selectorIiEEZNS1_11reduce_implILb1ES3_N6hipcub16HIPCUB_304000_NS22TransformInputIteratorIiN2at6native8internal21MapNumberOfTrueValuesEPKhlEEPiiNS8_6detail34convert_binary_result_type_wrapperISt4plusIvESG_iEEEE10hipError_tPvRmT1_T2_T3_mT4_P12ihipStream_tbEUlT_E1_NS1_11comp_targetILNS1_3genE10ELNS1_11target_archE1200ELNS1_3gpuE4ELNS1_3repE0EEENS1_30default_config_static_selectorELNS0_4arch9wavefront6targetE0EEEvSQ_,comdat
	.protected	_ZN7rocprim17ROCPRIM_400000_NS6detail17trampoline_kernelINS0_14default_configENS1_22reduce_config_selectorIiEEZNS1_11reduce_implILb1ES3_N6hipcub16HIPCUB_304000_NS22TransformInputIteratorIiN2at6native8internal21MapNumberOfTrueValuesEPKhlEEPiiNS8_6detail34convert_binary_result_type_wrapperISt4plusIvESG_iEEEE10hipError_tPvRmT1_T2_T3_mT4_P12ihipStream_tbEUlT_E1_NS1_11comp_targetILNS1_3genE10ELNS1_11target_archE1200ELNS1_3gpuE4ELNS1_3repE0EEENS1_30default_config_static_selectorELNS0_4arch9wavefront6targetE0EEEvSQ_ ; -- Begin function _ZN7rocprim17ROCPRIM_400000_NS6detail17trampoline_kernelINS0_14default_configENS1_22reduce_config_selectorIiEEZNS1_11reduce_implILb1ES3_N6hipcub16HIPCUB_304000_NS22TransformInputIteratorIiN2at6native8internal21MapNumberOfTrueValuesEPKhlEEPiiNS8_6detail34convert_binary_result_type_wrapperISt4plusIvESG_iEEEE10hipError_tPvRmT1_T2_T3_mT4_P12ihipStream_tbEUlT_E1_NS1_11comp_targetILNS1_3genE10ELNS1_11target_archE1200ELNS1_3gpuE4ELNS1_3repE0EEENS1_30default_config_static_selectorELNS0_4arch9wavefront6targetE0EEEvSQ_
	.globl	_ZN7rocprim17ROCPRIM_400000_NS6detail17trampoline_kernelINS0_14default_configENS1_22reduce_config_selectorIiEEZNS1_11reduce_implILb1ES3_N6hipcub16HIPCUB_304000_NS22TransformInputIteratorIiN2at6native8internal21MapNumberOfTrueValuesEPKhlEEPiiNS8_6detail34convert_binary_result_type_wrapperISt4plusIvESG_iEEEE10hipError_tPvRmT1_T2_T3_mT4_P12ihipStream_tbEUlT_E1_NS1_11comp_targetILNS1_3genE10ELNS1_11target_archE1200ELNS1_3gpuE4ELNS1_3repE0EEENS1_30default_config_static_selectorELNS0_4arch9wavefront6targetE0EEEvSQ_
	.p2align	8
	.type	_ZN7rocprim17ROCPRIM_400000_NS6detail17trampoline_kernelINS0_14default_configENS1_22reduce_config_selectorIiEEZNS1_11reduce_implILb1ES3_N6hipcub16HIPCUB_304000_NS22TransformInputIteratorIiN2at6native8internal21MapNumberOfTrueValuesEPKhlEEPiiNS8_6detail34convert_binary_result_type_wrapperISt4plusIvESG_iEEEE10hipError_tPvRmT1_T2_T3_mT4_P12ihipStream_tbEUlT_E1_NS1_11comp_targetILNS1_3genE10ELNS1_11target_archE1200ELNS1_3gpuE4ELNS1_3repE0EEENS1_30default_config_static_selectorELNS0_4arch9wavefront6targetE0EEEvSQ_,@function
_ZN7rocprim17ROCPRIM_400000_NS6detail17trampoline_kernelINS0_14default_configENS1_22reduce_config_selectorIiEEZNS1_11reduce_implILb1ES3_N6hipcub16HIPCUB_304000_NS22TransformInputIteratorIiN2at6native8internal21MapNumberOfTrueValuesEPKhlEEPiiNS8_6detail34convert_binary_result_type_wrapperISt4plusIvESG_iEEEE10hipError_tPvRmT1_T2_T3_mT4_P12ihipStream_tbEUlT_E1_NS1_11comp_targetILNS1_3genE10ELNS1_11target_archE1200ELNS1_3gpuE4ELNS1_3repE0EEENS1_30default_config_static_selectorELNS0_4arch9wavefront6targetE0EEEvSQ_: ; @_ZN7rocprim17ROCPRIM_400000_NS6detail17trampoline_kernelINS0_14default_configENS1_22reduce_config_selectorIiEEZNS1_11reduce_implILb1ES3_N6hipcub16HIPCUB_304000_NS22TransformInputIteratorIiN2at6native8internal21MapNumberOfTrueValuesEPKhlEEPiiNS8_6detail34convert_binary_result_type_wrapperISt4plusIvESG_iEEEE10hipError_tPvRmT1_T2_T3_mT4_P12ihipStream_tbEUlT_E1_NS1_11comp_targetILNS1_3genE10ELNS1_11target_archE1200ELNS1_3gpuE4ELNS1_3repE0EEENS1_30default_config_static_selectorELNS0_4arch9wavefront6targetE0EEEvSQ_
; %bb.0:
	.section	.rodata,"a",@progbits
	.p2align	6, 0x0
	.amdhsa_kernel _ZN7rocprim17ROCPRIM_400000_NS6detail17trampoline_kernelINS0_14default_configENS1_22reduce_config_selectorIiEEZNS1_11reduce_implILb1ES3_N6hipcub16HIPCUB_304000_NS22TransformInputIteratorIiN2at6native8internal21MapNumberOfTrueValuesEPKhlEEPiiNS8_6detail34convert_binary_result_type_wrapperISt4plusIvESG_iEEEE10hipError_tPvRmT1_T2_T3_mT4_P12ihipStream_tbEUlT_E1_NS1_11comp_targetILNS1_3genE10ELNS1_11target_archE1200ELNS1_3gpuE4ELNS1_3repE0EEENS1_30default_config_static_selectorELNS0_4arch9wavefront6targetE0EEEvSQ_
		.amdhsa_group_segment_fixed_size 0
		.amdhsa_private_segment_fixed_size 0
		.amdhsa_kernarg_size 48
		.amdhsa_user_sgpr_count 2
		.amdhsa_user_sgpr_dispatch_ptr 0
		.amdhsa_user_sgpr_queue_ptr 0
		.amdhsa_user_sgpr_kernarg_segment_ptr 1
		.amdhsa_user_sgpr_dispatch_id 0
		.amdhsa_user_sgpr_kernarg_preload_length 0
		.amdhsa_user_sgpr_kernarg_preload_offset 0
		.amdhsa_user_sgpr_private_segment_size 0
		.amdhsa_wavefront_size32 1
		.amdhsa_uses_dynamic_stack 0
		.amdhsa_enable_private_segment 0
		.amdhsa_system_sgpr_workgroup_id_x 1
		.amdhsa_system_sgpr_workgroup_id_y 0
		.amdhsa_system_sgpr_workgroup_id_z 0
		.amdhsa_system_sgpr_workgroup_info 0
		.amdhsa_system_vgpr_workitem_id 0
		.amdhsa_next_free_vgpr 1
		.amdhsa_next_free_sgpr 1
		.amdhsa_named_barrier_count 0
		.amdhsa_reserve_vcc 0
		.amdhsa_float_round_mode_32 0
		.amdhsa_float_round_mode_16_64 0
		.amdhsa_float_denorm_mode_32 3
		.amdhsa_float_denorm_mode_16_64 3
		.amdhsa_fp16_overflow 0
		.amdhsa_memory_ordered 1
		.amdhsa_forward_progress 1
		.amdhsa_inst_pref_size 0
		.amdhsa_round_robin_scheduling 0
		.amdhsa_exception_fp_ieee_invalid_op 0
		.amdhsa_exception_fp_denorm_src 0
		.amdhsa_exception_fp_ieee_div_zero 0
		.amdhsa_exception_fp_ieee_overflow 0
		.amdhsa_exception_fp_ieee_underflow 0
		.amdhsa_exception_fp_ieee_inexact 0
		.amdhsa_exception_int_div_zero 0
	.end_amdhsa_kernel
	.section	.text._ZN7rocprim17ROCPRIM_400000_NS6detail17trampoline_kernelINS0_14default_configENS1_22reduce_config_selectorIiEEZNS1_11reduce_implILb1ES3_N6hipcub16HIPCUB_304000_NS22TransformInputIteratorIiN2at6native8internal21MapNumberOfTrueValuesEPKhlEEPiiNS8_6detail34convert_binary_result_type_wrapperISt4plusIvESG_iEEEE10hipError_tPvRmT1_T2_T3_mT4_P12ihipStream_tbEUlT_E1_NS1_11comp_targetILNS1_3genE10ELNS1_11target_archE1200ELNS1_3gpuE4ELNS1_3repE0EEENS1_30default_config_static_selectorELNS0_4arch9wavefront6targetE0EEEvSQ_,"axG",@progbits,_ZN7rocprim17ROCPRIM_400000_NS6detail17trampoline_kernelINS0_14default_configENS1_22reduce_config_selectorIiEEZNS1_11reduce_implILb1ES3_N6hipcub16HIPCUB_304000_NS22TransformInputIteratorIiN2at6native8internal21MapNumberOfTrueValuesEPKhlEEPiiNS8_6detail34convert_binary_result_type_wrapperISt4plusIvESG_iEEEE10hipError_tPvRmT1_T2_T3_mT4_P12ihipStream_tbEUlT_E1_NS1_11comp_targetILNS1_3genE10ELNS1_11target_archE1200ELNS1_3gpuE4ELNS1_3repE0EEENS1_30default_config_static_selectorELNS0_4arch9wavefront6targetE0EEEvSQ_,comdat
.Lfunc_end130:
	.size	_ZN7rocprim17ROCPRIM_400000_NS6detail17trampoline_kernelINS0_14default_configENS1_22reduce_config_selectorIiEEZNS1_11reduce_implILb1ES3_N6hipcub16HIPCUB_304000_NS22TransformInputIteratorIiN2at6native8internal21MapNumberOfTrueValuesEPKhlEEPiiNS8_6detail34convert_binary_result_type_wrapperISt4plusIvESG_iEEEE10hipError_tPvRmT1_T2_T3_mT4_P12ihipStream_tbEUlT_E1_NS1_11comp_targetILNS1_3genE10ELNS1_11target_archE1200ELNS1_3gpuE4ELNS1_3repE0EEENS1_30default_config_static_selectorELNS0_4arch9wavefront6targetE0EEEvSQ_, .Lfunc_end130-_ZN7rocprim17ROCPRIM_400000_NS6detail17trampoline_kernelINS0_14default_configENS1_22reduce_config_selectorIiEEZNS1_11reduce_implILb1ES3_N6hipcub16HIPCUB_304000_NS22TransformInputIteratorIiN2at6native8internal21MapNumberOfTrueValuesEPKhlEEPiiNS8_6detail34convert_binary_result_type_wrapperISt4plusIvESG_iEEEE10hipError_tPvRmT1_T2_T3_mT4_P12ihipStream_tbEUlT_E1_NS1_11comp_targetILNS1_3genE10ELNS1_11target_archE1200ELNS1_3gpuE4ELNS1_3repE0EEENS1_30default_config_static_selectorELNS0_4arch9wavefront6targetE0EEEvSQ_
                                        ; -- End function
	.set _ZN7rocprim17ROCPRIM_400000_NS6detail17trampoline_kernelINS0_14default_configENS1_22reduce_config_selectorIiEEZNS1_11reduce_implILb1ES3_N6hipcub16HIPCUB_304000_NS22TransformInputIteratorIiN2at6native8internal21MapNumberOfTrueValuesEPKhlEEPiiNS8_6detail34convert_binary_result_type_wrapperISt4plusIvESG_iEEEE10hipError_tPvRmT1_T2_T3_mT4_P12ihipStream_tbEUlT_E1_NS1_11comp_targetILNS1_3genE10ELNS1_11target_archE1200ELNS1_3gpuE4ELNS1_3repE0EEENS1_30default_config_static_selectorELNS0_4arch9wavefront6targetE0EEEvSQ_.num_vgpr, 0
	.set _ZN7rocprim17ROCPRIM_400000_NS6detail17trampoline_kernelINS0_14default_configENS1_22reduce_config_selectorIiEEZNS1_11reduce_implILb1ES3_N6hipcub16HIPCUB_304000_NS22TransformInputIteratorIiN2at6native8internal21MapNumberOfTrueValuesEPKhlEEPiiNS8_6detail34convert_binary_result_type_wrapperISt4plusIvESG_iEEEE10hipError_tPvRmT1_T2_T3_mT4_P12ihipStream_tbEUlT_E1_NS1_11comp_targetILNS1_3genE10ELNS1_11target_archE1200ELNS1_3gpuE4ELNS1_3repE0EEENS1_30default_config_static_selectorELNS0_4arch9wavefront6targetE0EEEvSQ_.num_agpr, 0
	.set _ZN7rocprim17ROCPRIM_400000_NS6detail17trampoline_kernelINS0_14default_configENS1_22reduce_config_selectorIiEEZNS1_11reduce_implILb1ES3_N6hipcub16HIPCUB_304000_NS22TransformInputIteratorIiN2at6native8internal21MapNumberOfTrueValuesEPKhlEEPiiNS8_6detail34convert_binary_result_type_wrapperISt4plusIvESG_iEEEE10hipError_tPvRmT1_T2_T3_mT4_P12ihipStream_tbEUlT_E1_NS1_11comp_targetILNS1_3genE10ELNS1_11target_archE1200ELNS1_3gpuE4ELNS1_3repE0EEENS1_30default_config_static_selectorELNS0_4arch9wavefront6targetE0EEEvSQ_.numbered_sgpr, 0
	.set _ZN7rocprim17ROCPRIM_400000_NS6detail17trampoline_kernelINS0_14default_configENS1_22reduce_config_selectorIiEEZNS1_11reduce_implILb1ES3_N6hipcub16HIPCUB_304000_NS22TransformInputIteratorIiN2at6native8internal21MapNumberOfTrueValuesEPKhlEEPiiNS8_6detail34convert_binary_result_type_wrapperISt4plusIvESG_iEEEE10hipError_tPvRmT1_T2_T3_mT4_P12ihipStream_tbEUlT_E1_NS1_11comp_targetILNS1_3genE10ELNS1_11target_archE1200ELNS1_3gpuE4ELNS1_3repE0EEENS1_30default_config_static_selectorELNS0_4arch9wavefront6targetE0EEEvSQ_.num_named_barrier, 0
	.set _ZN7rocprim17ROCPRIM_400000_NS6detail17trampoline_kernelINS0_14default_configENS1_22reduce_config_selectorIiEEZNS1_11reduce_implILb1ES3_N6hipcub16HIPCUB_304000_NS22TransformInputIteratorIiN2at6native8internal21MapNumberOfTrueValuesEPKhlEEPiiNS8_6detail34convert_binary_result_type_wrapperISt4plusIvESG_iEEEE10hipError_tPvRmT1_T2_T3_mT4_P12ihipStream_tbEUlT_E1_NS1_11comp_targetILNS1_3genE10ELNS1_11target_archE1200ELNS1_3gpuE4ELNS1_3repE0EEENS1_30default_config_static_selectorELNS0_4arch9wavefront6targetE0EEEvSQ_.private_seg_size, 0
	.set _ZN7rocprim17ROCPRIM_400000_NS6detail17trampoline_kernelINS0_14default_configENS1_22reduce_config_selectorIiEEZNS1_11reduce_implILb1ES3_N6hipcub16HIPCUB_304000_NS22TransformInputIteratorIiN2at6native8internal21MapNumberOfTrueValuesEPKhlEEPiiNS8_6detail34convert_binary_result_type_wrapperISt4plusIvESG_iEEEE10hipError_tPvRmT1_T2_T3_mT4_P12ihipStream_tbEUlT_E1_NS1_11comp_targetILNS1_3genE10ELNS1_11target_archE1200ELNS1_3gpuE4ELNS1_3repE0EEENS1_30default_config_static_selectorELNS0_4arch9wavefront6targetE0EEEvSQ_.uses_vcc, 0
	.set _ZN7rocprim17ROCPRIM_400000_NS6detail17trampoline_kernelINS0_14default_configENS1_22reduce_config_selectorIiEEZNS1_11reduce_implILb1ES3_N6hipcub16HIPCUB_304000_NS22TransformInputIteratorIiN2at6native8internal21MapNumberOfTrueValuesEPKhlEEPiiNS8_6detail34convert_binary_result_type_wrapperISt4plusIvESG_iEEEE10hipError_tPvRmT1_T2_T3_mT4_P12ihipStream_tbEUlT_E1_NS1_11comp_targetILNS1_3genE10ELNS1_11target_archE1200ELNS1_3gpuE4ELNS1_3repE0EEENS1_30default_config_static_selectorELNS0_4arch9wavefront6targetE0EEEvSQ_.uses_flat_scratch, 0
	.set _ZN7rocprim17ROCPRIM_400000_NS6detail17trampoline_kernelINS0_14default_configENS1_22reduce_config_selectorIiEEZNS1_11reduce_implILb1ES3_N6hipcub16HIPCUB_304000_NS22TransformInputIteratorIiN2at6native8internal21MapNumberOfTrueValuesEPKhlEEPiiNS8_6detail34convert_binary_result_type_wrapperISt4plusIvESG_iEEEE10hipError_tPvRmT1_T2_T3_mT4_P12ihipStream_tbEUlT_E1_NS1_11comp_targetILNS1_3genE10ELNS1_11target_archE1200ELNS1_3gpuE4ELNS1_3repE0EEENS1_30default_config_static_selectorELNS0_4arch9wavefront6targetE0EEEvSQ_.has_dyn_sized_stack, 0
	.set _ZN7rocprim17ROCPRIM_400000_NS6detail17trampoline_kernelINS0_14default_configENS1_22reduce_config_selectorIiEEZNS1_11reduce_implILb1ES3_N6hipcub16HIPCUB_304000_NS22TransformInputIteratorIiN2at6native8internal21MapNumberOfTrueValuesEPKhlEEPiiNS8_6detail34convert_binary_result_type_wrapperISt4plusIvESG_iEEEE10hipError_tPvRmT1_T2_T3_mT4_P12ihipStream_tbEUlT_E1_NS1_11comp_targetILNS1_3genE10ELNS1_11target_archE1200ELNS1_3gpuE4ELNS1_3repE0EEENS1_30default_config_static_selectorELNS0_4arch9wavefront6targetE0EEEvSQ_.has_recursion, 0
	.set _ZN7rocprim17ROCPRIM_400000_NS6detail17trampoline_kernelINS0_14default_configENS1_22reduce_config_selectorIiEEZNS1_11reduce_implILb1ES3_N6hipcub16HIPCUB_304000_NS22TransformInputIteratorIiN2at6native8internal21MapNumberOfTrueValuesEPKhlEEPiiNS8_6detail34convert_binary_result_type_wrapperISt4plusIvESG_iEEEE10hipError_tPvRmT1_T2_T3_mT4_P12ihipStream_tbEUlT_E1_NS1_11comp_targetILNS1_3genE10ELNS1_11target_archE1200ELNS1_3gpuE4ELNS1_3repE0EEENS1_30default_config_static_selectorELNS0_4arch9wavefront6targetE0EEEvSQ_.has_indirect_call, 0
	.section	.AMDGPU.csdata,"",@progbits
; Kernel info:
; codeLenInByte = 0
; TotalNumSgprs: 0
; NumVgprs: 0
; ScratchSize: 0
; MemoryBound: 0
; FloatMode: 240
; IeeeMode: 1
; LDSByteSize: 0 bytes/workgroup (compile time only)
; SGPRBlocks: 0
; VGPRBlocks: 0
; NumSGPRsForWavesPerEU: 1
; NumVGPRsForWavesPerEU: 1
; NamedBarCnt: 0
; Occupancy: 16
; WaveLimiterHint : 0
; COMPUTE_PGM_RSRC2:SCRATCH_EN: 0
; COMPUTE_PGM_RSRC2:USER_SGPR: 2
; COMPUTE_PGM_RSRC2:TRAP_HANDLER: 0
; COMPUTE_PGM_RSRC2:TGID_X_EN: 1
; COMPUTE_PGM_RSRC2:TGID_Y_EN: 0
; COMPUTE_PGM_RSRC2:TGID_Z_EN: 0
; COMPUTE_PGM_RSRC2:TIDIG_COMP_CNT: 0
	.section	.text._ZN7rocprim17ROCPRIM_400000_NS6detail17trampoline_kernelINS0_14default_configENS1_22reduce_config_selectorIiEEZNS1_11reduce_implILb1ES3_N6hipcub16HIPCUB_304000_NS22TransformInputIteratorIiN2at6native8internal21MapNumberOfTrueValuesEPKhlEEPiiNS8_6detail34convert_binary_result_type_wrapperISt4plusIvESG_iEEEE10hipError_tPvRmT1_T2_T3_mT4_P12ihipStream_tbEUlT_E1_NS1_11comp_targetILNS1_3genE9ELNS1_11target_archE1100ELNS1_3gpuE3ELNS1_3repE0EEENS1_30default_config_static_selectorELNS0_4arch9wavefront6targetE0EEEvSQ_,"axG",@progbits,_ZN7rocprim17ROCPRIM_400000_NS6detail17trampoline_kernelINS0_14default_configENS1_22reduce_config_selectorIiEEZNS1_11reduce_implILb1ES3_N6hipcub16HIPCUB_304000_NS22TransformInputIteratorIiN2at6native8internal21MapNumberOfTrueValuesEPKhlEEPiiNS8_6detail34convert_binary_result_type_wrapperISt4plusIvESG_iEEEE10hipError_tPvRmT1_T2_T3_mT4_P12ihipStream_tbEUlT_E1_NS1_11comp_targetILNS1_3genE9ELNS1_11target_archE1100ELNS1_3gpuE3ELNS1_3repE0EEENS1_30default_config_static_selectorELNS0_4arch9wavefront6targetE0EEEvSQ_,comdat
	.protected	_ZN7rocprim17ROCPRIM_400000_NS6detail17trampoline_kernelINS0_14default_configENS1_22reduce_config_selectorIiEEZNS1_11reduce_implILb1ES3_N6hipcub16HIPCUB_304000_NS22TransformInputIteratorIiN2at6native8internal21MapNumberOfTrueValuesEPKhlEEPiiNS8_6detail34convert_binary_result_type_wrapperISt4plusIvESG_iEEEE10hipError_tPvRmT1_T2_T3_mT4_P12ihipStream_tbEUlT_E1_NS1_11comp_targetILNS1_3genE9ELNS1_11target_archE1100ELNS1_3gpuE3ELNS1_3repE0EEENS1_30default_config_static_selectorELNS0_4arch9wavefront6targetE0EEEvSQ_ ; -- Begin function _ZN7rocprim17ROCPRIM_400000_NS6detail17trampoline_kernelINS0_14default_configENS1_22reduce_config_selectorIiEEZNS1_11reduce_implILb1ES3_N6hipcub16HIPCUB_304000_NS22TransformInputIteratorIiN2at6native8internal21MapNumberOfTrueValuesEPKhlEEPiiNS8_6detail34convert_binary_result_type_wrapperISt4plusIvESG_iEEEE10hipError_tPvRmT1_T2_T3_mT4_P12ihipStream_tbEUlT_E1_NS1_11comp_targetILNS1_3genE9ELNS1_11target_archE1100ELNS1_3gpuE3ELNS1_3repE0EEENS1_30default_config_static_selectorELNS0_4arch9wavefront6targetE0EEEvSQ_
	.globl	_ZN7rocprim17ROCPRIM_400000_NS6detail17trampoline_kernelINS0_14default_configENS1_22reduce_config_selectorIiEEZNS1_11reduce_implILb1ES3_N6hipcub16HIPCUB_304000_NS22TransformInputIteratorIiN2at6native8internal21MapNumberOfTrueValuesEPKhlEEPiiNS8_6detail34convert_binary_result_type_wrapperISt4plusIvESG_iEEEE10hipError_tPvRmT1_T2_T3_mT4_P12ihipStream_tbEUlT_E1_NS1_11comp_targetILNS1_3genE9ELNS1_11target_archE1100ELNS1_3gpuE3ELNS1_3repE0EEENS1_30default_config_static_selectorELNS0_4arch9wavefront6targetE0EEEvSQ_
	.p2align	8
	.type	_ZN7rocprim17ROCPRIM_400000_NS6detail17trampoline_kernelINS0_14default_configENS1_22reduce_config_selectorIiEEZNS1_11reduce_implILb1ES3_N6hipcub16HIPCUB_304000_NS22TransformInputIteratorIiN2at6native8internal21MapNumberOfTrueValuesEPKhlEEPiiNS8_6detail34convert_binary_result_type_wrapperISt4plusIvESG_iEEEE10hipError_tPvRmT1_T2_T3_mT4_P12ihipStream_tbEUlT_E1_NS1_11comp_targetILNS1_3genE9ELNS1_11target_archE1100ELNS1_3gpuE3ELNS1_3repE0EEENS1_30default_config_static_selectorELNS0_4arch9wavefront6targetE0EEEvSQ_,@function
_ZN7rocprim17ROCPRIM_400000_NS6detail17trampoline_kernelINS0_14default_configENS1_22reduce_config_selectorIiEEZNS1_11reduce_implILb1ES3_N6hipcub16HIPCUB_304000_NS22TransformInputIteratorIiN2at6native8internal21MapNumberOfTrueValuesEPKhlEEPiiNS8_6detail34convert_binary_result_type_wrapperISt4plusIvESG_iEEEE10hipError_tPvRmT1_T2_T3_mT4_P12ihipStream_tbEUlT_E1_NS1_11comp_targetILNS1_3genE9ELNS1_11target_archE1100ELNS1_3gpuE3ELNS1_3repE0EEENS1_30default_config_static_selectorELNS0_4arch9wavefront6targetE0EEEvSQ_: ; @_ZN7rocprim17ROCPRIM_400000_NS6detail17trampoline_kernelINS0_14default_configENS1_22reduce_config_selectorIiEEZNS1_11reduce_implILb1ES3_N6hipcub16HIPCUB_304000_NS22TransformInputIteratorIiN2at6native8internal21MapNumberOfTrueValuesEPKhlEEPiiNS8_6detail34convert_binary_result_type_wrapperISt4plusIvESG_iEEEE10hipError_tPvRmT1_T2_T3_mT4_P12ihipStream_tbEUlT_E1_NS1_11comp_targetILNS1_3genE9ELNS1_11target_archE1100ELNS1_3gpuE3ELNS1_3repE0EEENS1_30default_config_static_selectorELNS0_4arch9wavefront6targetE0EEEvSQ_
; %bb.0:
	.section	.rodata,"a",@progbits
	.p2align	6, 0x0
	.amdhsa_kernel _ZN7rocprim17ROCPRIM_400000_NS6detail17trampoline_kernelINS0_14default_configENS1_22reduce_config_selectorIiEEZNS1_11reduce_implILb1ES3_N6hipcub16HIPCUB_304000_NS22TransformInputIteratorIiN2at6native8internal21MapNumberOfTrueValuesEPKhlEEPiiNS8_6detail34convert_binary_result_type_wrapperISt4plusIvESG_iEEEE10hipError_tPvRmT1_T2_T3_mT4_P12ihipStream_tbEUlT_E1_NS1_11comp_targetILNS1_3genE9ELNS1_11target_archE1100ELNS1_3gpuE3ELNS1_3repE0EEENS1_30default_config_static_selectorELNS0_4arch9wavefront6targetE0EEEvSQ_
		.amdhsa_group_segment_fixed_size 0
		.amdhsa_private_segment_fixed_size 0
		.amdhsa_kernarg_size 48
		.amdhsa_user_sgpr_count 2
		.amdhsa_user_sgpr_dispatch_ptr 0
		.amdhsa_user_sgpr_queue_ptr 0
		.amdhsa_user_sgpr_kernarg_segment_ptr 1
		.amdhsa_user_sgpr_dispatch_id 0
		.amdhsa_user_sgpr_kernarg_preload_length 0
		.amdhsa_user_sgpr_kernarg_preload_offset 0
		.amdhsa_user_sgpr_private_segment_size 0
		.amdhsa_wavefront_size32 1
		.amdhsa_uses_dynamic_stack 0
		.amdhsa_enable_private_segment 0
		.amdhsa_system_sgpr_workgroup_id_x 1
		.amdhsa_system_sgpr_workgroup_id_y 0
		.amdhsa_system_sgpr_workgroup_id_z 0
		.amdhsa_system_sgpr_workgroup_info 0
		.amdhsa_system_vgpr_workitem_id 0
		.amdhsa_next_free_vgpr 1
		.amdhsa_next_free_sgpr 1
		.amdhsa_named_barrier_count 0
		.amdhsa_reserve_vcc 0
		.amdhsa_float_round_mode_32 0
		.amdhsa_float_round_mode_16_64 0
		.amdhsa_float_denorm_mode_32 3
		.amdhsa_float_denorm_mode_16_64 3
		.amdhsa_fp16_overflow 0
		.amdhsa_memory_ordered 1
		.amdhsa_forward_progress 1
		.amdhsa_inst_pref_size 0
		.amdhsa_round_robin_scheduling 0
		.amdhsa_exception_fp_ieee_invalid_op 0
		.amdhsa_exception_fp_denorm_src 0
		.amdhsa_exception_fp_ieee_div_zero 0
		.amdhsa_exception_fp_ieee_overflow 0
		.amdhsa_exception_fp_ieee_underflow 0
		.amdhsa_exception_fp_ieee_inexact 0
		.amdhsa_exception_int_div_zero 0
	.end_amdhsa_kernel
	.section	.text._ZN7rocprim17ROCPRIM_400000_NS6detail17trampoline_kernelINS0_14default_configENS1_22reduce_config_selectorIiEEZNS1_11reduce_implILb1ES3_N6hipcub16HIPCUB_304000_NS22TransformInputIteratorIiN2at6native8internal21MapNumberOfTrueValuesEPKhlEEPiiNS8_6detail34convert_binary_result_type_wrapperISt4plusIvESG_iEEEE10hipError_tPvRmT1_T2_T3_mT4_P12ihipStream_tbEUlT_E1_NS1_11comp_targetILNS1_3genE9ELNS1_11target_archE1100ELNS1_3gpuE3ELNS1_3repE0EEENS1_30default_config_static_selectorELNS0_4arch9wavefront6targetE0EEEvSQ_,"axG",@progbits,_ZN7rocprim17ROCPRIM_400000_NS6detail17trampoline_kernelINS0_14default_configENS1_22reduce_config_selectorIiEEZNS1_11reduce_implILb1ES3_N6hipcub16HIPCUB_304000_NS22TransformInputIteratorIiN2at6native8internal21MapNumberOfTrueValuesEPKhlEEPiiNS8_6detail34convert_binary_result_type_wrapperISt4plusIvESG_iEEEE10hipError_tPvRmT1_T2_T3_mT4_P12ihipStream_tbEUlT_E1_NS1_11comp_targetILNS1_3genE9ELNS1_11target_archE1100ELNS1_3gpuE3ELNS1_3repE0EEENS1_30default_config_static_selectorELNS0_4arch9wavefront6targetE0EEEvSQ_,comdat
.Lfunc_end131:
	.size	_ZN7rocprim17ROCPRIM_400000_NS6detail17trampoline_kernelINS0_14default_configENS1_22reduce_config_selectorIiEEZNS1_11reduce_implILb1ES3_N6hipcub16HIPCUB_304000_NS22TransformInputIteratorIiN2at6native8internal21MapNumberOfTrueValuesEPKhlEEPiiNS8_6detail34convert_binary_result_type_wrapperISt4plusIvESG_iEEEE10hipError_tPvRmT1_T2_T3_mT4_P12ihipStream_tbEUlT_E1_NS1_11comp_targetILNS1_3genE9ELNS1_11target_archE1100ELNS1_3gpuE3ELNS1_3repE0EEENS1_30default_config_static_selectorELNS0_4arch9wavefront6targetE0EEEvSQ_, .Lfunc_end131-_ZN7rocprim17ROCPRIM_400000_NS6detail17trampoline_kernelINS0_14default_configENS1_22reduce_config_selectorIiEEZNS1_11reduce_implILb1ES3_N6hipcub16HIPCUB_304000_NS22TransformInputIteratorIiN2at6native8internal21MapNumberOfTrueValuesEPKhlEEPiiNS8_6detail34convert_binary_result_type_wrapperISt4plusIvESG_iEEEE10hipError_tPvRmT1_T2_T3_mT4_P12ihipStream_tbEUlT_E1_NS1_11comp_targetILNS1_3genE9ELNS1_11target_archE1100ELNS1_3gpuE3ELNS1_3repE0EEENS1_30default_config_static_selectorELNS0_4arch9wavefront6targetE0EEEvSQ_
                                        ; -- End function
	.set _ZN7rocprim17ROCPRIM_400000_NS6detail17trampoline_kernelINS0_14default_configENS1_22reduce_config_selectorIiEEZNS1_11reduce_implILb1ES3_N6hipcub16HIPCUB_304000_NS22TransformInputIteratorIiN2at6native8internal21MapNumberOfTrueValuesEPKhlEEPiiNS8_6detail34convert_binary_result_type_wrapperISt4plusIvESG_iEEEE10hipError_tPvRmT1_T2_T3_mT4_P12ihipStream_tbEUlT_E1_NS1_11comp_targetILNS1_3genE9ELNS1_11target_archE1100ELNS1_3gpuE3ELNS1_3repE0EEENS1_30default_config_static_selectorELNS0_4arch9wavefront6targetE0EEEvSQ_.num_vgpr, 0
	.set _ZN7rocprim17ROCPRIM_400000_NS6detail17trampoline_kernelINS0_14default_configENS1_22reduce_config_selectorIiEEZNS1_11reduce_implILb1ES3_N6hipcub16HIPCUB_304000_NS22TransformInputIteratorIiN2at6native8internal21MapNumberOfTrueValuesEPKhlEEPiiNS8_6detail34convert_binary_result_type_wrapperISt4plusIvESG_iEEEE10hipError_tPvRmT1_T2_T3_mT4_P12ihipStream_tbEUlT_E1_NS1_11comp_targetILNS1_3genE9ELNS1_11target_archE1100ELNS1_3gpuE3ELNS1_3repE0EEENS1_30default_config_static_selectorELNS0_4arch9wavefront6targetE0EEEvSQ_.num_agpr, 0
	.set _ZN7rocprim17ROCPRIM_400000_NS6detail17trampoline_kernelINS0_14default_configENS1_22reduce_config_selectorIiEEZNS1_11reduce_implILb1ES3_N6hipcub16HIPCUB_304000_NS22TransformInputIteratorIiN2at6native8internal21MapNumberOfTrueValuesEPKhlEEPiiNS8_6detail34convert_binary_result_type_wrapperISt4plusIvESG_iEEEE10hipError_tPvRmT1_T2_T3_mT4_P12ihipStream_tbEUlT_E1_NS1_11comp_targetILNS1_3genE9ELNS1_11target_archE1100ELNS1_3gpuE3ELNS1_3repE0EEENS1_30default_config_static_selectorELNS0_4arch9wavefront6targetE0EEEvSQ_.numbered_sgpr, 0
	.set _ZN7rocprim17ROCPRIM_400000_NS6detail17trampoline_kernelINS0_14default_configENS1_22reduce_config_selectorIiEEZNS1_11reduce_implILb1ES3_N6hipcub16HIPCUB_304000_NS22TransformInputIteratorIiN2at6native8internal21MapNumberOfTrueValuesEPKhlEEPiiNS8_6detail34convert_binary_result_type_wrapperISt4plusIvESG_iEEEE10hipError_tPvRmT1_T2_T3_mT4_P12ihipStream_tbEUlT_E1_NS1_11comp_targetILNS1_3genE9ELNS1_11target_archE1100ELNS1_3gpuE3ELNS1_3repE0EEENS1_30default_config_static_selectorELNS0_4arch9wavefront6targetE0EEEvSQ_.num_named_barrier, 0
	.set _ZN7rocprim17ROCPRIM_400000_NS6detail17trampoline_kernelINS0_14default_configENS1_22reduce_config_selectorIiEEZNS1_11reduce_implILb1ES3_N6hipcub16HIPCUB_304000_NS22TransformInputIteratorIiN2at6native8internal21MapNumberOfTrueValuesEPKhlEEPiiNS8_6detail34convert_binary_result_type_wrapperISt4plusIvESG_iEEEE10hipError_tPvRmT1_T2_T3_mT4_P12ihipStream_tbEUlT_E1_NS1_11comp_targetILNS1_3genE9ELNS1_11target_archE1100ELNS1_3gpuE3ELNS1_3repE0EEENS1_30default_config_static_selectorELNS0_4arch9wavefront6targetE0EEEvSQ_.private_seg_size, 0
	.set _ZN7rocprim17ROCPRIM_400000_NS6detail17trampoline_kernelINS0_14default_configENS1_22reduce_config_selectorIiEEZNS1_11reduce_implILb1ES3_N6hipcub16HIPCUB_304000_NS22TransformInputIteratorIiN2at6native8internal21MapNumberOfTrueValuesEPKhlEEPiiNS8_6detail34convert_binary_result_type_wrapperISt4plusIvESG_iEEEE10hipError_tPvRmT1_T2_T3_mT4_P12ihipStream_tbEUlT_E1_NS1_11comp_targetILNS1_3genE9ELNS1_11target_archE1100ELNS1_3gpuE3ELNS1_3repE0EEENS1_30default_config_static_selectorELNS0_4arch9wavefront6targetE0EEEvSQ_.uses_vcc, 0
	.set _ZN7rocprim17ROCPRIM_400000_NS6detail17trampoline_kernelINS0_14default_configENS1_22reduce_config_selectorIiEEZNS1_11reduce_implILb1ES3_N6hipcub16HIPCUB_304000_NS22TransformInputIteratorIiN2at6native8internal21MapNumberOfTrueValuesEPKhlEEPiiNS8_6detail34convert_binary_result_type_wrapperISt4plusIvESG_iEEEE10hipError_tPvRmT1_T2_T3_mT4_P12ihipStream_tbEUlT_E1_NS1_11comp_targetILNS1_3genE9ELNS1_11target_archE1100ELNS1_3gpuE3ELNS1_3repE0EEENS1_30default_config_static_selectorELNS0_4arch9wavefront6targetE0EEEvSQ_.uses_flat_scratch, 0
	.set _ZN7rocprim17ROCPRIM_400000_NS6detail17trampoline_kernelINS0_14default_configENS1_22reduce_config_selectorIiEEZNS1_11reduce_implILb1ES3_N6hipcub16HIPCUB_304000_NS22TransformInputIteratorIiN2at6native8internal21MapNumberOfTrueValuesEPKhlEEPiiNS8_6detail34convert_binary_result_type_wrapperISt4plusIvESG_iEEEE10hipError_tPvRmT1_T2_T3_mT4_P12ihipStream_tbEUlT_E1_NS1_11comp_targetILNS1_3genE9ELNS1_11target_archE1100ELNS1_3gpuE3ELNS1_3repE0EEENS1_30default_config_static_selectorELNS0_4arch9wavefront6targetE0EEEvSQ_.has_dyn_sized_stack, 0
	.set _ZN7rocprim17ROCPRIM_400000_NS6detail17trampoline_kernelINS0_14default_configENS1_22reduce_config_selectorIiEEZNS1_11reduce_implILb1ES3_N6hipcub16HIPCUB_304000_NS22TransformInputIteratorIiN2at6native8internal21MapNumberOfTrueValuesEPKhlEEPiiNS8_6detail34convert_binary_result_type_wrapperISt4plusIvESG_iEEEE10hipError_tPvRmT1_T2_T3_mT4_P12ihipStream_tbEUlT_E1_NS1_11comp_targetILNS1_3genE9ELNS1_11target_archE1100ELNS1_3gpuE3ELNS1_3repE0EEENS1_30default_config_static_selectorELNS0_4arch9wavefront6targetE0EEEvSQ_.has_recursion, 0
	.set _ZN7rocprim17ROCPRIM_400000_NS6detail17trampoline_kernelINS0_14default_configENS1_22reduce_config_selectorIiEEZNS1_11reduce_implILb1ES3_N6hipcub16HIPCUB_304000_NS22TransformInputIteratorIiN2at6native8internal21MapNumberOfTrueValuesEPKhlEEPiiNS8_6detail34convert_binary_result_type_wrapperISt4plusIvESG_iEEEE10hipError_tPvRmT1_T2_T3_mT4_P12ihipStream_tbEUlT_E1_NS1_11comp_targetILNS1_3genE9ELNS1_11target_archE1100ELNS1_3gpuE3ELNS1_3repE0EEENS1_30default_config_static_selectorELNS0_4arch9wavefront6targetE0EEEvSQ_.has_indirect_call, 0
	.section	.AMDGPU.csdata,"",@progbits
; Kernel info:
; codeLenInByte = 0
; TotalNumSgprs: 0
; NumVgprs: 0
; ScratchSize: 0
; MemoryBound: 0
; FloatMode: 240
; IeeeMode: 1
; LDSByteSize: 0 bytes/workgroup (compile time only)
; SGPRBlocks: 0
; VGPRBlocks: 0
; NumSGPRsForWavesPerEU: 1
; NumVGPRsForWavesPerEU: 1
; NamedBarCnt: 0
; Occupancy: 16
; WaveLimiterHint : 0
; COMPUTE_PGM_RSRC2:SCRATCH_EN: 0
; COMPUTE_PGM_RSRC2:USER_SGPR: 2
; COMPUTE_PGM_RSRC2:TRAP_HANDLER: 0
; COMPUTE_PGM_RSRC2:TGID_X_EN: 1
; COMPUTE_PGM_RSRC2:TGID_Y_EN: 0
; COMPUTE_PGM_RSRC2:TGID_Z_EN: 0
; COMPUTE_PGM_RSRC2:TIDIG_COMP_CNT: 0
	.section	.text._ZN7rocprim17ROCPRIM_400000_NS6detail17trampoline_kernelINS0_14default_configENS1_22reduce_config_selectorIiEEZNS1_11reduce_implILb1ES3_N6hipcub16HIPCUB_304000_NS22TransformInputIteratorIiN2at6native8internal21MapNumberOfTrueValuesEPKhlEEPiiNS8_6detail34convert_binary_result_type_wrapperISt4plusIvESG_iEEEE10hipError_tPvRmT1_T2_T3_mT4_P12ihipStream_tbEUlT_E1_NS1_11comp_targetILNS1_3genE8ELNS1_11target_archE1030ELNS1_3gpuE2ELNS1_3repE0EEENS1_30default_config_static_selectorELNS0_4arch9wavefront6targetE0EEEvSQ_,"axG",@progbits,_ZN7rocprim17ROCPRIM_400000_NS6detail17trampoline_kernelINS0_14default_configENS1_22reduce_config_selectorIiEEZNS1_11reduce_implILb1ES3_N6hipcub16HIPCUB_304000_NS22TransformInputIteratorIiN2at6native8internal21MapNumberOfTrueValuesEPKhlEEPiiNS8_6detail34convert_binary_result_type_wrapperISt4plusIvESG_iEEEE10hipError_tPvRmT1_T2_T3_mT4_P12ihipStream_tbEUlT_E1_NS1_11comp_targetILNS1_3genE8ELNS1_11target_archE1030ELNS1_3gpuE2ELNS1_3repE0EEENS1_30default_config_static_selectorELNS0_4arch9wavefront6targetE0EEEvSQ_,comdat
	.protected	_ZN7rocprim17ROCPRIM_400000_NS6detail17trampoline_kernelINS0_14default_configENS1_22reduce_config_selectorIiEEZNS1_11reduce_implILb1ES3_N6hipcub16HIPCUB_304000_NS22TransformInputIteratorIiN2at6native8internal21MapNumberOfTrueValuesEPKhlEEPiiNS8_6detail34convert_binary_result_type_wrapperISt4plusIvESG_iEEEE10hipError_tPvRmT1_T2_T3_mT4_P12ihipStream_tbEUlT_E1_NS1_11comp_targetILNS1_3genE8ELNS1_11target_archE1030ELNS1_3gpuE2ELNS1_3repE0EEENS1_30default_config_static_selectorELNS0_4arch9wavefront6targetE0EEEvSQ_ ; -- Begin function _ZN7rocprim17ROCPRIM_400000_NS6detail17trampoline_kernelINS0_14default_configENS1_22reduce_config_selectorIiEEZNS1_11reduce_implILb1ES3_N6hipcub16HIPCUB_304000_NS22TransformInputIteratorIiN2at6native8internal21MapNumberOfTrueValuesEPKhlEEPiiNS8_6detail34convert_binary_result_type_wrapperISt4plusIvESG_iEEEE10hipError_tPvRmT1_T2_T3_mT4_P12ihipStream_tbEUlT_E1_NS1_11comp_targetILNS1_3genE8ELNS1_11target_archE1030ELNS1_3gpuE2ELNS1_3repE0EEENS1_30default_config_static_selectorELNS0_4arch9wavefront6targetE0EEEvSQ_
	.globl	_ZN7rocprim17ROCPRIM_400000_NS6detail17trampoline_kernelINS0_14default_configENS1_22reduce_config_selectorIiEEZNS1_11reduce_implILb1ES3_N6hipcub16HIPCUB_304000_NS22TransformInputIteratorIiN2at6native8internal21MapNumberOfTrueValuesEPKhlEEPiiNS8_6detail34convert_binary_result_type_wrapperISt4plusIvESG_iEEEE10hipError_tPvRmT1_T2_T3_mT4_P12ihipStream_tbEUlT_E1_NS1_11comp_targetILNS1_3genE8ELNS1_11target_archE1030ELNS1_3gpuE2ELNS1_3repE0EEENS1_30default_config_static_selectorELNS0_4arch9wavefront6targetE0EEEvSQ_
	.p2align	8
	.type	_ZN7rocprim17ROCPRIM_400000_NS6detail17trampoline_kernelINS0_14default_configENS1_22reduce_config_selectorIiEEZNS1_11reduce_implILb1ES3_N6hipcub16HIPCUB_304000_NS22TransformInputIteratorIiN2at6native8internal21MapNumberOfTrueValuesEPKhlEEPiiNS8_6detail34convert_binary_result_type_wrapperISt4plusIvESG_iEEEE10hipError_tPvRmT1_T2_T3_mT4_P12ihipStream_tbEUlT_E1_NS1_11comp_targetILNS1_3genE8ELNS1_11target_archE1030ELNS1_3gpuE2ELNS1_3repE0EEENS1_30default_config_static_selectorELNS0_4arch9wavefront6targetE0EEEvSQ_,@function
_ZN7rocprim17ROCPRIM_400000_NS6detail17trampoline_kernelINS0_14default_configENS1_22reduce_config_selectorIiEEZNS1_11reduce_implILb1ES3_N6hipcub16HIPCUB_304000_NS22TransformInputIteratorIiN2at6native8internal21MapNumberOfTrueValuesEPKhlEEPiiNS8_6detail34convert_binary_result_type_wrapperISt4plusIvESG_iEEEE10hipError_tPvRmT1_T2_T3_mT4_P12ihipStream_tbEUlT_E1_NS1_11comp_targetILNS1_3genE8ELNS1_11target_archE1030ELNS1_3gpuE2ELNS1_3repE0EEENS1_30default_config_static_selectorELNS0_4arch9wavefront6targetE0EEEvSQ_: ; @_ZN7rocprim17ROCPRIM_400000_NS6detail17trampoline_kernelINS0_14default_configENS1_22reduce_config_selectorIiEEZNS1_11reduce_implILb1ES3_N6hipcub16HIPCUB_304000_NS22TransformInputIteratorIiN2at6native8internal21MapNumberOfTrueValuesEPKhlEEPiiNS8_6detail34convert_binary_result_type_wrapperISt4plusIvESG_iEEEE10hipError_tPvRmT1_T2_T3_mT4_P12ihipStream_tbEUlT_E1_NS1_11comp_targetILNS1_3genE8ELNS1_11target_archE1030ELNS1_3gpuE2ELNS1_3repE0EEENS1_30default_config_static_selectorELNS0_4arch9wavefront6targetE0EEEvSQ_
; %bb.0:
	.section	.rodata,"a",@progbits
	.p2align	6, 0x0
	.amdhsa_kernel _ZN7rocprim17ROCPRIM_400000_NS6detail17trampoline_kernelINS0_14default_configENS1_22reduce_config_selectorIiEEZNS1_11reduce_implILb1ES3_N6hipcub16HIPCUB_304000_NS22TransformInputIteratorIiN2at6native8internal21MapNumberOfTrueValuesEPKhlEEPiiNS8_6detail34convert_binary_result_type_wrapperISt4plusIvESG_iEEEE10hipError_tPvRmT1_T2_T3_mT4_P12ihipStream_tbEUlT_E1_NS1_11comp_targetILNS1_3genE8ELNS1_11target_archE1030ELNS1_3gpuE2ELNS1_3repE0EEENS1_30default_config_static_selectorELNS0_4arch9wavefront6targetE0EEEvSQ_
		.amdhsa_group_segment_fixed_size 0
		.amdhsa_private_segment_fixed_size 0
		.amdhsa_kernarg_size 48
		.amdhsa_user_sgpr_count 2
		.amdhsa_user_sgpr_dispatch_ptr 0
		.amdhsa_user_sgpr_queue_ptr 0
		.amdhsa_user_sgpr_kernarg_segment_ptr 1
		.amdhsa_user_sgpr_dispatch_id 0
		.amdhsa_user_sgpr_kernarg_preload_length 0
		.amdhsa_user_sgpr_kernarg_preload_offset 0
		.amdhsa_user_sgpr_private_segment_size 0
		.amdhsa_wavefront_size32 1
		.amdhsa_uses_dynamic_stack 0
		.amdhsa_enable_private_segment 0
		.amdhsa_system_sgpr_workgroup_id_x 1
		.amdhsa_system_sgpr_workgroup_id_y 0
		.amdhsa_system_sgpr_workgroup_id_z 0
		.amdhsa_system_sgpr_workgroup_info 0
		.amdhsa_system_vgpr_workitem_id 0
		.amdhsa_next_free_vgpr 1
		.amdhsa_next_free_sgpr 1
		.amdhsa_named_barrier_count 0
		.amdhsa_reserve_vcc 0
		.amdhsa_float_round_mode_32 0
		.amdhsa_float_round_mode_16_64 0
		.amdhsa_float_denorm_mode_32 3
		.amdhsa_float_denorm_mode_16_64 3
		.amdhsa_fp16_overflow 0
		.amdhsa_memory_ordered 1
		.amdhsa_forward_progress 1
		.amdhsa_inst_pref_size 0
		.amdhsa_round_robin_scheduling 0
		.amdhsa_exception_fp_ieee_invalid_op 0
		.amdhsa_exception_fp_denorm_src 0
		.amdhsa_exception_fp_ieee_div_zero 0
		.amdhsa_exception_fp_ieee_overflow 0
		.amdhsa_exception_fp_ieee_underflow 0
		.amdhsa_exception_fp_ieee_inexact 0
		.amdhsa_exception_int_div_zero 0
	.end_amdhsa_kernel
	.section	.text._ZN7rocprim17ROCPRIM_400000_NS6detail17trampoline_kernelINS0_14default_configENS1_22reduce_config_selectorIiEEZNS1_11reduce_implILb1ES3_N6hipcub16HIPCUB_304000_NS22TransformInputIteratorIiN2at6native8internal21MapNumberOfTrueValuesEPKhlEEPiiNS8_6detail34convert_binary_result_type_wrapperISt4plusIvESG_iEEEE10hipError_tPvRmT1_T2_T3_mT4_P12ihipStream_tbEUlT_E1_NS1_11comp_targetILNS1_3genE8ELNS1_11target_archE1030ELNS1_3gpuE2ELNS1_3repE0EEENS1_30default_config_static_selectorELNS0_4arch9wavefront6targetE0EEEvSQ_,"axG",@progbits,_ZN7rocprim17ROCPRIM_400000_NS6detail17trampoline_kernelINS0_14default_configENS1_22reduce_config_selectorIiEEZNS1_11reduce_implILb1ES3_N6hipcub16HIPCUB_304000_NS22TransformInputIteratorIiN2at6native8internal21MapNumberOfTrueValuesEPKhlEEPiiNS8_6detail34convert_binary_result_type_wrapperISt4plusIvESG_iEEEE10hipError_tPvRmT1_T2_T3_mT4_P12ihipStream_tbEUlT_E1_NS1_11comp_targetILNS1_3genE8ELNS1_11target_archE1030ELNS1_3gpuE2ELNS1_3repE0EEENS1_30default_config_static_selectorELNS0_4arch9wavefront6targetE0EEEvSQ_,comdat
.Lfunc_end132:
	.size	_ZN7rocprim17ROCPRIM_400000_NS6detail17trampoline_kernelINS0_14default_configENS1_22reduce_config_selectorIiEEZNS1_11reduce_implILb1ES3_N6hipcub16HIPCUB_304000_NS22TransformInputIteratorIiN2at6native8internal21MapNumberOfTrueValuesEPKhlEEPiiNS8_6detail34convert_binary_result_type_wrapperISt4plusIvESG_iEEEE10hipError_tPvRmT1_T2_T3_mT4_P12ihipStream_tbEUlT_E1_NS1_11comp_targetILNS1_3genE8ELNS1_11target_archE1030ELNS1_3gpuE2ELNS1_3repE0EEENS1_30default_config_static_selectorELNS0_4arch9wavefront6targetE0EEEvSQ_, .Lfunc_end132-_ZN7rocprim17ROCPRIM_400000_NS6detail17trampoline_kernelINS0_14default_configENS1_22reduce_config_selectorIiEEZNS1_11reduce_implILb1ES3_N6hipcub16HIPCUB_304000_NS22TransformInputIteratorIiN2at6native8internal21MapNumberOfTrueValuesEPKhlEEPiiNS8_6detail34convert_binary_result_type_wrapperISt4plusIvESG_iEEEE10hipError_tPvRmT1_T2_T3_mT4_P12ihipStream_tbEUlT_E1_NS1_11comp_targetILNS1_3genE8ELNS1_11target_archE1030ELNS1_3gpuE2ELNS1_3repE0EEENS1_30default_config_static_selectorELNS0_4arch9wavefront6targetE0EEEvSQ_
                                        ; -- End function
	.set _ZN7rocprim17ROCPRIM_400000_NS6detail17trampoline_kernelINS0_14default_configENS1_22reduce_config_selectorIiEEZNS1_11reduce_implILb1ES3_N6hipcub16HIPCUB_304000_NS22TransformInputIteratorIiN2at6native8internal21MapNumberOfTrueValuesEPKhlEEPiiNS8_6detail34convert_binary_result_type_wrapperISt4plusIvESG_iEEEE10hipError_tPvRmT1_T2_T3_mT4_P12ihipStream_tbEUlT_E1_NS1_11comp_targetILNS1_3genE8ELNS1_11target_archE1030ELNS1_3gpuE2ELNS1_3repE0EEENS1_30default_config_static_selectorELNS0_4arch9wavefront6targetE0EEEvSQ_.num_vgpr, 0
	.set _ZN7rocprim17ROCPRIM_400000_NS6detail17trampoline_kernelINS0_14default_configENS1_22reduce_config_selectorIiEEZNS1_11reduce_implILb1ES3_N6hipcub16HIPCUB_304000_NS22TransformInputIteratorIiN2at6native8internal21MapNumberOfTrueValuesEPKhlEEPiiNS8_6detail34convert_binary_result_type_wrapperISt4plusIvESG_iEEEE10hipError_tPvRmT1_T2_T3_mT4_P12ihipStream_tbEUlT_E1_NS1_11comp_targetILNS1_3genE8ELNS1_11target_archE1030ELNS1_3gpuE2ELNS1_3repE0EEENS1_30default_config_static_selectorELNS0_4arch9wavefront6targetE0EEEvSQ_.num_agpr, 0
	.set _ZN7rocprim17ROCPRIM_400000_NS6detail17trampoline_kernelINS0_14default_configENS1_22reduce_config_selectorIiEEZNS1_11reduce_implILb1ES3_N6hipcub16HIPCUB_304000_NS22TransformInputIteratorIiN2at6native8internal21MapNumberOfTrueValuesEPKhlEEPiiNS8_6detail34convert_binary_result_type_wrapperISt4plusIvESG_iEEEE10hipError_tPvRmT1_T2_T3_mT4_P12ihipStream_tbEUlT_E1_NS1_11comp_targetILNS1_3genE8ELNS1_11target_archE1030ELNS1_3gpuE2ELNS1_3repE0EEENS1_30default_config_static_selectorELNS0_4arch9wavefront6targetE0EEEvSQ_.numbered_sgpr, 0
	.set _ZN7rocprim17ROCPRIM_400000_NS6detail17trampoline_kernelINS0_14default_configENS1_22reduce_config_selectorIiEEZNS1_11reduce_implILb1ES3_N6hipcub16HIPCUB_304000_NS22TransformInputIteratorIiN2at6native8internal21MapNumberOfTrueValuesEPKhlEEPiiNS8_6detail34convert_binary_result_type_wrapperISt4plusIvESG_iEEEE10hipError_tPvRmT1_T2_T3_mT4_P12ihipStream_tbEUlT_E1_NS1_11comp_targetILNS1_3genE8ELNS1_11target_archE1030ELNS1_3gpuE2ELNS1_3repE0EEENS1_30default_config_static_selectorELNS0_4arch9wavefront6targetE0EEEvSQ_.num_named_barrier, 0
	.set _ZN7rocprim17ROCPRIM_400000_NS6detail17trampoline_kernelINS0_14default_configENS1_22reduce_config_selectorIiEEZNS1_11reduce_implILb1ES3_N6hipcub16HIPCUB_304000_NS22TransformInputIteratorIiN2at6native8internal21MapNumberOfTrueValuesEPKhlEEPiiNS8_6detail34convert_binary_result_type_wrapperISt4plusIvESG_iEEEE10hipError_tPvRmT1_T2_T3_mT4_P12ihipStream_tbEUlT_E1_NS1_11comp_targetILNS1_3genE8ELNS1_11target_archE1030ELNS1_3gpuE2ELNS1_3repE0EEENS1_30default_config_static_selectorELNS0_4arch9wavefront6targetE0EEEvSQ_.private_seg_size, 0
	.set _ZN7rocprim17ROCPRIM_400000_NS6detail17trampoline_kernelINS0_14default_configENS1_22reduce_config_selectorIiEEZNS1_11reduce_implILb1ES3_N6hipcub16HIPCUB_304000_NS22TransformInputIteratorIiN2at6native8internal21MapNumberOfTrueValuesEPKhlEEPiiNS8_6detail34convert_binary_result_type_wrapperISt4plusIvESG_iEEEE10hipError_tPvRmT1_T2_T3_mT4_P12ihipStream_tbEUlT_E1_NS1_11comp_targetILNS1_3genE8ELNS1_11target_archE1030ELNS1_3gpuE2ELNS1_3repE0EEENS1_30default_config_static_selectorELNS0_4arch9wavefront6targetE0EEEvSQ_.uses_vcc, 0
	.set _ZN7rocprim17ROCPRIM_400000_NS6detail17trampoline_kernelINS0_14default_configENS1_22reduce_config_selectorIiEEZNS1_11reduce_implILb1ES3_N6hipcub16HIPCUB_304000_NS22TransformInputIteratorIiN2at6native8internal21MapNumberOfTrueValuesEPKhlEEPiiNS8_6detail34convert_binary_result_type_wrapperISt4plusIvESG_iEEEE10hipError_tPvRmT1_T2_T3_mT4_P12ihipStream_tbEUlT_E1_NS1_11comp_targetILNS1_3genE8ELNS1_11target_archE1030ELNS1_3gpuE2ELNS1_3repE0EEENS1_30default_config_static_selectorELNS0_4arch9wavefront6targetE0EEEvSQ_.uses_flat_scratch, 0
	.set _ZN7rocprim17ROCPRIM_400000_NS6detail17trampoline_kernelINS0_14default_configENS1_22reduce_config_selectorIiEEZNS1_11reduce_implILb1ES3_N6hipcub16HIPCUB_304000_NS22TransformInputIteratorIiN2at6native8internal21MapNumberOfTrueValuesEPKhlEEPiiNS8_6detail34convert_binary_result_type_wrapperISt4plusIvESG_iEEEE10hipError_tPvRmT1_T2_T3_mT4_P12ihipStream_tbEUlT_E1_NS1_11comp_targetILNS1_3genE8ELNS1_11target_archE1030ELNS1_3gpuE2ELNS1_3repE0EEENS1_30default_config_static_selectorELNS0_4arch9wavefront6targetE0EEEvSQ_.has_dyn_sized_stack, 0
	.set _ZN7rocprim17ROCPRIM_400000_NS6detail17trampoline_kernelINS0_14default_configENS1_22reduce_config_selectorIiEEZNS1_11reduce_implILb1ES3_N6hipcub16HIPCUB_304000_NS22TransformInputIteratorIiN2at6native8internal21MapNumberOfTrueValuesEPKhlEEPiiNS8_6detail34convert_binary_result_type_wrapperISt4plusIvESG_iEEEE10hipError_tPvRmT1_T2_T3_mT4_P12ihipStream_tbEUlT_E1_NS1_11comp_targetILNS1_3genE8ELNS1_11target_archE1030ELNS1_3gpuE2ELNS1_3repE0EEENS1_30default_config_static_selectorELNS0_4arch9wavefront6targetE0EEEvSQ_.has_recursion, 0
	.set _ZN7rocprim17ROCPRIM_400000_NS6detail17trampoline_kernelINS0_14default_configENS1_22reduce_config_selectorIiEEZNS1_11reduce_implILb1ES3_N6hipcub16HIPCUB_304000_NS22TransformInputIteratorIiN2at6native8internal21MapNumberOfTrueValuesEPKhlEEPiiNS8_6detail34convert_binary_result_type_wrapperISt4plusIvESG_iEEEE10hipError_tPvRmT1_T2_T3_mT4_P12ihipStream_tbEUlT_E1_NS1_11comp_targetILNS1_3genE8ELNS1_11target_archE1030ELNS1_3gpuE2ELNS1_3repE0EEENS1_30default_config_static_selectorELNS0_4arch9wavefront6targetE0EEEvSQ_.has_indirect_call, 0
	.section	.AMDGPU.csdata,"",@progbits
; Kernel info:
; codeLenInByte = 0
; TotalNumSgprs: 0
; NumVgprs: 0
; ScratchSize: 0
; MemoryBound: 0
; FloatMode: 240
; IeeeMode: 1
; LDSByteSize: 0 bytes/workgroup (compile time only)
; SGPRBlocks: 0
; VGPRBlocks: 0
; NumSGPRsForWavesPerEU: 1
; NumVGPRsForWavesPerEU: 1
; NamedBarCnt: 0
; Occupancy: 16
; WaveLimiterHint : 0
; COMPUTE_PGM_RSRC2:SCRATCH_EN: 0
; COMPUTE_PGM_RSRC2:USER_SGPR: 2
; COMPUTE_PGM_RSRC2:TRAP_HANDLER: 0
; COMPUTE_PGM_RSRC2:TGID_X_EN: 1
; COMPUTE_PGM_RSRC2:TGID_Y_EN: 0
; COMPUTE_PGM_RSRC2:TGID_Z_EN: 0
; COMPUTE_PGM_RSRC2:TIDIG_COMP_CNT: 0
	.section	.text._ZN2at6native8internal12_GLOBAL__N_126adjacent_difference_kernelIPKhEEvlT_Pi,"axG",@progbits,_ZN2at6native8internal12_GLOBAL__N_126adjacent_difference_kernelIPKhEEvlT_Pi,comdat
	.globl	_ZN2at6native8internal12_GLOBAL__N_126adjacent_difference_kernelIPKhEEvlT_Pi ; -- Begin function _ZN2at6native8internal12_GLOBAL__N_126adjacent_difference_kernelIPKhEEvlT_Pi
	.p2align	8
	.type	_ZN2at6native8internal12_GLOBAL__N_126adjacent_difference_kernelIPKhEEvlT_Pi,@function
_ZN2at6native8internal12_GLOBAL__N_126adjacent_difference_kernelIPKhEEvlT_Pi: ; @_ZN2at6native8internal12_GLOBAL__N_126adjacent_difference_kernelIPKhEEvlT_Pi
; %bb.0:
	s_clause 0x1
	s_load_b32 s2, s[0:1], 0x24
	s_load_b128 s[4:7], s[0:1], 0x0
	s_bfe_u32 s9, ttmp6, 0x4000c
	s_and_b32 s8, ttmp6, 15
	s_add_co_i32 s9, s9, 1
	s_getreg_b32 s10, hwreg(HW_REG_IB_STS2, 6, 4)
	s_mul_i32 s9, ttmp9, s9
	s_mov_b32 s3, 0
	s_add_co_i32 s8, s8, s9
	s_cmp_eq_u32 s10, 0
	v_mov_b32_e32 v1, 0
	s_mov_b32 s15, s3
	s_cselect_b32 s14, ttmp9, s8
	s_mov_b32 s13, s3
	s_wait_kmcnt 0x0
	s_and_b32 s12, s2, 0xffff
	s_mov_b32 s2, exec_lo
	s_mul_u64 s[8:9], s[12:13], s[14:15]
	s_delay_alu instid0(SALU_CYCLE_1) | instskip(NEXT) | instid1(VALU_DEP_1)
	v_add_nc_u64_e32 v[4:5], s[8:9], v[0:1]
	v_cmpx_gt_i64_e64 s[4:5], v[4:5]
	s_cbranch_execz .LBB133_5
; %bb.1:
	s_add_nc_u64 s[16:17], s[0:1], 24
	v_dual_mov_b32 v2, v1 :: v_dual_mov_b32 v3, v4
	s_load_b32 s2, s[16:17], 0x0
	s_load_b64 s[10:11], s[0:1], 0x10
	v_mov_b64_e32 v[4:5], v[0:1]
	s_mul_i32 s13, s14, s12
	s_wait_xcnt 0x0
	s_mov_b32 s0, s3
	s_wait_kmcnt 0x0
	s_mul_i32 s2, s2, s12
	s_mov_b32 s12, s3
	s_mov_b32 s1, s2
	s_branch .LBB133_3
.LBB133_2:                              ;   in Loop: Header=BB133_3 Depth=1
	s_or_b32 exec_lo, exec_lo, s14
	v_add_nc_u64_e32 v[4:5], s[2:3], v[4:5]
	v_ashrrev_i64 v[8:9], 30, v[2:3]
	v_add_nc_u64_e32 v[2:3], s[0:1], v[2:3]
	s_delay_alu instid0(VALU_DEP_3) | instskip(NEXT) | instid1(VALU_DEP_1)
	v_add_nc_u64_e32 v[6:7], s[8:9], v[4:5]
	v_cmp_le_i64_e32 vcc_lo, s[4:5], v[6:7]
	s_delay_alu instid0(VALU_DEP_4)
	v_add_nc_u64_e32 v[6:7], s[10:11], v[8:9]
	s_or_b32 s12, vcc_lo, s12
	global_store_b32 v[6:7], v0, off
	s_wait_xcnt 0x0
	s_and_not1_b32 exec_lo, exec_lo, s12
	s_cbranch_execz .LBB133_5
.LBB133_3:                              ; =>This Inner Loop Header: Depth=1
	v_dual_add_nc_u32 v6, s13, v4 :: v_dual_mov_b32 v0, 0
	s_mov_b32 s14, exec_lo
	s_delay_alu instid0(VALU_DEP_1)
	v_cmpx_lt_i32_e32 0, v6
	s_cbranch_execz .LBB133_2
; %bb.4:                                ;   in Loop: Header=BB133_3 Depth=1
	v_add_nc_u32_e32 v8, s8, v4
	s_delay_alu instid0(VALU_DEP_1) | instskip(NEXT) | instid1(VALU_DEP_1)
	v_and_b32_e32 v0, 0x7fffffff, v8
	v_add_nc_u64_e32 v[6:7], s[6:7], v[0:1]
	v_add_nc_u32_e32 v0, -1, v8
	s_clause 0x1
	global_load_u8 v8, v[6:7], off
	global_load_u8 v9, v0, s[6:7]
	s_wait_loadcnt 0x0
	v_cmp_ne_u16_e32 vcc_lo, v8, v9
	s_wait_xcnt 0x0
	v_cndmask_b32_e64 v0, 0, 1, vcc_lo
	s_branch .LBB133_2
.LBB133_5:
	s_endpgm
	.section	.rodata,"a",@progbits
	.p2align	6, 0x0
	.amdhsa_kernel _ZN2at6native8internal12_GLOBAL__N_126adjacent_difference_kernelIPKhEEvlT_Pi
		.amdhsa_group_segment_fixed_size 0
		.amdhsa_private_segment_fixed_size 0
		.amdhsa_kernarg_size 280
		.amdhsa_user_sgpr_count 2
		.amdhsa_user_sgpr_dispatch_ptr 0
		.amdhsa_user_sgpr_queue_ptr 0
		.amdhsa_user_sgpr_kernarg_segment_ptr 1
		.amdhsa_user_sgpr_dispatch_id 0
		.amdhsa_user_sgpr_kernarg_preload_length 0
		.amdhsa_user_sgpr_kernarg_preload_offset 0
		.amdhsa_user_sgpr_private_segment_size 0
		.amdhsa_wavefront_size32 1
		.amdhsa_uses_dynamic_stack 0
		.amdhsa_enable_private_segment 0
		.amdhsa_system_sgpr_workgroup_id_x 1
		.amdhsa_system_sgpr_workgroup_id_y 0
		.amdhsa_system_sgpr_workgroup_id_z 0
		.amdhsa_system_sgpr_workgroup_info 0
		.amdhsa_system_vgpr_workitem_id 0
		.amdhsa_next_free_vgpr 10
		.amdhsa_next_free_sgpr 18
		.amdhsa_named_barrier_count 0
		.amdhsa_reserve_vcc 1
		.amdhsa_float_round_mode_32 0
		.amdhsa_float_round_mode_16_64 0
		.amdhsa_float_denorm_mode_32 3
		.amdhsa_float_denorm_mode_16_64 3
		.amdhsa_fp16_overflow 0
		.amdhsa_memory_ordered 1
		.amdhsa_forward_progress 1
		.amdhsa_inst_pref_size 3
		.amdhsa_round_robin_scheduling 0
		.amdhsa_exception_fp_ieee_invalid_op 0
		.amdhsa_exception_fp_denorm_src 0
		.amdhsa_exception_fp_ieee_div_zero 0
		.amdhsa_exception_fp_ieee_overflow 0
		.amdhsa_exception_fp_ieee_underflow 0
		.amdhsa_exception_fp_ieee_inexact 0
		.amdhsa_exception_int_div_zero 0
	.end_amdhsa_kernel
	.section	.text._ZN2at6native8internal12_GLOBAL__N_126adjacent_difference_kernelIPKhEEvlT_Pi,"axG",@progbits,_ZN2at6native8internal12_GLOBAL__N_126adjacent_difference_kernelIPKhEEvlT_Pi,comdat
.Lfunc_end133:
	.size	_ZN2at6native8internal12_GLOBAL__N_126adjacent_difference_kernelIPKhEEvlT_Pi, .Lfunc_end133-_ZN2at6native8internal12_GLOBAL__N_126adjacent_difference_kernelIPKhEEvlT_Pi
                                        ; -- End function
	.set _ZN2at6native8internal12_GLOBAL__N_126adjacent_difference_kernelIPKhEEvlT_Pi.num_vgpr, 10
	.set _ZN2at6native8internal12_GLOBAL__N_126adjacent_difference_kernelIPKhEEvlT_Pi.num_agpr, 0
	.set _ZN2at6native8internal12_GLOBAL__N_126adjacent_difference_kernelIPKhEEvlT_Pi.numbered_sgpr, 18
	.set _ZN2at6native8internal12_GLOBAL__N_126adjacent_difference_kernelIPKhEEvlT_Pi.num_named_barrier, 0
	.set _ZN2at6native8internal12_GLOBAL__N_126adjacent_difference_kernelIPKhEEvlT_Pi.private_seg_size, 0
	.set _ZN2at6native8internal12_GLOBAL__N_126adjacent_difference_kernelIPKhEEvlT_Pi.uses_vcc, 1
	.set _ZN2at6native8internal12_GLOBAL__N_126adjacent_difference_kernelIPKhEEvlT_Pi.uses_flat_scratch, 0
	.set _ZN2at6native8internal12_GLOBAL__N_126adjacent_difference_kernelIPKhEEvlT_Pi.has_dyn_sized_stack, 0
	.set _ZN2at6native8internal12_GLOBAL__N_126adjacent_difference_kernelIPKhEEvlT_Pi.has_recursion, 0
	.set _ZN2at6native8internal12_GLOBAL__N_126adjacent_difference_kernelIPKhEEvlT_Pi.has_indirect_call, 0
	.section	.AMDGPU.csdata,"",@progbits
; Kernel info:
; codeLenInByte = 352
; TotalNumSgprs: 20
; NumVgprs: 10
; ScratchSize: 0
; MemoryBound: 0
; FloatMode: 240
; IeeeMode: 1
; LDSByteSize: 0 bytes/workgroup (compile time only)
; SGPRBlocks: 0
; VGPRBlocks: 0
; NumSGPRsForWavesPerEU: 20
; NumVGPRsForWavesPerEU: 10
; NamedBarCnt: 0
; Occupancy: 16
; WaveLimiterHint : 0
; COMPUTE_PGM_RSRC2:SCRATCH_EN: 0
; COMPUTE_PGM_RSRC2:USER_SGPR: 2
; COMPUTE_PGM_RSRC2:TRAP_HANDLER: 0
; COMPUTE_PGM_RSRC2:TGID_X_EN: 1
; COMPUTE_PGM_RSRC2:TGID_Y_EN: 0
; COMPUTE_PGM_RSRC2:TGID_Z_EN: 0
; COMPUTE_PGM_RSRC2:TIDIG_COMP_CNT: 0
	.section	.text._ZN7rocprim17ROCPRIM_400000_NS6detail17trampoline_kernelINS0_14default_configENS1_25partition_config_selectorILNS1_17partition_subalgoE8EhNS0_10empty_typeEbEEZZNS1_14partition_implILS5_8ELb0ES3_jPKhPS6_PKS6_NS0_5tupleIJPhS6_EEENSE_IJSB_SB_EEENS0_18inequality_wrapperIN6hipcub16HIPCUB_304000_NS8EqualityEEEPlJS6_EEE10hipError_tPvRmT3_T4_T5_T6_T7_T9_mT8_P12ihipStream_tbDpT10_ENKUlT_T0_E_clISt17integral_constantIbLb0EES17_EEDaS12_S13_EUlS12_E_NS1_11comp_targetILNS1_3genE0ELNS1_11target_archE4294967295ELNS1_3gpuE0ELNS1_3repE0EEENS1_30default_config_static_selectorELNS0_4arch9wavefront6targetE0EEEvT1_,"axG",@progbits,_ZN7rocprim17ROCPRIM_400000_NS6detail17trampoline_kernelINS0_14default_configENS1_25partition_config_selectorILNS1_17partition_subalgoE8EhNS0_10empty_typeEbEEZZNS1_14partition_implILS5_8ELb0ES3_jPKhPS6_PKS6_NS0_5tupleIJPhS6_EEENSE_IJSB_SB_EEENS0_18inequality_wrapperIN6hipcub16HIPCUB_304000_NS8EqualityEEEPlJS6_EEE10hipError_tPvRmT3_T4_T5_T6_T7_T9_mT8_P12ihipStream_tbDpT10_ENKUlT_T0_E_clISt17integral_constantIbLb0EES17_EEDaS12_S13_EUlS12_E_NS1_11comp_targetILNS1_3genE0ELNS1_11target_archE4294967295ELNS1_3gpuE0ELNS1_3repE0EEENS1_30default_config_static_selectorELNS0_4arch9wavefront6targetE0EEEvT1_,comdat
	.protected	_ZN7rocprim17ROCPRIM_400000_NS6detail17trampoline_kernelINS0_14default_configENS1_25partition_config_selectorILNS1_17partition_subalgoE8EhNS0_10empty_typeEbEEZZNS1_14partition_implILS5_8ELb0ES3_jPKhPS6_PKS6_NS0_5tupleIJPhS6_EEENSE_IJSB_SB_EEENS0_18inequality_wrapperIN6hipcub16HIPCUB_304000_NS8EqualityEEEPlJS6_EEE10hipError_tPvRmT3_T4_T5_T6_T7_T9_mT8_P12ihipStream_tbDpT10_ENKUlT_T0_E_clISt17integral_constantIbLb0EES17_EEDaS12_S13_EUlS12_E_NS1_11comp_targetILNS1_3genE0ELNS1_11target_archE4294967295ELNS1_3gpuE0ELNS1_3repE0EEENS1_30default_config_static_selectorELNS0_4arch9wavefront6targetE0EEEvT1_ ; -- Begin function _ZN7rocprim17ROCPRIM_400000_NS6detail17trampoline_kernelINS0_14default_configENS1_25partition_config_selectorILNS1_17partition_subalgoE8EhNS0_10empty_typeEbEEZZNS1_14partition_implILS5_8ELb0ES3_jPKhPS6_PKS6_NS0_5tupleIJPhS6_EEENSE_IJSB_SB_EEENS0_18inequality_wrapperIN6hipcub16HIPCUB_304000_NS8EqualityEEEPlJS6_EEE10hipError_tPvRmT3_T4_T5_T6_T7_T9_mT8_P12ihipStream_tbDpT10_ENKUlT_T0_E_clISt17integral_constantIbLb0EES17_EEDaS12_S13_EUlS12_E_NS1_11comp_targetILNS1_3genE0ELNS1_11target_archE4294967295ELNS1_3gpuE0ELNS1_3repE0EEENS1_30default_config_static_selectorELNS0_4arch9wavefront6targetE0EEEvT1_
	.globl	_ZN7rocprim17ROCPRIM_400000_NS6detail17trampoline_kernelINS0_14default_configENS1_25partition_config_selectorILNS1_17partition_subalgoE8EhNS0_10empty_typeEbEEZZNS1_14partition_implILS5_8ELb0ES3_jPKhPS6_PKS6_NS0_5tupleIJPhS6_EEENSE_IJSB_SB_EEENS0_18inequality_wrapperIN6hipcub16HIPCUB_304000_NS8EqualityEEEPlJS6_EEE10hipError_tPvRmT3_T4_T5_T6_T7_T9_mT8_P12ihipStream_tbDpT10_ENKUlT_T0_E_clISt17integral_constantIbLb0EES17_EEDaS12_S13_EUlS12_E_NS1_11comp_targetILNS1_3genE0ELNS1_11target_archE4294967295ELNS1_3gpuE0ELNS1_3repE0EEENS1_30default_config_static_selectorELNS0_4arch9wavefront6targetE0EEEvT1_
	.p2align	8
	.type	_ZN7rocprim17ROCPRIM_400000_NS6detail17trampoline_kernelINS0_14default_configENS1_25partition_config_selectorILNS1_17partition_subalgoE8EhNS0_10empty_typeEbEEZZNS1_14partition_implILS5_8ELb0ES3_jPKhPS6_PKS6_NS0_5tupleIJPhS6_EEENSE_IJSB_SB_EEENS0_18inequality_wrapperIN6hipcub16HIPCUB_304000_NS8EqualityEEEPlJS6_EEE10hipError_tPvRmT3_T4_T5_T6_T7_T9_mT8_P12ihipStream_tbDpT10_ENKUlT_T0_E_clISt17integral_constantIbLb0EES17_EEDaS12_S13_EUlS12_E_NS1_11comp_targetILNS1_3genE0ELNS1_11target_archE4294967295ELNS1_3gpuE0ELNS1_3repE0EEENS1_30default_config_static_selectorELNS0_4arch9wavefront6targetE0EEEvT1_,@function
_ZN7rocprim17ROCPRIM_400000_NS6detail17trampoline_kernelINS0_14default_configENS1_25partition_config_selectorILNS1_17partition_subalgoE8EhNS0_10empty_typeEbEEZZNS1_14partition_implILS5_8ELb0ES3_jPKhPS6_PKS6_NS0_5tupleIJPhS6_EEENSE_IJSB_SB_EEENS0_18inequality_wrapperIN6hipcub16HIPCUB_304000_NS8EqualityEEEPlJS6_EEE10hipError_tPvRmT3_T4_T5_T6_T7_T9_mT8_P12ihipStream_tbDpT10_ENKUlT_T0_E_clISt17integral_constantIbLb0EES17_EEDaS12_S13_EUlS12_E_NS1_11comp_targetILNS1_3genE0ELNS1_11target_archE4294967295ELNS1_3gpuE0ELNS1_3repE0EEENS1_30default_config_static_selectorELNS0_4arch9wavefront6targetE0EEEvT1_: ; @_ZN7rocprim17ROCPRIM_400000_NS6detail17trampoline_kernelINS0_14default_configENS1_25partition_config_selectorILNS1_17partition_subalgoE8EhNS0_10empty_typeEbEEZZNS1_14partition_implILS5_8ELb0ES3_jPKhPS6_PKS6_NS0_5tupleIJPhS6_EEENSE_IJSB_SB_EEENS0_18inequality_wrapperIN6hipcub16HIPCUB_304000_NS8EqualityEEEPlJS6_EEE10hipError_tPvRmT3_T4_T5_T6_T7_T9_mT8_P12ihipStream_tbDpT10_ENKUlT_T0_E_clISt17integral_constantIbLb0EES17_EEDaS12_S13_EUlS12_E_NS1_11comp_targetILNS1_3genE0ELNS1_11target_archE4294967295ELNS1_3gpuE0ELNS1_3repE0EEENS1_30default_config_static_selectorELNS0_4arch9wavefront6targetE0EEEvT1_
; %bb.0:
	s_clause 0x3
	s_load_b128 s[4:7], s[0:1], 0x8
	s_load_b128 s[36:39], s[0:1], 0x40
	s_load_b32 s12, s[0:1], 0x68
	s_load_b64 s[2:3], s[0:1], 0x50
	s_bfe_u32 s8, ttmp6, 0x4000c
	s_and_b32 s10, ttmp6, 15
	s_add_co_i32 s8, s8, 1
	s_mov_b32 s9, 0
	s_mul_i32 s8, ttmp9, s8
	s_getreg_b32 s11, hwreg(HW_REG_IB_STS2, 6, 4)
	s_add_co_i32 s13, s10, s8
	s_cmp_eq_u32 s11, 0
	v_mov_b32_e32 v22, v0
	s_cselect_b32 s34, ttmp9, s13
	s_wait_kmcnt 0x0
	s_add_nc_u64 s[10:11], s[4:5], s[6:7]
	s_load_b64 s[30:31], s[38:39], 0x0
	s_mul_i32 s8, s12, 0x1c00
	s_add_co_i32 s12, s12, -1
	s_add_nc_u64 s[4:5], s[6:7], s[8:9]
	s_add_co_i32 s8, s8, s6
	v_cmp_le_u64_e64 s3, s[2:3], s[4:5]
	s_sub_co_i32 s35, s2, s8
	s_cmp_eq_u32 s34, s12
	s_mul_i32 s8, s34, 0x1c00
	s_cselect_b32 s29, -1, 0
	s_mov_b32 s4, -1
	s_wait_xcnt 0x0
	s_and_b32 s38, s29, s3
	s_add_nc_u64 s[2:3], s[10:11], s[8:9]
	s_xor_b32 s33, s38, -1
	s_delay_alu instid0(SALU_CYCLE_1)
	s_and_b32 vcc_lo, exec_lo, s33
	s_cbranch_vccz .LBB134_2
; %bb.1:
	s_clause 0x1b
	global_load_u8 v1, v0, s[2:3]
	global_load_u8 v2, v0, s[2:3] offset:256
	global_load_u8 v3, v0, s[2:3] offset:512
	;; [unrolled: 1-line block ×27, first 2 shown]
	s_mov_b32 s4, 0
	s_wait_loadcnt 0x1b
	ds_store_b8 v0, v1
	s_wait_loadcnt 0x1a
	ds_store_b8 v0, v2 offset:256
	s_wait_loadcnt 0x19
	ds_store_b8 v0, v3 offset:512
	;; [unrolled: 2-line block ×27, first 2 shown]
	s_wait_dscnt 0x0
	s_barrier_signal -1
	s_barrier_wait -1
.LBB134_2:
	s_and_not1_b32 vcc_lo, exec_lo, s4
	s_addk_co_i32 s35, 0x1c00
	s_cbranch_vccnz .LBB134_60
; %bb.3:
	v_mov_b32_e32 v2, 0
	s_mov_b32 s4, exec_lo
	s_delay_alu instid0(VALU_DEP_1)
	v_dual_mov_b32 v3, v2 :: v_dual_mov_b32 v4, v2
	v_dual_mov_b32 v5, v2 :: v_dual_mov_b32 v6, v2
	;; [unrolled: 1-line block ×3, first 2 shown]
	v_cmpx_gt_u32_e64 s35, v0
	s_cbranch_execz .LBB134_5
; %bb.4:
	global_load_u8 v4, v0, s[2:3]
	v_dual_mov_b32 v9, v2 :: v_dual_mov_b32 v10, v2
	v_dual_mov_b32 v5, v2 :: v_dual_mov_b32 v6, v2
	;; [unrolled: 1-line block ×3, first 2 shown]
	s_wait_loadcnt 0x0
	v_mov_b32_e32 v2, v4
	s_delay_alu instid0(VALU_DEP_3) | instskip(NEXT) | instid1(VALU_DEP_3)
	v_dual_mov_b32 v3, v5 :: v_dual_mov_b32 v4, v6
	v_mov_b32_e32 v5, v7
	v_mov_b32_e32 v6, v8
	;; [unrolled: 1-line block ×4, first 2 shown]
.LBB134_5:
	s_or_b32 exec_lo, exec_lo, s4
	v_or_b32_e32 v1, 0x100, v0
	s_mov_b32 s4, exec_lo
	s_delay_alu instid0(VALU_DEP_1)
	v_cmpx_gt_u32_e64 s35, v1
	s_cbranch_execz .LBB134_7
; %bb.6:
	global_load_u8 v1, v0, s[2:3] offset:256
	s_wait_loadcnt 0x0
	v_perm_b32 v2, v2, v1, 0x7060004
.LBB134_7:
	s_or_b32 exec_lo, exec_lo, s4
	v_or_b32_e32 v1, 0x200, v0
	s_mov_b32 s4, exec_lo
	s_delay_alu instid0(VALU_DEP_1)
	v_cmpx_gt_u32_e64 s35, v1
	s_cbranch_execz .LBB134_9
; %bb.8:
	global_load_u8 v1, v0, s[2:3] offset:512
	s_wait_loadcnt 0x0
	v_perm_b32 v2, v2, v1, 0x7000504
.LBB134_9:
	;; [unrolled: 11-line block ×27, first 2 shown]
	s_or_b32 exec_lo, exec_lo, s4
	v_dual_lshrrev_b32 v1, 8, v2 :: v_dual_lshrrev_b32 v9, 24, v2
	v_dual_lshrrev_b32 v10, 8, v3 :: v_dual_lshrrev_b32 v11, 24, v3
	ds_store_b8 v0, v2
	ds_store_b8 v0, v1 offset:256
	ds_store_b8_d16_hi v0, v2 offset:512
	ds_store_b8 v0, v9 offset:768
	ds_store_b8 v0, v3 offset:1024
	;; [unrolled: 1-line block ×3, first 2 shown]
	ds_store_b8_d16_hi v0, v3 offset:1536
	ds_store_b8 v0, v11 offset:1792
	v_dual_lshrrev_b32 v1, 8, v4 :: v_dual_lshrrev_b32 v2, 24, v4
	v_dual_lshrrev_b32 v3, 8, v5 :: v_dual_lshrrev_b32 v9, 24, v5
	ds_store_b8 v0, v4 offset:2048
	ds_store_b8 v0, v1 offset:2304
	ds_store_b8_d16_hi v0, v4 offset:2560
	ds_store_b8 v0, v2 offset:2816
	ds_store_b8 v0, v5 offset:3072
	;; [unrolled: 1-line block ×3, first 2 shown]
	ds_store_b8_d16_hi v0, v5 offset:3584
	ds_store_b8 v0, v9 offset:3840
	v_dual_lshrrev_b32 v1, 8, v6 :: v_dual_lshrrev_b32 v2, 24, v6
	v_dual_lshrrev_b32 v3, 8, v7 :: v_dual_lshrrev_b32 v4, 24, v7
	;; [unrolled: 1-line block ×3, first 2 shown]
	ds_store_b8 v0, v6 offset:4096
	ds_store_b8 v0, v1 offset:4352
	ds_store_b8_d16_hi v0, v6 offset:4608
	ds_store_b8 v0, v2 offset:4864
	ds_store_b8 v0, v7 offset:5120
	ds_store_b8 v0, v3 offset:5376
	ds_store_b8_d16_hi v0, v7 offset:5632
	ds_store_b8 v0, v4 offset:5888
	;; [unrolled: 4-line block ×3, first 2 shown]
	s_wait_dscnt 0x0
	s_barrier_signal -1
	s_barrier_wait -1
.LBB134_60:
	v_mul_u32_u24_e32 v8, 28, v0
	s_cmp_lg_u32 s34, 0
	s_mov_b32 s40, 0
	s_cselect_b32 s39, -1, 0
	ds_load_2addr_b32 v[6:7], v8 offset1:1
	ds_load_2addr_b32 v[4:5], v8 offset0:2 offset1:3
	ds_load_2addr_b32 v[2:3], v8 offset0:4 offset1:5
	ds_load_b32 v20, v8 offset:24
	s_cmp_lg_u64 s[6:7], 0
	s_wait_dscnt 0x0
	s_cselect_b32 s4, -1, 0
	s_barrier_signal -1
	s_or_b32 s4, s39, s4
	s_barrier_wait -1
	s_and_b32 vcc_lo, exec_lo, s4
	v_dual_lshrrev_b32 v40, 8, v6 :: v_dual_lshrrev_b32 v39, 16, v6
	v_dual_lshrrev_b32 v38, 24, v6 :: v_dual_lshrrev_b32 v37, 8, v7
	;; [unrolled: 1-line block ×10, first 2 shown]
	v_lshrrev_b32_e32 v1, 24, v20
	s_cbranch_vccz .LBB134_65
; %bb.61:
	v_mov_b32_e32 v9, 0
	s_and_b32 vcc_lo, exec_lo, s33
	ds_store_b8 v0, v1
	global_load_u8 v9, v9, s[2:3] offset:-1
	s_cbranch_vccz .LBB134_66
; %bb.62:
	s_wait_loadcnt 0x0
	v_mov_b32_e32 v10, v9
	s_mov_b32 s2, 0
	s_mov_b32 s3, exec_lo
	s_wait_dscnt 0x0
	s_barrier_signal -1
	s_barrier_wait -1
	v_cmpx_ne_u32_e32 0, v0
; %bb.63:
	v_add_nc_u32_e32 v10, -1, v0
	ds_load_u8 v10, v10
; %bb.64:
	s_or_b32 exec_lo, exec_lo, s3
	v_and_b32_e32 v11, 0xff, v19
	v_and_b32_e32 v12, 0xff, v21
	;; [unrolled: 1-line block ×3, first 2 shown]
	s_wait_dscnt 0x0
	v_and_b32_e32 v10, 0xff, v10
	v_cmp_ne_u16_e32 vcc_lo, v11, v1
	v_cndmask_b32_e64 v41, 0, 1, vcc_lo
	v_cmp_ne_u16_e32 vcc_lo, v12, v11
	v_and_b32_e32 v11, 0xff, v24
	v_cndmask_b32_e64 v42, 0, 1, vcc_lo
	v_cmp_ne_u16_e32 vcc_lo, v13, v12
	v_and_b32_e32 v12, 0xff, v25
	v_cndmask_b32_e64 v43, 0, 1, vcc_lo
	v_cmp_ne_u16_e32 vcc_lo, v23, v13
	v_and_b32_e32 v13, 0xff, v3
	v_cndmask_b32_e64 v44, 0, 1, vcc_lo
	v_cmp_ne_u16_e32 vcc_lo, v11, v23
	v_cndmask_b32_e64 v45, 0, 1, vcc_lo
	v_cmp_ne_u16_e32 vcc_lo, v12, v11
	v_and_b32_e32 v11, 0xff, v27
	v_cndmask_b32_e64 v46, 0, 1, vcc_lo
	v_cmp_ne_u16_e32 vcc_lo, v13, v12
	v_and_b32_e32 v12, 0xff, v28
	v_cndmask_b32_e64 v47, 0, 1, vcc_lo
	v_cmp_ne_u16_e32 vcc_lo, v26, v13
	v_and_b32_e32 v13, 0xff, v2
	v_cndmask_b32_e64 v48, 0, 1, vcc_lo
	v_cmp_ne_u16_e32 vcc_lo, v11, v26
	v_cndmask_b32_e64 v49, 0, 1, vcc_lo
	v_cmp_ne_u16_e32 vcc_lo, v12, v11
	v_and_b32_e32 v11, 0xff, v30
	v_cndmask_b32_e64 v50, 0, 1, vcc_lo
	v_cmp_ne_u16_e32 vcc_lo, v13, v12
	v_and_b32_e32 v12, 0xff, v31
	v_cndmask_b32_e64 v51, 0, 1, vcc_lo
	v_cmp_ne_u16_e32 vcc_lo, v29, v13
	v_and_b32_e32 v13, 0xff, v5
	v_cndmask_b32_e64 v52, 0, 1, vcc_lo
	v_cmp_ne_u16_e32 vcc_lo, v11, v29
	v_cndmask_b32_e64 v53, 0, 1, vcc_lo
	v_cmp_ne_u16_e32 vcc_lo, v12, v11
	v_and_b32_e32 v11, 0xff, v33
	v_cndmask_b32_e64 v54, 0, 1, vcc_lo
	v_cmp_ne_u16_e32 vcc_lo, v13, v12
	v_and_b32_e32 v12, 0xff, v34
	v_cndmask_b32_e64 v55, 0, 1, vcc_lo
	v_cmp_ne_u16_e32 vcc_lo, v32, v13
	v_and_b32_e32 v13, 0xff, v4
	v_cndmask_b32_e64 v56, 0, 1, vcc_lo
	v_cmp_ne_u16_e32 vcc_lo, v11, v32
	v_cndmask_b32_e64 v57, 0, 1, vcc_lo
	v_cmp_ne_u16_e32 vcc_lo, v12, v11
	v_and_b32_e32 v11, 0xff, v36
	v_cndmask_b32_e64 v58, 0, 1, vcc_lo
	v_cmp_ne_u16_e32 vcc_lo, v13, v12
	v_and_b32_e32 v12, 0xff, v37
	v_cndmask_b32_e64 v59, 0, 1, vcc_lo
	v_cmp_ne_u16_e32 vcc_lo, v35, v13
	v_and_b32_e32 v13, 0xff, v7
	v_cndmask_b32_e64 v60, 0, 1, vcc_lo
	v_cmp_ne_u16_e32 vcc_lo, v11, v35
	v_cndmask_b32_e64 v61, 0, 1, vcc_lo
	v_cmp_ne_u16_e32 vcc_lo, v12, v11
	v_and_b32_e32 v11, 0xff, v39
	v_cndmask_b32_e64 v62, 0, 1, vcc_lo
	v_cmp_ne_u16_e32 vcc_lo, v13, v12
	v_and_b32_e32 v12, 0xff, v40
	v_cndmask_b32_e64 v63, 0, 1, vcc_lo
	v_cmp_ne_u16_e32 vcc_lo, v38, v13
	v_and_b32_e32 v13, 0xff, v6
	v_cndmask_b32_e64 v64, 0, 1, vcc_lo
	v_cmp_ne_u16_e32 vcc_lo, v11, v38
	s_delay_alu instid0(VALU_DEP_3)
	v_cmp_ne_u16_e64 s41, v10, v13
	v_cndmask_b32_e64 v65, 0, 1, vcc_lo
	v_cmp_ne_u16_e32 vcc_lo, v12, v11
	v_cndmask_b32_e64 v66, 0, 1, vcc_lo
	v_cmp_ne_u16_e32 vcc_lo, v13, v12
	v_cndmask_b32_e64 v67, 0, 1, vcc_lo
	s_and_b32 vcc_lo, exec_lo, s2
	s_cbranch_vccnz .LBB134_67
	s_branch .LBB134_70
.LBB134_65:
                                        ; implicit-def: $sgpr41
                                        ; implicit-def: $vgpr41
                                        ; implicit-def: $vgpr42
                                        ; implicit-def: $vgpr43
                                        ; implicit-def: $vgpr44
                                        ; implicit-def: $vgpr45
                                        ; implicit-def: $vgpr46
                                        ; implicit-def: $vgpr47
                                        ; implicit-def: $vgpr48
                                        ; implicit-def: $vgpr67
                                        ; implicit-def: $vgpr66
                                        ; implicit-def: $vgpr65
                                        ; implicit-def: $vgpr64
                                        ; implicit-def: $vgpr63
                                        ; implicit-def: $vgpr62
                                        ; implicit-def: $vgpr61
                                        ; implicit-def: $vgpr60
                                        ; implicit-def: $vgpr59
                                        ; implicit-def: $vgpr58
                                        ; implicit-def: $vgpr57
                                        ; implicit-def: $vgpr56
                                        ; implicit-def: $vgpr55
                                        ; implicit-def: $vgpr54
                                        ; implicit-def: $vgpr53
                                        ; implicit-def: $vgpr52
                                        ; implicit-def: $vgpr51
                                        ; implicit-def: $vgpr50
                                        ; implicit-def: $vgpr49
	s_branch .LBB134_71
.LBB134_66:
	s_wait_xcnt 0x0
                                        ; implicit-def: $sgpr41
                                        ; implicit-def: $vgpr41
                                        ; implicit-def: $vgpr42
                                        ; implicit-def: $vgpr43
                                        ; implicit-def: $vgpr44
                                        ; implicit-def: $vgpr45
                                        ; implicit-def: $vgpr46
                                        ; implicit-def: $vgpr47
                                        ; implicit-def: $vgpr48
                                        ; implicit-def: $vgpr67
                                        ; implicit-def: $vgpr66
                                        ; implicit-def: $vgpr65
                                        ; implicit-def: $vgpr64
                                        ; implicit-def: $vgpr63
                                        ; implicit-def: $vgpr62
                                        ; implicit-def: $vgpr61
                                        ; implicit-def: $vgpr60
                                        ; implicit-def: $vgpr59
                                        ; implicit-def: $vgpr58
                                        ; implicit-def: $vgpr57
                                        ; implicit-def: $vgpr56
                                        ; implicit-def: $vgpr55
                                        ; implicit-def: $vgpr54
                                        ; implicit-def: $vgpr53
                                        ; implicit-def: $vgpr52
                                        ; implicit-def: $vgpr51
                                        ; implicit-def: $vgpr50
                                        ; implicit-def: $vgpr49
	s_cbranch_execz .LBB134_70
.LBB134_67:
	s_mov_b32 s2, exec_lo
	s_wait_loadcnt_dscnt 0x0
	s_barrier_signal -1
	s_barrier_wait -1
	v_cmpx_ne_u32_e32 0, v0
; %bb.68:
	v_add_nc_u32_e32 v9, -1, v0
	ds_load_u8 v9, v9
; %bb.69:
	s_or_b32 exec_lo, exec_lo, s2
	v_dual_add_nc_u32 v10, 27, v8 :: v_dual_add_nc_u32 v13, 26, v8
	v_and_b32_e32 v11, 0xff, v19
	v_and_b32_e32 v12, 0xff, v1
	;; [unrolled: 1-line block ×3, first 2 shown]
	s_delay_alu instid0(VALU_DEP_4)
	v_cmp_gt_u32_e32 vcc_lo, s35, v10
	v_add_nc_u32_e32 v10, 25, v8
	v_cmp_gt_u32_e64 s3, s35, v13
	v_cmp_ne_u16_e64 s2, v11, v12
	v_and_b32_e32 v12, 0xff, v20
	v_add_nc_u32_e32 v13, 23, v8
	v_cmp_ne_u16_e64 s4, v14, v11
	v_and_b32_e32 v11, 0xff, v23
	s_and_b32 s2, vcc_lo, s2
	v_cmp_gt_u32_e32 vcc_lo, s35, v10
	v_cndmask_b32_e64 v41, 0, 1, s2
	v_cmp_ne_u16_e64 s2, v12, v14
	v_add_nc_u32_e32 v10, 24, v8
	s_and_b32 s3, s3, s4
	v_and_b32_e32 v14, 0xff, v40
	v_cndmask_b32_e64 v42, 0, 1, s3
	s_and_b32 s2, vcc_lo, s2
	v_cmp_gt_u32_e64 s3, s35, v13
	v_cndmask_b32_e64 v43, 0, 1, s2
	v_cmp_ne_u16_e64 s2, v11, v12
	v_add_nc_u32_e32 v12, 22, v8
	v_cmp_gt_u32_e32 vcc_lo, s35, v10
	v_and_b32_e32 v10, 0xff, v24
	v_and_b32_e32 v13, 0xff, v25
	s_wait_dscnt 0x0
	v_and_b32_e32 v9, 0xff, v9
	s_and_b32 s2, vcc_lo, s2
	v_cmp_gt_u32_e32 vcc_lo, s35, v12
	v_cndmask_b32_e64 v44, 0, 1, s2
	v_cmp_ne_u16_e64 s2, v13, v10
	v_cmp_ne_u16_e64 s4, v10, v11
	v_dual_add_nc_u32 v10, 21, v8 :: v_dual_add_nc_u32 v12, 20, v8
	v_and_b32_e32 v11, 0xff, v3
	s_and_b32 s2, vcc_lo, s2
	s_and_b32 s3, s3, s4
	v_cndmask_b32_e64 v46, 0, 1, s2
	v_cmp_gt_u32_e32 vcc_lo, s35, v10
	v_cmp_ne_u16_e64 s2, v11, v13
	v_cndmask_b32_e64 v45, 0, 1, s3
	v_and_b32_e32 v10, 0xff, v26
	v_cmp_gt_u32_e64 s3, s35, v12
	v_add_nc_u32_e32 v12, 19, v8
	v_and_b32_e32 v13, 0xff, v27
	s_and_b32 s2, vcc_lo, s2
	v_cmp_ne_u16_e64 s4, v10, v11
	v_cndmask_b32_e64 v47, 0, 1, s2
	v_and_b32_e32 v11, 0xff, v28
	v_cmp_ne_u16_e64 s2, v13, v10
	v_add_nc_u32_e32 v10, 18, v8
	v_cmp_gt_u32_e32 vcc_lo, s35, v12
	v_add_nc_u32_e32 v12, 17, v8
	s_and_b32 s3, s3, s4
	s_delay_alu instid0(SALU_CYCLE_1)
	v_cndmask_b32_e64 v48, 0, 1, s3
	s_and_b32 s2, vcc_lo, s2
	v_cmp_gt_u32_e32 vcc_lo, s35, v10
	v_cndmask_b32_e64 v49, 0, 1, s2
	v_cmp_ne_u16_e64 s2, v11, v13
	v_and_b32_e32 v10, 0xff, v2
	v_and_b32_e32 v13, 0xff, v29
	s_and_b32 s2, vcc_lo, s2
	s_delay_alu instid0(VALU_DEP_2) | instskip(SKIP_1) | instid1(VALU_DEP_3)
	v_cmp_ne_u16_e64 s4, v10, v11
	v_cndmask_b32_e64 v50, 0, 1, s2
	v_cmp_ne_u16_e64 s2, v13, v10
	v_add_nc_u32_e32 v10, 15, v8
	v_cmp_gt_u32_e64 s3, s35, v12
	v_add_nc_u32_e32 v12, 16, v8
	v_and_b32_e32 v11, 0xff, v30
	s_and_b32 s3, s3, s4
	s_delay_alu instid0(VALU_DEP_2)
	v_cmp_gt_u32_e32 vcc_lo, s35, v12
	v_add_nc_u32_e32 v12, 14, v8
	v_cndmask_b32_e64 v51, 0, 1, s3
	s_and_b32 s2, vcc_lo, s2
	v_cmp_gt_u32_e32 vcc_lo, s35, v10
	v_cndmask_b32_e64 v52, 0, 1, s2
	v_cmp_ne_u16_e64 s2, v11, v13
	v_and_b32_e32 v10, 0xff, v31
	v_cmp_gt_u32_e64 s3, s35, v12
	v_add_nc_u32_e32 v12, 13, v8
	v_and_b32_e32 v13, 0xff, v5
	s_and_b32 s2, vcc_lo, s2
	v_cmp_ne_u16_e64 s4, v10, v11
	v_cndmask_b32_e64 v53, 0, 1, s2
	v_cmp_gt_u32_e32 vcc_lo, s35, v12
	v_cmp_ne_u16_e64 s2, v13, v10
	v_add_nc_u32_e32 v10, 12, v8
	v_and_b32_e32 v11, 0xff, v32
	v_add_nc_u32_e32 v12, 11, v8
	s_and_b32 s3, s3, s4
	s_and_b32 s2, vcc_lo, s2
	v_cmp_gt_u32_e32 vcc_lo, s35, v10
	v_cndmask_b32_e64 v55, 0, 1, s2
	v_cmp_ne_u16_e64 s2, v11, v13
	v_cndmask_b32_e64 v54, 0, 1, s3
	v_and_b32_e32 v10, 0xff, v33
	v_cmp_gt_u32_e64 s3, s35, v12
	v_add_nc_u32_e32 v12, 10, v8
	v_and_b32_e32 v13, 0xff, v34
	s_and_b32 s2, vcc_lo, s2
	v_cmp_ne_u16_e64 s4, v10, v11
	v_cndmask_b32_e64 v56, 0, 1, s2
	v_cmp_gt_u32_e32 vcc_lo, s35, v12
	v_cmp_ne_u16_e64 s2, v13, v10
	v_add_nc_u32_e32 v10, 9, v8
	v_and_b32_e32 v11, 0xff, v4
	v_add_nc_u32_e32 v12, 8, v8
	s_and_b32 s3, s3, s4
	s_and_b32 s2, vcc_lo, s2
	v_cmp_gt_u32_e32 vcc_lo, s35, v10
	v_cndmask_b32_e64 v58, 0, 1, s2
	v_cmp_ne_u16_e64 s2, v11, v13
	v_cndmask_b32_e64 v57, 0, 1, s3
	;; [unrolled: 18-line block ×3, first 2 shown]
	v_and_b32_e32 v10, 0xff, v7
	v_cmp_gt_u32_e64 s3, s35, v12
	v_add_nc_u32_e32 v12, 4, v8
	v_and_b32_e32 v13, 0xff, v38
	s_and_b32 s2, vcc_lo, s2
	v_cmp_ne_u16_e64 s4, v10, v11
	v_cndmask_b32_e64 v62, 0, 1, s2
	v_cmp_gt_u32_e32 vcc_lo, s35, v12
	v_cmp_ne_u16_e64 s2, v13, v10
	v_or_b32_e32 v10, 3, v8
	v_and_b32_e32 v11, 0xff, v39
	v_or_b32_e32 v12, 2, v8
	s_and_b32 s3, s3, s4
	s_and_b32 s2, vcc_lo, s2
	v_cmp_gt_u32_e32 vcc_lo, s35, v10
	v_cndmask_b32_e64 v64, 0, 1, s2
	v_cmp_ne_u16_e64 s2, v11, v13
	v_or_b32_e32 v10, 1, v8
	v_cmp_ne_u16_e64 s4, v14, v11
	v_and_b32_e32 v11, 0xff, v6
	v_cndmask_b32_e64 v63, 0, 1, s3
	v_cmp_gt_u32_e64 s3, s35, v12
	s_and_b32 s2, vcc_lo, s2
	v_cmp_gt_u32_e32 vcc_lo, s35, v10
	v_cndmask_b32_e64 v65, 0, 1, s2
	v_cmp_ne_u16_e64 s2, v11, v14
	s_and_b32 s3, s3, s4
	v_cmp_ne_u16_e64 s4, v9, v11
	v_cndmask_b32_e64 v66, 0, 1, s3
	v_cmp_gt_u32_e64 s3, s35, v8
	s_and_b32 s2, vcc_lo, s2
	s_delay_alu instid0(SALU_CYCLE_1)
	v_cndmask_b32_e64 v67, 0, 1, s2
	s_and_b32 s41, s3, s4
.LBB134_70:
	s_mov_b32 s40, -1
	s_cbranch_execnz .LBB134_79
.LBB134_71:
	s_delay_alu instid0(VALU_DEP_2)
	v_and_b32_e32 v78, 0xff, v19
	v_and_b32_e32 v77, 0xff, v21
	;; [unrolled: 1-line block ×20, first 2 shown]
	s_wait_loadcnt 0x0
	v_and_b32_e32 v9, 0xff, v6
	s_and_b32 vcc_lo, exec_lo, s33
	ds_store_b8 v0, v1
	s_cbranch_vccz .LBB134_75
; %bb.72:
	v_cmp_ne_u16_e64 s2, v77, v78
	v_cmp_ne_u16_e64 s3, v76, v77
	;; [unrolled: 1-line block ×26, first 2 shown]
	v_cmp_ne_u32_e64 s28, 0, v0
	s_mov_b32 s42, 0
	v_cmp_ne_u16_e32 vcc_lo, v78, v1
	s_wait_dscnt 0x0
	s_barrier_signal -1
	s_barrier_wait -1
                                        ; implicit-def: $sgpr41
	s_and_saveexec_b32 s43, s28
	s_delay_alu instid0(SALU_CYCLE_1)
	s_xor_b32 s28, exec_lo, s43
	s_cbranch_execz .LBB134_74
; %bb.73:
	v_add_nc_u32_e32 v41, -1, v0
	s_or_b32 s40, s40, exec_lo
	ds_load_u8 v41, v41
	s_wait_dscnt 0x0
	v_cmp_ne_u16_e64 s41, v41, v9
.LBB134_74:
	s_or_b32 exec_lo, exec_lo, s28
	v_cndmask_b32_e64 v41, 0, 1, vcc_lo
	v_cndmask_b32_e64 v42, 0, 1, s2
	v_cndmask_b32_e64 v43, 0, 1, s3
	v_cndmask_b32_e64 v44, 0, 1, s4
	v_cndmask_b32_e64 v45, 0, 1, s5
	v_cndmask_b32_e64 v46, 0, 1, s6
	v_cndmask_b32_e64 v47, 0, 1, s7
	v_cndmask_b32_e64 v48, 0, 1, s8
	v_cndmask_b32_e64 v49, 0, 1, s9
	v_cndmask_b32_e64 v50, 0, 1, s10
	v_cndmask_b32_e64 v51, 0, 1, s11
	v_cndmask_b32_e64 v52, 0, 1, s12
	v_cndmask_b32_e64 v53, 0, 1, s13
	v_cndmask_b32_e64 v54, 0, 1, s14
	v_cndmask_b32_e64 v55, 0, 1, s15
	v_cndmask_b32_e64 v56, 0, 1, s16
	v_cndmask_b32_e64 v57, 0, 1, s17
	v_cndmask_b32_e64 v58, 0, 1, s18
	v_cndmask_b32_e64 v59, 0, 1, s19
	v_cndmask_b32_e64 v60, 0, 1, s20
	v_cndmask_b32_e64 v61, 0, 1, s21
	v_cndmask_b32_e64 v62, 0, 1, s22
	v_cndmask_b32_e64 v63, 0, 1, s23
	v_cndmask_b32_e64 v64, 0, 1, s24
	v_cndmask_b32_e64 v65, 0, 1, s25
	v_cndmask_b32_e64 v66, 0, 1, s26
	v_cndmask_b32_e64 v67, 0, 1, s27
	s_and_b32 vcc_lo, exec_lo, s42
	s_cbranch_vccnz .LBB134_76
	s_branch .LBB134_79
.LBB134_75:
                                        ; implicit-def: $sgpr41
                                        ; implicit-def: $vgpr41
                                        ; implicit-def: $vgpr42
                                        ; implicit-def: $vgpr43
                                        ; implicit-def: $vgpr44
                                        ; implicit-def: $vgpr45
                                        ; implicit-def: $vgpr46
                                        ; implicit-def: $vgpr47
                                        ; implicit-def: $vgpr48
                                        ; implicit-def: $vgpr67
                                        ; implicit-def: $vgpr66
                                        ; implicit-def: $vgpr65
                                        ; implicit-def: $vgpr64
                                        ; implicit-def: $vgpr63
                                        ; implicit-def: $vgpr62
                                        ; implicit-def: $vgpr61
                                        ; implicit-def: $vgpr60
                                        ; implicit-def: $vgpr59
                                        ; implicit-def: $vgpr58
                                        ; implicit-def: $vgpr57
                                        ; implicit-def: $vgpr56
                                        ; implicit-def: $vgpr55
                                        ; implicit-def: $vgpr54
                                        ; implicit-def: $vgpr53
                                        ; implicit-def: $vgpr52
                                        ; implicit-def: $vgpr51
                                        ; implicit-def: $vgpr50
                                        ; implicit-def: $vgpr49
	s_cbranch_execz .LBB134_79
.LBB134_76:
	v_dual_add_nc_u32 v41, 27, v8 :: v_dual_add_nc_u32 v43, 26, v8
	v_and_b32_e32 v42, 0xff, v1
	v_add_nc_u32_e32 v44, 25, v8
	v_cmp_ne_u16_e64 s3, v77, v78
	s_delay_alu instid0(VALU_DEP_4)
	v_cmp_gt_u32_e32 vcc_lo, s35, v41
	v_add_nc_u32_e32 v41, 24, v8
	v_cmp_ne_u16_e64 s2, v78, v42
	v_cmp_gt_u32_e64 s4, s35, v43
	v_cmp_gt_u32_e64 s5, s35, v44
	v_and_b32_e32 v42, 0xff, v23
	v_dual_add_nc_u32 v43, 23, v8 :: v_dual_add_nc_u32 v44, 22, v8
	s_and_b32 s11, vcc_lo, s2
	v_cmp_ne_u16_e32 vcc_lo, v76, v77
	v_cmp_gt_u32_e64 s2, s35, v41
	v_add_nc_u32_e32 v41, 21, v8
	s_and_b32 s12, s4, s3
	v_cmp_ne_u16_e64 s3, v42, v76
	v_cmp_gt_u32_e64 s4, s35, v43
	s_and_b32 s13, s5, vcc_lo
	v_add_nc_u32_e32 v43, 19, v8
	v_cmp_gt_u32_e32 vcc_lo, s35, v41
	v_add_nc_u32_e32 v41, 20, v8
	v_cmp_ne_u16_e64 s6, v75, v42
	v_cmp_gt_u32_e64 s7, s35, v44
	s_and_b32 s14, s2, s3
	v_and_b32_e32 v42, 0xff, v26
	v_cmp_ne_u16_e64 s2, v73, v74
	v_add_nc_u32_e32 v44, 18, v8
	v_cmp_gt_u32_e64 s3, s35, v41
	v_add_nc_u32_e32 v41, 17, v8
	v_cmp_ne_u16_e64 s8, v74, v75
	s_and_b32 s15, s4, s6
	v_cmp_ne_u16_e64 s4, v42, v73
	v_cmp_gt_u32_e64 s5, s35, v43
	s_and_b32 s17, vcc_lo, s2
	v_add_nc_u32_e32 v43, 15, v8
	v_cmp_gt_u32_e32 vcc_lo, s35, v41
	v_add_nc_u32_e32 v41, 16, v8
	s_and_b32 s16, s7, s8
	v_cmp_ne_u16_e64 s6, v72, v42
	v_cmp_gt_u32_e64 s7, s35, v44
	v_cmp_ne_u16_e64 s8, v71, v72
	s_and_b32 s18, s3, s4
	v_and_b32_e32 v42, 0xff, v29
	v_cmp_ne_u16_e64 s2, v70, v71
	v_add_nc_u32_e32 v44, 14, v8
	v_cmp_gt_u32_e64 s3, s35, v41
	v_add_nc_u32_e32 v41, 13, v8
	s_and_b32 s19, s5, s6
	s_and_b32 s20, s7, s8
	v_cmp_ne_u16_e64 s4, v42, v70
	v_cmp_gt_u32_e64 s5, s35, v43
	v_cmp_ne_u16_e64 s6, v69, v42
	v_cmp_gt_u32_e64 s7, s35, v44
	v_cmp_ne_u16_e64 s8, v68, v69
	s_and_b32 s21, vcc_lo, s2
	v_and_b32_e32 v42, 0xff, v32
	v_add_nc_u32_e32 v43, 11, v8
	v_cmp_gt_u32_e32 vcc_lo, s35, v41
	v_dual_add_nc_u32 v41, 12, v8 :: v_dual_add_nc_u32 v44, 10, v8
	s_and_b32 s22, s3, s4
	s_and_b32 s23, s5, s6
	;; [unrolled: 1-line block ×3, first 2 shown]
	v_cmp_ne_u16_e64 s2, v18, v68
	v_cmp_ne_u16_e64 s4, v42, v18
	v_cmp_gt_u32_e64 s5, s35, v43
	v_cmp_ne_u16_e64 s6, v17, v42
	v_cmp_gt_u32_e64 s7, s35, v44
	v_cmp_ne_u16_e64 s8, v16, v17
	v_add_nc_u32_e32 v17, 9, v8
	v_and_b32_e32 v18, 0xff, v35
	v_cmp_gt_u32_e64 s3, s35, v41
	s_and_b32 s25, vcc_lo, s2
	s_and_b32 s27, s5, s6
	s_and_b32 s28, s7, s8
	v_add_nc_u32_e32 v41, 7, v8
	v_cmp_gt_u32_e32 vcc_lo, s35, v17
	v_add_nc_u32_e32 v17, 8, v8
	v_cmp_ne_u16_e64 s2, v15, v16
	v_cmp_ne_u16_e64 s6, v14, v18
	;; [unrolled: 1-line block ×3, first 2 shown]
	v_add_nc_u32_e32 v14, 5, v8
	s_and_b32 s26, s3, s4
	v_add_nc_u32_e32 v16, 6, v8
	v_cmp_gt_u32_e64 s3, s35, v17
	v_cmp_ne_u16_e64 s4, v18, v15
	s_and_b32 s42, vcc_lo, s2
	v_add_nc_u32_e32 v15, 4, v8
	v_cmp_gt_u32_e32 vcc_lo, s35, v14
	v_and_b32_e32 v14, 0xff, v38
	v_cmp_gt_u32_e64 s5, s35, v41
	v_cmp_gt_u32_e64 s7, s35, v16
	s_and_b32 s43, s3, s4
	v_cmp_ne_u16_e64 s2, v12, v13
	v_or_b32_e32 v13, 3, v8
	v_cmp_gt_u32_e64 s3, s35, v15
	v_or_b32_e32 v15, 2, v8
	v_cmp_ne_u16_e64 s4, v14, v12
	v_or_b32_e32 v12, 1, v8
	s_and_b32 s44, s5, s6
	s_and_b32 s45, s7, s8
	v_cmp_gt_u32_e64 s5, s35, v13
	v_cmp_ne_u16_e64 s6, v11, v14
	v_cmp_gt_u32_e64 s7, s35, v15
	v_cmp_ne_u16_e64 s8, v10, v11
	;; [unrolled: 2-line block ×3, first 2 shown]
	s_and_b32 s46, vcc_lo, s2
	s_and_b32 s3, s3, s4
	s_and_b32 s4, s5, s6
	;; [unrolled: 1-line block ×4, first 2 shown]
	s_mov_b32 s7, exec_lo
	s_wait_dscnt 0x0
	s_barrier_signal -1
	s_barrier_wait -1
                                        ; implicit-def: $sgpr41
	v_cmpx_ne_u32_e32 0, v0
	s_cbranch_execz .LBB134_78
; %bb.77:
	v_add_nc_u32_e32 v10, -1, v0
	v_cmp_gt_u32_e32 vcc_lo, s35, v8
	s_or_b32 s40, s40, exec_lo
	ds_load_u8 v10, v10
	s_wait_dscnt 0x0
	v_and_b32_e32 v10, 0xff, v10
	s_delay_alu instid0(VALU_DEP_1)
	v_cmp_ne_u16_e64 s2, v10, v9
	s_and_b32 s41, vcc_lo, s2
.LBB134_78:
	s_or_b32 exec_lo, exec_lo, s7
	v_cndmask_b32_e64 v41, 0, 1, s11
	v_cndmask_b32_e64 v42, 0, 1, s12
	;; [unrolled: 1-line block ×27, first 2 shown]
.LBB134_79:
	v_mov_b32_e32 v68, 1
	s_and_saveexec_b32 s2, s40
; %bb.80:
	v_cndmask_b32_e64 v68, 0, 1, s41
; %bb.81:
	s_or_b32 exec_lo, exec_lo, s2
	s_load_b64 s[10:11], s[0:1], 0x60
	s_and_not1_b32 vcc_lo, exec_lo, s38
	s_cbranch_vccnz .LBB134_83
; %bb.82:
	s_wait_loadcnt 0x0
	v_or_b32_e32 v9, 1, v8
	v_cmp_gt_u32_e32 vcc_lo, s35, v8
	v_or_b32_e32 v10, 2, v8
	v_or_b32_e32 v11, 3, v8
	v_cndmask_b32_e32 v68, 0, v68, vcc_lo
	v_cmp_gt_u32_e32 vcc_lo, s35, v9
	v_dual_add_nc_u32 v9, 4, v8 :: v_dual_cndmask_b32 v67, 0, v67, vcc_lo
	v_cmp_gt_u32_e32 vcc_lo, s35, v10
	v_dual_add_nc_u32 v10, 5, v8 :: v_dual_cndmask_b32 v66, 0, v66, vcc_lo
	;; [unrolled: 2-line block ×3, first 2 shown]
	v_cmp_gt_u32_e32 vcc_lo, s35, v9
	v_cndmask_b32_e32 v64, 0, v64, vcc_lo
	v_cmp_gt_u32_e32 vcc_lo, s35, v10
	v_cndmask_b32_e32 v63, 0, v63, vcc_lo
	v_cmp_gt_u32_e32 vcc_lo, s35, v11
	v_dual_add_nc_u32 v9, 7, v8 :: v_dual_add_nc_u32 v11, 10, v8
	v_cndmask_b32_e32 v62, 0, v62, vcc_lo
	s_delay_alu instid0(VALU_DEP_2) | instskip(SKIP_2) | instid1(VALU_DEP_2)
	v_cmp_gt_u32_e32 vcc_lo, s35, v9
	v_dual_add_nc_u32 v10, 8, v8 :: v_dual_add_nc_u32 v9, 9, v8
	v_cndmask_b32_e32 v61, 0, v61, vcc_lo
	v_cmp_gt_u32_e32 vcc_lo, s35, v10
	v_cndmask_b32_e32 v60, 0, v60, vcc_lo
	s_delay_alu instid0(VALU_DEP_4) | instskip(SKIP_4) | instid1(VALU_DEP_2)
	v_cmp_gt_u32_e32 vcc_lo, s35, v9
	v_cndmask_b32_e32 v59, 0, v59, vcc_lo
	v_cmp_gt_u32_e32 vcc_lo, s35, v11
	v_dual_add_nc_u32 v10, 11, v8 :: v_dual_add_nc_u32 v11, 14, v8
	v_cndmask_b32_e32 v58, 0, v58, vcc_lo
	v_cmp_gt_u32_e32 vcc_lo, s35, v10
	v_dual_add_nc_u32 v9, 12, v8 :: v_dual_add_nc_u32 v10, 13, v8
	v_cndmask_b32_e32 v57, 0, v57, vcc_lo
	s_delay_alu instid0(VALU_DEP_2) | instskip(SKIP_1) | instid1(VALU_DEP_4)
	v_cmp_gt_u32_e32 vcc_lo, s35, v9
	v_cndmask_b32_e32 v56, 0, v56, vcc_lo
	v_cmp_gt_u32_e32 vcc_lo, s35, v10
	v_cndmask_b32_e32 v55, 0, v55, vcc_lo
	v_cmp_gt_u32_e32 vcc_lo, s35, v11
	v_dual_add_nc_u32 v9, 15, v8 :: v_dual_add_nc_u32 v11, 18, v8
	v_cndmask_b32_e32 v54, 0, v54, vcc_lo
	s_delay_alu instid0(VALU_DEP_2) | instskip(SKIP_2) | instid1(VALU_DEP_2)
	v_cmp_gt_u32_e32 vcc_lo, s35, v9
	v_dual_add_nc_u32 v10, 16, v8 :: v_dual_add_nc_u32 v9, 17, v8
	v_cndmask_b32_e32 v53, 0, v53, vcc_lo
	v_cmp_gt_u32_e32 vcc_lo, s35, v10
	v_cndmask_b32_e32 v52, 0, v52, vcc_lo
	s_delay_alu instid0(VALU_DEP_4) | instskip(SKIP_4) | instid1(VALU_DEP_2)
	v_cmp_gt_u32_e32 vcc_lo, s35, v9
	v_cndmask_b32_e32 v51, 0, v51, vcc_lo
	v_cmp_gt_u32_e32 vcc_lo, s35, v11
	v_dual_add_nc_u32 v10, 19, v8 :: v_dual_add_nc_u32 v11, 22, v8
	v_cndmask_b32_e32 v50, 0, v50, vcc_lo
	v_cmp_gt_u32_e32 vcc_lo, s35, v10
	v_dual_add_nc_u32 v9, 20, v8 :: v_dual_add_nc_u32 v10, 21, v8
	v_cndmask_b32_e32 v49, 0, v49, vcc_lo
	s_delay_alu instid0(VALU_DEP_2) | instskip(SKIP_1) | instid1(VALU_DEP_4)
	v_cmp_gt_u32_e32 vcc_lo, s35, v9
	v_cndmask_b32_e32 v48, 0, v48, vcc_lo
	v_cmp_gt_u32_e32 vcc_lo, s35, v10
	v_cndmask_b32_e32 v47, 0, v47, vcc_lo
	v_cmp_gt_u32_e32 vcc_lo, s35, v11
	v_dual_add_nc_u32 v9, 23, v8 :: v_dual_add_nc_u32 v11, 26, v8
	v_cndmask_b32_e32 v46, 0, v46, vcc_lo
	s_delay_alu instid0(VALU_DEP_2) | instskip(SKIP_2) | instid1(VALU_DEP_2)
	v_cmp_gt_u32_e32 vcc_lo, s35, v9
	v_dual_add_nc_u32 v10, 24, v8 :: v_dual_add_nc_u32 v9, 25, v8
	v_cndmask_b32_e32 v45, 0, v45, vcc_lo
	v_cmp_gt_u32_e32 vcc_lo, s35, v10
	v_cndmask_b32_e32 v44, 0, v44, vcc_lo
	s_delay_alu instid0(VALU_DEP_4) | instskip(SKIP_3) | instid1(VALU_DEP_1)
	v_cmp_gt_u32_e32 vcc_lo, s35, v9
	v_cndmask_b32_e32 v43, 0, v43, vcc_lo
	v_cmp_gt_u32_e32 vcc_lo, s35, v11
	v_dual_add_nc_u32 v8, 27, v8 :: v_dual_cndmask_b32 v42, 0, v42, vcc_lo
	v_cmp_gt_u32_e32 vcc_lo, s35, v8
	v_cndmask_b32_e32 v41, 0, v41, vcc_lo
.LBB134_83:
	v_and_b32_e32 v75, 0xff, v50
	v_and_b32_e32 v76, 0xff, v49
	;; [unrolled: 1-line block ×4, first 2 shown]
	v_mbcnt_lo_u32_b32 v97, -1, 0
	v_and_b32_e32 v70, 0xff, v54
	v_add_nc_u32_e32 v8, v75, v76
	v_and_b32_e32 v71, 0xff, v53
	v_and_b32_e32 v72, 0xff, v56
	v_and_b32_e32 v11, 15, v97
	v_and_b32_e32 v73, 0xff, v55
	v_add3_u32 v8, v8, v77, v69
	v_and_b32_e32 v74, 0xff, v58
	v_and_b32_e32 v78, 0xff, v57
	v_and_b32_e32 v79, 0xff, v60
	v_and_b32_e32 v80, 0xff, v59
	v_add3_u32 v8, v8, v71, v70
	;; [unrolled: 5-line block ×5, first 2 shown]
	v_and_b32_e32 v87, 0xff, v44
	v_and_b32_e32 v88, 0xff, v43
	;; [unrolled: 1-line block ×3, first 2 shown]
	s_wait_loadcnt 0x0
	v_and_b32_e32 v9, 0xff, v41
	v_add3_u32 v8, v8, v82, v81
	v_dual_lshrrev_b32 v98, 5, v0 :: v_dual_bitop2_b32 v10, 31, v0 bitop3:0x54
	v_and_b32_e32 v12, 16, v97
	v_cmp_eq_u32_e64 s7, 0, v11
	s_delay_alu instid0(VALU_DEP_4) | instskip(NEXT) | instid1(VALU_DEP_4)
	v_add3_u32 v8, v8, v90, v89
	v_cmp_eq_u32_e64 s2, v0, v10
	v_cmp_lt_u32_e64 s6, 1, v11
	v_cmp_lt_u32_e64 s5, 3, v11
	;; [unrolled: 1-line block ×3, first 2 shown]
	v_add3_u32 v8, v8, v93, v92
	v_cmp_eq_u32_e64 s3, 0, v12
	s_and_b32 vcc_lo, exec_lo, s39
	s_mov_b32 s8, -1
	s_wait_dscnt 0x0
	v_add3_u32 v8, v8, v95, v94
	s_barrier_signal -1
	s_barrier_wait -1
	s_delay_alu instid0(VALU_DEP_1) | instskip(NEXT) | instid1(VALU_DEP_1)
	v_add3_u32 v8, v8, v83, v84
	v_add3_u32 v8, v8, v85, v86
	s_delay_alu instid0(VALU_DEP_1) | instskip(NEXT) | instid1(VALU_DEP_1)
	v_add3_u32 v8, v8, v87, v88
	v_add3_u32 v99, v8, v91, v9
	s_cbranch_vccz .LBB134_105
; %bb.84:
	s_delay_alu instid0(VALU_DEP_1) | instskip(NEXT) | instid1(VALU_DEP_1)
	v_mov_b32_dpp v8, v99 row_shr:1 row_mask:0xf bank_mask:0xf
	v_cndmask_b32_e64 v8, v8, 0, s7
	s_delay_alu instid0(VALU_DEP_1) | instskip(NEXT) | instid1(VALU_DEP_1)
	v_add_nc_u32_e32 v8, v8, v99
	v_mov_b32_dpp v9, v8 row_shr:2 row_mask:0xf bank_mask:0xf
	s_delay_alu instid0(VALU_DEP_1) | instskip(NEXT) | instid1(VALU_DEP_1)
	v_cndmask_b32_e64 v9, 0, v9, s6
	v_add_nc_u32_e32 v8, v8, v9
	s_delay_alu instid0(VALU_DEP_1) | instskip(NEXT) | instid1(VALU_DEP_1)
	v_mov_b32_dpp v9, v8 row_shr:4 row_mask:0xf bank_mask:0xf
	v_cndmask_b32_e64 v9, 0, v9, s5
	s_delay_alu instid0(VALU_DEP_1) | instskip(NEXT) | instid1(VALU_DEP_1)
	v_add_nc_u32_e32 v8, v8, v9
	v_mov_b32_dpp v9, v8 row_shr:8 row_mask:0xf bank_mask:0xf
	s_delay_alu instid0(VALU_DEP_1) | instskip(NEXT) | instid1(VALU_DEP_1)
	v_cndmask_b32_e64 v9, 0, v9, s4
	v_add_nc_u32_e32 v8, v8, v9
	ds_swizzle_b32 v9, v8 offset:swizzle(BROADCAST,32,15)
	s_wait_dscnt 0x0
	v_cndmask_b32_e64 v9, v9, 0, s3
	s_delay_alu instid0(VALU_DEP_1)
	v_add_nc_u32_e32 v8, v8, v9
	s_and_saveexec_b32 s8, s2
; %bb.85:
	v_lshlrev_b32_e32 v9, 2, v98
	ds_store_b32 v9, v8
; %bb.86:
	s_or_b32 exec_lo, exec_lo, s8
	s_delay_alu instid0(SALU_CYCLE_1)
	s_mov_b32 s8, exec_lo
	s_wait_dscnt 0x0
	s_barrier_signal -1
	s_barrier_wait -1
	v_cmpx_gt_u32_e32 8, v0
	s_cbranch_execz .LBB134_88
; %bb.87:
	v_dual_lshlrev_b32 v9, 2, v0 :: v_dual_bitop2_b32 v11, 7, v97 bitop3:0x40
	ds_load_b32 v10, v9
	v_cmp_ne_u32_e32 vcc_lo, 0, v11
	s_wait_dscnt 0x0
	v_mov_b32_dpp v12, v10 row_shr:1 row_mask:0xf bank_mask:0xf
	s_delay_alu instid0(VALU_DEP_1) | instskip(SKIP_1) | instid1(VALU_DEP_2)
	v_cndmask_b32_e32 v12, 0, v12, vcc_lo
	v_cmp_lt_u32_e32 vcc_lo, 1, v11
	v_add_nc_u32_e32 v10, v12, v10
	s_delay_alu instid0(VALU_DEP_1) | instskip(NEXT) | instid1(VALU_DEP_1)
	v_mov_b32_dpp v12, v10 row_shr:2 row_mask:0xf bank_mask:0xf
	v_cndmask_b32_e32 v12, 0, v12, vcc_lo
	v_cmp_lt_u32_e32 vcc_lo, 3, v11
	s_delay_alu instid0(VALU_DEP_2) | instskip(NEXT) | instid1(VALU_DEP_1)
	v_add_nc_u32_e32 v10, v10, v12
	v_mov_b32_dpp v12, v10 row_shr:4 row_mask:0xf bank_mask:0xf
	s_delay_alu instid0(VALU_DEP_1) | instskip(NEXT) | instid1(VALU_DEP_1)
	v_cndmask_b32_e32 v11, 0, v12, vcc_lo
	v_add_nc_u32_e32 v10, v10, v11
	ds_store_b32 v9, v10
.LBB134_88:
	s_or_b32 exec_lo, exec_lo, s8
	s_delay_alu instid0(SALU_CYCLE_1)
	s_mov_b32 s9, exec_lo
	v_cmp_gt_u32_e32 vcc_lo, 32, v0
	s_wait_dscnt 0x0
	s_barrier_signal -1
	s_barrier_wait -1
                                        ; implicit-def: $vgpr18
	v_cmpx_lt_u32_e32 31, v0
	s_cbranch_execz .LBB134_90
; %bb.89:
	v_lshl_add_u32 v9, v98, 2, -4
	ds_load_b32 v18, v9
	s_wait_dscnt 0x0
	v_add_nc_u32_e32 v8, v18, v8
.LBB134_90:
	s_or_b32 exec_lo, exec_lo, s9
	v_sub_co_u32 v9, s8, v97, 1
	s_delay_alu instid0(VALU_DEP_1) | instskip(NEXT) | instid1(VALU_DEP_1)
	v_cmp_gt_i32_e64 s9, 0, v9
	v_cndmask_b32_e64 v9, v9, v97, s9
	s_delay_alu instid0(VALU_DEP_1)
	v_lshlrev_b32_e32 v9, 2, v9
	ds_bpermute_b32 v96, v9, v8
	s_and_saveexec_b32 s9, vcc_lo
	s_cbranch_execz .LBB134_110
; %bb.91:
	v_mov_b32_e32 v15, 0
	ds_load_b32 v8, v15 offset:28
	s_and_saveexec_b32 s12, s8
	s_cbranch_execz .LBB134_93
; %bb.92:
	s_add_co_i32 s13, s34, 32
	s_delay_alu instid0(SALU_CYCLE_1)
	v_dual_mov_b32 v9, 1 :: v_dual_mov_b32 v10, s13
	s_wait_xcnt 0x0
	s_wait_dscnt 0x0
	s_wait_kmcnt 0x0
	global_store_b64 v10, v[8:9], s[10:11] scale_offset scope:SCOPE_DEV
.LBB134_93:
	s_wait_xcnt 0x0
	s_or_b32 exec_lo, exec_lo, s12
	v_xad_u32 v10, v97, -1, s34
	s_mov_b32 s13, 0
	s_mov_b32 s12, exec_lo
	s_delay_alu instid0(VALU_DEP_1)
	v_add_nc_u32_e32 v14, 32, v10
	s_wait_kmcnt 0x0
	global_load_b64 v[12:13], v14, s[10:11] scale_offset scope:SCOPE_DEV
	s_wait_loadcnt 0x0
	v_and_b32_e32 v9, 0xff, v13
	s_wait_xcnt 0x0
	s_delay_alu instid0(VALU_DEP_1)
	v_cmpx_eq_u16_e32 0, v9
	s_cbranch_execz .LBB134_97
; %bb.94:
	v_lshl_add_u64 v[14:15], v[14:15], 3, s[10:11]
.LBB134_95:                             ; =>This Inner Loop Header: Depth=1
	global_load_b64 v[12:13], v[14:15], off scope:SCOPE_DEV
	s_wait_loadcnt 0x0
	v_and_b32_e32 v9, 0xff, v13
	s_delay_alu instid0(VALU_DEP_1)
	v_cmp_ne_u16_e32 vcc_lo, 0, v9
	s_or_b32 s13, vcc_lo, s13
	s_wait_xcnt 0x0
	s_and_not1_b32 exec_lo, exec_lo, s13
	s_cbranch_execnz .LBB134_95
; %bb.96:
	s_or_b32 exec_lo, exec_lo, s13
.LBB134_97:
	s_delay_alu instid0(SALU_CYCLE_1)
	s_or_b32 exec_lo, exec_lo, s12
	v_cmp_ne_u32_e32 vcc_lo, 31, v97
	v_lshlrev_b32_e64 v17, v97, -1
	v_lshl_or_b32 v106, v97, 2, 64
	v_dual_add_nc_u32 v101, 2, v97 :: v_dual_add_nc_u32 v103, 4, v97
	v_add_co_ci_u32_e64 v9, null, 0, v97, vcc_lo
	v_dual_add_nc_u32 v105, 8, v97 :: v_dual_add_nc_u32 v107, 16, v97
	s_delay_alu instid0(VALU_DEP_2)
	v_lshlrev_b32_e32 v16, 2, v9
	v_and_b32_e32 v9, 0xff, v13
	ds_bpermute_b32 v11, v16, v12
	v_cmp_eq_u16_e32 vcc_lo, 2, v9
	v_and_or_b32 v9, vcc_lo, v17, 0x80000000
	v_cmp_gt_u32_e32 vcc_lo, 30, v97
	s_delay_alu instid0(VALU_DEP_2) | instskip(SKIP_1) | instid1(VALU_DEP_2)
	v_ctz_i32_b32_e32 v9, v9
	v_cndmask_b32_e64 v14, 0, 2, vcc_lo
	v_cmp_lt_u32_e32 vcc_lo, v97, v9
	s_delay_alu instid0(VALU_DEP_2) | instskip(SKIP_3) | instid1(VALU_DEP_2)
	v_add_lshl_u32 v100, v14, v97, 2
	s_wait_dscnt 0x0
	v_cndmask_b32_e32 v11, 0, v11, vcc_lo
	v_cmp_gt_u32_e32 vcc_lo, 28, v97
	v_add_nc_u32_e32 v11, v11, v12
	v_cndmask_b32_e64 v14, 0, 4, vcc_lo
	v_cmp_le_u32_e32 vcc_lo, v101, v9
	ds_bpermute_b32 v12, v100, v11
	v_add_lshl_u32 v102, v14, v97, 2
	s_wait_dscnt 0x0
	v_cndmask_b32_e32 v12, 0, v12, vcc_lo
	v_cmp_gt_u32_e32 vcc_lo, 24, v97
	v_cndmask_b32_e64 v14, 0, 8, vcc_lo
	v_cmp_le_u32_e32 vcc_lo, v103, v9
	s_delay_alu instid0(VALU_DEP_4) | instskip(NEXT) | instid1(VALU_DEP_3)
	v_add_nc_u32_e32 v11, v11, v12
	v_add_lshl_u32 v104, v14, v97, 2
	ds_bpermute_b32 v12, v102, v11
	s_wait_dscnt 0x0
	v_cndmask_b32_e32 v12, 0, v12, vcc_lo
	v_cmp_le_u32_e32 vcc_lo, v105, v9
	s_delay_alu instid0(VALU_DEP_2) | instskip(SKIP_4) | instid1(VALU_DEP_2)
	v_add_nc_u32_e32 v11, v11, v12
	ds_bpermute_b32 v12, v104, v11
	s_wait_dscnt 0x0
	v_cndmask_b32_e32 v12, 0, v12, vcc_lo
	v_cmp_le_u32_e32 vcc_lo, v107, v9
	v_add_nc_u32_e32 v11, v11, v12
	ds_bpermute_b32 v12, v106, v11
	s_wait_dscnt 0x0
	v_cndmask_b32_e32 v9, 0, v12, vcc_lo
	s_delay_alu instid0(VALU_DEP_1)
	v_dual_mov_b32 v11, 0 :: v_dual_add_nc_u32 v12, v11, v9
	s_branch .LBB134_100
.LBB134_98:                             ;   in Loop: Header=BB134_100 Depth=1
	s_or_b32 exec_lo, exec_lo, s12
	v_and_b32_e32 v14, 0xff, v13
	ds_bpermute_b32 v15, v16, v12
	v_subrev_nc_u32_e32 v10, 32, v10
	s_mov_b32 s12, 0
	v_cmp_eq_u16_e32 vcc_lo, 2, v14
	v_and_or_b32 v14, vcc_lo, v17, 0x80000000
	s_delay_alu instid0(VALU_DEP_1) | instskip(NEXT) | instid1(VALU_DEP_1)
	v_ctz_i32_b32_e32 v14, v14
	v_cmp_lt_u32_e32 vcc_lo, v97, v14
	s_wait_dscnt 0x0
	v_cndmask_b32_e32 v15, 0, v15, vcc_lo
	v_cmp_le_u32_e32 vcc_lo, v101, v14
	s_delay_alu instid0(VALU_DEP_2) | instskip(SKIP_4) | instid1(VALU_DEP_2)
	v_add_nc_u32_e32 v12, v15, v12
	ds_bpermute_b32 v15, v100, v12
	s_wait_dscnt 0x0
	v_cndmask_b32_e32 v15, 0, v15, vcc_lo
	v_cmp_le_u32_e32 vcc_lo, v103, v14
	v_add_nc_u32_e32 v12, v12, v15
	ds_bpermute_b32 v15, v102, v12
	s_wait_dscnt 0x0
	v_cndmask_b32_e32 v15, 0, v15, vcc_lo
	v_cmp_le_u32_e32 vcc_lo, v105, v14
	s_delay_alu instid0(VALU_DEP_2) | instskip(SKIP_4) | instid1(VALU_DEP_2)
	v_add_nc_u32_e32 v12, v12, v15
	ds_bpermute_b32 v15, v104, v12
	s_wait_dscnt 0x0
	v_cndmask_b32_e32 v15, 0, v15, vcc_lo
	v_cmp_le_u32_e32 vcc_lo, v107, v14
	v_add_nc_u32_e32 v12, v12, v15
	ds_bpermute_b32 v15, v106, v12
	s_wait_dscnt 0x0
	v_cndmask_b32_e32 v14, 0, v15, vcc_lo
	s_delay_alu instid0(VALU_DEP_1)
	v_add3_u32 v12, v14, v9, v12
.LBB134_99:                             ;   in Loop: Header=BB134_100 Depth=1
	s_and_b32 vcc_lo, exec_lo, s12
	s_cbranch_vccnz .LBB134_106
.LBB134_100:                            ; =>This Loop Header: Depth=1
                                        ;     Child Loop BB134_103 Depth 2
	v_and_b32_e32 v9, 0xff, v13
	s_mov_b32 s12, -1
                                        ; implicit-def: $vgpr13
	s_delay_alu instid0(VALU_DEP_1)
	v_cmp_ne_u16_e32 vcc_lo, 2, v9
	v_mov_b32_e32 v9, v12
                                        ; implicit-def: $vgpr12
	s_cmp_lg_u32 vcc_lo, exec_lo
	s_cbranch_scc1 .LBB134_99
; %bb.101:                              ;   in Loop: Header=BB134_100 Depth=1
	global_load_b64 v[12:13], v10, s[10:11] scale_offset scope:SCOPE_DEV
	s_mov_b32 s12, exec_lo
	s_wait_loadcnt 0x0
	v_and_b32_e32 v14, 0xff, v13
	s_wait_xcnt 0x0
	s_delay_alu instid0(VALU_DEP_1)
	v_cmpx_eq_u16_e32 0, v14
	s_cbranch_execz .LBB134_98
; %bb.102:                              ;   in Loop: Header=BB134_100 Depth=1
	v_lshl_add_u64 v[14:15], v[10:11], 3, s[10:11]
	s_mov_b32 s13, 0
.LBB134_103:                            ;   Parent Loop BB134_100 Depth=1
                                        ; =>  This Inner Loop Header: Depth=2
	global_load_b64 v[12:13], v[14:15], off scope:SCOPE_DEV
	s_wait_loadcnt 0x0
	v_and_b32_e32 v108, 0xff, v13
	s_delay_alu instid0(VALU_DEP_1)
	v_cmp_ne_u16_e32 vcc_lo, 0, v108
	s_or_b32 s13, vcc_lo, s13
	s_wait_xcnt 0x0
	s_and_not1_b32 exec_lo, exec_lo, s13
	s_cbranch_execnz .LBB134_103
; %bb.104:                              ;   in Loop: Header=BB134_100 Depth=1
	s_or_b32 exec_lo, exec_lo, s13
	s_branch .LBB134_98
.LBB134_105:
                                        ; implicit-def: $vgpr18
                                        ; implicit-def: $vgpr16
                                        ; implicit-def: $vgpr96
	s_and_b32 vcc_lo, exec_lo, s8
	s_cbranch_vccnz .LBB134_111
	s_branch .LBB134_120
.LBB134_106:
	s_and_saveexec_b32 s12, s8
	s_cbranch_execz .LBB134_108
; %bb.107:
	s_add_co_i32 s13, s34, 32
	v_dual_mov_b32 v11, 2 :: v_dual_add_nc_u32 v10, v9, v8
	v_dual_mov_b32 v12, s13 :: v_dual_mov_b32 v13, 0
	global_store_b64 v12, v[10:11], s[10:11] scale_offset scope:SCOPE_DEV
	ds_store_b64 v13, v[8:9] offset:7168
.LBB134_108:
	s_wait_xcnt 0x0
	s_or_b32 exec_lo, exec_lo, s12
	v_cmp_eq_u32_e32 vcc_lo, 0, v0
	s_and_b32 exec_lo, exec_lo, vcc_lo
; %bb.109:
	v_mov_b32_e32 v8, 0
	ds_store_b32 v8, v9 offset:28
.LBB134_110:
	s_or_b32 exec_lo, exec_lo, s9
	v_mov_b32_e32 v8, 0
	s_wait_storecnt_dscnt 0x0
	s_barrier_signal -1
	s_barrier_wait -1
	ds_load_b32 v9, v8 offset:28
	s_wait_dscnt 0x0
	s_barrier_signal -1
	s_barrier_wait -1
	ds_load_b64 v[16:17], v8 offset:7168
	v_cndmask_b32_e64 v8, v96, v18, s8
	v_cmp_ne_u32_e32 vcc_lo, 0, v0
	s_delay_alu instid0(VALU_DEP_2) | instskip(NEXT) | instid1(VALU_DEP_1)
	v_cndmask_b32_e32 v8, 0, v8, vcc_lo
	v_add_nc_u32_e32 v96, v9, v8
	s_wait_dscnt 0x0
	v_mov_b32_e32 v18, v17
	s_branch .LBB134_120
.LBB134_111:
	v_mov_b32_dpp v8, v99 row_shr:1 row_mask:0xf bank_mask:0xf
	s_delay_alu instid0(VALU_DEP_1) | instskip(NEXT) | instid1(VALU_DEP_1)
	v_cndmask_b32_e64 v8, v8, 0, s7
	v_add_nc_u32_e32 v8, v8, v99
	s_delay_alu instid0(VALU_DEP_1) | instskip(NEXT) | instid1(VALU_DEP_1)
	v_mov_b32_dpp v9, v8 row_shr:2 row_mask:0xf bank_mask:0xf
	v_cndmask_b32_e64 v9, 0, v9, s6
	s_delay_alu instid0(VALU_DEP_1) | instskip(NEXT) | instid1(VALU_DEP_1)
	v_add_nc_u32_e32 v8, v8, v9
	v_mov_b32_dpp v9, v8 row_shr:4 row_mask:0xf bank_mask:0xf
	s_delay_alu instid0(VALU_DEP_1) | instskip(NEXT) | instid1(VALU_DEP_1)
	v_cndmask_b32_e64 v9, 0, v9, s5
	v_add_nc_u32_e32 v8, v8, v9
	s_delay_alu instid0(VALU_DEP_1) | instskip(NEXT) | instid1(VALU_DEP_1)
	v_mov_b32_dpp v9, v8 row_shr:8 row_mask:0xf bank_mask:0xf
	v_cndmask_b32_e64 v9, 0, v9, s4
	s_delay_alu instid0(VALU_DEP_1) | instskip(SKIP_3) | instid1(VALU_DEP_1)
	v_add_nc_u32_e32 v8, v8, v9
	ds_swizzle_b32 v9, v8 offset:swizzle(BROADCAST,32,15)
	s_wait_dscnt 0x0
	v_cndmask_b32_e64 v9, v9, 0, s3
	v_add_nc_u32_e32 v8, v8, v9
	s_and_saveexec_b32 s3, s2
; %bb.112:
	v_lshlrev_b32_e32 v9, 2, v98
	ds_store_b32 v9, v8
; %bb.113:
	s_or_b32 exec_lo, exec_lo, s3
	s_delay_alu instid0(SALU_CYCLE_1)
	s_mov_b32 s2, exec_lo
	s_wait_dscnt 0x0
	s_barrier_signal -1
	s_barrier_wait -1
	v_cmpx_gt_u32_e32 8, v0
	s_cbranch_execz .LBB134_115
; %bb.114:
	v_dual_lshlrev_b32 v9, 2, v0 :: v_dual_bitop2_b32 v11, 7, v97 bitop3:0x40
	ds_load_b32 v10, v9
	v_cmp_ne_u32_e32 vcc_lo, 0, v11
	s_wait_dscnt 0x0
	v_mov_b32_dpp v12, v10 row_shr:1 row_mask:0xf bank_mask:0xf
	s_delay_alu instid0(VALU_DEP_1) | instskip(SKIP_1) | instid1(VALU_DEP_2)
	v_cndmask_b32_e32 v12, 0, v12, vcc_lo
	v_cmp_lt_u32_e32 vcc_lo, 1, v11
	v_add_nc_u32_e32 v10, v12, v10
	s_delay_alu instid0(VALU_DEP_1) | instskip(NEXT) | instid1(VALU_DEP_1)
	v_mov_b32_dpp v12, v10 row_shr:2 row_mask:0xf bank_mask:0xf
	v_cndmask_b32_e32 v12, 0, v12, vcc_lo
	v_cmp_lt_u32_e32 vcc_lo, 3, v11
	s_delay_alu instid0(VALU_DEP_2) | instskip(NEXT) | instid1(VALU_DEP_1)
	v_add_nc_u32_e32 v10, v10, v12
	v_mov_b32_dpp v12, v10 row_shr:4 row_mask:0xf bank_mask:0xf
	s_delay_alu instid0(VALU_DEP_1) | instskip(NEXT) | instid1(VALU_DEP_1)
	v_cndmask_b32_e32 v11, 0, v12, vcc_lo
	v_add_nc_u32_e32 v10, v10, v11
	ds_store_b32 v9, v10
.LBB134_115:
	s_or_b32 exec_lo, exec_lo, s2
	v_dual_mov_b32 v10, 0 :: v_dual_mov_b32 v9, 0
	s_mov_b32 s2, exec_lo
	s_wait_dscnt 0x0
	s_barrier_signal -1
	s_barrier_wait -1
	v_cmpx_lt_u32_e32 31, v0
; %bb.116:
	v_lshl_add_u32 v9, v98, 2, -4
	ds_load_b32 v9, v9
; %bb.117:
	s_or_b32 exec_lo, exec_lo, s2
	v_sub_co_u32 v11, vcc_lo, v97, 1
	ds_load_b32 v16, v10 offset:28
	s_wait_dscnt 0x1
	v_add_nc_u32_e32 v8, v9, v8
	v_cmp_gt_i32_e64 s2, 0, v11
	s_delay_alu instid0(VALU_DEP_1) | instskip(SKIP_1) | instid1(VALU_DEP_2)
	v_cndmask_b32_e64 v11, v11, v97, s2
	v_cmp_eq_u32_e64 s2, 0, v0
	v_lshlrev_b32_e32 v11, 2, v11
	ds_bpermute_b32 v8, v11, v8
	s_and_saveexec_b32 s3, s2
	s_cbranch_execz .LBB134_119
; %bb.118:
	v_dual_mov_b32 v10, 0 :: v_dual_mov_b32 v17, 2
	s_wait_xcnt 0x0
	s_wait_dscnt 0x1
	s_wait_kmcnt 0x0
	global_store_b64 v10, v[16:17], s[10:11] offset:256 scope:SCOPE_DEV
.LBB134_119:
	s_wait_xcnt 0x0
	s_or_b32 exec_lo, exec_lo, s3
	s_wait_dscnt 0x0
	v_dual_cndmask_b32 v8, v8, v9, vcc_lo :: v_dual_mov_b32 v18, 0
	s_wait_storecnt 0x0
	s_barrier_signal -1
	s_barrier_wait -1
	s_delay_alu instid0(VALU_DEP_1)
	v_cndmask_b32_e64 v96, v8, 0, s2
.LBB134_120:
	s_delay_alu instid0(VALU_DEP_1)
	v_add_nc_u32_e32 v97, v96, v94
	s_wait_xcnt 0x0
	s_load_b64 s[0:1], s[0:1], 0x28
	v_cmp_gt_u32_e32 vcc_lo, 0x101, v16
	s_mov_b32 s4, -1
	v_dual_add_nc_u32 v95, v97, v95 :: v_dual_bitop2_b32 v68, 1, v68 bitop3:0x40
	s_and_b32 vcc_lo, exec_lo, vcc_lo
	s_delay_alu instid0(VALU_DEP_1) | instskip(NEXT) | instid1(VALU_DEP_1)
	v_add_nc_u32_e32 v94, v95, v92
	v_add_nc_u32_e32 v93, v94, v93
	s_delay_alu instid0(VALU_DEP_1) | instskip(SKIP_2) | instid1(VALU_DEP_1)
	v_add_nc_u32_e32 v92, v93, v89
	s_wait_kmcnt 0x0
	s_add_nc_u64 s[2:3], s[0:1], s[30:31]
	v_add_nc_u32_e32 v90, v92, v90
	s_delay_alu instid0(VALU_DEP_1) | instskip(NEXT) | instid1(VALU_DEP_1)
	v_add_nc_u32_e32 v89, v90, v81
	v_add_nc_u32_e32 v82, v89, v82
	s_delay_alu instid0(VALU_DEP_1) | instskip(NEXT) | instid1(VALU_DEP_1)
	v_add_nc_u32_e32 v81, v82, v79
	;; [unrolled: 3-line block ×10, first 2 shown]
	v_add_nc_u32_e32 v9, v10, v88
	s_delay_alu instid0(VALU_DEP_1)
	v_add_nc_u32_e32 v8, v9, v91
	s_cbranch_vccnz .LBB134_124
; %bb.121:
	s_and_b32 vcc_lo, exec_lo, s4
	s_cbranch_vccnz .LBB134_181
.LBB134_122:
	v_cmp_eq_u32_e32 vcc_lo, 0, v0
	s_and_b32 s0, vcc_lo, s29
	s_delay_alu instid0(SALU_CYCLE_1)
	s_and_saveexec_b32 s1, s0
	s_cbranch_execnz .LBB134_251
.LBB134_123:
	s_sendmsg sendmsg(MSG_DEALLOC_VGPRS)
	s_endpgm
.LBB134_124:
	v_add_nc_u32_e32 v75, v18, v16
	v_cmp_eq_u32_e64 s0, 1, v68
	s_delay_alu instid0(VALU_DEP_2) | instskip(SKIP_1) | instid1(SALU_CYCLE_1)
	v_cmp_lt_u32_e32 vcc_lo, v96, v75
	s_or_b32 s1, s33, vcc_lo
	s_and_b32 s1, s1, s0
	s_delay_alu instid0(SALU_CYCLE_1)
	s_and_saveexec_b32 s0, s1
	s_cbranch_execz .LBB134_126
; %bb.125:
	global_store_b8 v96, v6, s[2:3]
.LBB134_126:
	s_wait_xcnt 0x0
	s_or_b32 exec_lo, exec_lo, s0
	v_and_b32_e32 v76, 1, v67
	v_cmp_lt_u32_e32 vcc_lo, v97, v75
	s_delay_alu instid0(VALU_DEP_2) | instskip(SKIP_1) | instid1(SALU_CYCLE_1)
	v_cmp_eq_u32_e64 s0, 1, v76
	s_or_b32 s1, s33, vcc_lo
	s_and_b32 s1, s1, s0
	s_delay_alu instid0(SALU_CYCLE_1)
	s_and_saveexec_b32 s0, s1
	s_cbranch_execz .LBB134_128
; %bb.127:
	global_store_b8 v97, v40, s[2:3]
.LBB134_128:
	s_wait_xcnt 0x0
	s_or_b32 exec_lo, exec_lo, s0
	v_and_b32_e32 v76, 1, v66
	v_cmp_lt_u32_e32 vcc_lo, v95, v75
	s_delay_alu instid0(VALU_DEP_2) | instskip(SKIP_1) | instid1(SALU_CYCLE_1)
	v_cmp_eq_u32_e64 s0, 1, v76
	;; [unrolled: 14-line block ×27, first 2 shown]
	s_or_b32 s1, s33, vcc_lo
	s_and_b32 s1, s1, s0
	s_delay_alu instid0(SALU_CYCLE_1)
	s_and_saveexec_b32 s0, s1
	s_cbranch_execz .LBB134_180
; %bb.179:
	global_store_b8 v8, v1, s[2:3]
.LBB134_180:
	s_wait_xcnt 0x0
	s_or_b32 exec_lo, exec_lo, s0
	s_branch .LBB134_122
.LBB134_181:
	s_mov_b32 s0, exec_lo
	v_cmpx_eq_u32_e32 1, v68
; %bb.182:
	v_sub_nc_u32_e32 v68, v96, v18
	ds_store_b8 v68, v6
; %bb.183:
	s_or_b32 exec_lo, exec_lo, s0
	v_and_b32_e32 v6, 1, v67
	s_mov_b32 s0, exec_lo
	s_delay_alu instid0(VALU_DEP_1)
	v_cmpx_eq_u32_e32 1, v6
; %bb.184:
	v_sub_nc_u32_e32 v6, v97, v18
	ds_store_b8 v6, v40
; %bb.185:
	s_or_b32 exec_lo, exec_lo, s0
	v_and_b32_e32 v6, 1, v66
	s_mov_b32 s0, exec_lo
	s_delay_alu instid0(VALU_DEP_1)
	;; [unrolled: 9-line block ×27, first 2 shown]
	v_cmpx_eq_u32_e32 1, v2
; %bb.236:
	v_sub_nc_u32_e32 v2, v8, v18
	ds_store_b8 v2, v1
; %bb.237:
	s_or_b32 exec_lo, exec_lo, s0
	v_or_b32_e32 v1, 0x100, v0
	v_mov_b32_e32 v19, 0
	s_mov_b32 s1, exec_lo
	s_wait_storecnt_dscnt 0x0
	s_barrier_signal -1
	v_max_u32_e32 v3, v16, v1
	v_add_nc_u64_e32 v[20:21], s[2:3], v[18:19]
	s_mov_b32 s3, -1
	s_barrier_wait -1
	s_delay_alu instid0(VALU_DEP_2) | instskip(NEXT) | instid1(VALU_DEP_1)
	v_xad_u32 v2, v0, -1, v3
	v_cmp_gt_u32_e64 s0, 0x1f00, v2
	v_cmpx_lt_u32_e32 0x1eff, v2
	s_cbranch_execz .LBB134_247
; %bb.238:
	v_sub_nc_u32_e32 v3, v0, v3
	s_mov_b32 s2, exec_lo
	s_delay_alu instid0(VALU_DEP_1) | instskip(NEXT) | instid1(VALU_DEP_1)
	v_or_b32_e32 v3, 0xff, v3
	v_cmpx_ge_u32_e64 v3, v0
	s_cbranch_execz .LBB134_246
; %bb.239:
	v_or_b32_e32 v7, 0x700, v0
	v_or_b32_e32 v6, 0x600, v0
	v_dual_mov_b32 v22, 0 :: v_dual_lshrrev_b32 v17, 8, v2
	v_or_b32_e32 v5, 0x500, v0
	v_or_b32_e32 v4, 0x400, v0
	;; [unrolled: 1-line block ×4, first 2 shown]
	v_mov_b64_e32 v[14:15], v[6:7]
	v_mov_b64_e32 v[8:9], v[0:1]
	v_mov_b64_e32 v[12:13], v[4:5]
	v_add_nc_u32_e32 v19, -7, v17
	v_mov_b64_e32 v[10:11], v[2:3]
	s_mov_b32 s3, exec_lo
	s_delay_alu instid0(VALU_DEP_2)
	v_cmpx_lt_u32_e32 7, v19
	s_cbranch_execz .LBB134_243
; %bb.240:
	v_dual_mov_b32 v23, 0 :: v_dual_lshrrev_b32 v8, 3, v19
	s_mov_b32 s4, 0
	s_mov_b32 s5, 0
	s_delay_alu instid0(VALU_DEP_1) | instskip(NEXT) | instid1(VALU_DEP_1)
	v_dual_mov_b32 v24, v0 :: v_dual_add_nc_u32 v8, 1, v8
	v_and_b32_e32 v25, 0x3ffffffe, v8
	v_mov_b64_e32 v[14:15], v[6:7]
	v_mov_b64_e32 v[12:13], v[4:5]
	;; [unrolled: 1-line block ×4, first 2 shown]
.LBB134_241:                            ; =>This Inner Loop Header: Depth=1
	s_delay_alu instid0(VALU_DEP_1)
	v_dual_mov_b32 v22, v8 :: v_dual_mov_b32 v33, v23
	v_add_nc_u32_e32 v25, -2, v25
	s_add_co_i32 s5, s5, 16
	s_delay_alu instid0(VALU_DEP_3) | instid1(SALU_CYCLE_1)
	v_dual_mov_b32 v1, s5 :: v_dual_add_nc_u32 v32, 0x800, v9
	s_delay_alu instid0(VALU_DEP_3)
	v_add_nc_u64_e32 v[34:35], v[20:21], v[22:23]
	v_dual_mov_b32 v22, v9 :: v_dual_add_nc_u32 v9, 0x1000, v9
	ds_load_u8 v42, v24
	ds_load_u8 v43, v24 offset:256
	ds_load_u8 v44, v24 offset:512
	;; [unrolled: 1-line block ×7, first 2 shown]
	v_dual_mov_b32 v5, v23 :: v_dual_add_nc_u32 v28, 0x800, v11
	v_add_nc_u64_e32 v[36:37], v[20:21], v[22:23]
	v_mov_b32_e32 v22, v10
	ds_load_u8 v50, v24 offset:2048
	ds_load_u8 v51, v24 offset:2304
	;; [unrolled: 1-line block ×8, first 2 shown]
	v_dual_mov_b32 v31, v23 :: v_dual_add_nc_u32 v2, 0x800, v15
	s_wait_dscnt 0xf
	global_store_b8 v[34:35], v42, off
	s_wait_dscnt 0xe
	global_store_b8 v[36:37], v43, off
	v_add_nc_u64_e32 v[38:39], v[20:21], v[22:23]
	v_dual_mov_b32 v22, v11 :: v_dual_add_nc_u32 v11, 0x1000, v11
	v_dual_mov_b32 v3, v23 :: v_dual_add_nc_u32 v30, 0x800, v10
	;; [unrolled: 1-line block ×3, first 2 shown]
	s_delay_alu instid0(VALU_DEP_3)
	v_add_nc_u64_e32 v[40:41], v[20:21], v[22:23]
	v_mov_b32_e32 v22, v12
	s_wait_dscnt 0xd
	global_store_b8 v[38:39], v44, off
	v_dual_mov_b32 v27, v23 :: v_dual_add_nc_u32 v6, 0x800, v13
	v_dual_mov_b32 v7, v23 :: v_dual_add_nc_u32 v26, 0x800, v12
	s_wait_xcnt 0x2
	v_add_nc_u64_e32 v[34:35], v[20:21], v[22:23]
	v_mov_b32_e32 v22, v13
	s_wait_dscnt 0xc
	global_store_b8 v[40:41], v45, off
	v_cmp_eq_u32_e32 vcc_lo, 0, v25
	v_add_nc_u32_e32 v24, 0x1000, v24
	v_add_nc_u64_e32 v[32:33], v[20:21], v[32:33]
	s_wait_xcnt 0x2
	v_add_nc_u64_e32 v[36:37], v[20:21], v[22:23]
	v_mov_b32_e32 v22, v14
	s_wait_dscnt 0xb
	global_store_b8 v[34:35], v46, off
	v_add_nc_u32_e32 v10, 0x1000, v10
	v_add_nc_u32_e32 v12, 0x1000, v12
	;; [unrolled: 1-line block ×3, first 2 shown]
	s_wait_xcnt 0x0
	v_add_nc_u64_e32 v[34:35], v[20:21], v[22:23]
	v_mov_b32_e32 v22, v15
	s_wait_dscnt 0xa
	global_store_b8 v[36:37], v47, off
	v_add_nc_u32_e32 v14, 0x1000, v14
	v_add_nc_u32_e32 v15, 0x1000, v15
	v_add_nc_u64_e32 v[30:31], v[20:21], v[30:31]
	s_wait_xcnt 0x0
	v_add_nc_u64_e32 v[36:37], v[20:21], v[22:23]
	v_add_nc_u32_e32 v22, 0x800, v8
	s_wait_dscnt 0x9
	global_store_b8 v[34:35], v48, off
	v_add_nc_u32_e32 v8, 0x1000, v8
	v_add_nc_u64_e32 v[28:29], v[20:21], v[28:29]
	v_add_nc_u64_e32 v[26:27], v[20:21], v[26:27]
	s_wait_xcnt 0x0
	v_add_nc_u64_e32 v[34:35], v[20:21], v[22:23]
	s_or_b32 s4, vcc_lo, s4
	v_add_nc_u64_e32 v[6:7], v[20:21], v[6:7]
	v_add_nc_u64_e32 v[4:5], v[20:21], v[4:5]
	;; [unrolled: 1-line block ×3, first 2 shown]
	s_wait_dscnt 0x8
	global_store_b8 v[36:37], v49, off
	s_wait_dscnt 0x7
	global_store_b8 v[34:35], v50, off
	;; [unrolled: 2-line block ×9, first 2 shown]
	s_wait_xcnt 0x0
	s_and_not1_b32 exec_lo, exec_lo, s4
	s_cbranch_execnz .LBB134_241
; %bb.242:
	s_or_b32 exec_lo, exec_lo, s4
	v_lshlrev_b32_e32 v22, 8, v1
.LBB134_243:
	s_or_b32 exec_lo, exec_lo, s3
	v_and_b32_e32 v1, 8, v19
	s_mov_b32 s3, exec_lo
	s_delay_alu instid0(VALU_DEP_1)
	v_cmpx_eq_u32_e32 0, v1
	s_cbranch_execz .LBB134_245
; %bb.244:
	v_dual_mov_b32 v3, 0 :: v_dual_mov_b32 v2, v8
	v_or_b32_e32 v1, v0, v22
	ds_load_u8 v19, v1
	ds_load_u8 v26, v1 offset:256
	ds_load_u8 v27, v1 offset:512
	ds_load_u8 v28, v1 offset:768
	ds_load_u8 v29, v1 offset:1024
	ds_load_u8 v30, v1 offset:1280
	ds_load_u8 v31, v1 offset:1536
	ds_load_u8 v1, v1 offset:1792
	v_add_nc_u64_e32 v[4:5], v[20:21], v[2:3]
	v_mov_b32_e32 v2, v9
	s_delay_alu instid0(VALU_DEP_1) | instskip(SKIP_1) | instid1(VALU_DEP_1)
	v_add_nc_u64_e32 v[6:7], v[20:21], v[2:3]
	v_mov_b32_e32 v2, v10
	v_add_nc_u64_e32 v[8:9], v[20:21], v[2:3]
	v_mov_b32_e32 v2, v11
	s_delay_alu instid0(VALU_DEP_1) | instskip(SKIP_1) | instid1(VALU_DEP_1)
	v_add_nc_u64_e32 v[10:11], v[20:21], v[2:3]
	v_mov_b32_e32 v2, v12
	;; [unrolled: 5-line block ×3, first 2 shown]
	v_add_nc_u64_e32 v[24:25], v[20:21], v[2:3]
	v_mov_b32_e32 v2, v15
	s_delay_alu instid0(VALU_DEP_1)
	v_add_nc_u64_e32 v[2:3], v[20:21], v[2:3]
	s_wait_dscnt 0x7
	global_store_b8 v[4:5], v19, off
	s_wait_dscnt 0x6
	global_store_b8 v[6:7], v26, off
	;; [unrolled: 2-line block ×8, first 2 shown]
.LBB134_245:
	s_wait_xcnt 0x0
	s_or_b32 exec_lo, exec_lo, s3
	v_add_nc_u32_e32 v1, 1, v17
	s_delay_alu instid0(VALU_DEP_1) | instskip(NEXT) | instid1(VALU_DEP_1)
	v_and_b32_e32 v2, 0x1fffff8, v1
	v_cmp_ne_u32_e32 vcc_lo, v1, v2
	v_lshl_or_b32 v22, v2, 8, v0
	s_or_not1_b32 s3, vcc_lo, exec_lo
.LBB134_246:
	s_or_b32 exec_lo, exec_lo, s2
	s_delay_alu instid0(SALU_CYCLE_1) | instskip(SKIP_1) | instid1(SALU_CYCLE_1)
	s_and_not1_b32 s0, s0, exec_lo
	s_and_b32 s2, s3, exec_lo
	s_or_b32 s0, s0, s2
.LBB134_247:
	s_or_b32 exec_lo, exec_lo, s1
	s_and_saveexec_b32 s1, s0
	s_cbranch_execz .LBB134_250
; %bb.248:
	s_mov_b32 s0, 0
.LBB134_249:                            ; =>This Inner Loop Header: Depth=1
	ds_load_u8 v1, v22
	v_readfirstlane_b32 s2, v20
	v_readfirstlane_b32 s3, v21
	s_wait_dscnt 0x0
	global_store_b8 v22, v1, s[2:3]
	s_wait_xcnt 0x0
	v_add_nc_u32_e32 v22, 0x100, v22
	s_delay_alu instid0(VALU_DEP_1) | instskip(SKIP_1) | instid1(SALU_CYCLE_1)
	v_cmp_ge_u32_e32 vcc_lo, v22, v16
	s_or_b32 s0, vcc_lo, s0
	s_and_not1_b32 exec_lo, exec_lo, s0
	s_cbranch_execnz .LBB134_249
.LBB134_250:
	s_or_b32 exec_lo, exec_lo, s1
	v_cmp_eq_u32_e32 vcc_lo, 0, v0
	s_and_b32 s0, vcc_lo, s29
	s_delay_alu instid0(SALU_CYCLE_1)
	s_and_saveexec_b32 s1, s0
	s_cbranch_execz .LBB134_123
.LBB134_251:
	v_mov_b32_e32 v17, 0
	s_delay_alu instid0(VALU_DEP_1) | instskip(SKIP_1) | instid1(VALU_DEP_1)
	v_add_nc_u64_e32 v[0:1], s[30:31], v[16:17]
	v_mov_b32_e32 v19, v17
	v_add_nc_u64_e32 v[0:1], v[0:1], v[18:19]
	global_store_b64 v17, v[0:1], s[36:37]
	s_sendmsg sendmsg(MSG_DEALLOC_VGPRS)
	s_endpgm
	.section	.rodata,"a",@progbits
	.p2align	6, 0x0
	.amdhsa_kernel _ZN7rocprim17ROCPRIM_400000_NS6detail17trampoline_kernelINS0_14default_configENS1_25partition_config_selectorILNS1_17partition_subalgoE8EhNS0_10empty_typeEbEEZZNS1_14partition_implILS5_8ELb0ES3_jPKhPS6_PKS6_NS0_5tupleIJPhS6_EEENSE_IJSB_SB_EEENS0_18inequality_wrapperIN6hipcub16HIPCUB_304000_NS8EqualityEEEPlJS6_EEE10hipError_tPvRmT3_T4_T5_T6_T7_T9_mT8_P12ihipStream_tbDpT10_ENKUlT_T0_E_clISt17integral_constantIbLb0EES17_EEDaS12_S13_EUlS12_E_NS1_11comp_targetILNS1_3genE0ELNS1_11target_archE4294967295ELNS1_3gpuE0ELNS1_3repE0EEENS1_30default_config_static_selectorELNS0_4arch9wavefront6targetE0EEEvT1_
		.amdhsa_group_segment_fixed_size 7176
		.amdhsa_private_segment_fixed_size 0
		.amdhsa_kernarg_size 112
		.amdhsa_user_sgpr_count 2
		.amdhsa_user_sgpr_dispatch_ptr 0
		.amdhsa_user_sgpr_queue_ptr 0
		.amdhsa_user_sgpr_kernarg_segment_ptr 1
		.amdhsa_user_sgpr_dispatch_id 0
		.amdhsa_user_sgpr_kernarg_preload_length 0
		.amdhsa_user_sgpr_kernarg_preload_offset 0
		.amdhsa_user_sgpr_private_segment_size 0
		.amdhsa_wavefront_size32 1
		.amdhsa_uses_dynamic_stack 0
		.amdhsa_enable_private_segment 0
		.amdhsa_system_sgpr_workgroup_id_x 1
		.amdhsa_system_sgpr_workgroup_id_y 0
		.amdhsa_system_sgpr_workgroup_id_z 0
		.amdhsa_system_sgpr_workgroup_info 0
		.amdhsa_system_vgpr_workitem_id 0
		.amdhsa_next_free_vgpr 109
		.amdhsa_next_free_sgpr 47
		.amdhsa_named_barrier_count 0
		.amdhsa_reserve_vcc 1
		.amdhsa_float_round_mode_32 0
		.amdhsa_float_round_mode_16_64 0
		.amdhsa_float_denorm_mode_32 3
		.amdhsa_float_denorm_mode_16_64 3
		.amdhsa_fp16_overflow 0
		.amdhsa_memory_ordered 1
		.amdhsa_forward_progress 1
		.amdhsa_inst_pref_size 107
		.amdhsa_round_robin_scheduling 0
		.amdhsa_exception_fp_ieee_invalid_op 0
		.amdhsa_exception_fp_denorm_src 0
		.amdhsa_exception_fp_ieee_div_zero 0
		.amdhsa_exception_fp_ieee_overflow 0
		.amdhsa_exception_fp_ieee_underflow 0
		.amdhsa_exception_fp_ieee_inexact 0
		.amdhsa_exception_int_div_zero 0
	.end_amdhsa_kernel
	.section	.text._ZN7rocprim17ROCPRIM_400000_NS6detail17trampoline_kernelINS0_14default_configENS1_25partition_config_selectorILNS1_17partition_subalgoE8EhNS0_10empty_typeEbEEZZNS1_14partition_implILS5_8ELb0ES3_jPKhPS6_PKS6_NS0_5tupleIJPhS6_EEENSE_IJSB_SB_EEENS0_18inequality_wrapperIN6hipcub16HIPCUB_304000_NS8EqualityEEEPlJS6_EEE10hipError_tPvRmT3_T4_T5_T6_T7_T9_mT8_P12ihipStream_tbDpT10_ENKUlT_T0_E_clISt17integral_constantIbLb0EES17_EEDaS12_S13_EUlS12_E_NS1_11comp_targetILNS1_3genE0ELNS1_11target_archE4294967295ELNS1_3gpuE0ELNS1_3repE0EEENS1_30default_config_static_selectorELNS0_4arch9wavefront6targetE0EEEvT1_,"axG",@progbits,_ZN7rocprim17ROCPRIM_400000_NS6detail17trampoline_kernelINS0_14default_configENS1_25partition_config_selectorILNS1_17partition_subalgoE8EhNS0_10empty_typeEbEEZZNS1_14partition_implILS5_8ELb0ES3_jPKhPS6_PKS6_NS0_5tupleIJPhS6_EEENSE_IJSB_SB_EEENS0_18inequality_wrapperIN6hipcub16HIPCUB_304000_NS8EqualityEEEPlJS6_EEE10hipError_tPvRmT3_T4_T5_T6_T7_T9_mT8_P12ihipStream_tbDpT10_ENKUlT_T0_E_clISt17integral_constantIbLb0EES17_EEDaS12_S13_EUlS12_E_NS1_11comp_targetILNS1_3genE0ELNS1_11target_archE4294967295ELNS1_3gpuE0ELNS1_3repE0EEENS1_30default_config_static_selectorELNS0_4arch9wavefront6targetE0EEEvT1_,comdat
.Lfunc_end134:
	.size	_ZN7rocprim17ROCPRIM_400000_NS6detail17trampoline_kernelINS0_14default_configENS1_25partition_config_selectorILNS1_17partition_subalgoE8EhNS0_10empty_typeEbEEZZNS1_14partition_implILS5_8ELb0ES3_jPKhPS6_PKS6_NS0_5tupleIJPhS6_EEENSE_IJSB_SB_EEENS0_18inequality_wrapperIN6hipcub16HIPCUB_304000_NS8EqualityEEEPlJS6_EEE10hipError_tPvRmT3_T4_T5_T6_T7_T9_mT8_P12ihipStream_tbDpT10_ENKUlT_T0_E_clISt17integral_constantIbLb0EES17_EEDaS12_S13_EUlS12_E_NS1_11comp_targetILNS1_3genE0ELNS1_11target_archE4294967295ELNS1_3gpuE0ELNS1_3repE0EEENS1_30default_config_static_selectorELNS0_4arch9wavefront6targetE0EEEvT1_, .Lfunc_end134-_ZN7rocprim17ROCPRIM_400000_NS6detail17trampoline_kernelINS0_14default_configENS1_25partition_config_selectorILNS1_17partition_subalgoE8EhNS0_10empty_typeEbEEZZNS1_14partition_implILS5_8ELb0ES3_jPKhPS6_PKS6_NS0_5tupleIJPhS6_EEENSE_IJSB_SB_EEENS0_18inequality_wrapperIN6hipcub16HIPCUB_304000_NS8EqualityEEEPlJS6_EEE10hipError_tPvRmT3_T4_T5_T6_T7_T9_mT8_P12ihipStream_tbDpT10_ENKUlT_T0_E_clISt17integral_constantIbLb0EES17_EEDaS12_S13_EUlS12_E_NS1_11comp_targetILNS1_3genE0ELNS1_11target_archE4294967295ELNS1_3gpuE0ELNS1_3repE0EEENS1_30default_config_static_selectorELNS0_4arch9wavefront6targetE0EEEvT1_
                                        ; -- End function
	.set _ZN7rocprim17ROCPRIM_400000_NS6detail17trampoline_kernelINS0_14default_configENS1_25partition_config_selectorILNS1_17partition_subalgoE8EhNS0_10empty_typeEbEEZZNS1_14partition_implILS5_8ELb0ES3_jPKhPS6_PKS6_NS0_5tupleIJPhS6_EEENSE_IJSB_SB_EEENS0_18inequality_wrapperIN6hipcub16HIPCUB_304000_NS8EqualityEEEPlJS6_EEE10hipError_tPvRmT3_T4_T5_T6_T7_T9_mT8_P12ihipStream_tbDpT10_ENKUlT_T0_E_clISt17integral_constantIbLb0EES17_EEDaS12_S13_EUlS12_E_NS1_11comp_targetILNS1_3genE0ELNS1_11target_archE4294967295ELNS1_3gpuE0ELNS1_3repE0EEENS1_30default_config_static_selectorELNS0_4arch9wavefront6targetE0EEEvT1_.num_vgpr, 109
	.set _ZN7rocprim17ROCPRIM_400000_NS6detail17trampoline_kernelINS0_14default_configENS1_25partition_config_selectorILNS1_17partition_subalgoE8EhNS0_10empty_typeEbEEZZNS1_14partition_implILS5_8ELb0ES3_jPKhPS6_PKS6_NS0_5tupleIJPhS6_EEENSE_IJSB_SB_EEENS0_18inequality_wrapperIN6hipcub16HIPCUB_304000_NS8EqualityEEEPlJS6_EEE10hipError_tPvRmT3_T4_T5_T6_T7_T9_mT8_P12ihipStream_tbDpT10_ENKUlT_T0_E_clISt17integral_constantIbLb0EES17_EEDaS12_S13_EUlS12_E_NS1_11comp_targetILNS1_3genE0ELNS1_11target_archE4294967295ELNS1_3gpuE0ELNS1_3repE0EEENS1_30default_config_static_selectorELNS0_4arch9wavefront6targetE0EEEvT1_.num_agpr, 0
	.set _ZN7rocprim17ROCPRIM_400000_NS6detail17trampoline_kernelINS0_14default_configENS1_25partition_config_selectorILNS1_17partition_subalgoE8EhNS0_10empty_typeEbEEZZNS1_14partition_implILS5_8ELb0ES3_jPKhPS6_PKS6_NS0_5tupleIJPhS6_EEENSE_IJSB_SB_EEENS0_18inequality_wrapperIN6hipcub16HIPCUB_304000_NS8EqualityEEEPlJS6_EEE10hipError_tPvRmT3_T4_T5_T6_T7_T9_mT8_P12ihipStream_tbDpT10_ENKUlT_T0_E_clISt17integral_constantIbLb0EES17_EEDaS12_S13_EUlS12_E_NS1_11comp_targetILNS1_3genE0ELNS1_11target_archE4294967295ELNS1_3gpuE0ELNS1_3repE0EEENS1_30default_config_static_selectorELNS0_4arch9wavefront6targetE0EEEvT1_.numbered_sgpr, 47
	.set _ZN7rocprim17ROCPRIM_400000_NS6detail17trampoline_kernelINS0_14default_configENS1_25partition_config_selectorILNS1_17partition_subalgoE8EhNS0_10empty_typeEbEEZZNS1_14partition_implILS5_8ELb0ES3_jPKhPS6_PKS6_NS0_5tupleIJPhS6_EEENSE_IJSB_SB_EEENS0_18inequality_wrapperIN6hipcub16HIPCUB_304000_NS8EqualityEEEPlJS6_EEE10hipError_tPvRmT3_T4_T5_T6_T7_T9_mT8_P12ihipStream_tbDpT10_ENKUlT_T0_E_clISt17integral_constantIbLb0EES17_EEDaS12_S13_EUlS12_E_NS1_11comp_targetILNS1_3genE0ELNS1_11target_archE4294967295ELNS1_3gpuE0ELNS1_3repE0EEENS1_30default_config_static_selectorELNS0_4arch9wavefront6targetE0EEEvT1_.num_named_barrier, 0
	.set _ZN7rocprim17ROCPRIM_400000_NS6detail17trampoline_kernelINS0_14default_configENS1_25partition_config_selectorILNS1_17partition_subalgoE8EhNS0_10empty_typeEbEEZZNS1_14partition_implILS5_8ELb0ES3_jPKhPS6_PKS6_NS0_5tupleIJPhS6_EEENSE_IJSB_SB_EEENS0_18inequality_wrapperIN6hipcub16HIPCUB_304000_NS8EqualityEEEPlJS6_EEE10hipError_tPvRmT3_T4_T5_T6_T7_T9_mT8_P12ihipStream_tbDpT10_ENKUlT_T0_E_clISt17integral_constantIbLb0EES17_EEDaS12_S13_EUlS12_E_NS1_11comp_targetILNS1_3genE0ELNS1_11target_archE4294967295ELNS1_3gpuE0ELNS1_3repE0EEENS1_30default_config_static_selectorELNS0_4arch9wavefront6targetE0EEEvT1_.private_seg_size, 0
	.set _ZN7rocprim17ROCPRIM_400000_NS6detail17trampoline_kernelINS0_14default_configENS1_25partition_config_selectorILNS1_17partition_subalgoE8EhNS0_10empty_typeEbEEZZNS1_14partition_implILS5_8ELb0ES3_jPKhPS6_PKS6_NS0_5tupleIJPhS6_EEENSE_IJSB_SB_EEENS0_18inequality_wrapperIN6hipcub16HIPCUB_304000_NS8EqualityEEEPlJS6_EEE10hipError_tPvRmT3_T4_T5_T6_T7_T9_mT8_P12ihipStream_tbDpT10_ENKUlT_T0_E_clISt17integral_constantIbLb0EES17_EEDaS12_S13_EUlS12_E_NS1_11comp_targetILNS1_3genE0ELNS1_11target_archE4294967295ELNS1_3gpuE0ELNS1_3repE0EEENS1_30default_config_static_selectorELNS0_4arch9wavefront6targetE0EEEvT1_.uses_vcc, 1
	.set _ZN7rocprim17ROCPRIM_400000_NS6detail17trampoline_kernelINS0_14default_configENS1_25partition_config_selectorILNS1_17partition_subalgoE8EhNS0_10empty_typeEbEEZZNS1_14partition_implILS5_8ELb0ES3_jPKhPS6_PKS6_NS0_5tupleIJPhS6_EEENSE_IJSB_SB_EEENS0_18inequality_wrapperIN6hipcub16HIPCUB_304000_NS8EqualityEEEPlJS6_EEE10hipError_tPvRmT3_T4_T5_T6_T7_T9_mT8_P12ihipStream_tbDpT10_ENKUlT_T0_E_clISt17integral_constantIbLb0EES17_EEDaS12_S13_EUlS12_E_NS1_11comp_targetILNS1_3genE0ELNS1_11target_archE4294967295ELNS1_3gpuE0ELNS1_3repE0EEENS1_30default_config_static_selectorELNS0_4arch9wavefront6targetE0EEEvT1_.uses_flat_scratch, 0
	.set _ZN7rocprim17ROCPRIM_400000_NS6detail17trampoline_kernelINS0_14default_configENS1_25partition_config_selectorILNS1_17partition_subalgoE8EhNS0_10empty_typeEbEEZZNS1_14partition_implILS5_8ELb0ES3_jPKhPS6_PKS6_NS0_5tupleIJPhS6_EEENSE_IJSB_SB_EEENS0_18inequality_wrapperIN6hipcub16HIPCUB_304000_NS8EqualityEEEPlJS6_EEE10hipError_tPvRmT3_T4_T5_T6_T7_T9_mT8_P12ihipStream_tbDpT10_ENKUlT_T0_E_clISt17integral_constantIbLb0EES17_EEDaS12_S13_EUlS12_E_NS1_11comp_targetILNS1_3genE0ELNS1_11target_archE4294967295ELNS1_3gpuE0ELNS1_3repE0EEENS1_30default_config_static_selectorELNS0_4arch9wavefront6targetE0EEEvT1_.has_dyn_sized_stack, 0
	.set _ZN7rocprim17ROCPRIM_400000_NS6detail17trampoline_kernelINS0_14default_configENS1_25partition_config_selectorILNS1_17partition_subalgoE8EhNS0_10empty_typeEbEEZZNS1_14partition_implILS5_8ELb0ES3_jPKhPS6_PKS6_NS0_5tupleIJPhS6_EEENSE_IJSB_SB_EEENS0_18inequality_wrapperIN6hipcub16HIPCUB_304000_NS8EqualityEEEPlJS6_EEE10hipError_tPvRmT3_T4_T5_T6_T7_T9_mT8_P12ihipStream_tbDpT10_ENKUlT_T0_E_clISt17integral_constantIbLb0EES17_EEDaS12_S13_EUlS12_E_NS1_11comp_targetILNS1_3genE0ELNS1_11target_archE4294967295ELNS1_3gpuE0ELNS1_3repE0EEENS1_30default_config_static_selectorELNS0_4arch9wavefront6targetE0EEEvT1_.has_recursion, 0
	.set _ZN7rocprim17ROCPRIM_400000_NS6detail17trampoline_kernelINS0_14default_configENS1_25partition_config_selectorILNS1_17partition_subalgoE8EhNS0_10empty_typeEbEEZZNS1_14partition_implILS5_8ELb0ES3_jPKhPS6_PKS6_NS0_5tupleIJPhS6_EEENSE_IJSB_SB_EEENS0_18inequality_wrapperIN6hipcub16HIPCUB_304000_NS8EqualityEEEPlJS6_EEE10hipError_tPvRmT3_T4_T5_T6_T7_T9_mT8_P12ihipStream_tbDpT10_ENKUlT_T0_E_clISt17integral_constantIbLb0EES17_EEDaS12_S13_EUlS12_E_NS1_11comp_targetILNS1_3genE0ELNS1_11target_archE4294967295ELNS1_3gpuE0ELNS1_3repE0EEENS1_30default_config_static_selectorELNS0_4arch9wavefront6targetE0EEEvT1_.has_indirect_call, 0
	.section	.AMDGPU.csdata,"",@progbits
; Kernel info:
; codeLenInByte = 13688
; TotalNumSgprs: 49
; NumVgprs: 109
; ScratchSize: 0
; MemoryBound: 0
; FloatMode: 240
; IeeeMode: 1
; LDSByteSize: 7176 bytes/workgroup (compile time only)
; SGPRBlocks: 0
; VGPRBlocks: 6
; NumSGPRsForWavesPerEU: 49
; NumVGPRsForWavesPerEU: 109
; NamedBarCnt: 0
; Occupancy: 9
; WaveLimiterHint : 1
; COMPUTE_PGM_RSRC2:SCRATCH_EN: 0
; COMPUTE_PGM_RSRC2:USER_SGPR: 2
; COMPUTE_PGM_RSRC2:TRAP_HANDLER: 0
; COMPUTE_PGM_RSRC2:TGID_X_EN: 1
; COMPUTE_PGM_RSRC2:TGID_Y_EN: 0
; COMPUTE_PGM_RSRC2:TGID_Z_EN: 0
; COMPUTE_PGM_RSRC2:TIDIG_COMP_CNT: 0
	.section	.text._ZN7rocprim17ROCPRIM_400000_NS6detail17trampoline_kernelINS0_14default_configENS1_25partition_config_selectorILNS1_17partition_subalgoE8EhNS0_10empty_typeEbEEZZNS1_14partition_implILS5_8ELb0ES3_jPKhPS6_PKS6_NS0_5tupleIJPhS6_EEENSE_IJSB_SB_EEENS0_18inequality_wrapperIN6hipcub16HIPCUB_304000_NS8EqualityEEEPlJS6_EEE10hipError_tPvRmT3_T4_T5_T6_T7_T9_mT8_P12ihipStream_tbDpT10_ENKUlT_T0_E_clISt17integral_constantIbLb0EES17_EEDaS12_S13_EUlS12_E_NS1_11comp_targetILNS1_3genE5ELNS1_11target_archE942ELNS1_3gpuE9ELNS1_3repE0EEENS1_30default_config_static_selectorELNS0_4arch9wavefront6targetE0EEEvT1_,"axG",@progbits,_ZN7rocprim17ROCPRIM_400000_NS6detail17trampoline_kernelINS0_14default_configENS1_25partition_config_selectorILNS1_17partition_subalgoE8EhNS0_10empty_typeEbEEZZNS1_14partition_implILS5_8ELb0ES3_jPKhPS6_PKS6_NS0_5tupleIJPhS6_EEENSE_IJSB_SB_EEENS0_18inequality_wrapperIN6hipcub16HIPCUB_304000_NS8EqualityEEEPlJS6_EEE10hipError_tPvRmT3_T4_T5_T6_T7_T9_mT8_P12ihipStream_tbDpT10_ENKUlT_T0_E_clISt17integral_constantIbLb0EES17_EEDaS12_S13_EUlS12_E_NS1_11comp_targetILNS1_3genE5ELNS1_11target_archE942ELNS1_3gpuE9ELNS1_3repE0EEENS1_30default_config_static_selectorELNS0_4arch9wavefront6targetE0EEEvT1_,comdat
	.protected	_ZN7rocprim17ROCPRIM_400000_NS6detail17trampoline_kernelINS0_14default_configENS1_25partition_config_selectorILNS1_17partition_subalgoE8EhNS0_10empty_typeEbEEZZNS1_14partition_implILS5_8ELb0ES3_jPKhPS6_PKS6_NS0_5tupleIJPhS6_EEENSE_IJSB_SB_EEENS0_18inequality_wrapperIN6hipcub16HIPCUB_304000_NS8EqualityEEEPlJS6_EEE10hipError_tPvRmT3_T4_T5_T6_T7_T9_mT8_P12ihipStream_tbDpT10_ENKUlT_T0_E_clISt17integral_constantIbLb0EES17_EEDaS12_S13_EUlS12_E_NS1_11comp_targetILNS1_3genE5ELNS1_11target_archE942ELNS1_3gpuE9ELNS1_3repE0EEENS1_30default_config_static_selectorELNS0_4arch9wavefront6targetE0EEEvT1_ ; -- Begin function _ZN7rocprim17ROCPRIM_400000_NS6detail17trampoline_kernelINS0_14default_configENS1_25partition_config_selectorILNS1_17partition_subalgoE8EhNS0_10empty_typeEbEEZZNS1_14partition_implILS5_8ELb0ES3_jPKhPS6_PKS6_NS0_5tupleIJPhS6_EEENSE_IJSB_SB_EEENS0_18inequality_wrapperIN6hipcub16HIPCUB_304000_NS8EqualityEEEPlJS6_EEE10hipError_tPvRmT3_T4_T5_T6_T7_T9_mT8_P12ihipStream_tbDpT10_ENKUlT_T0_E_clISt17integral_constantIbLb0EES17_EEDaS12_S13_EUlS12_E_NS1_11comp_targetILNS1_3genE5ELNS1_11target_archE942ELNS1_3gpuE9ELNS1_3repE0EEENS1_30default_config_static_selectorELNS0_4arch9wavefront6targetE0EEEvT1_
	.globl	_ZN7rocprim17ROCPRIM_400000_NS6detail17trampoline_kernelINS0_14default_configENS1_25partition_config_selectorILNS1_17partition_subalgoE8EhNS0_10empty_typeEbEEZZNS1_14partition_implILS5_8ELb0ES3_jPKhPS6_PKS6_NS0_5tupleIJPhS6_EEENSE_IJSB_SB_EEENS0_18inequality_wrapperIN6hipcub16HIPCUB_304000_NS8EqualityEEEPlJS6_EEE10hipError_tPvRmT3_T4_T5_T6_T7_T9_mT8_P12ihipStream_tbDpT10_ENKUlT_T0_E_clISt17integral_constantIbLb0EES17_EEDaS12_S13_EUlS12_E_NS1_11comp_targetILNS1_3genE5ELNS1_11target_archE942ELNS1_3gpuE9ELNS1_3repE0EEENS1_30default_config_static_selectorELNS0_4arch9wavefront6targetE0EEEvT1_
	.p2align	8
	.type	_ZN7rocprim17ROCPRIM_400000_NS6detail17trampoline_kernelINS0_14default_configENS1_25partition_config_selectorILNS1_17partition_subalgoE8EhNS0_10empty_typeEbEEZZNS1_14partition_implILS5_8ELb0ES3_jPKhPS6_PKS6_NS0_5tupleIJPhS6_EEENSE_IJSB_SB_EEENS0_18inequality_wrapperIN6hipcub16HIPCUB_304000_NS8EqualityEEEPlJS6_EEE10hipError_tPvRmT3_T4_T5_T6_T7_T9_mT8_P12ihipStream_tbDpT10_ENKUlT_T0_E_clISt17integral_constantIbLb0EES17_EEDaS12_S13_EUlS12_E_NS1_11comp_targetILNS1_3genE5ELNS1_11target_archE942ELNS1_3gpuE9ELNS1_3repE0EEENS1_30default_config_static_selectorELNS0_4arch9wavefront6targetE0EEEvT1_,@function
_ZN7rocprim17ROCPRIM_400000_NS6detail17trampoline_kernelINS0_14default_configENS1_25partition_config_selectorILNS1_17partition_subalgoE8EhNS0_10empty_typeEbEEZZNS1_14partition_implILS5_8ELb0ES3_jPKhPS6_PKS6_NS0_5tupleIJPhS6_EEENSE_IJSB_SB_EEENS0_18inequality_wrapperIN6hipcub16HIPCUB_304000_NS8EqualityEEEPlJS6_EEE10hipError_tPvRmT3_T4_T5_T6_T7_T9_mT8_P12ihipStream_tbDpT10_ENKUlT_T0_E_clISt17integral_constantIbLb0EES17_EEDaS12_S13_EUlS12_E_NS1_11comp_targetILNS1_3genE5ELNS1_11target_archE942ELNS1_3gpuE9ELNS1_3repE0EEENS1_30default_config_static_selectorELNS0_4arch9wavefront6targetE0EEEvT1_: ; @_ZN7rocprim17ROCPRIM_400000_NS6detail17trampoline_kernelINS0_14default_configENS1_25partition_config_selectorILNS1_17partition_subalgoE8EhNS0_10empty_typeEbEEZZNS1_14partition_implILS5_8ELb0ES3_jPKhPS6_PKS6_NS0_5tupleIJPhS6_EEENSE_IJSB_SB_EEENS0_18inequality_wrapperIN6hipcub16HIPCUB_304000_NS8EqualityEEEPlJS6_EEE10hipError_tPvRmT3_T4_T5_T6_T7_T9_mT8_P12ihipStream_tbDpT10_ENKUlT_T0_E_clISt17integral_constantIbLb0EES17_EEDaS12_S13_EUlS12_E_NS1_11comp_targetILNS1_3genE5ELNS1_11target_archE942ELNS1_3gpuE9ELNS1_3repE0EEENS1_30default_config_static_selectorELNS0_4arch9wavefront6targetE0EEEvT1_
; %bb.0:
	.section	.rodata,"a",@progbits
	.p2align	6, 0x0
	.amdhsa_kernel _ZN7rocprim17ROCPRIM_400000_NS6detail17trampoline_kernelINS0_14default_configENS1_25partition_config_selectorILNS1_17partition_subalgoE8EhNS0_10empty_typeEbEEZZNS1_14partition_implILS5_8ELb0ES3_jPKhPS6_PKS6_NS0_5tupleIJPhS6_EEENSE_IJSB_SB_EEENS0_18inequality_wrapperIN6hipcub16HIPCUB_304000_NS8EqualityEEEPlJS6_EEE10hipError_tPvRmT3_T4_T5_T6_T7_T9_mT8_P12ihipStream_tbDpT10_ENKUlT_T0_E_clISt17integral_constantIbLb0EES17_EEDaS12_S13_EUlS12_E_NS1_11comp_targetILNS1_3genE5ELNS1_11target_archE942ELNS1_3gpuE9ELNS1_3repE0EEENS1_30default_config_static_selectorELNS0_4arch9wavefront6targetE0EEEvT1_
		.amdhsa_group_segment_fixed_size 0
		.amdhsa_private_segment_fixed_size 0
		.amdhsa_kernarg_size 112
		.amdhsa_user_sgpr_count 2
		.amdhsa_user_sgpr_dispatch_ptr 0
		.amdhsa_user_sgpr_queue_ptr 0
		.amdhsa_user_sgpr_kernarg_segment_ptr 1
		.amdhsa_user_sgpr_dispatch_id 0
		.amdhsa_user_sgpr_kernarg_preload_length 0
		.amdhsa_user_sgpr_kernarg_preload_offset 0
		.amdhsa_user_sgpr_private_segment_size 0
		.amdhsa_wavefront_size32 1
		.amdhsa_uses_dynamic_stack 0
		.amdhsa_enable_private_segment 0
		.amdhsa_system_sgpr_workgroup_id_x 1
		.amdhsa_system_sgpr_workgroup_id_y 0
		.amdhsa_system_sgpr_workgroup_id_z 0
		.amdhsa_system_sgpr_workgroup_info 0
		.amdhsa_system_vgpr_workitem_id 0
		.amdhsa_next_free_vgpr 1
		.amdhsa_next_free_sgpr 1
		.amdhsa_named_barrier_count 0
		.amdhsa_reserve_vcc 0
		.amdhsa_float_round_mode_32 0
		.amdhsa_float_round_mode_16_64 0
		.amdhsa_float_denorm_mode_32 3
		.amdhsa_float_denorm_mode_16_64 3
		.amdhsa_fp16_overflow 0
		.amdhsa_memory_ordered 1
		.amdhsa_forward_progress 1
		.amdhsa_inst_pref_size 0
		.amdhsa_round_robin_scheduling 0
		.amdhsa_exception_fp_ieee_invalid_op 0
		.amdhsa_exception_fp_denorm_src 0
		.amdhsa_exception_fp_ieee_div_zero 0
		.amdhsa_exception_fp_ieee_overflow 0
		.amdhsa_exception_fp_ieee_underflow 0
		.amdhsa_exception_fp_ieee_inexact 0
		.amdhsa_exception_int_div_zero 0
	.end_amdhsa_kernel
	.section	.text._ZN7rocprim17ROCPRIM_400000_NS6detail17trampoline_kernelINS0_14default_configENS1_25partition_config_selectorILNS1_17partition_subalgoE8EhNS0_10empty_typeEbEEZZNS1_14partition_implILS5_8ELb0ES3_jPKhPS6_PKS6_NS0_5tupleIJPhS6_EEENSE_IJSB_SB_EEENS0_18inequality_wrapperIN6hipcub16HIPCUB_304000_NS8EqualityEEEPlJS6_EEE10hipError_tPvRmT3_T4_T5_T6_T7_T9_mT8_P12ihipStream_tbDpT10_ENKUlT_T0_E_clISt17integral_constantIbLb0EES17_EEDaS12_S13_EUlS12_E_NS1_11comp_targetILNS1_3genE5ELNS1_11target_archE942ELNS1_3gpuE9ELNS1_3repE0EEENS1_30default_config_static_selectorELNS0_4arch9wavefront6targetE0EEEvT1_,"axG",@progbits,_ZN7rocprim17ROCPRIM_400000_NS6detail17trampoline_kernelINS0_14default_configENS1_25partition_config_selectorILNS1_17partition_subalgoE8EhNS0_10empty_typeEbEEZZNS1_14partition_implILS5_8ELb0ES3_jPKhPS6_PKS6_NS0_5tupleIJPhS6_EEENSE_IJSB_SB_EEENS0_18inequality_wrapperIN6hipcub16HIPCUB_304000_NS8EqualityEEEPlJS6_EEE10hipError_tPvRmT3_T4_T5_T6_T7_T9_mT8_P12ihipStream_tbDpT10_ENKUlT_T0_E_clISt17integral_constantIbLb0EES17_EEDaS12_S13_EUlS12_E_NS1_11comp_targetILNS1_3genE5ELNS1_11target_archE942ELNS1_3gpuE9ELNS1_3repE0EEENS1_30default_config_static_selectorELNS0_4arch9wavefront6targetE0EEEvT1_,comdat
.Lfunc_end135:
	.size	_ZN7rocprim17ROCPRIM_400000_NS6detail17trampoline_kernelINS0_14default_configENS1_25partition_config_selectorILNS1_17partition_subalgoE8EhNS0_10empty_typeEbEEZZNS1_14partition_implILS5_8ELb0ES3_jPKhPS6_PKS6_NS0_5tupleIJPhS6_EEENSE_IJSB_SB_EEENS0_18inequality_wrapperIN6hipcub16HIPCUB_304000_NS8EqualityEEEPlJS6_EEE10hipError_tPvRmT3_T4_T5_T6_T7_T9_mT8_P12ihipStream_tbDpT10_ENKUlT_T0_E_clISt17integral_constantIbLb0EES17_EEDaS12_S13_EUlS12_E_NS1_11comp_targetILNS1_3genE5ELNS1_11target_archE942ELNS1_3gpuE9ELNS1_3repE0EEENS1_30default_config_static_selectorELNS0_4arch9wavefront6targetE0EEEvT1_, .Lfunc_end135-_ZN7rocprim17ROCPRIM_400000_NS6detail17trampoline_kernelINS0_14default_configENS1_25partition_config_selectorILNS1_17partition_subalgoE8EhNS0_10empty_typeEbEEZZNS1_14partition_implILS5_8ELb0ES3_jPKhPS6_PKS6_NS0_5tupleIJPhS6_EEENSE_IJSB_SB_EEENS0_18inequality_wrapperIN6hipcub16HIPCUB_304000_NS8EqualityEEEPlJS6_EEE10hipError_tPvRmT3_T4_T5_T6_T7_T9_mT8_P12ihipStream_tbDpT10_ENKUlT_T0_E_clISt17integral_constantIbLb0EES17_EEDaS12_S13_EUlS12_E_NS1_11comp_targetILNS1_3genE5ELNS1_11target_archE942ELNS1_3gpuE9ELNS1_3repE0EEENS1_30default_config_static_selectorELNS0_4arch9wavefront6targetE0EEEvT1_
                                        ; -- End function
	.set _ZN7rocprim17ROCPRIM_400000_NS6detail17trampoline_kernelINS0_14default_configENS1_25partition_config_selectorILNS1_17partition_subalgoE8EhNS0_10empty_typeEbEEZZNS1_14partition_implILS5_8ELb0ES3_jPKhPS6_PKS6_NS0_5tupleIJPhS6_EEENSE_IJSB_SB_EEENS0_18inequality_wrapperIN6hipcub16HIPCUB_304000_NS8EqualityEEEPlJS6_EEE10hipError_tPvRmT3_T4_T5_T6_T7_T9_mT8_P12ihipStream_tbDpT10_ENKUlT_T0_E_clISt17integral_constantIbLb0EES17_EEDaS12_S13_EUlS12_E_NS1_11comp_targetILNS1_3genE5ELNS1_11target_archE942ELNS1_3gpuE9ELNS1_3repE0EEENS1_30default_config_static_selectorELNS0_4arch9wavefront6targetE0EEEvT1_.num_vgpr, 0
	.set _ZN7rocprim17ROCPRIM_400000_NS6detail17trampoline_kernelINS0_14default_configENS1_25partition_config_selectorILNS1_17partition_subalgoE8EhNS0_10empty_typeEbEEZZNS1_14partition_implILS5_8ELb0ES3_jPKhPS6_PKS6_NS0_5tupleIJPhS6_EEENSE_IJSB_SB_EEENS0_18inequality_wrapperIN6hipcub16HIPCUB_304000_NS8EqualityEEEPlJS6_EEE10hipError_tPvRmT3_T4_T5_T6_T7_T9_mT8_P12ihipStream_tbDpT10_ENKUlT_T0_E_clISt17integral_constantIbLb0EES17_EEDaS12_S13_EUlS12_E_NS1_11comp_targetILNS1_3genE5ELNS1_11target_archE942ELNS1_3gpuE9ELNS1_3repE0EEENS1_30default_config_static_selectorELNS0_4arch9wavefront6targetE0EEEvT1_.num_agpr, 0
	.set _ZN7rocprim17ROCPRIM_400000_NS6detail17trampoline_kernelINS0_14default_configENS1_25partition_config_selectorILNS1_17partition_subalgoE8EhNS0_10empty_typeEbEEZZNS1_14partition_implILS5_8ELb0ES3_jPKhPS6_PKS6_NS0_5tupleIJPhS6_EEENSE_IJSB_SB_EEENS0_18inequality_wrapperIN6hipcub16HIPCUB_304000_NS8EqualityEEEPlJS6_EEE10hipError_tPvRmT3_T4_T5_T6_T7_T9_mT8_P12ihipStream_tbDpT10_ENKUlT_T0_E_clISt17integral_constantIbLb0EES17_EEDaS12_S13_EUlS12_E_NS1_11comp_targetILNS1_3genE5ELNS1_11target_archE942ELNS1_3gpuE9ELNS1_3repE0EEENS1_30default_config_static_selectorELNS0_4arch9wavefront6targetE0EEEvT1_.numbered_sgpr, 0
	.set _ZN7rocprim17ROCPRIM_400000_NS6detail17trampoline_kernelINS0_14default_configENS1_25partition_config_selectorILNS1_17partition_subalgoE8EhNS0_10empty_typeEbEEZZNS1_14partition_implILS5_8ELb0ES3_jPKhPS6_PKS6_NS0_5tupleIJPhS6_EEENSE_IJSB_SB_EEENS0_18inequality_wrapperIN6hipcub16HIPCUB_304000_NS8EqualityEEEPlJS6_EEE10hipError_tPvRmT3_T4_T5_T6_T7_T9_mT8_P12ihipStream_tbDpT10_ENKUlT_T0_E_clISt17integral_constantIbLb0EES17_EEDaS12_S13_EUlS12_E_NS1_11comp_targetILNS1_3genE5ELNS1_11target_archE942ELNS1_3gpuE9ELNS1_3repE0EEENS1_30default_config_static_selectorELNS0_4arch9wavefront6targetE0EEEvT1_.num_named_barrier, 0
	.set _ZN7rocprim17ROCPRIM_400000_NS6detail17trampoline_kernelINS0_14default_configENS1_25partition_config_selectorILNS1_17partition_subalgoE8EhNS0_10empty_typeEbEEZZNS1_14partition_implILS5_8ELb0ES3_jPKhPS6_PKS6_NS0_5tupleIJPhS6_EEENSE_IJSB_SB_EEENS0_18inequality_wrapperIN6hipcub16HIPCUB_304000_NS8EqualityEEEPlJS6_EEE10hipError_tPvRmT3_T4_T5_T6_T7_T9_mT8_P12ihipStream_tbDpT10_ENKUlT_T0_E_clISt17integral_constantIbLb0EES17_EEDaS12_S13_EUlS12_E_NS1_11comp_targetILNS1_3genE5ELNS1_11target_archE942ELNS1_3gpuE9ELNS1_3repE0EEENS1_30default_config_static_selectorELNS0_4arch9wavefront6targetE0EEEvT1_.private_seg_size, 0
	.set _ZN7rocprim17ROCPRIM_400000_NS6detail17trampoline_kernelINS0_14default_configENS1_25partition_config_selectorILNS1_17partition_subalgoE8EhNS0_10empty_typeEbEEZZNS1_14partition_implILS5_8ELb0ES3_jPKhPS6_PKS6_NS0_5tupleIJPhS6_EEENSE_IJSB_SB_EEENS0_18inequality_wrapperIN6hipcub16HIPCUB_304000_NS8EqualityEEEPlJS6_EEE10hipError_tPvRmT3_T4_T5_T6_T7_T9_mT8_P12ihipStream_tbDpT10_ENKUlT_T0_E_clISt17integral_constantIbLb0EES17_EEDaS12_S13_EUlS12_E_NS1_11comp_targetILNS1_3genE5ELNS1_11target_archE942ELNS1_3gpuE9ELNS1_3repE0EEENS1_30default_config_static_selectorELNS0_4arch9wavefront6targetE0EEEvT1_.uses_vcc, 0
	.set _ZN7rocprim17ROCPRIM_400000_NS6detail17trampoline_kernelINS0_14default_configENS1_25partition_config_selectorILNS1_17partition_subalgoE8EhNS0_10empty_typeEbEEZZNS1_14partition_implILS5_8ELb0ES3_jPKhPS6_PKS6_NS0_5tupleIJPhS6_EEENSE_IJSB_SB_EEENS0_18inequality_wrapperIN6hipcub16HIPCUB_304000_NS8EqualityEEEPlJS6_EEE10hipError_tPvRmT3_T4_T5_T6_T7_T9_mT8_P12ihipStream_tbDpT10_ENKUlT_T0_E_clISt17integral_constantIbLb0EES17_EEDaS12_S13_EUlS12_E_NS1_11comp_targetILNS1_3genE5ELNS1_11target_archE942ELNS1_3gpuE9ELNS1_3repE0EEENS1_30default_config_static_selectorELNS0_4arch9wavefront6targetE0EEEvT1_.uses_flat_scratch, 0
	.set _ZN7rocprim17ROCPRIM_400000_NS6detail17trampoline_kernelINS0_14default_configENS1_25partition_config_selectorILNS1_17partition_subalgoE8EhNS0_10empty_typeEbEEZZNS1_14partition_implILS5_8ELb0ES3_jPKhPS6_PKS6_NS0_5tupleIJPhS6_EEENSE_IJSB_SB_EEENS0_18inequality_wrapperIN6hipcub16HIPCUB_304000_NS8EqualityEEEPlJS6_EEE10hipError_tPvRmT3_T4_T5_T6_T7_T9_mT8_P12ihipStream_tbDpT10_ENKUlT_T0_E_clISt17integral_constantIbLb0EES17_EEDaS12_S13_EUlS12_E_NS1_11comp_targetILNS1_3genE5ELNS1_11target_archE942ELNS1_3gpuE9ELNS1_3repE0EEENS1_30default_config_static_selectorELNS0_4arch9wavefront6targetE0EEEvT1_.has_dyn_sized_stack, 0
	.set _ZN7rocprim17ROCPRIM_400000_NS6detail17trampoline_kernelINS0_14default_configENS1_25partition_config_selectorILNS1_17partition_subalgoE8EhNS0_10empty_typeEbEEZZNS1_14partition_implILS5_8ELb0ES3_jPKhPS6_PKS6_NS0_5tupleIJPhS6_EEENSE_IJSB_SB_EEENS0_18inequality_wrapperIN6hipcub16HIPCUB_304000_NS8EqualityEEEPlJS6_EEE10hipError_tPvRmT3_T4_T5_T6_T7_T9_mT8_P12ihipStream_tbDpT10_ENKUlT_T0_E_clISt17integral_constantIbLb0EES17_EEDaS12_S13_EUlS12_E_NS1_11comp_targetILNS1_3genE5ELNS1_11target_archE942ELNS1_3gpuE9ELNS1_3repE0EEENS1_30default_config_static_selectorELNS0_4arch9wavefront6targetE0EEEvT1_.has_recursion, 0
	.set _ZN7rocprim17ROCPRIM_400000_NS6detail17trampoline_kernelINS0_14default_configENS1_25partition_config_selectorILNS1_17partition_subalgoE8EhNS0_10empty_typeEbEEZZNS1_14partition_implILS5_8ELb0ES3_jPKhPS6_PKS6_NS0_5tupleIJPhS6_EEENSE_IJSB_SB_EEENS0_18inequality_wrapperIN6hipcub16HIPCUB_304000_NS8EqualityEEEPlJS6_EEE10hipError_tPvRmT3_T4_T5_T6_T7_T9_mT8_P12ihipStream_tbDpT10_ENKUlT_T0_E_clISt17integral_constantIbLb0EES17_EEDaS12_S13_EUlS12_E_NS1_11comp_targetILNS1_3genE5ELNS1_11target_archE942ELNS1_3gpuE9ELNS1_3repE0EEENS1_30default_config_static_selectorELNS0_4arch9wavefront6targetE0EEEvT1_.has_indirect_call, 0
	.section	.AMDGPU.csdata,"",@progbits
; Kernel info:
; codeLenInByte = 0
; TotalNumSgprs: 0
; NumVgprs: 0
; ScratchSize: 0
; MemoryBound: 0
; FloatMode: 240
; IeeeMode: 1
; LDSByteSize: 0 bytes/workgroup (compile time only)
; SGPRBlocks: 0
; VGPRBlocks: 0
; NumSGPRsForWavesPerEU: 1
; NumVGPRsForWavesPerEU: 1
; NamedBarCnt: 0
; Occupancy: 16
; WaveLimiterHint : 0
; COMPUTE_PGM_RSRC2:SCRATCH_EN: 0
; COMPUTE_PGM_RSRC2:USER_SGPR: 2
; COMPUTE_PGM_RSRC2:TRAP_HANDLER: 0
; COMPUTE_PGM_RSRC2:TGID_X_EN: 1
; COMPUTE_PGM_RSRC2:TGID_Y_EN: 0
; COMPUTE_PGM_RSRC2:TGID_Z_EN: 0
; COMPUTE_PGM_RSRC2:TIDIG_COMP_CNT: 0
	.section	.text._ZN7rocprim17ROCPRIM_400000_NS6detail17trampoline_kernelINS0_14default_configENS1_25partition_config_selectorILNS1_17partition_subalgoE8EhNS0_10empty_typeEbEEZZNS1_14partition_implILS5_8ELb0ES3_jPKhPS6_PKS6_NS0_5tupleIJPhS6_EEENSE_IJSB_SB_EEENS0_18inequality_wrapperIN6hipcub16HIPCUB_304000_NS8EqualityEEEPlJS6_EEE10hipError_tPvRmT3_T4_T5_T6_T7_T9_mT8_P12ihipStream_tbDpT10_ENKUlT_T0_E_clISt17integral_constantIbLb0EES17_EEDaS12_S13_EUlS12_E_NS1_11comp_targetILNS1_3genE4ELNS1_11target_archE910ELNS1_3gpuE8ELNS1_3repE0EEENS1_30default_config_static_selectorELNS0_4arch9wavefront6targetE0EEEvT1_,"axG",@progbits,_ZN7rocprim17ROCPRIM_400000_NS6detail17trampoline_kernelINS0_14default_configENS1_25partition_config_selectorILNS1_17partition_subalgoE8EhNS0_10empty_typeEbEEZZNS1_14partition_implILS5_8ELb0ES3_jPKhPS6_PKS6_NS0_5tupleIJPhS6_EEENSE_IJSB_SB_EEENS0_18inequality_wrapperIN6hipcub16HIPCUB_304000_NS8EqualityEEEPlJS6_EEE10hipError_tPvRmT3_T4_T5_T6_T7_T9_mT8_P12ihipStream_tbDpT10_ENKUlT_T0_E_clISt17integral_constantIbLb0EES17_EEDaS12_S13_EUlS12_E_NS1_11comp_targetILNS1_3genE4ELNS1_11target_archE910ELNS1_3gpuE8ELNS1_3repE0EEENS1_30default_config_static_selectorELNS0_4arch9wavefront6targetE0EEEvT1_,comdat
	.protected	_ZN7rocprim17ROCPRIM_400000_NS6detail17trampoline_kernelINS0_14default_configENS1_25partition_config_selectorILNS1_17partition_subalgoE8EhNS0_10empty_typeEbEEZZNS1_14partition_implILS5_8ELb0ES3_jPKhPS6_PKS6_NS0_5tupleIJPhS6_EEENSE_IJSB_SB_EEENS0_18inequality_wrapperIN6hipcub16HIPCUB_304000_NS8EqualityEEEPlJS6_EEE10hipError_tPvRmT3_T4_T5_T6_T7_T9_mT8_P12ihipStream_tbDpT10_ENKUlT_T0_E_clISt17integral_constantIbLb0EES17_EEDaS12_S13_EUlS12_E_NS1_11comp_targetILNS1_3genE4ELNS1_11target_archE910ELNS1_3gpuE8ELNS1_3repE0EEENS1_30default_config_static_selectorELNS0_4arch9wavefront6targetE0EEEvT1_ ; -- Begin function _ZN7rocprim17ROCPRIM_400000_NS6detail17trampoline_kernelINS0_14default_configENS1_25partition_config_selectorILNS1_17partition_subalgoE8EhNS0_10empty_typeEbEEZZNS1_14partition_implILS5_8ELb0ES3_jPKhPS6_PKS6_NS0_5tupleIJPhS6_EEENSE_IJSB_SB_EEENS0_18inequality_wrapperIN6hipcub16HIPCUB_304000_NS8EqualityEEEPlJS6_EEE10hipError_tPvRmT3_T4_T5_T6_T7_T9_mT8_P12ihipStream_tbDpT10_ENKUlT_T0_E_clISt17integral_constantIbLb0EES17_EEDaS12_S13_EUlS12_E_NS1_11comp_targetILNS1_3genE4ELNS1_11target_archE910ELNS1_3gpuE8ELNS1_3repE0EEENS1_30default_config_static_selectorELNS0_4arch9wavefront6targetE0EEEvT1_
	.globl	_ZN7rocprim17ROCPRIM_400000_NS6detail17trampoline_kernelINS0_14default_configENS1_25partition_config_selectorILNS1_17partition_subalgoE8EhNS0_10empty_typeEbEEZZNS1_14partition_implILS5_8ELb0ES3_jPKhPS6_PKS6_NS0_5tupleIJPhS6_EEENSE_IJSB_SB_EEENS0_18inequality_wrapperIN6hipcub16HIPCUB_304000_NS8EqualityEEEPlJS6_EEE10hipError_tPvRmT3_T4_T5_T6_T7_T9_mT8_P12ihipStream_tbDpT10_ENKUlT_T0_E_clISt17integral_constantIbLb0EES17_EEDaS12_S13_EUlS12_E_NS1_11comp_targetILNS1_3genE4ELNS1_11target_archE910ELNS1_3gpuE8ELNS1_3repE0EEENS1_30default_config_static_selectorELNS0_4arch9wavefront6targetE0EEEvT1_
	.p2align	8
	.type	_ZN7rocprim17ROCPRIM_400000_NS6detail17trampoline_kernelINS0_14default_configENS1_25partition_config_selectorILNS1_17partition_subalgoE8EhNS0_10empty_typeEbEEZZNS1_14partition_implILS5_8ELb0ES3_jPKhPS6_PKS6_NS0_5tupleIJPhS6_EEENSE_IJSB_SB_EEENS0_18inequality_wrapperIN6hipcub16HIPCUB_304000_NS8EqualityEEEPlJS6_EEE10hipError_tPvRmT3_T4_T5_T6_T7_T9_mT8_P12ihipStream_tbDpT10_ENKUlT_T0_E_clISt17integral_constantIbLb0EES17_EEDaS12_S13_EUlS12_E_NS1_11comp_targetILNS1_3genE4ELNS1_11target_archE910ELNS1_3gpuE8ELNS1_3repE0EEENS1_30default_config_static_selectorELNS0_4arch9wavefront6targetE0EEEvT1_,@function
_ZN7rocprim17ROCPRIM_400000_NS6detail17trampoline_kernelINS0_14default_configENS1_25partition_config_selectorILNS1_17partition_subalgoE8EhNS0_10empty_typeEbEEZZNS1_14partition_implILS5_8ELb0ES3_jPKhPS6_PKS6_NS0_5tupleIJPhS6_EEENSE_IJSB_SB_EEENS0_18inequality_wrapperIN6hipcub16HIPCUB_304000_NS8EqualityEEEPlJS6_EEE10hipError_tPvRmT3_T4_T5_T6_T7_T9_mT8_P12ihipStream_tbDpT10_ENKUlT_T0_E_clISt17integral_constantIbLb0EES17_EEDaS12_S13_EUlS12_E_NS1_11comp_targetILNS1_3genE4ELNS1_11target_archE910ELNS1_3gpuE8ELNS1_3repE0EEENS1_30default_config_static_selectorELNS0_4arch9wavefront6targetE0EEEvT1_: ; @_ZN7rocprim17ROCPRIM_400000_NS6detail17trampoline_kernelINS0_14default_configENS1_25partition_config_selectorILNS1_17partition_subalgoE8EhNS0_10empty_typeEbEEZZNS1_14partition_implILS5_8ELb0ES3_jPKhPS6_PKS6_NS0_5tupleIJPhS6_EEENSE_IJSB_SB_EEENS0_18inequality_wrapperIN6hipcub16HIPCUB_304000_NS8EqualityEEEPlJS6_EEE10hipError_tPvRmT3_T4_T5_T6_T7_T9_mT8_P12ihipStream_tbDpT10_ENKUlT_T0_E_clISt17integral_constantIbLb0EES17_EEDaS12_S13_EUlS12_E_NS1_11comp_targetILNS1_3genE4ELNS1_11target_archE910ELNS1_3gpuE8ELNS1_3repE0EEENS1_30default_config_static_selectorELNS0_4arch9wavefront6targetE0EEEvT1_
; %bb.0:
	.section	.rodata,"a",@progbits
	.p2align	6, 0x0
	.amdhsa_kernel _ZN7rocprim17ROCPRIM_400000_NS6detail17trampoline_kernelINS0_14default_configENS1_25partition_config_selectorILNS1_17partition_subalgoE8EhNS0_10empty_typeEbEEZZNS1_14partition_implILS5_8ELb0ES3_jPKhPS6_PKS6_NS0_5tupleIJPhS6_EEENSE_IJSB_SB_EEENS0_18inequality_wrapperIN6hipcub16HIPCUB_304000_NS8EqualityEEEPlJS6_EEE10hipError_tPvRmT3_T4_T5_T6_T7_T9_mT8_P12ihipStream_tbDpT10_ENKUlT_T0_E_clISt17integral_constantIbLb0EES17_EEDaS12_S13_EUlS12_E_NS1_11comp_targetILNS1_3genE4ELNS1_11target_archE910ELNS1_3gpuE8ELNS1_3repE0EEENS1_30default_config_static_selectorELNS0_4arch9wavefront6targetE0EEEvT1_
		.amdhsa_group_segment_fixed_size 0
		.amdhsa_private_segment_fixed_size 0
		.amdhsa_kernarg_size 112
		.amdhsa_user_sgpr_count 2
		.amdhsa_user_sgpr_dispatch_ptr 0
		.amdhsa_user_sgpr_queue_ptr 0
		.amdhsa_user_sgpr_kernarg_segment_ptr 1
		.amdhsa_user_sgpr_dispatch_id 0
		.amdhsa_user_sgpr_kernarg_preload_length 0
		.amdhsa_user_sgpr_kernarg_preload_offset 0
		.amdhsa_user_sgpr_private_segment_size 0
		.amdhsa_wavefront_size32 1
		.amdhsa_uses_dynamic_stack 0
		.amdhsa_enable_private_segment 0
		.amdhsa_system_sgpr_workgroup_id_x 1
		.amdhsa_system_sgpr_workgroup_id_y 0
		.amdhsa_system_sgpr_workgroup_id_z 0
		.amdhsa_system_sgpr_workgroup_info 0
		.amdhsa_system_vgpr_workitem_id 0
		.amdhsa_next_free_vgpr 1
		.amdhsa_next_free_sgpr 1
		.amdhsa_named_barrier_count 0
		.amdhsa_reserve_vcc 0
		.amdhsa_float_round_mode_32 0
		.amdhsa_float_round_mode_16_64 0
		.amdhsa_float_denorm_mode_32 3
		.amdhsa_float_denorm_mode_16_64 3
		.amdhsa_fp16_overflow 0
		.amdhsa_memory_ordered 1
		.amdhsa_forward_progress 1
		.amdhsa_inst_pref_size 0
		.amdhsa_round_robin_scheduling 0
		.amdhsa_exception_fp_ieee_invalid_op 0
		.amdhsa_exception_fp_denorm_src 0
		.amdhsa_exception_fp_ieee_div_zero 0
		.amdhsa_exception_fp_ieee_overflow 0
		.amdhsa_exception_fp_ieee_underflow 0
		.amdhsa_exception_fp_ieee_inexact 0
		.amdhsa_exception_int_div_zero 0
	.end_amdhsa_kernel
	.section	.text._ZN7rocprim17ROCPRIM_400000_NS6detail17trampoline_kernelINS0_14default_configENS1_25partition_config_selectorILNS1_17partition_subalgoE8EhNS0_10empty_typeEbEEZZNS1_14partition_implILS5_8ELb0ES3_jPKhPS6_PKS6_NS0_5tupleIJPhS6_EEENSE_IJSB_SB_EEENS0_18inequality_wrapperIN6hipcub16HIPCUB_304000_NS8EqualityEEEPlJS6_EEE10hipError_tPvRmT3_T4_T5_T6_T7_T9_mT8_P12ihipStream_tbDpT10_ENKUlT_T0_E_clISt17integral_constantIbLb0EES17_EEDaS12_S13_EUlS12_E_NS1_11comp_targetILNS1_3genE4ELNS1_11target_archE910ELNS1_3gpuE8ELNS1_3repE0EEENS1_30default_config_static_selectorELNS0_4arch9wavefront6targetE0EEEvT1_,"axG",@progbits,_ZN7rocprim17ROCPRIM_400000_NS6detail17trampoline_kernelINS0_14default_configENS1_25partition_config_selectorILNS1_17partition_subalgoE8EhNS0_10empty_typeEbEEZZNS1_14partition_implILS5_8ELb0ES3_jPKhPS6_PKS6_NS0_5tupleIJPhS6_EEENSE_IJSB_SB_EEENS0_18inequality_wrapperIN6hipcub16HIPCUB_304000_NS8EqualityEEEPlJS6_EEE10hipError_tPvRmT3_T4_T5_T6_T7_T9_mT8_P12ihipStream_tbDpT10_ENKUlT_T0_E_clISt17integral_constantIbLb0EES17_EEDaS12_S13_EUlS12_E_NS1_11comp_targetILNS1_3genE4ELNS1_11target_archE910ELNS1_3gpuE8ELNS1_3repE0EEENS1_30default_config_static_selectorELNS0_4arch9wavefront6targetE0EEEvT1_,comdat
.Lfunc_end136:
	.size	_ZN7rocprim17ROCPRIM_400000_NS6detail17trampoline_kernelINS0_14default_configENS1_25partition_config_selectorILNS1_17partition_subalgoE8EhNS0_10empty_typeEbEEZZNS1_14partition_implILS5_8ELb0ES3_jPKhPS6_PKS6_NS0_5tupleIJPhS6_EEENSE_IJSB_SB_EEENS0_18inequality_wrapperIN6hipcub16HIPCUB_304000_NS8EqualityEEEPlJS6_EEE10hipError_tPvRmT3_T4_T5_T6_T7_T9_mT8_P12ihipStream_tbDpT10_ENKUlT_T0_E_clISt17integral_constantIbLb0EES17_EEDaS12_S13_EUlS12_E_NS1_11comp_targetILNS1_3genE4ELNS1_11target_archE910ELNS1_3gpuE8ELNS1_3repE0EEENS1_30default_config_static_selectorELNS0_4arch9wavefront6targetE0EEEvT1_, .Lfunc_end136-_ZN7rocprim17ROCPRIM_400000_NS6detail17trampoline_kernelINS0_14default_configENS1_25partition_config_selectorILNS1_17partition_subalgoE8EhNS0_10empty_typeEbEEZZNS1_14partition_implILS5_8ELb0ES3_jPKhPS6_PKS6_NS0_5tupleIJPhS6_EEENSE_IJSB_SB_EEENS0_18inequality_wrapperIN6hipcub16HIPCUB_304000_NS8EqualityEEEPlJS6_EEE10hipError_tPvRmT3_T4_T5_T6_T7_T9_mT8_P12ihipStream_tbDpT10_ENKUlT_T0_E_clISt17integral_constantIbLb0EES17_EEDaS12_S13_EUlS12_E_NS1_11comp_targetILNS1_3genE4ELNS1_11target_archE910ELNS1_3gpuE8ELNS1_3repE0EEENS1_30default_config_static_selectorELNS0_4arch9wavefront6targetE0EEEvT1_
                                        ; -- End function
	.set _ZN7rocprim17ROCPRIM_400000_NS6detail17trampoline_kernelINS0_14default_configENS1_25partition_config_selectorILNS1_17partition_subalgoE8EhNS0_10empty_typeEbEEZZNS1_14partition_implILS5_8ELb0ES3_jPKhPS6_PKS6_NS0_5tupleIJPhS6_EEENSE_IJSB_SB_EEENS0_18inequality_wrapperIN6hipcub16HIPCUB_304000_NS8EqualityEEEPlJS6_EEE10hipError_tPvRmT3_T4_T5_T6_T7_T9_mT8_P12ihipStream_tbDpT10_ENKUlT_T0_E_clISt17integral_constantIbLb0EES17_EEDaS12_S13_EUlS12_E_NS1_11comp_targetILNS1_3genE4ELNS1_11target_archE910ELNS1_3gpuE8ELNS1_3repE0EEENS1_30default_config_static_selectorELNS0_4arch9wavefront6targetE0EEEvT1_.num_vgpr, 0
	.set _ZN7rocprim17ROCPRIM_400000_NS6detail17trampoline_kernelINS0_14default_configENS1_25partition_config_selectorILNS1_17partition_subalgoE8EhNS0_10empty_typeEbEEZZNS1_14partition_implILS5_8ELb0ES3_jPKhPS6_PKS6_NS0_5tupleIJPhS6_EEENSE_IJSB_SB_EEENS0_18inequality_wrapperIN6hipcub16HIPCUB_304000_NS8EqualityEEEPlJS6_EEE10hipError_tPvRmT3_T4_T5_T6_T7_T9_mT8_P12ihipStream_tbDpT10_ENKUlT_T0_E_clISt17integral_constantIbLb0EES17_EEDaS12_S13_EUlS12_E_NS1_11comp_targetILNS1_3genE4ELNS1_11target_archE910ELNS1_3gpuE8ELNS1_3repE0EEENS1_30default_config_static_selectorELNS0_4arch9wavefront6targetE0EEEvT1_.num_agpr, 0
	.set _ZN7rocprim17ROCPRIM_400000_NS6detail17trampoline_kernelINS0_14default_configENS1_25partition_config_selectorILNS1_17partition_subalgoE8EhNS0_10empty_typeEbEEZZNS1_14partition_implILS5_8ELb0ES3_jPKhPS6_PKS6_NS0_5tupleIJPhS6_EEENSE_IJSB_SB_EEENS0_18inequality_wrapperIN6hipcub16HIPCUB_304000_NS8EqualityEEEPlJS6_EEE10hipError_tPvRmT3_T4_T5_T6_T7_T9_mT8_P12ihipStream_tbDpT10_ENKUlT_T0_E_clISt17integral_constantIbLb0EES17_EEDaS12_S13_EUlS12_E_NS1_11comp_targetILNS1_3genE4ELNS1_11target_archE910ELNS1_3gpuE8ELNS1_3repE0EEENS1_30default_config_static_selectorELNS0_4arch9wavefront6targetE0EEEvT1_.numbered_sgpr, 0
	.set _ZN7rocprim17ROCPRIM_400000_NS6detail17trampoline_kernelINS0_14default_configENS1_25partition_config_selectorILNS1_17partition_subalgoE8EhNS0_10empty_typeEbEEZZNS1_14partition_implILS5_8ELb0ES3_jPKhPS6_PKS6_NS0_5tupleIJPhS6_EEENSE_IJSB_SB_EEENS0_18inequality_wrapperIN6hipcub16HIPCUB_304000_NS8EqualityEEEPlJS6_EEE10hipError_tPvRmT3_T4_T5_T6_T7_T9_mT8_P12ihipStream_tbDpT10_ENKUlT_T0_E_clISt17integral_constantIbLb0EES17_EEDaS12_S13_EUlS12_E_NS1_11comp_targetILNS1_3genE4ELNS1_11target_archE910ELNS1_3gpuE8ELNS1_3repE0EEENS1_30default_config_static_selectorELNS0_4arch9wavefront6targetE0EEEvT1_.num_named_barrier, 0
	.set _ZN7rocprim17ROCPRIM_400000_NS6detail17trampoline_kernelINS0_14default_configENS1_25partition_config_selectorILNS1_17partition_subalgoE8EhNS0_10empty_typeEbEEZZNS1_14partition_implILS5_8ELb0ES3_jPKhPS6_PKS6_NS0_5tupleIJPhS6_EEENSE_IJSB_SB_EEENS0_18inequality_wrapperIN6hipcub16HIPCUB_304000_NS8EqualityEEEPlJS6_EEE10hipError_tPvRmT3_T4_T5_T6_T7_T9_mT8_P12ihipStream_tbDpT10_ENKUlT_T0_E_clISt17integral_constantIbLb0EES17_EEDaS12_S13_EUlS12_E_NS1_11comp_targetILNS1_3genE4ELNS1_11target_archE910ELNS1_3gpuE8ELNS1_3repE0EEENS1_30default_config_static_selectorELNS0_4arch9wavefront6targetE0EEEvT1_.private_seg_size, 0
	.set _ZN7rocprim17ROCPRIM_400000_NS6detail17trampoline_kernelINS0_14default_configENS1_25partition_config_selectorILNS1_17partition_subalgoE8EhNS0_10empty_typeEbEEZZNS1_14partition_implILS5_8ELb0ES3_jPKhPS6_PKS6_NS0_5tupleIJPhS6_EEENSE_IJSB_SB_EEENS0_18inequality_wrapperIN6hipcub16HIPCUB_304000_NS8EqualityEEEPlJS6_EEE10hipError_tPvRmT3_T4_T5_T6_T7_T9_mT8_P12ihipStream_tbDpT10_ENKUlT_T0_E_clISt17integral_constantIbLb0EES17_EEDaS12_S13_EUlS12_E_NS1_11comp_targetILNS1_3genE4ELNS1_11target_archE910ELNS1_3gpuE8ELNS1_3repE0EEENS1_30default_config_static_selectorELNS0_4arch9wavefront6targetE0EEEvT1_.uses_vcc, 0
	.set _ZN7rocprim17ROCPRIM_400000_NS6detail17trampoline_kernelINS0_14default_configENS1_25partition_config_selectorILNS1_17partition_subalgoE8EhNS0_10empty_typeEbEEZZNS1_14partition_implILS5_8ELb0ES3_jPKhPS6_PKS6_NS0_5tupleIJPhS6_EEENSE_IJSB_SB_EEENS0_18inequality_wrapperIN6hipcub16HIPCUB_304000_NS8EqualityEEEPlJS6_EEE10hipError_tPvRmT3_T4_T5_T6_T7_T9_mT8_P12ihipStream_tbDpT10_ENKUlT_T0_E_clISt17integral_constantIbLb0EES17_EEDaS12_S13_EUlS12_E_NS1_11comp_targetILNS1_3genE4ELNS1_11target_archE910ELNS1_3gpuE8ELNS1_3repE0EEENS1_30default_config_static_selectorELNS0_4arch9wavefront6targetE0EEEvT1_.uses_flat_scratch, 0
	.set _ZN7rocprim17ROCPRIM_400000_NS6detail17trampoline_kernelINS0_14default_configENS1_25partition_config_selectorILNS1_17partition_subalgoE8EhNS0_10empty_typeEbEEZZNS1_14partition_implILS5_8ELb0ES3_jPKhPS6_PKS6_NS0_5tupleIJPhS6_EEENSE_IJSB_SB_EEENS0_18inequality_wrapperIN6hipcub16HIPCUB_304000_NS8EqualityEEEPlJS6_EEE10hipError_tPvRmT3_T4_T5_T6_T7_T9_mT8_P12ihipStream_tbDpT10_ENKUlT_T0_E_clISt17integral_constantIbLb0EES17_EEDaS12_S13_EUlS12_E_NS1_11comp_targetILNS1_3genE4ELNS1_11target_archE910ELNS1_3gpuE8ELNS1_3repE0EEENS1_30default_config_static_selectorELNS0_4arch9wavefront6targetE0EEEvT1_.has_dyn_sized_stack, 0
	.set _ZN7rocprim17ROCPRIM_400000_NS6detail17trampoline_kernelINS0_14default_configENS1_25partition_config_selectorILNS1_17partition_subalgoE8EhNS0_10empty_typeEbEEZZNS1_14partition_implILS5_8ELb0ES3_jPKhPS6_PKS6_NS0_5tupleIJPhS6_EEENSE_IJSB_SB_EEENS0_18inequality_wrapperIN6hipcub16HIPCUB_304000_NS8EqualityEEEPlJS6_EEE10hipError_tPvRmT3_T4_T5_T6_T7_T9_mT8_P12ihipStream_tbDpT10_ENKUlT_T0_E_clISt17integral_constantIbLb0EES17_EEDaS12_S13_EUlS12_E_NS1_11comp_targetILNS1_3genE4ELNS1_11target_archE910ELNS1_3gpuE8ELNS1_3repE0EEENS1_30default_config_static_selectorELNS0_4arch9wavefront6targetE0EEEvT1_.has_recursion, 0
	.set _ZN7rocprim17ROCPRIM_400000_NS6detail17trampoline_kernelINS0_14default_configENS1_25partition_config_selectorILNS1_17partition_subalgoE8EhNS0_10empty_typeEbEEZZNS1_14partition_implILS5_8ELb0ES3_jPKhPS6_PKS6_NS0_5tupleIJPhS6_EEENSE_IJSB_SB_EEENS0_18inequality_wrapperIN6hipcub16HIPCUB_304000_NS8EqualityEEEPlJS6_EEE10hipError_tPvRmT3_T4_T5_T6_T7_T9_mT8_P12ihipStream_tbDpT10_ENKUlT_T0_E_clISt17integral_constantIbLb0EES17_EEDaS12_S13_EUlS12_E_NS1_11comp_targetILNS1_3genE4ELNS1_11target_archE910ELNS1_3gpuE8ELNS1_3repE0EEENS1_30default_config_static_selectorELNS0_4arch9wavefront6targetE0EEEvT1_.has_indirect_call, 0
	.section	.AMDGPU.csdata,"",@progbits
; Kernel info:
; codeLenInByte = 0
; TotalNumSgprs: 0
; NumVgprs: 0
; ScratchSize: 0
; MemoryBound: 0
; FloatMode: 240
; IeeeMode: 1
; LDSByteSize: 0 bytes/workgroup (compile time only)
; SGPRBlocks: 0
; VGPRBlocks: 0
; NumSGPRsForWavesPerEU: 1
; NumVGPRsForWavesPerEU: 1
; NamedBarCnt: 0
; Occupancy: 16
; WaveLimiterHint : 0
; COMPUTE_PGM_RSRC2:SCRATCH_EN: 0
; COMPUTE_PGM_RSRC2:USER_SGPR: 2
; COMPUTE_PGM_RSRC2:TRAP_HANDLER: 0
; COMPUTE_PGM_RSRC2:TGID_X_EN: 1
; COMPUTE_PGM_RSRC2:TGID_Y_EN: 0
; COMPUTE_PGM_RSRC2:TGID_Z_EN: 0
; COMPUTE_PGM_RSRC2:TIDIG_COMP_CNT: 0
	.section	.text._ZN7rocprim17ROCPRIM_400000_NS6detail17trampoline_kernelINS0_14default_configENS1_25partition_config_selectorILNS1_17partition_subalgoE8EhNS0_10empty_typeEbEEZZNS1_14partition_implILS5_8ELb0ES3_jPKhPS6_PKS6_NS0_5tupleIJPhS6_EEENSE_IJSB_SB_EEENS0_18inequality_wrapperIN6hipcub16HIPCUB_304000_NS8EqualityEEEPlJS6_EEE10hipError_tPvRmT3_T4_T5_T6_T7_T9_mT8_P12ihipStream_tbDpT10_ENKUlT_T0_E_clISt17integral_constantIbLb0EES17_EEDaS12_S13_EUlS12_E_NS1_11comp_targetILNS1_3genE3ELNS1_11target_archE908ELNS1_3gpuE7ELNS1_3repE0EEENS1_30default_config_static_selectorELNS0_4arch9wavefront6targetE0EEEvT1_,"axG",@progbits,_ZN7rocprim17ROCPRIM_400000_NS6detail17trampoline_kernelINS0_14default_configENS1_25partition_config_selectorILNS1_17partition_subalgoE8EhNS0_10empty_typeEbEEZZNS1_14partition_implILS5_8ELb0ES3_jPKhPS6_PKS6_NS0_5tupleIJPhS6_EEENSE_IJSB_SB_EEENS0_18inequality_wrapperIN6hipcub16HIPCUB_304000_NS8EqualityEEEPlJS6_EEE10hipError_tPvRmT3_T4_T5_T6_T7_T9_mT8_P12ihipStream_tbDpT10_ENKUlT_T0_E_clISt17integral_constantIbLb0EES17_EEDaS12_S13_EUlS12_E_NS1_11comp_targetILNS1_3genE3ELNS1_11target_archE908ELNS1_3gpuE7ELNS1_3repE0EEENS1_30default_config_static_selectorELNS0_4arch9wavefront6targetE0EEEvT1_,comdat
	.protected	_ZN7rocprim17ROCPRIM_400000_NS6detail17trampoline_kernelINS0_14default_configENS1_25partition_config_selectorILNS1_17partition_subalgoE8EhNS0_10empty_typeEbEEZZNS1_14partition_implILS5_8ELb0ES3_jPKhPS6_PKS6_NS0_5tupleIJPhS6_EEENSE_IJSB_SB_EEENS0_18inequality_wrapperIN6hipcub16HIPCUB_304000_NS8EqualityEEEPlJS6_EEE10hipError_tPvRmT3_T4_T5_T6_T7_T9_mT8_P12ihipStream_tbDpT10_ENKUlT_T0_E_clISt17integral_constantIbLb0EES17_EEDaS12_S13_EUlS12_E_NS1_11comp_targetILNS1_3genE3ELNS1_11target_archE908ELNS1_3gpuE7ELNS1_3repE0EEENS1_30default_config_static_selectorELNS0_4arch9wavefront6targetE0EEEvT1_ ; -- Begin function _ZN7rocprim17ROCPRIM_400000_NS6detail17trampoline_kernelINS0_14default_configENS1_25partition_config_selectorILNS1_17partition_subalgoE8EhNS0_10empty_typeEbEEZZNS1_14partition_implILS5_8ELb0ES3_jPKhPS6_PKS6_NS0_5tupleIJPhS6_EEENSE_IJSB_SB_EEENS0_18inequality_wrapperIN6hipcub16HIPCUB_304000_NS8EqualityEEEPlJS6_EEE10hipError_tPvRmT3_T4_T5_T6_T7_T9_mT8_P12ihipStream_tbDpT10_ENKUlT_T0_E_clISt17integral_constantIbLb0EES17_EEDaS12_S13_EUlS12_E_NS1_11comp_targetILNS1_3genE3ELNS1_11target_archE908ELNS1_3gpuE7ELNS1_3repE0EEENS1_30default_config_static_selectorELNS0_4arch9wavefront6targetE0EEEvT1_
	.globl	_ZN7rocprim17ROCPRIM_400000_NS6detail17trampoline_kernelINS0_14default_configENS1_25partition_config_selectorILNS1_17partition_subalgoE8EhNS0_10empty_typeEbEEZZNS1_14partition_implILS5_8ELb0ES3_jPKhPS6_PKS6_NS0_5tupleIJPhS6_EEENSE_IJSB_SB_EEENS0_18inequality_wrapperIN6hipcub16HIPCUB_304000_NS8EqualityEEEPlJS6_EEE10hipError_tPvRmT3_T4_T5_T6_T7_T9_mT8_P12ihipStream_tbDpT10_ENKUlT_T0_E_clISt17integral_constantIbLb0EES17_EEDaS12_S13_EUlS12_E_NS1_11comp_targetILNS1_3genE3ELNS1_11target_archE908ELNS1_3gpuE7ELNS1_3repE0EEENS1_30default_config_static_selectorELNS0_4arch9wavefront6targetE0EEEvT1_
	.p2align	8
	.type	_ZN7rocprim17ROCPRIM_400000_NS6detail17trampoline_kernelINS0_14default_configENS1_25partition_config_selectorILNS1_17partition_subalgoE8EhNS0_10empty_typeEbEEZZNS1_14partition_implILS5_8ELb0ES3_jPKhPS6_PKS6_NS0_5tupleIJPhS6_EEENSE_IJSB_SB_EEENS0_18inequality_wrapperIN6hipcub16HIPCUB_304000_NS8EqualityEEEPlJS6_EEE10hipError_tPvRmT3_T4_T5_T6_T7_T9_mT8_P12ihipStream_tbDpT10_ENKUlT_T0_E_clISt17integral_constantIbLb0EES17_EEDaS12_S13_EUlS12_E_NS1_11comp_targetILNS1_3genE3ELNS1_11target_archE908ELNS1_3gpuE7ELNS1_3repE0EEENS1_30default_config_static_selectorELNS0_4arch9wavefront6targetE0EEEvT1_,@function
_ZN7rocprim17ROCPRIM_400000_NS6detail17trampoline_kernelINS0_14default_configENS1_25partition_config_selectorILNS1_17partition_subalgoE8EhNS0_10empty_typeEbEEZZNS1_14partition_implILS5_8ELb0ES3_jPKhPS6_PKS6_NS0_5tupleIJPhS6_EEENSE_IJSB_SB_EEENS0_18inequality_wrapperIN6hipcub16HIPCUB_304000_NS8EqualityEEEPlJS6_EEE10hipError_tPvRmT3_T4_T5_T6_T7_T9_mT8_P12ihipStream_tbDpT10_ENKUlT_T0_E_clISt17integral_constantIbLb0EES17_EEDaS12_S13_EUlS12_E_NS1_11comp_targetILNS1_3genE3ELNS1_11target_archE908ELNS1_3gpuE7ELNS1_3repE0EEENS1_30default_config_static_selectorELNS0_4arch9wavefront6targetE0EEEvT1_: ; @_ZN7rocprim17ROCPRIM_400000_NS6detail17trampoline_kernelINS0_14default_configENS1_25partition_config_selectorILNS1_17partition_subalgoE8EhNS0_10empty_typeEbEEZZNS1_14partition_implILS5_8ELb0ES3_jPKhPS6_PKS6_NS0_5tupleIJPhS6_EEENSE_IJSB_SB_EEENS0_18inequality_wrapperIN6hipcub16HIPCUB_304000_NS8EqualityEEEPlJS6_EEE10hipError_tPvRmT3_T4_T5_T6_T7_T9_mT8_P12ihipStream_tbDpT10_ENKUlT_T0_E_clISt17integral_constantIbLb0EES17_EEDaS12_S13_EUlS12_E_NS1_11comp_targetILNS1_3genE3ELNS1_11target_archE908ELNS1_3gpuE7ELNS1_3repE0EEENS1_30default_config_static_selectorELNS0_4arch9wavefront6targetE0EEEvT1_
; %bb.0:
	.section	.rodata,"a",@progbits
	.p2align	6, 0x0
	.amdhsa_kernel _ZN7rocprim17ROCPRIM_400000_NS6detail17trampoline_kernelINS0_14default_configENS1_25partition_config_selectorILNS1_17partition_subalgoE8EhNS0_10empty_typeEbEEZZNS1_14partition_implILS5_8ELb0ES3_jPKhPS6_PKS6_NS0_5tupleIJPhS6_EEENSE_IJSB_SB_EEENS0_18inequality_wrapperIN6hipcub16HIPCUB_304000_NS8EqualityEEEPlJS6_EEE10hipError_tPvRmT3_T4_T5_T6_T7_T9_mT8_P12ihipStream_tbDpT10_ENKUlT_T0_E_clISt17integral_constantIbLb0EES17_EEDaS12_S13_EUlS12_E_NS1_11comp_targetILNS1_3genE3ELNS1_11target_archE908ELNS1_3gpuE7ELNS1_3repE0EEENS1_30default_config_static_selectorELNS0_4arch9wavefront6targetE0EEEvT1_
		.amdhsa_group_segment_fixed_size 0
		.amdhsa_private_segment_fixed_size 0
		.amdhsa_kernarg_size 112
		.amdhsa_user_sgpr_count 2
		.amdhsa_user_sgpr_dispatch_ptr 0
		.amdhsa_user_sgpr_queue_ptr 0
		.amdhsa_user_sgpr_kernarg_segment_ptr 1
		.amdhsa_user_sgpr_dispatch_id 0
		.amdhsa_user_sgpr_kernarg_preload_length 0
		.amdhsa_user_sgpr_kernarg_preload_offset 0
		.amdhsa_user_sgpr_private_segment_size 0
		.amdhsa_wavefront_size32 1
		.amdhsa_uses_dynamic_stack 0
		.amdhsa_enable_private_segment 0
		.amdhsa_system_sgpr_workgroup_id_x 1
		.amdhsa_system_sgpr_workgroup_id_y 0
		.amdhsa_system_sgpr_workgroup_id_z 0
		.amdhsa_system_sgpr_workgroup_info 0
		.amdhsa_system_vgpr_workitem_id 0
		.amdhsa_next_free_vgpr 1
		.amdhsa_next_free_sgpr 1
		.amdhsa_named_barrier_count 0
		.amdhsa_reserve_vcc 0
		.amdhsa_float_round_mode_32 0
		.amdhsa_float_round_mode_16_64 0
		.amdhsa_float_denorm_mode_32 3
		.amdhsa_float_denorm_mode_16_64 3
		.amdhsa_fp16_overflow 0
		.amdhsa_memory_ordered 1
		.amdhsa_forward_progress 1
		.amdhsa_inst_pref_size 0
		.amdhsa_round_robin_scheduling 0
		.amdhsa_exception_fp_ieee_invalid_op 0
		.amdhsa_exception_fp_denorm_src 0
		.amdhsa_exception_fp_ieee_div_zero 0
		.amdhsa_exception_fp_ieee_overflow 0
		.amdhsa_exception_fp_ieee_underflow 0
		.amdhsa_exception_fp_ieee_inexact 0
		.amdhsa_exception_int_div_zero 0
	.end_amdhsa_kernel
	.section	.text._ZN7rocprim17ROCPRIM_400000_NS6detail17trampoline_kernelINS0_14default_configENS1_25partition_config_selectorILNS1_17partition_subalgoE8EhNS0_10empty_typeEbEEZZNS1_14partition_implILS5_8ELb0ES3_jPKhPS6_PKS6_NS0_5tupleIJPhS6_EEENSE_IJSB_SB_EEENS0_18inequality_wrapperIN6hipcub16HIPCUB_304000_NS8EqualityEEEPlJS6_EEE10hipError_tPvRmT3_T4_T5_T6_T7_T9_mT8_P12ihipStream_tbDpT10_ENKUlT_T0_E_clISt17integral_constantIbLb0EES17_EEDaS12_S13_EUlS12_E_NS1_11comp_targetILNS1_3genE3ELNS1_11target_archE908ELNS1_3gpuE7ELNS1_3repE0EEENS1_30default_config_static_selectorELNS0_4arch9wavefront6targetE0EEEvT1_,"axG",@progbits,_ZN7rocprim17ROCPRIM_400000_NS6detail17trampoline_kernelINS0_14default_configENS1_25partition_config_selectorILNS1_17partition_subalgoE8EhNS0_10empty_typeEbEEZZNS1_14partition_implILS5_8ELb0ES3_jPKhPS6_PKS6_NS0_5tupleIJPhS6_EEENSE_IJSB_SB_EEENS0_18inequality_wrapperIN6hipcub16HIPCUB_304000_NS8EqualityEEEPlJS6_EEE10hipError_tPvRmT3_T4_T5_T6_T7_T9_mT8_P12ihipStream_tbDpT10_ENKUlT_T0_E_clISt17integral_constantIbLb0EES17_EEDaS12_S13_EUlS12_E_NS1_11comp_targetILNS1_3genE3ELNS1_11target_archE908ELNS1_3gpuE7ELNS1_3repE0EEENS1_30default_config_static_selectorELNS0_4arch9wavefront6targetE0EEEvT1_,comdat
.Lfunc_end137:
	.size	_ZN7rocprim17ROCPRIM_400000_NS6detail17trampoline_kernelINS0_14default_configENS1_25partition_config_selectorILNS1_17partition_subalgoE8EhNS0_10empty_typeEbEEZZNS1_14partition_implILS5_8ELb0ES3_jPKhPS6_PKS6_NS0_5tupleIJPhS6_EEENSE_IJSB_SB_EEENS0_18inequality_wrapperIN6hipcub16HIPCUB_304000_NS8EqualityEEEPlJS6_EEE10hipError_tPvRmT3_T4_T5_T6_T7_T9_mT8_P12ihipStream_tbDpT10_ENKUlT_T0_E_clISt17integral_constantIbLb0EES17_EEDaS12_S13_EUlS12_E_NS1_11comp_targetILNS1_3genE3ELNS1_11target_archE908ELNS1_3gpuE7ELNS1_3repE0EEENS1_30default_config_static_selectorELNS0_4arch9wavefront6targetE0EEEvT1_, .Lfunc_end137-_ZN7rocprim17ROCPRIM_400000_NS6detail17trampoline_kernelINS0_14default_configENS1_25partition_config_selectorILNS1_17partition_subalgoE8EhNS0_10empty_typeEbEEZZNS1_14partition_implILS5_8ELb0ES3_jPKhPS6_PKS6_NS0_5tupleIJPhS6_EEENSE_IJSB_SB_EEENS0_18inequality_wrapperIN6hipcub16HIPCUB_304000_NS8EqualityEEEPlJS6_EEE10hipError_tPvRmT3_T4_T5_T6_T7_T9_mT8_P12ihipStream_tbDpT10_ENKUlT_T0_E_clISt17integral_constantIbLb0EES17_EEDaS12_S13_EUlS12_E_NS1_11comp_targetILNS1_3genE3ELNS1_11target_archE908ELNS1_3gpuE7ELNS1_3repE0EEENS1_30default_config_static_selectorELNS0_4arch9wavefront6targetE0EEEvT1_
                                        ; -- End function
	.set _ZN7rocprim17ROCPRIM_400000_NS6detail17trampoline_kernelINS0_14default_configENS1_25partition_config_selectorILNS1_17partition_subalgoE8EhNS0_10empty_typeEbEEZZNS1_14partition_implILS5_8ELb0ES3_jPKhPS6_PKS6_NS0_5tupleIJPhS6_EEENSE_IJSB_SB_EEENS0_18inequality_wrapperIN6hipcub16HIPCUB_304000_NS8EqualityEEEPlJS6_EEE10hipError_tPvRmT3_T4_T5_T6_T7_T9_mT8_P12ihipStream_tbDpT10_ENKUlT_T0_E_clISt17integral_constantIbLb0EES17_EEDaS12_S13_EUlS12_E_NS1_11comp_targetILNS1_3genE3ELNS1_11target_archE908ELNS1_3gpuE7ELNS1_3repE0EEENS1_30default_config_static_selectorELNS0_4arch9wavefront6targetE0EEEvT1_.num_vgpr, 0
	.set _ZN7rocprim17ROCPRIM_400000_NS6detail17trampoline_kernelINS0_14default_configENS1_25partition_config_selectorILNS1_17partition_subalgoE8EhNS0_10empty_typeEbEEZZNS1_14partition_implILS5_8ELb0ES3_jPKhPS6_PKS6_NS0_5tupleIJPhS6_EEENSE_IJSB_SB_EEENS0_18inequality_wrapperIN6hipcub16HIPCUB_304000_NS8EqualityEEEPlJS6_EEE10hipError_tPvRmT3_T4_T5_T6_T7_T9_mT8_P12ihipStream_tbDpT10_ENKUlT_T0_E_clISt17integral_constantIbLb0EES17_EEDaS12_S13_EUlS12_E_NS1_11comp_targetILNS1_3genE3ELNS1_11target_archE908ELNS1_3gpuE7ELNS1_3repE0EEENS1_30default_config_static_selectorELNS0_4arch9wavefront6targetE0EEEvT1_.num_agpr, 0
	.set _ZN7rocprim17ROCPRIM_400000_NS6detail17trampoline_kernelINS0_14default_configENS1_25partition_config_selectorILNS1_17partition_subalgoE8EhNS0_10empty_typeEbEEZZNS1_14partition_implILS5_8ELb0ES3_jPKhPS6_PKS6_NS0_5tupleIJPhS6_EEENSE_IJSB_SB_EEENS0_18inequality_wrapperIN6hipcub16HIPCUB_304000_NS8EqualityEEEPlJS6_EEE10hipError_tPvRmT3_T4_T5_T6_T7_T9_mT8_P12ihipStream_tbDpT10_ENKUlT_T0_E_clISt17integral_constantIbLb0EES17_EEDaS12_S13_EUlS12_E_NS1_11comp_targetILNS1_3genE3ELNS1_11target_archE908ELNS1_3gpuE7ELNS1_3repE0EEENS1_30default_config_static_selectorELNS0_4arch9wavefront6targetE0EEEvT1_.numbered_sgpr, 0
	.set _ZN7rocprim17ROCPRIM_400000_NS6detail17trampoline_kernelINS0_14default_configENS1_25partition_config_selectorILNS1_17partition_subalgoE8EhNS0_10empty_typeEbEEZZNS1_14partition_implILS5_8ELb0ES3_jPKhPS6_PKS6_NS0_5tupleIJPhS6_EEENSE_IJSB_SB_EEENS0_18inequality_wrapperIN6hipcub16HIPCUB_304000_NS8EqualityEEEPlJS6_EEE10hipError_tPvRmT3_T4_T5_T6_T7_T9_mT8_P12ihipStream_tbDpT10_ENKUlT_T0_E_clISt17integral_constantIbLb0EES17_EEDaS12_S13_EUlS12_E_NS1_11comp_targetILNS1_3genE3ELNS1_11target_archE908ELNS1_3gpuE7ELNS1_3repE0EEENS1_30default_config_static_selectorELNS0_4arch9wavefront6targetE0EEEvT1_.num_named_barrier, 0
	.set _ZN7rocprim17ROCPRIM_400000_NS6detail17trampoline_kernelINS0_14default_configENS1_25partition_config_selectorILNS1_17partition_subalgoE8EhNS0_10empty_typeEbEEZZNS1_14partition_implILS5_8ELb0ES3_jPKhPS6_PKS6_NS0_5tupleIJPhS6_EEENSE_IJSB_SB_EEENS0_18inequality_wrapperIN6hipcub16HIPCUB_304000_NS8EqualityEEEPlJS6_EEE10hipError_tPvRmT3_T4_T5_T6_T7_T9_mT8_P12ihipStream_tbDpT10_ENKUlT_T0_E_clISt17integral_constantIbLb0EES17_EEDaS12_S13_EUlS12_E_NS1_11comp_targetILNS1_3genE3ELNS1_11target_archE908ELNS1_3gpuE7ELNS1_3repE0EEENS1_30default_config_static_selectorELNS0_4arch9wavefront6targetE0EEEvT1_.private_seg_size, 0
	.set _ZN7rocprim17ROCPRIM_400000_NS6detail17trampoline_kernelINS0_14default_configENS1_25partition_config_selectorILNS1_17partition_subalgoE8EhNS0_10empty_typeEbEEZZNS1_14partition_implILS5_8ELb0ES3_jPKhPS6_PKS6_NS0_5tupleIJPhS6_EEENSE_IJSB_SB_EEENS0_18inequality_wrapperIN6hipcub16HIPCUB_304000_NS8EqualityEEEPlJS6_EEE10hipError_tPvRmT3_T4_T5_T6_T7_T9_mT8_P12ihipStream_tbDpT10_ENKUlT_T0_E_clISt17integral_constantIbLb0EES17_EEDaS12_S13_EUlS12_E_NS1_11comp_targetILNS1_3genE3ELNS1_11target_archE908ELNS1_3gpuE7ELNS1_3repE0EEENS1_30default_config_static_selectorELNS0_4arch9wavefront6targetE0EEEvT1_.uses_vcc, 0
	.set _ZN7rocprim17ROCPRIM_400000_NS6detail17trampoline_kernelINS0_14default_configENS1_25partition_config_selectorILNS1_17partition_subalgoE8EhNS0_10empty_typeEbEEZZNS1_14partition_implILS5_8ELb0ES3_jPKhPS6_PKS6_NS0_5tupleIJPhS6_EEENSE_IJSB_SB_EEENS0_18inequality_wrapperIN6hipcub16HIPCUB_304000_NS8EqualityEEEPlJS6_EEE10hipError_tPvRmT3_T4_T5_T6_T7_T9_mT8_P12ihipStream_tbDpT10_ENKUlT_T0_E_clISt17integral_constantIbLb0EES17_EEDaS12_S13_EUlS12_E_NS1_11comp_targetILNS1_3genE3ELNS1_11target_archE908ELNS1_3gpuE7ELNS1_3repE0EEENS1_30default_config_static_selectorELNS0_4arch9wavefront6targetE0EEEvT1_.uses_flat_scratch, 0
	.set _ZN7rocprim17ROCPRIM_400000_NS6detail17trampoline_kernelINS0_14default_configENS1_25partition_config_selectorILNS1_17partition_subalgoE8EhNS0_10empty_typeEbEEZZNS1_14partition_implILS5_8ELb0ES3_jPKhPS6_PKS6_NS0_5tupleIJPhS6_EEENSE_IJSB_SB_EEENS0_18inequality_wrapperIN6hipcub16HIPCUB_304000_NS8EqualityEEEPlJS6_EEE10hipError_tPvRmT3_T4_T5_T6_T7_T9_mT8_P12ihipStream_tbDpT10_ENKUlT_T0_E_clISt17integral_constantIbLb0EES17_EEDaS12_S13_EUlS12_E_NS1_11comp_targetILNS1_3genE3ELNS1_11target_archE908ELNS1_3gpuE7ELNS1_3repE0EEENS1_30default_config_static_selectorELNS0_4arch9wavefront6targetE0EEEvT1_.has_dyn_sized_stack, 0
	.set _ZN7rocprim17ROCPRIM_400000_NS6detail17trampoline_kernelINS0_14default_configENS1_25partition_config_selectorILNS1_17partition_subalgoE8EhNS0_10empty_typeEbEEZZNS1_14partition_implILS5_8ELb0ES3_jPKhPS6_PKS6_NS0_5tupleIJPhS6_EEENSE_IJSB_SB_EEENS0_18inequality_wrapperIN6hipcub16HIPCUB_304000_NS8EqualityEEEPlJS6_EEE10hipError_tPvRmT3_T4_T5_T6_T7_T9_mT8_P12ihipStream_tbDpT10_ENKUlT_T0_E_clISt17integral_constantIbLb0EES17_EEDaS12_S13_EUlS12_E_NS1_11comp_targetILNS1_3genE3ELNS1_11target_archE908ELNS1_3gpuE7ELNS1_3repE0EEENS1_30default_config_static_selectorELNS0_4arch9wavefront6targetE0EEEvT1_.has_recursion, 0
	.set _ZN7rocprim17ROCPRIM_400000_NS6detail17trampoline_kernelINS0_14default_configENS1_25partition_config_selectorILNS1_17partition_subalgoE8EhNS0_10empty_typeEbEEZZNS1_14partition_implILS5_8ELb0ES3_jPKhPS6_PKS6_NS0_5tupleIJPhS6_EEENSE_IJSB_SB_EEENS0_18inequality_wrapperIN6hipcub16HIPCUB_304000_NS8EqualityEEEPlJS6_EEE10hipError_tPvRmT3_T4_T5_T6_T7_T9_mT8_P12ihipStream_tbDpT10_ENKUlT_T0_E_clISt17integral_constantIbLb0EES17_EEDaS12_S13_EUlS12_E_NS1_11comp_targetILNS1_3genE3ELNS1_11target_archE908ELNS1_3gpuE7ELNS1_3repE0EEENS1_30default_config_static_selectorELNS0_4arch9wavefront6targetE0EEEvT1_.has_indirect_call, 0
	.section	.AMDGPU.csdata,"",@progbits
; Kernel info:
; codeLenInByte = 0
; TotalNumSgprs: 0
; NumVgprs: 0
; ScratchSize: 0
; MemoryBound: 0
; FloatMode: 240
; IeeeMode: 1
; LDSByteSize: 0 bytes/workgroup (compile time only)
; SGPRBlocks: 0
; VGPRBlocks: 0
; NumSGPRsForWavesPerEU: 1
; NumVGPRsForWavesPerEU: 1
; NamedBarCnt: 0
; Occupancy: 16
; WaveLimiterHint : 0
; COMPUTE_PGM_RSRC2:SCRATCH_EN: 0
; COMPUTE_PGM_RSRC2:USER_SGPR: 2
; COMPUTE_PGM_RSRC2:TRAP_HANDLER: 0
; COMPUTE_PGM_RSRC2:TGID_X_EN: 1
; COMPUTE_PGM_RSRC2:TGID_Y_EN: 0
; COMPUTE_PGM_RSRC2:TGID_Z_EN: 0
; COMPUTE_PGM_RSRC2:TIDIG_COMP_CNT: 0
	.section	.text._ZN7rocprim17ROCPRIM_400000_NS6detail17trampoline_kernelINS0_14default_configENS1_25partition_config_selectorILNS1_17partition_subalgoE8EhNS0_10empty_typeEbEEZZNS1_14partition_implILS5_8ELb0ES3_jPKhPS6_PKS6_NS0_5tupleIJPhS6_EEENSE_IJSB_SB_EEENS0_18inequality_wrapperIN6hipcub16HIPCUB_304000_NS8EqualityEEEPlJS6_EEE10hipError_tPvRmT3_T4_T5_T6_T7_T9_mT8_P12ihipStream_tbDpT10_ENKUlT_T0_E_clISt17integral_constantIbLb0EES17_EEDaS12_S13_EUlS12_E_NS1_11comp_targetILNS1_3genE2ELNS1_11target_archE906ELNS1_3gpuE6ELNS1_3repE0EEENS1_30default_config_static_selectorELNS0_4arch9wavefront6targetE0EEEvT1_,"axG",@progbits,_ZN7rocprim17ROCPRIM_400000_NS6detail17trampoline_kernelINS0_14default_configENS1_25partition_config_selectorILNS1_17partition_subalgoE8EhNS0_10empty_typeEbEEZZNS1_14partition_implILS5_8ELb0ES3_jPKhPS6_PKS6_NS0_5tupleIJPhS6_EEENSE_IJSB_SB_EEENS0_18inequality_wrapperIN6hipcub16HIPCUB_304000_NS8EqualityEEEPlJS6_EEE10hipError_tPvRmT3_T4_T5_T6_T7_T9_mT8_P12ihipStream_tbDpT10_ENKUlT_T0_E_clISt17integral_constantIbLb0EES17_EEDaS12_S13_EUlS12_E_NS1_11comp_targetILNS1_3genE2ELNS1_11target_archE906ELNS1_3gpuE6ELNS1_3repE0EEENS1_30default_config_static_selectorELNS0_4arch9wavefront6targetE0EEEvT1_,comdat
	.protected	_ZN7rocprim17ROCPRIM_400000_NS6detail17trampoline_kernelINS0_14default_configENS1_25partition_config_selectorILNS1_17partition_subalgoE8EhNS0_10empty_typeEbEEZZNS1_14partition_implILS5_8ELb0ES3_jPKhPS6_PKS6_NS0_5tupleIJPhS6_EEENSE_IJSB_SB_EEENS0_18inequality_wrapperIN6hipcub16HIPCUB_304000_NS8EqualityEEEPlJS6_EEE10hipError_tPvRmT3_T4_T5_T6_T7_T9_mT8_P12ihipStream_tbDpT10_ENKUlT_T0_E_clISt17integral_constantIbLb0EES17_EEDaS12_S13_EUlS12_E_NS1_11comp_targetILNS1_3genE2ELNS1_11target_archE906ELNS1_3gpuE6ELNS1_3repE0EEENS1_30default_config_static_selectorELNS0_4arch9wavefront6targetE0EEEvT1_ ; -- Begin function _ZN7rocprim17ROCPRIM_400000_NS6detail17trampoline_kernelINS0_14default_configENS1_25partition_config_selectorILNS1_17partition_subalgoE8EhNS0_10empty_typeEbEEZZNS1_14partition_implILS5_8ELb0ES3_jPKhPS6_PKS6_NS0_5tupleIJPhS6_EEENSE_IJSB_SB_EEENS0_18inequality_wrapperIN6hipcub16HIPCUB_304000_NS8EqualityEEEPlJS6_EEE10hipError_tPvRmT3_T4_T5_T6_T7_T9_mT8_P12ihipStream_tbDpT10_ENKUlT_T0_E_clISt17integral_constantIbLb0EES17_EEDaS12_S13_EUlS12_E_NS1_11comp_targetILNS1_3genE2ELNS1_11target_archE906ELNS1_3gpuE6ELNS1_3repE0EEENS1_30default_config_static_selectorELNS0_4arch9wavefront6targetE0EEEvT1_
	.globl	_ZN7rocprim17ROCPRIM_400000_NS6detail17trampoline_kernelINS0_14default_configENS1_25partition_config_selectorILNS1_17partition_subalgoE8EhNS0_10empty_typeEbEEZZNS1_14partition_implILS5_8ELb0ES3_jPKhPS6_PKS6_NS0_5tupleIJPhS6_EEENSE_IJSB_SB_EEENS0_18inequality_wrapperIN6hipcub16HIPCUB_304000_NS8EqualityEEEPlJS6_EEE10hipError_tPvRmT3_T4_T5_T6_T7_T9_mT8_P12ihipStream_tbDpT10_ENKUlT_T0_E_clISt17integral_constantIbLb0EES17_EEDaS12_S13_EUlS12_E_NS1_11comp_targetILNS1_3genE2ELNS1_11target_archE906ELNS1_3gpuE6ELNS1_3repE0EEENS1_30default_config_static_selectorELNS0_4arch9wavefront6targetE0EEEvT1_
	.p2align	8
	.type	_ZN7rocprim17ROCPRIM_400000_NS6detail17trampoline_kernelINS0_14default_configENS1_25partition_config_selectorILNS1_17partition_subalgoE8EhNS0_10empty_typeEbEEZZNS1_14partition_implILS5_8ELb0ES3_jPKhPS6_PKS6_NS0_5tupleIJPhS6_EEENSE_IJSB_SB_EEENS0_18inequality_wrapperIN6hipcub16HIPCUB_304000_NS8EqualityEEEPlJS6_EEE10hipError_tPvRmT3_T4_T5_T6_T7_T9_mT8_P12ihipStream_tbDpT10_ENKUlT_T0_E_clISt17integral_constantIbLb0EES17_EEDaS12_S13_EUlS12_E_NS1_11comp_targetILNS1_3genE2ELNS1_11target_archE906ELNS1_3gpuE6ELNS1_3repE0EEENS1_30default_config_static_selectorELNS0_4arch9wavefront6targetE0EEEvT1_,@function
_ZN7rocprim17ROCPRIM_400000_NS6detail17trampoline_kernelINS0_14default_configENS1_25partition_config_selectorILNS1_17partition_subalgoE8EhNS0_10empty_typeEbEEZZNS1_14partition_implILS5_8ELb0ES3_jPKhPS6_PKS6_NS0_5tupleIJPhS6_EEENSE_IJSB_SB_EEENS0_18inequality_wrapperIN6hipcub16HIPCUB_304000_NS8EqualityEEEPlJS6_EEE10hipError_tPvRmT3_T4_T5_T6_T7_T9_mT8_P12ihipStream_tbDpT10_ENKUlT_T0_E_clISt17integral_constantIbLb0EES17_EEDaS12_S13_EUlS12_E_NS1_11comp_targetILNS1_3genE2ELNS1_11target_archE906ELNS1_3gpuE6ELNS1_3repE0EEENS1_30default_config_static_selectorELNS0_4arch9wavefront6targetE0EEEvT1_: ; @_ZN7rocprim17ROCPRIM_400000_NS6detail17trampoline_kernelINS0_14default_configENS1_25partition_config_selectorILNS1_17partition_subalgoE8EhNS0_10empty_typeEbEEZZNS1_14partition_implILS5_8ELb0ES3_jPKhPS6_PKS6_NS0_5tupleIJPhS6_EEENSE_IJSB_SB_EEENS0_18inequality_wrapperIN6hipcub16HIPCUB_304000_NS8EqualityEEEPlJS6_EEE10hipError_tPvRmT3_T4_T5_T6_T7_T9_mT8_P12ihipStream_tbDpT10_ENKUlT_T0_E_clISt17integral_constantIbLb0EES17_EEDaS12_S13_EUlS12_E_NS1_11comp_targetILNS1_3genE2ELNS1_11target_archE906ELNS1_3gpuE6ELNS1_3repE0EEENS1_30default_config_static_selectorELNS0_4arch9wavefront6targetE0EEEvT1_
; %bb.0:
	.section	.rodata,"a",@progbits
	.p2align	6, 0x0
	.amdhsa_kernel _ZN7rocprim17ROCPRIM_400000_NS6detail17trampoline_kernelINS0_14default_configENS1_25partition_config_selectorILNS1_17partition_subalgoE8EhNS0_10empty_typeEbEEZZNS1_14partition_implILS5_8ELb0ES3_jPKhPS6_PKS6_NS0_5tupleIJPhS6_EEENSE_IJSB_SB_EEENS0_18inequality_wrapperIN6hipcub16HIPCUB_304000_NS8EqualityEEEPlJS6_EEE10hipError_tPvRmT3_T4_T5_T6_T7_T9_mT8_P12ihipStream_tbDpT10_ENKUlT_T0_E_clISt17integral_constantIbLb0EES17_EEDaS12_S13_EUlS12_E_NS1_11comp_targetILNS1_3genE2ELNS1_11target_archE906ELNS1_3gpuE6ELNS1_3repE0EEENS1_30default_config_static_selectorELNS0_4arch9wavefront6targetE0EEEvT1_
		.amdhsa_group_segment_fixed_size 0
		.amdhsa_private_segment_fixed_size 0
		.amdhsa_kernarg_size 112
		.amdhsa_user_sgpr_count 2
		.amdhsa_user_sgpr_dispatch_ptr 0
		.amdhsa_user_sgpr_queue_ptr 0
		.amdhsa_user_sgpr_kernarg_segment_ptr 1
		.amdhsa_user_sgpr_dispatch_id 0
		.amdhsa_user_sgpr_kernarg_preload_length 0
		.amdhsa_user_sgpr_kernarg_preload_offset 0
		.amdhsa_user_sgpr_private_segment_size 0
		.amdhsa_wavefront_size32 1
		.amdhsa_uses_dynamic_stack 0
		.amdhsa_enable_private_segment 0
		.amdhsa_system_sgpr_workgroup_id_x 1
		.amdhsa_system_sgpr_workgroup_id_y 0
		.amdhsa_system_sgpr_workgroup_id_z 0
		.amdhsa_system_sgpr_workgroup_info 0
		.amdhsa_system_vgpr_workitem_id 0
		.amdhsa_next_free_vgpr 1
		.amdhsa_next_free_sgpr 1
		.amdhsa_named_barrier_count 0
		.amdhsa_reserve_vcc 0
		.amdhsa_float_round_mode_32 0
		.amdhsa_float_round_mode_16_64 0
		.amdhsa_float_denorm_mode_32 3
		.amdhsa_float_denorm_mode_16_64 3
		.amdhsa_fp16_overflow 0
		.amdhsa_memory_ordered 1
		.amdhsa_forward_progress 1
		.amdhsa_inst_pref_size 0
		.amdhsa_round_robin_scheduling 0
		.amdhsa_exception_fp_ieee_invalid_op 0
		.amdhsa_exception_fp_denorm_src 0
		.amdhsa_exception_fp_ieee_div_zero 0
		.amdhsa_exception_fp_ieee_overflow 0
		.amdhsa_exception_fp_ieee_underflow 0
		.amdhsa_exception_fp_ieee_inexact 0
		.amdhsa_exception_int_div_zero 0
	.end_amdhsa_kernel
	.section	.text._ZN7rocprim17ROCPRIM_400000_NS6detail17trampoline_kernelINS0_14default_configENS1_25partition_config_selectorILNS1_17partition_subalgoE8EhNS0_10empty_typeEbEEZZNS1_14partition_implILS5_8ELb0ES3_jPKhPS6_PKS6_NS0_5tupleIJPhS6_EEENSE_IJSB_SB_EEENS0_18inequality_wrapperIN6hipcub16HIPCUB_304000_NS8EqualityEEEPlJS6_EEE10hipError_tPvRmT3_T4_T5_T6_T7_T9_mT8_P12ihipStream_tbDpT10_ENKUlT_T0_E_clISt17integral_constantIbLb0EES17_EEDaS12_S13_EUlS12_E_NS1_11comp_targetILNS1_3genE2ELNS1_11target_archE906ELNS1_3gpuE6ELNS1_3repE0EEENS1_30default_config_static_selectorELNS0_4arch9wavefront6targetE0EEEvT1_,"axG",@progbits,_ZN7rocprim17ROCPRIM_400000_NS6detail17trampoline_kernelINS0_14default_configENS1_25partition_config_selectorILNS1_17partition_subalgoE8EhNS0_10empty_typeEbEEZZNS1_14partition_implILS5_8ELb0ES3_jPKhPS6_PKS6_NS0_5tupleIJPhS6_EEENSE_IJSB_SB_EEENS0_18inequality_wrapperIN6hipcub16HIPCUB_304000_NS8EqualityEEEPlJS6_EEE10hipError_tPvRmT3_T4_T5_T6_T7_T9_mT8_P12ihipStream_tbDpT10_ENKUlT_T0_E_clISt17integral_constantIbLb0EES17_EEDaS12_S13_EUlS12_E_NS1_11comp_targetILNS1_3genE2ELNS1_11target_archE906ELNS1_3gpuE6ELNS1_3repE0EEENS1_30default_config_static_selectorELNS0_4arch9wavefront6targetE0EEEvT1_,comdat
.Lfunc_end138:
	.size	_ZN7rocprim17ROCPRIM_400000_NS6detail17trampoline_kernelINS0_14default_configENS1_25partition_config_selectorILNS1_17partition_subalgoE8EhNS0_10empty_typeEbEEZZNS1_14partition_implILS5_8ELb0ES3_jPKhPS6_PKS6_NS0_5tupleIJPhS6_EEENSE_IJSB_SB_EEENS0_18inequality_wrapperIN6hipcub16HIPCUB_304000_NS8EqualityEEEPlJS6_EEE10hipError_tPvRmT3_T4_T5_T6_T7_T9_mT8_P12ihipStream_tbDpT10_ENKUlT_T0_E_clISt17integral_constantIbLb0EES17_EEDaS12_S13_EUlS12_E_NS1_11comp_targetILNS1_3genE2ELNS1_11target_archE906ELNS1_3gpuE6ELNS1_3repE0EEENS1_30default_config_static_selectorELNS0_4arch9wavefront6targetE0EEEvT1_, .Lfunc_end138-_ZN7rocprim17ROCPRIM_400000_NS6detail17trampoline_kernelINS0_14default_configENS1_25partition_config_selectorILNS1_17partition_subalgoE8EhNS0_10empty_typeEbEEZZNS1_14partition_implILS5_8ELb0ES3_jPKhPS6_PKS6_NS0_5tupleIJPhS6_EEENSE_IJSB_SB_EEENS0_18inequality_wrapperIN6hipcub16HIPCUB_304000_NS8EqualityEEEPlJS6_EEE10hipError_tPvRmT3_T4_T5_T6_T7_T9_mT8_P12ihipStream_tbDpT10_ENKUlT_T0_E_clISt17integral_constantIbLb0EES17_EEDaS12_S13_EUlS12_E_NS1_11comp_targetILNS1_3genE2ELNS1_11target_archE906ELNS1_3gpuE6ELNS1_3repE0EEENS1_30default_config_static_selectorELNS0_4arch9wavefront6targetE0EEEvT1_
                                        ; -- End function
	.set _ZN7rocprim17ROCPRIM_400000_NS6detail17trampoline_kernelINS0_14default_configENS1_25partition_config_selectorILNS1_17partition_subalgoE8EhNS0_10empty_typeEbEEZZNS1_14partition_implILS5_8ELb0ES3_jPKhPS6_PKS6_NS0_5tupleIJPhS6_EEENSE_IJSB_SB_EEENS0_18inequality_wrapperIN6hipcub16HIPCUB_304000_NS8EqualityEEEPlJS6_EEE10hipError_tPvRmT3_T4_T5_T6_T7_T9_mT8_P12ihipStream_tbDpT10_ENKUlT_T0_E_clISt17integral_constantIbLb0EES17_EEDaS12_S13_EUlS12_E_NS1_11comp_targetILNS1_3genE2ELNS1_11target_archE906ELNS1_3gpuE6ELNS1_3repE0EEENS1_30default_config_static_selectorELNS0_4arch9wavefront6targetE0EEEvT1_.num_vgpr, 0
	.set _ZN7rocprim17ROCPRIM_400000_NS6detail17trampoline_kernelINS0_14default_configENS1_25partition_config_selectorILNS1_17partition_subalgoE8EhNS0_10empty_typeEbEEZZNS1_14partition_implILS5_8ELb0ES3_jPKhPS6_PKS6_NS0_5tupleIJPhS6_EEENSE_IJSB_SB_EEENS0_18inequality_wrapperIN6hipcub16HIPCUB_304000_NS8EqualityEEEPlJS6_EEE10hipError_tPvRmT3_T4_T5_T6_T7_T9_mT8_P12ihipStream_tbDpT10_ENKUlT_T0_E_clISt17integral_constantIbLb0EES17_EEDaS12_S13_EUlS12_E_NS1_11comp_targetILNS1_3genE2ELNS1_11target_archE906ELNS1_3gpuE6ELNS1_3repE0EEENS1_30default_config_static_selectorELNS0_4arch9wavefront6targetE0EEEvT1_.num_agpr, 0
	.set _ZN7rocprim17ROCPRIM_400000_NS6detail17trampoline_kernelINS0_14default_configENS1_25partition_config_selectorILNS1_17partition_subalgoE8EhNS0_10empty_typeEbEEZZNS1_14partition_implILS5_8ELb0ES3_jPKhPS6_PKS6_NS0_5tupleIJPhS6_EEENSE_IJSB_SB_EEENS0_18inequality_wrapperIN6hipcub16HIPCUB_304000_NS8EqualityEEEPlJS6_EEE10hipError_tPvRmT3_T4_T5_T6_T7_T9_mT8_P12ihipStream_tbDpT10_ENKUlT_T0_E_clISt17integral_constantIbLb0EES17_EEDaS12_S13_EUlS12_E_NS1_11comp_targetILNS1_3genE2ELNS1_11target_archE906ELNS1_3gpuE6ELNS1_3repE0EEENS1_30default_config_static_selectorELNS0_4arch9wavefront6targetE0EEEvT1_.numbered_sgpr, 0
	.set _ZN7rocprim17ROCPRIM_400000_NS6detail17trampoline_kernelINS0_14default_configENS1_25partition_config_selectorILNS1_17partition_subalgoE8EhNS0_10empty_typeEbEEZZNS1_14partition_implILS5_8ELb0ES3_jPKhPS6_PKS6_NS0_5tupleIJPhS6_EEENSE_IJSB_SB_EEENS0_18inequality_wrapperIN6hipcub16HIPCUB_304000_NS8EqualityEEEPlJS6_EEE10hipError_tPvRmT3_T4_T5_T6_T7_T9_mT8_P12ihipStream_tbDpT10_ENKUlT_T0_E_clISt17integral_constantIbLb0EES17_EEDaS12_S13_EUlS12_E_NS1_11comp_targetILNS1_3genE2ELNS1_11target_archE906ELNS1_3gpuE6ELNS1_3repE0EEENS1_30default_config_static_selectorELNS0_4arch9wavefront6targetE0EEEvT1_.num_named_barrier, 0
	.set _ZN7rocprim17ROCPRIM_400000_NS6detail17trampoline_kernelINS0_14default_configENS1_25partition_config_selectorILNS1_17partition_subalgoE8EhNS0_10empty_typeEbEEZZNS1_14partition_implILS5_8ELb0ES3_jPKhPS6_PKS6_NS0_5tupleIJPhS6_EEENSE_IJSB_SB_EEENS0_18inequality_wrapperIN6hipcub16HIPCUB_304000_NS8EqualityEEEPlJS6_EEE10hipError_tPvRmT3_T4_T5_T6_T7_T9_mT8_P12ihipStream_tbDpT10_ENKUlT_T0_E_clISt17integral_constantIbLb0EES17_EEDaS12_S13_EUlS12_E_NS1_11comp_targetILNS1_3genE2ELNS1_11target_archE906ELNS1_3gpuE6ELNS1_3repE0EEENS1_30default_config_static_selectorELNS0_4arch9wavefront6targetE0EEEvT1_.private_seg_size, 0
	.set _ZN7rocprim17ROCPRIM_400000_NS6detail17trampoline_kernelINS0_14default_configENS1_25partition_config_selectorILNS1_17partition_subalgoE8EhNS0_10empty_typeEbEEZZNS1_14partition_implILS5_8ELb0ES3_jPKhPS6_PKS6_NS0_5tupleIJPhS6_EEENSE_IJSB_SB_EEENS0_18inequality_wrapperIN6hipcub16HIPCUB_304000_NS8EqualityEEEPlJS6_EEE10hipError_tPvRmT3_T4_T5_T6_T7_T9_mT8_P12ihipStream_tbDpT10_ENKUlT_T0_E_clISt17integral_constantIbLb0EES17_EEDaS12_S13_EUlS12_E_NS1_11comp_targetILNS1_3genE2ELNS1_11target_archE906ELNS1_3gpuE6ELNS1_3repE0EEENS1_30default_config_static_selectorELNS0_4arch9wavefront6targetE0EEEvT1_.uses_vcc, 0
	.set _ZN7rocprim17ROCPRIM_400000_NS6detail17trampoline_kernelINS0_14default_configENS1_25partition_config_selectorILNS1_17partition_subalgoE8EhNS0_10empty_typeEbEEZZNS1_14partition_implILS5_8ELb0ES3_jPKhPS6_PKS6_NS0_5tupleIJPhS6_EEENSE_IJSB_SB_EEENS0_18inequality_wrapperIN6hipcub16HIPCUB_304000_NS8EqualityEEEPlJS6_EEE10hipError_tPvRmT3_T4_T5_T6_T7_T9_mT8_P12ihipStream_tbDpT10_ENKUlT_T0_E_clISt17integral_constantIbLb0EES17_EEDaS12_S13_EUlS12_E_NS1_11comp_targetILNS1_3genE2ELNS1_11target_archE906ELNS1_3gpuE6ELNS1_3repE0EEENS1_30default_config_static_selectorELNS0_4arch9wavefront6targetE0EEEvT1_.uses_flat_scratch, 0
	.set _ZN7rocprim17ROCPRIM_400000_NS6detail17trampoline_kernelINS0_14default_configENS1_25partition_config_selectorILNS1_17partition_subalgoE8EhNS0_10empty_typeEbEEZZNS1_14partition_implILS5_8ELb0ES3_jPKhPS6_PKS6_NS0_5tupleIJPhS6_EEENSE_IJSB_SB_EEENS0_18inequality_wrapperIN6hipcub16HIPCUB_304000_NS8EqualityEEEPlJS6_EEE10hipError_tPvRmT3_T4_T5_T6_T7_T9_mT8_P12ihipStream_tbDpT10_ENKUlT_T0_E_clISt17integral_constantIbLb0EES17_EEDaS12_S13_EUlS12_E_NS1_11comp_targetILNS1_3genE2ELNS1_11target_archE906ELNS1_3gpuE6ELNS1_3repE0EEENS1_30default_config_static_selectorELNS0_4arch9wavefront6targetE0EEEvT1_.has_dyn_sized_stack, 0
	.set _ZN7rocprim17ROCPRIM_400000_NS6detail17trampoline_kernelINS0_14default_configENS1_25partition_config_selectorILNS1_17partition_subalgoE8EhNS0_10empty_typeEbEEZZNS1_14partition_implILS5_8ELb0ES3_jPKhPS6_PKS6_NS0_5tupleIJPhS6_EEENSE_IJSB_SB_EEENS0_18inequality_wrapperIN6hipcub16HIPCUB_304000_NS8EqualityEEEPlJS6_EEE10hipError_tPvRmT3_T4_T5_T6_T7_T9_mT8_P12ihipStream_tbDpT10_ENKUlT_T0_E_clISt17integral_constantIbLb0EES17_EEDaS12_S13_EUlS12_E_NS1_11comp_targetILNS1_3genE2ELNS1_11target_archE906ELNS1_3gpuE6ELNS1_3repE0EEENS1_30default_config_static_selectorELNS0_4arch9wavefront6targetE0EEEvT1_.has_recursion, 0
	.set _ZN7rocprim17ROCPRIM_400000_NS6detail17trampoline_kernelINS0_14default_configENS1_25partition_config_selectorILNS1_17partition_subalgoE8EhNS0_10empty_typeEbEEZZNS1_14partition_implILS5_8ELb0ES3_jPKhPS6_PKS6_NS0_5tupleIJPhS6_EEENSE_IJSB_SB_EEENS0_18inequality_wrapperIN6hipcub16HIPCUB_304000_NS8EqualityEEEPlJS6_EEE10hipError_tPvRmT3_T4_T5_T6_T7_T9_mT8_P12ihipStream_tbDpT10_ENKUlT_T0_E_clISt17integral_constantIbLb0EES17_EEDaS12_S13_EUlS12_E_NS1_11comp_targetILNS1_3genE2ELNS1_11target_archE906ELNS1_3gpuE6ELNS1_3repE0EEENS1_30default_config_static_selectorELNS0_4arch9wavefront6targetE0EEEvT1_.has_indirect_call, 0
	.section	.AMDGPU.csdata,"",@progbits
; Kernel info:
; codeLenInByte = 0
; TotalNumSgprs: 0
; NumVgprs: 0
; ScratchSize: 0
; MemoryBound: 0
; FloatMode: 240
; IeeeMode: 1
; LDSByteSize: 0 bytes/workgroup (compile time only)
; SGPRBlocks: 0
; VGPRBlocks: 0
; NumSGPRsForWavesPerEU: 1
; NumVGPRsForWavesPerEU: 1
; NamedBarCnt: 0
; Occupancy: 16
; WaveLimiterHint : 0
; COMPUTE_PGM_RSRC2:SCRATCH_EN: 0
; COMPUTE_PGM_RSRC2:USER_SGPR: 2
; COMPUTE_PGM_RSRC2:TRAP_HANDLER: 0
; COMPUTE_PGM_RSRC2:TGID_X_EN: 1
; COMPUTE_PGM_RSRC2:TGID_Y_EN: 0
; COMPUTE_PGM_RSRC2:TGID_Z_EN: 0
; COMPUTE_PGM_RSRC2:TIDIG_COMP_CNT: 0
	.section	.text._ZN7rocprim17ROCPRIM_400000_NS6detail17trampoline_kernelINS0_14default_configENS1_25partition_config_selectorILNS1_17partition_subalgoE8EhNS0_10empty_typeEbEEZZNS1_14partition_implILS5_8ELb0ES3_jPKhPS6_PKS6_NS0_5tupleIJPhS6_EEENSE_IJSB_SB_EEENS0_18inequality_wrapperIN6hipcub16HIPCUB_304000_NS8EqualityEEEPlJS6_EEE10hipError_tPvRmT3_T4_T5_T6_T7_T9_mT8_P12ihipStream_tbDpT10_ENKUlT_T0_E_clISt17integral_constantIbLb0EES17_EEDaS12_S13_EUlS12_E_NS1_11comp_targetILNS1_3genE10ELNS1_11target_archE1200ELNS1_3gpuE4ELNS1_3repE0EEENS1_30default_config_static_selectorELNS0_4arch9wavefront6targetE0EEEvT1_,"axG",@progbits,_ZN7rocprim17ROCPRIM_400000_NS6detail17trampoline_kernelINS0_14default_configENS1_25partition_config_selectorILNS1_17partition_subalgoE8EhNS0_10empty_typeEbEEZZNS1_14partition_implILS5_8ELb0ES3_jPKhPS6_PKS6_NS0_5tupleIJPhS6_EEENSE_IJSB_SB_EEENS0_18inequality_wrapperIN6hipcub16HIPCUB_304000_NS8EqualityEEEPlJS6_EEE10hipError_tPvRmT3_T4_T5_T6_T7_T9_mT8_P12ihipStream_tbDpT10_ENKUlT_T0_E_clISt17integral_constantIbLb0EES17_EEDaS12_S13_EUlS12_E_NS1_11comp_targetILNS1_3genE10ELNS1_11target_archE1200ELNS1_3gpuE4ELNS1_3repE0EEENS1_30default_config_static_selectorELNS0_4arch9wavefront6targetE0EEEvT1_,comdat
	.protected	_ZN7rocprim17ROCPRIM_400000_NS6detail17trampoline_kernelINS0_14default_configENS1_25partition_config_selectorILNS1_17partition_subalgoE8EhNS0_10empty_typeEbEEZZNS1_14partition_implILS5_8ELb0ES3_jPKhPS6_PKS6_NS0_5tupleIJPhS6_EEENSE_IJSB_SB_EEENS0_18inequality_wrapperIN6hipcub16HIPCUB_304000_NS8EqualityEEEPlJS6_EEE10hipError_tPvRmT3_T4_T5_T6_T7_T9_mT8_P12ihipStream_tbDpT10_ENKUlT_T0_E_clISt17integral_constantIbLb0EES17_EEDaS12_S13_EUlS12_E_NS1_11comp_targetILNS1_3genE10ELNS1_11target_archE1200ELNS1_3gpuE4ELNS1_3repE0EEENS1_30default_config_static_selectorELNS0_4arch9wavefront6targetE0EEEvT1_ ; -- Begin function _ZN7rocprim17ROCPRIM_400000_NS6detail17trampoline_kernelINS0_14default_configENS1_25partition_config_selectorILNS1_17partition_subalgoE8EhNS0_10empty_typeEbEEZZNS1_14partition_implILS5_8ELb0ES3_jPKhPS6_PKS6_NS0_5tupleIJPhS6_EEENSE_IJSB_SB_EEENS0_18inequality_wrapperIN6hipcub16HIPCUB_304000_NS8EqualityEEEPlJS6_EEE10hipError_tPvRmT3_T4_T5_T6_T7_T9_mT8_P12ihipStream_tbDpT10_ENKUlT_T0_E_clISt17integral_constantIbLb0EES17_EEDaS12_S13_EUlS12_E_NS1_11comp_targetILNS1_3genE10ELNS1_11target_archE1200ELNS1_3gpuE4ELNS1_3repE0EEENS1_30default_config_static_selectorELNS0_4arch9wavefront6targetE0EEEvT1_
	.globl	_ZN7rocprim17ROCPRIM_400000_NS6detail17trampoline_kernelINS0_14default_configENS1_25partition_config_selectorILNS1_17partition_subalgoE8EhNS0_10empty_typeEbEEZZNS1_14partition_implILS5_8ELb0ES3_jPKhPS6_PKS6_NS0_5tupleIJPhS6_EEENSE_IJSB_SB_EEENS0_18inequality_wrapperIN6hipcub16HIPCUB_304000_NS8EqualityEEEPlJS6_EEE10hipError_tPvRmT3_T4_T5_T6_T7_T9_mT8_P12ihipStream_tbDpT10_ENKUlT_T0_E_clISt17integral_constantIbLb0EES17_EEDaS12_S13_EUlS12_E_NS1_11comp_targetILNS1_3genE10ELNS1_11target_archE1200ELNS1_3gpuE4ELNS1_3repE0EEENS1_30default_config_static_selectorELNS0_4arch9wavefront6targetE0EEEvT1_
	.p2align	8
	.type	_ZN7rocprim17ROCPRIM_400000_NS6detail17trampoline_kernelINS0_14default_configENS1_25partition_config_selectorILNS1_17partition_subalgoE8EhNS0_10empty_typeEbEEZZNS1_14partition_implILS5_8ELb0ES3_jPKhPS6_PKS6_NS0_5tupleIJPhS6_EEENSE_IJSB_SB_EEENS0_18inequality_wrapperIN6hipcub16HIPCUB_304000_NS8EqualityEEEPlJS6_EEE10hipError_tPvRmT3_T4_T5_T6_T7_T9_mT8_P12ihipStream_tbDpT10_ENKUlT_T0_E_clISt17integral_constantIbLb0EES17_EEDaS12_S13_EUlS12_E_NS1_11comp_targetILNS1_3genE10ELNS1_11target_archE1200ELNS1_3gpuE4ELNS1_3repE0EEENS1_30default_config_static_selectorELNS0_4arch9wavefront6targetE0EEEvT1_,@function
_ZN7rocprim17ROCPRIM_400000_NS6detail17trampoline_kernelINS0_14default_configENS1_25partition_config_selectorILNS1_17partition_subalgoE8EhNS0_10empty_typeEbEEZZNS1_14partition_implILS5_8ELb0ES3_jPKhPS6_PKS6_NS0_5tupleIJPhS6_EEENSE_IJSB_SB_EEENS0_18inequality_wrapperIN6hipcub16HIPCUB_304000_NS8EqualityEEEPlJS6_EEE10hipError_tPvRmT3_T4_T5_T6_T7_T9_mT8_P12ihipStream_tbDpT10_ENKUlT_T0_E_clISt17integral_constantIbLb0EES17_EEDaS12_S13_EUlS12_E_NS1_11comp_targetILNS1_3genE10ELNS1_11target_archE1200ELNS1_3gpuE4ELNS1_3repE0EEENS1_30default_config_static_selectorELNS0_4arch9wavefront6targetE0EEEvT1_: ; @_ZN7rocprim17ROCPRIM_400000_NS6detail17trampoline_kernelINS0_14default_configENS1_25partition_config_selectorILNS1_17partition_subalgoE8EhNS0_10empty_typeEbEEZZNS1_14partition_implILS5_8ELb0ES3_jPKhPS6_PKS6_NS0_5tupleIJPhS6_EEENSE_IJSB_SB_EEENS0_18inequality_wrapperIN6hipcub16HIPCUB_304000_NS8EqualityEEEPlJS6_EEE10hipError_tPvRmT3_T4_T5_T6_T7_T9_mT8_P12ihipStream_tbDpT10_ENKUlT_T0_E_clISt17integral_constantIbLb0EES17_EEDaS12_S13_EUlS12_E_NS1_11comp_targetILNS1_3genE10ELNS1_11target_archE1200ELNS1_3gpuE4ELNS1_3repE0EEENS1_30default_config_static_selectorELNS0_4arch9wavefront6targetE0EEEvT1_
; %bb.0:
	.section	.rodata,"a",@progbits
	.p2align	6, 0x0
	.amdhsa_kernel _ZN7rocprim17ROCPRIM_400000_NS6detail17trampoline_kernelINS0_14default_configENS1_25partition_config_selectorILNS1_17partition_subalgoE8EhNS0_10empty_typeEbEEZZNS1_14partition_implILS5_8ELb0ES3_jPKhPS6_PKS6_NS0_5tupleIJPhS6_EEENSE_IJSB_SB_EEENS0_18inequality_wrapperIN6hipcub16HIPCUB_304000_NS8EqualityEEEPlJS6_EEE10hipError_tPvRmT3_T4_T5_T6_T7_T9_mT8_P12ihipStream_tbDpT10_ENKUlT_T0_E_clISt17integral_constantIbLb0EES17_EEDaS12_S13_EUlS12_E_NS1_11comp_targetILNS1_3genE10ELNS1_11target_archE1200ELNS1_3gpuE4ELNS1_3repE0EEENS1_30default_config_static_selectorELNS0_4arch9wavefront6targetE0EEEvT1_
		.amdhsa_group_segment_fixed_size 0
		.amdhsa_private_segment_fixed_size 0
		.amdhsa_kernarg_size 112
		.amdhsa_user_sgpr_count 2
		.amdhsa_user_sgpr_dispatch_ptr 0
		.amdhsa_user_sgpr_queue_ptr 0
		.amdhsa_user_sgpr_kernarg_segment_ptr 1
		.amdhsa_user_sgpr_dispatch_id 0
		.amdhsa_user_sgpr_kernarg_preload_length 0
		.amdhsa_user_sgpr_kernarg_preload_offset 0
		.amdhsa_user_sgpr_private_segment_size 0
		.amdhsa_wavefront_size32 1
		.amdhsa_uses_dynamic_stack 0
		.amdhsa_enable_private_segment 0
		.amdhsa_system_sgpr_workgroup_id_x 1
		.amdhsa_system_sgpr_workgroup_id_y 0
		.amdhsa_system_sgpr_workgroup_id_z 0
		.amdhsa_system_sgpr_workgroup_info 0
		.amdhsa_system_vgpr_workitem_id 0
		.amdhsa_next_free_vgpr 1
		.amdhsa_next_free_sgpr 1
		.amdhsa_named_barrier_count 0
		.amdhsa_reserve_vcc 0
		.amdhsa_float_round_mode_32 0
		.amdhsa_float_round_mode_16_64 0
		.amdhsa_float_denorm_mode_32 3
		.amdhsa_float_denorm_mode_16_64 3
		.amdhsa_fp16_overflow 0
		.amdhsa_memory_ordered 1
		.amdhsa_forward_progress 1
		.amdhsa_inst_pref_size 0
		.amdhsa_round_robin_scheduling 0
		.amdhsa_exception_fp_ieee_invalid_op 0
		.amdhsa_exception_fp_denorm_src 0
		.amdhsa_exception_fp_ieee_div_zero 0
		.amdhsa_exception_fp_ieee_overflow 0
		.amdhsa_exception_fp_ieee_underflow 0
		.amdhsa_exception_fp_ieee_inexact 0
		.amdhsa_exception_int_div_zero 0
	.end_amdhsa_kernel
	.section	.text._ZN7rocprim17ROCPRIM_400000_NS6detail17trampoline_kernelINS0_14default_configENS1_25partition_config_selectorILNS1_17partition_subalgoE8EhNS0_10empty_typeEbEEZZNS1_14partition_implILS5_8ELb0ES3_jPKhPS6_PKS6_NS0_5tupleIJPhS6_EEENSE_IJSB_SB_EEENS0_18inequality_wrapperIN6hipcub16HIPCUB_304000_NS8EqualityEEEPlJS6_EEE10hipError_tPvRmT3_T4_T5_T6_T7_T9_mT8_P12ihipStream_tbDpT10_ENKUlT_T0_E_clISt17integral_constantIbLb0EES17_EEDaS12_S13_EUlS12_E_NS1_11comp_targetILNS1_3genE10ELNS1_11target_archE1200ELNS1_3gpuE4ELNS1_3repE0EEENS1_30default_config_static_selectorELNS0_4arch9wavefront6targetE0EEEvT1_,"axG",@progbits,_ZN7rocprim17ROCPRIM_400000_NS6detail17trampoline_kernelINS0_14default_configENS1_25partition_config_selectorILNS1_17partition_subalgoE8EhNS0_10empty_typeEbEEZZNS1_14partition_implILS5_8ELb0ES3_jPKhPS6_PKS6_NS0_5tupleIJPhS6_EEENSE_IJSB_SB_EEENS0_18inequality_wrapperIN6hipcub16HIPCUB_304000_NS8EqualityEEEPlJS6_EEE10hipError_tPvRmT3_T4_T5_T6_T7_T9_mT8_P12ihipStream_tbDpT10_ENKUlT_T0_E_clISt17integral_constantIbLb0EES17_EEDaS12_S13_EUlS12_E_NS1_11comp_targetILNS1_3genE10ELNS1_11target_archE1200ELNS1_3gpuE4ELNS1_3repE0EEENS1_30default_config_static_selectorELNS0_4arch9wavefront6targetE0EEEvT1_,comdat
.Lfunc_end139:
	.size	_ZN7rocprim17ROCPRIM_400000_NS6detail17trampoline_kernelINS0_14default_configENS1_25partition_config_selectorILNS1_17partition_subalgoE8EhNS0_10empty_typeEbEEZZNS1_14partition_implILS5_8ELb0ES3_jPKhPS6_PKS6_NS0_5tupleIJPhS6_EEENSE_IJSB_SB_EEENS0_18inequality_wrapperIN6hipcub16HIPCUB_304000_NS8EqualityEEEPlJS6_EEE10hipError_tPvRmT3_T4_T5_T6_T7_T9_mT8_P12ihipStream_tbDpT10_ENKUlT_T0_E_clISt17integral_constantIbLb0EES17_EEDaS12_S13_EUlS12_E_NS1_11comp_targetILNS1_3genE10ELNS1_11target_archE1200ELNS1_3gpuE4ELNS1_3repE0EEENS1_30default_config_static_selectorELNS0_4arch9wavefront6targetE0EEEvT1_, .Lfunc_end139-_ZN7rocprim17ROCPRIM_400000_NS6detail17trampoline_kernelINS0_14default_configENS1_25partition_config_selectorILNS1_17partition_subalgoE8EhNS0_10empty_typeEbEEZZNS1_14partition_implILS5_8ELb0ES3_jPKhPS6_PKS6_NS0_5tupleIJPhS6_EEENSE_IJSB_SB_EEENS0_18inequality_wrapperIN6hipcub16HIPCUB_304000_NS8EqualityEEEPlJS6_EEE10hipError_tPvRmT3_T4_T5_T6_T7_T9_mT8_P12ihipStream_tbDpT10_ENKUlT_T0_E_clISt17integral_constantIbLb0EES17_EEDaS12_S13_EUlS12_E_NS1_11comp_targetILNS1_3genE10ELNS1_11target_archE1200ELNS1_3gpuE4ELNS1_3repE0EEENS1_30default_config_static_selectorELNS0_4arch9wavefront6targetE0EEEvT1_
                                        ; -- End function
	.set _ZN7rocprim17ROCPRIM_400000_NS6detail17trampoline_kernelINS0_14default_configENS1_25partition_config_selectorILNS1_17partition_subalgoE8EhNS0_10empty_typeEbEEZZNS1_14partition_implILS5_8ELb0ES3_jPKhPS6_PKS6_NS0_5tupleIJPhS6_EEENSE_IJSB_SB_EEENS0_18inequality_wrapperIN6hipcub16HIPCUB_304000_NS8EqualityEEEPlJS6_EEE10hipError_tPvRmT3_T4_T5_T6_T7_T9_mT8_P12ihipStream_tbDpT10_ENKUlT_T0_E_clISt17integral_constantIbLb0EES17_EEDaS12_S13_EUlS12_E_NS1_11comp_targetILNS1_3genE10ELNS1_11target_archE1200ELNS1_3gpuE4ELNS1_3repE0EEENS1_30default_config_static_selectorELNS0_4arch9wavefront6targetE0EEEvT1_.num_vgpr, 0
	.set _ZN7rocprim17ROCPRIM_400000_NS6detail17trampoline_kernelINS0_14default_configENS1_25partition_config_selectorILNS1_17partition_subalgoE8EhNS0_10empty_typeEbEEZZNS1_14partition_implILS5_8ELb0ES3_jPKhPS6_PKS6_NS0_5tupleIJPhS6_EEENSE_IJSB_SB_EEENS0_18inequality_wrapperIN6hipcub16HIPCUB_304000_NS8EqualityEEEPlJS6_EEE10hipError_tPvRmT3_T4_T5_T6_T7_T9_mT8_P12ihipStream_tbDpT10_ENKUlT_T0_E_clISt17integral_constantIbLb0EES17_EEDaS12_S13_EUlS12_E_NS1_11comp_targetILNS1_3genE10ELNS1_11target_archE1200ELNS1_3gpuE4ELNS1_3repE0EEENS1_30default_config_static_selectorELNS0_4arch9wavefront6targetE0EEEvT1_.num_agpr, 0
	.set _ZN7rocprim17ROCPRIM_400000_NS6detail17trampoline_kernelINS0_14default_configENS1_25partition_config_selectorILNS1_17partition_subalgoE8EhNS0_10empty_typeEbEEZZNS1_14partition_implILS5_8ELb0ES3_jPKhPS6_PKS6_NS0_5tupleIJPhS6_EEENSE_IJSB_SB_EEENS0_18inequality_wrapperIN6hipcub16HIPCUB_304000_NS8EqualityEEEPlJS6_EEE10hipError_tPvRmT3_T4_T5_T6_T7_T9_mT8_P12ihipStream_tbDpT10_ENKUlT_T0_E_clISt17integral_constantIbLb0EES17_EEDaS12_S13_EUlS12_E_NS1_11comp_targetILNS1_3genE10ELNS1_11target_archE1200ELNS1_3gpuE4ELNS1_3repE0EEENS1_30default_config_static_selectorELNS0_4arch9wavefront6targetE0EEEvT1_.numbered_sgpr, 0
	.set _ZN7rocprim17ROCPRIM_400000_NS6detail17trampoline_kernelINS0_14default_configENS1_25partition_config_selectorILNS1_17partition_subalgoE8EhNS0_10empty_typeEbEEZZNS1_14partition_implILS5_8ELb0ES3_jPKhPS6_PKS6_NS0_5tupleIJPhS6_EEENSE_IJSB_SB_EEENS0_18inequality_wrapperIN6hipcub16HIPCUB_304000_NS8EqualityEEEPlJS6_EEE10hipError_tPvRmT3_T4_T5_T6_T7_T9_mT8_P12ihipStream_tbDpT10_ENKUlT_T0_E_clISt17integral_constantIbLb0EES17_EEDaS12_S13_EUlS12_E_NS1_11comp_targetILNS1_3genE10ELNS1_11target_archE1200ELNS1_3gpuE4ELNS1_3repE0EEENS1_30default_config_static_selectorELNS0_4arch9wavefront6targetE0EEEvT1_.num_named_barrier, 0
	.set _ZN7rocprim17ROCPRIM_400000_NS6detail17trampoline_kernelINS0_14default_configENS1_25partition_config_selectorILNS1_17partition_subalgoE8EhNS0_10empty_typeEbEEZZNS1_14partition_implILS5_8ELb0ES3_jPKhPS6_PKS6_NS0_5tupleIJPhS6_EEENSE_IJSB_SB_EEENS0_18inequality_wrapperIN6hipcub16HIPCUB_304000_NS8EqualityEEEPlJS6_EEE10hipError_tPvRmT3_T4_T5_T6_T7_T9_mT8_P12ihipStream_tbDpT10_ENKUlT_T0_E_clISt17integral_constantIbLb0EES17_EEDaS12_S13_EUlS12_E_NS1_11comp_targetILNS1_3genE10ELNS1_11target_archE1200ELNS1_3gpuE4ELNS1_3repE0EEENS1_30default_config_static_selectorELNS0_4arch9wavefront6targetE0EEEvT1_.private_seg_size, 0
	.set _ZN7rocprim17ROCPRIM_400000_NS6detail17trampoline_kernelINS0_14default_configENS1_25partition_config_selectorILNS1_17partition_subalgoE8EhNS0_10empty_typeEbEEZZNS1_14partition_implILS5_8ELb0ES3_jPKhPS6_PKS6_NS0_5tupleIJPhS6_EEENSE_IJSB_SB_EEENS0_18inequality_wrapperIN6hipcub16HIPCUB_304000_NS8EqualityEEEPlJS6_EEE10hipError_tPvRmT3_T4_T5_T6_T7_T9_mT8_P12ihipStream_tbDpT10_ENKUlT_T0_E_clISt17integral_constantIbLb0EES17_EEDaS12_S13_EUlS12_E_NS1_11comp_targetILNS1_3genE10ELNS1_11target_archE1200ELNS1_3gpuE4ELNS1_3repE0EEENS1_30default_config_static_selectorELNS0_4arch9wavefront6targetE0EEEvT1_.uses_vcc, 0
	.set _ZN7rocprim17ROCPRIM_400000_NS6detail17trampoline_kernelINS0_14default_configENS1_25partition_config_selectorILNS1_17partition_subalgoE8EhNS0_10empty_typeEbEEZZNS1_14partition_implILS5_8ELb0ES3_jPKhPS6_PKS6_NS0_5tupleIJPhS6_EEENSE_IJSB_SB_EEENS0_18inequality_wrapperIN6hipcub16HIPCUB_304000_NS8EqualityEEEPlJS6_EEE10hipError_tPvRmT3_T4_T5_T6_T7_T9_mT8_P12ihipStream_tbDpT10_ENKUlT_T0_E_clISt17integral_constantIbLb0EES17_EEDaS12_S13_EUlS12_E_NS1_11comp_targetILNS1_3genE10ELNS1_11target_archE1200ELNS1_3gpuE4ELNS1_3repE0EEENS1_30default_config_static_selectorELNS0_4arch9wavefront6targetE0EEEvT1_.uses_flat_scratch, 0
	.set _ZN7rocprim17ROCPRIM_400000_NS6detail17trampoline_kernelINS0_14default_configENS1_25partition_config_selectorILNS1_17partition_subalgoE8EhNS0_10empty_typeEbEEZZNS1_14partition_implILS5_8ELb0ES3_jPKhPS6_PKS6_NS0_5tupleIJPhS6_EEENSE_IJSB_SB_EEENS0_18inequality_wrapperIN6hipcub16HIPCUB_304000_NS8EqualityEEEPlJS6_EEE10hipError_tPvRmT3_T4_T5_T6_T7_T9_mT8_P12ihipStream_tbDpT10_ENKUlT_T0_E_clISt17integral_constantIbLb0EES17_EEDaS12_S13_EUlS12_E_NS1_11comp_targetILNS1_3genE10ELNS1_11target_archE1200ELNS1_3gpuE4ELNS1_3repE0EEENS1_30default_config_static_selectorELNS0_4arch9wavefront6targetE0EEEvT1_.has_dyn_sized_stack, 0
	.set _ZN7rocprim17ROCPRIM_400000_NS6detail17trampoline_kernelINS0_14default_configENS1_25partition_config_selectorILNS1_17partition_subalgoE8EhNS0_10empty_typeEbEEZZNS1_14partition_implILS5_8ELb0ES3_jPKhPS6_PKS6_NS0_5tupleIJPhS6_EEENSE_IJSB_SB_EEENS0_18inequality_wrapperIN6hipcub16HIPCUB_304000_NS8EqualityEEEPlJS6_EEE10hipError_tPvRmT3_T4_T5_T6_T7_T9_mT8_P12ihipStream_tbDpT10_ENKUlT_T0_E_clISt17integral_constantIbLb0EES17_EEDaS12_S13_EUlS12_E_NS1_11comp_targetILNS1_3genE10ELNS1_11target_archE1200ELNS1_3gpuE4ELNS1_3repE0EEENS1_30default_config_static_selectorELNS0_4arch9wavefront6targetE0EEEvT1_.has_recursion, 0
	.set _ZN7rocprim17ROCPRIM_400000_NS6detail17trampoline_kernelINS0_14default_configENS1_25partition_config_selectorILNS1_17partition_subalgoE8EhNS0_10empty_typeEbEEZZNS1_14partition_implILS5_8ELb0ES3_jPKhPS6_PKS6_NS0_5tupleIJPhS6_EEENSE_IJSB_SB_EEENS0_18inequality_wrapperIN6hipcub16HIPCUB_304000_NS8EqualityEEEPlJS6_EEE10hipError_tPvRmT3_T4_T5_T6_T7_T9_mT8_P12ihipStream_tbDpT10_ENKUlT_T0_E_clISt17integral_constantIbLb0EES17_EEDaS12_S13_EUlS12_E_NS1_11comp_targetILNS1_3genE10ELNS1_11target_archE1200ELNS1_3gpuE4ELNS1_3repE0EEENS1_30default_config_static_selectorELNS0_4arch9wavefront6targetE0EEEvT1_.has_indirect_call, 0
	.section	.AMDGPU.csdata,"",@progbits
; Kernel info:
; codeLenInByte = 0
; TotalNumSgprs: 0
; NumVgprs: 0
; ScratchSize: 0
; MemoryBound: 0
; FloatMode: 240
; IeeeMode: 1
; LDSByteSize: 0 bytes/workgroup (compile time only)
; SGPRBlocks: 0
; VGPRBlocks: 0
; NumSGPRsForWavesPerEU: 1
; NumVGPRsForWavesPerEU: 1
; NamedBarCnt: 0
; Occupancy: 16
; WaveLimiterHint : 0
; COMPUTE_PGM_RSRC2:SCRATCH_EN: 0
; COMPUTE_PGM_RSRC2:USER_SGPR: 2
; COMPUTE_PGM_RSRC2:TRAP_HANDLER: 0
; COMPUTE_PGM_RSRC2:TGID_X_EN: 1
; COMPUTE_PGM_RSRC2:TGID_Y_EN: 0
; COMPUTE_PGM_RSRC2:TGID_Z_EN: 0
; COMPUTE_PGM_RSRC2:TIDIG_COMP_CNT: 0
	.section	.text._ZN7rocprim17ROCPRIM_400000_NS6detail17trampoline_kernelINS0_14default_configENS1_25partition_config_selectorILNS1_17partition_subalgoE8EhNS0_10empty_typeEbEEZZNS1_14partition_implILS5_8ELb0ES3_jPKhPS6_PKS6_NS0_5tupleIJPhS6_EEENSE_IJSB_SB_EEENS0_18inequality_wrapperIN6hipcub16HIPCUB_304000_NS8EqualityEEEPlJS6_EEE10hipError_tPvRmT3_T4_T5_T6_T7_T9_mT8_P12ihipStream_tbDpT10_ENKUlT_T0_E_clISt17integral_constantIbLb0EES17_EEDaS12_S13_EUlS12_E_NS1_11comp_targetILNS1_3genE9ELNS1_11target_archE1100ELNS1_3gpuE3ELNS1_3repE0EEENS1_30default_config_static_selectorELNS0_4arch9wavefront6targetE0EEEvT1_,"axG",@progbits,_ZN7rocprim17ROCPRIM_400000_NS6detail17trampoline_kernelINS0_14default_configENS1_25partition_config_selectorILNS1_17partition_subalgoE8EhNS0_10empty_typeEbEEZZNS1_14partition_implILS5_8ELb0ES3_jPKhPS6_PKS6_NS0_5tupleIJPhS6_EEENSE_IJSB_SB_EEENS0_18inequality_wrapperIN6hipcub16HIPCUB_304000_NS8EqualityEEEPlJS6_EEE10hipError_tPvRmT3_T4_T5_T6_T7_T9_mT8_P12ihipStream_tbDpT10_ENKUlT_T0_E_clISt17integral_constantIbLb0EES17_EEDaS12_S13_EUlS12_E_NS1_11comp_targetILNS1_3genE9ELNS1_11target_archE1100ELNS1_3gpuE3ELNS1_3repE0EEENS1_30default_config_static_selectorELNS0_4arch9wavefront6targetE0EEEvT1_,comdat
	.protected	_ZN7rocprim17ROCPRIM_400000_NS6detail17trampoline_kernelINS0_14default_configENS1_25partition_config_selectorILNS1_17partition_subalgoE8EhNS0_10empty_typeEbEEZZNS1_14partition_implILS5_8ELb0ES3_jPKhPS6_PKS6_NS0_5tupleIJPhS6_EEENSE_IJSB_SB_EEENS0_18inequality_wrapperIN6hipcub16HIPCUB_304000_NS8EqualityEEEPlJS6_EEE10hipError_tPvRmT3_T4_T5_T6_T7_T9_mT8_P12ihipStream_tbDpT10_ENKUlT_T0_E_clISt17integral_constantIbLb0EES17_EEDaS12_S13_EUlS12_E_NS1_11comp_targetILNS1_3genE9ELNS1_11target_archE1100ELNS1_3gpuE3ELNS1_3repE0EEENS1_30default_config_static_selectorELNS0_4arch9wavefront6targetE0EEEvT1_ ; -- Begin function _ZN7rocprim17ROCPRIM_400000_NS6detail17trampoline_kernelINS0_14default_configENS1_25partition_config_selectorILNS1_17partition_subalgoE8EhNS0_10empty_typeEbEEZZNS1_14partition_implILS5_8ELb0ES3_jPKhPS6_PKS6_NS0_5tupleIJPhS6_EEENSE_IJSB_SB_EEENS0_18inequality_wrapperIN6hipcub16HIPCUB_304000_NS8EqualityEEEPlJS6_EEE10hipError_tPvRmT3_T4_T5_T6_T7_T9_mT8_P12ihipStream_tbDpT10_ENKUlT_T0_E_clISt17integral_constantIbLb0EES17_EEDaS12_S13_EUlS12_E_NS1_11comp_targetILNS1_3genE9ELNS1_11target_archE1100ELNS1_3gpuE3ELNS1_3repE0EEENS1_30default_config_static_selectorELNS0_4arch9wavefront6targetE0EEEvT1_
	.globl	_ZN7rocprim17ROCPRIM_400000_NS6detail17trampoline_kernelINS0_14default_configENS1_25partition_config_selectorILNS1_17partition_subalgoE8EhNS0_10empty_typeEbEEZZNS1_14partition_implILS5_8ELb0ES3_jPKhPS6_PKS6_NS0_5tupleIJPhS6_EEENSE_IJSB_SB_EEENS0_18inequality_wrapperIN6hipcub16HIPCUB_304000_NS8EqualityEEEPlJS6_EEE10hipError_tPvRmT3_T4_T5_T6_T7_T9_mT8_P12ihipStream_tbDpT10_ENKUlT_T0_E_clISt17integral_constantIbLb0EES17_EEDaS12_S13_EUlS12_E_NS1_11comp_targetILNS1_3genE9ELNS1_11target_archE1100ELNS1_3gpuE3ELNS1_3repE0EEENS1_30default_config_static_selectorELNS0_4arch9wavefront6targetE0EEEvT1_
	.p2align	8
	.type	_ZN7rocprim17ROCPRIM_400000_NS6detail17trampoline_kernelINS0_14default_configENS1_25partition_config_selectorILNS1_17partition_subalgoE8EhNS0_10empty_typeEbEEZZNS1_14partition_implILS5_8ELb0ES3_jPKhPS6_PKS6_NS0_5tupleIJPhS6_EEENSE_IJSB_SB_EEENS0_18inequality_wrapperIN6hipcub16HIPCUB_304000_NS8EqualityEEEPlJS6_EEE10hipError_tPvRmT3_T4_T5_T6_T7_T9_mT8_P12ihipStream_tbDpT10_ENKUlT_T0_E_clISt17integral_constantIbLb0EES17_EEDaS12_S13_EUlS12_E_NS1_11comp_targetILNS1_3genE9ELNS1_11target_archE1100ELNS1_3gpuE3ELNS1_3repE0EEENS1_30default_config_static_selectorELNS0_4arch9wavefront6targetE0EEEvT1_,@function
_ZN7rocprim17ROCPRIM_400000_NS6detail17trampoline_kernelINS0_14default_configENS1_25partition_config_selectorILNS1_17partition_subalgoE8EhNS0_10empty_typeEbEEZZNS1_14partition_implILS5_8ELb0ES3_jPKhPS6_PKS6_NS0_5tupleIJPhS6_EEENSE_IJSB_SB_EEENS0_18inequality_wrapperIN6hipcub16HIPCUB_304000_NS8EqualityEEEPlJS6_EEE10hipError_tPvRmT3_T4_T5_T6_T7_T9_mT8_P12ihipStream_tbDpT10_ENKUlT_T0_E_clISt17integral_constantIbLb0EES17_EEDaS12_S13_EUlS12_E_NS1_11comp_targetILNS1_3genE9ELNS1_11target_archE1100ELNS1_3gpuE3ELNS1_3repE0EEENS1_30default_config_static_selectorELNS0_4arch9wavefront6targetE0EEEvT1_: ; @_ZN7rocprim17ROCPRIM_400000_NS6detail17trampoline_kernelINS0_14default_configENS1_25partition_config_selectorILNS1_17partition_subalgoE8EhNS0_10empty_typeEbEEZZNS1_14partition_implILS5_8ELb0ES3_jPKhPS6_PKS6_NS0_5tupleIJPhS6_EEENSE_IJSB_SB_EEENS0_18inequality_wrapperIN6hipcub16HIPCUB_304000_NS8EqualityEEEPlJS6_EEE10hipError_tPvRmT3_T4_T5_T6_T7_T9_mT8_P12ihipStream_tbDpT10_ENKUlT_T0_E_clISt17integral_constantIbLb0EES17_EEDaS12_S13_EUlS12_E_NS1_11comp_targetILNS1_3genE9ELNS1_11target_archE1100ELNS1_3gpuE3ELNS1_3repE0EEENS1_30default_config_static_selectorELNS0_4arch9wavefront6targetE0EEEvT1_
; %bb.0:
	.section	.rodata,"a",@progbits
	.p2align	6, 0x0
	.amdhsa_kernel _ZN7rocprim17ROCPRIM_400000_NS6detail17trampoline_kernelINS0_14default_configENS1_25partition_config_selectorILNS1_17partition_subalgoE8EhNS0_10empty_typeEbEEZZNS1_14partition_implILS5_8ELb0ES3_jPKhPS6_PKS6_NS0_5tupleIJPhS6_EEENSE_IJSB_SB_EEENS0_18inequality_wrapperIN6hipcub16HIPCUB_304000_NS8EqualityEEEPlJS6_EEE10hipError_tPvRmT3_T4_T5_T6_T7_T9_mT8_P12ihipStream_tbDpT10_ENKUlT_T0_E_clISt17integral_constantIbLb0EES17_EEDaS12_S13_EUlS12_E_NS1_11comp_targetILNS1_3genE9ELNS1_11target_archE1100ELNS1_3gpuE3ELNS1_3repE0EEENS1_30default_config_static_selectorELNS0_4arch9wavefront6targetE0EEEvT1_
		.amdhsa_group_segment_fixed_size 0
		.amdhsa_private_segment_fixed_size 0
		.amdhsa_kernarg_size 112
		.amdhsa_user_sgpr_count 2
		.amdhsa_user_sgpr_dispatch_ptr 0
		.amdhsa_user_sgpr_queue_ptr 0
		.amdhsa_user_sgpr_kernarg_segment_ptr 1
		.amdhsa_user_sgpr_dispatch_id 0
		.amdhsa_user_sgpr_kernarg_preload_length 0
		.amdhsa_user_sgpr_kernarg_preload_offset 0
		.amdhsa_user_sgpr_private_segment_size 0
		.amdhsa_wavefront_size32 1
		.amdhsa_uses_dynamic_stack 0
		.amdhsa_enable_private_segment 0
		.amdhsa_system_sgpr_workgroup_id_x 1
		.amdhsa_system_sgpr_workgroup_id_y 0
		.amdhsa_system_sgpr_workgroup_id_z 0
		.amdhsa_system_sgpr_workgroup_info 0
		.amdhsa_system_vgpr_workitem_id 0
		.amdhsa_next_free_vgpr 1
		.amdhsa_next_free_sgpr 1
		.amdhsa_named_barrier_count 0
		.amdhsa_reserve_vcc 0
		.amdhsa_float_round_mode_32 0
		.amdhsa_float_round_mode_16_64 0
		.amdhsa_float_denorm_mode_32 3
		.amdhsa_float_denorm_mode_16_64 3
		.amdhsa_fp16_overflow 0
		.amdhsa_memory_ordered 1
		.amdhsa_forward_progress 1
		.amdhsa_inst_pref_size 0
		.amdhsa_round_robin_scheduling 0
		.amdhsa_exception_fp_ieee_invalid_op 0
		.amdhsa_exception_fp_denorm_src 0
		.amdhsa_exception_fp_ieee_div_zero 0
		.amdhsa_exception_fp_ieee_overflow 0
		.amdhsa_exception_fp_ieee_underflow 0
		.amdhsa_exception_fp_ieee_inexact 0
		.amdhsa_exception_int_div_zero 0
	.end_amdhsa_kernel
	.section	.text._ZN7rocprim17ROCPRIM_400000_NS6detail17trampoline_kernelINS0_14default_configENS1_25partition_config_selectorILNS1_17partition_subalgoE8EhNS0_10empty_typeEbEEZZNS1_14partition_implILS5_8ELb0ES3_jPKhPS6_PKS6_NS0_5tupleIJPhS6_EEENSE_IJSB_SB_EEENS0_18inequality_wrapperIN6hipcub16HIPCUB_304000_NS8EqualityEEEPlJS6_EEE10hipError_tPvRmT3_T4_T5_T6_T7_T9_mT8_P12ihipStream_tbDpT10_ENKUlT_T0_E_clISt17integral_constantIbLb0EES17_EEDaS12_S13_EUlS12_E_NS1_11comp_targetILNS1_3genE9ELNS1_11target_archE1100ELNS1_3gpuE3ELNS1_3repE0EEENS1_30default_config_static_selectorELNS0_4arch9wavefront6targetE0EEEvT1_,"axG",@progbits,_ZN7rocprim17ROCPRIM_400000_NS6detail17trampoline_kernelINS0_14default_configENS1_25partition_config_selectorILNS1_17partition_subalgoE8EhNS0_10empty_typeEbEEZZNS1_14partition_implILS5_8ELb0ES3_jPKhPS6_PKS6_NS0_5tupleIJPhS6_EEENSE_IJSB_SB_EEENS0_18inequality_wrapperIN6hipcub16HIPCUB_304000_NS8EqualityEEEPlJS6_EEE10hipError_tPvRmT3_T4_T5_T6_T7_T9_mT8_P12ihipStream_tbDpT10_ENKUlT_T0_E_clISt17integral_constantIbLb0EES17_EEDaS12_S13_EUlS12_E_NS1_11comp_targetILNS1_3genE9ELNS1_11target_archE1100ELNS1_3gpuE3ELNS1_3repE0EEENS1_30default_config_static_selectorELNS0_4arch9wavefront6targetE0EEEvT1_,comdat
.Lfunc_end140:
	.size	_ZN7rocprim17ROCPRIM_400000_NS6detail17trampoline_kernelINS0_14default_configENS1_25partition_config_selectorILNS1_17partition_subalgoE8EhNS0_10empty_typeEbEEZZNS1_14partition_implILS5_8ELb0ES3_jPKhPS6_PKS6_NS0_5tupleIJPhS6_EEENSE_IJSB_SB_EEENS0_18inequality_wrapperIN6hipcub16HIPCUB_304000_NS8EqualityEEEPlJS6_EEE10hipError_tPvRmT3_T4_T5_T6_T7_T9_mT8_P12ihipStream_tbDpT10_ENKUlT_T0_E_clISt17integral_constantIbLb0EES17_EEDaS12_S13_EUlS12_E_NS1_11comp_targetILNS1_3genE9ELNS1_11target_archE1100ELNS1_3gpuE3ELNS1_3repE0EEENS1_30default_config_static_selectorELNS0_4arch9wavefront6targetE0EEEvT1_, .Lfunc_end140-_ZN7rocprim17ROCPRIM_400000_NS6detail17trampoline_kernelINS0_14default_configENS1_25partition_config_selectorILNS1_17partition_subalgoE8EhNS0_10empty_typeEbEEZZNS1_14partition_implILS5_8ELb0ES3_jPKhPS6_PKS6_NS0_5tupleIJPhS6_EEENSE_IJSB_SB_EEENS0_18inequality_wrapperIN6hipcub16HIPCUB_304000_NS8EqualityEEEPlJS6_EEE10hipError_tPvRmT3_T4_T5_T6_T7_T9_mT8_P12ihipStream_tbDpT10_ENKUlT_T0_E_clISt17integral_constantIbLb0EES17_EEDaS12_S13_EUlS12_E_NS1_11comp_targetILNS1_3genE9ELNS1_11target_archE1100ELNS1_3gpuE3ELNS1_3repE0EEENS1_30default_config_static_selectorELNS0_4arch9wavefront6targetE0EEEvT1_
                                        ; -- End function
	.set _ZN7rocprim17ROCPRIM_400000_NS6detail17trampoline_kernelINS0_14default_configENS1_25partition_config_selectorILNS1_17partition_subalgoE8EhNS0_10empty_typeEbEEZZNS1_14partition_implILS5_8ELb0ES3_jPKhPS6_PKS6_NS0_5tupleIJPhS6_EEENSE_IJSB_SB_EEENS0_18inequality_wrapperIN6hipcub16HIPCUB_304000_NS8EqualityEEEPlJS6_EEE10hipError_tPvRmT3_T4_T5_T6_T7_T9_mT8_P12ihipStream_tbDpT10_ENKUlT_T0_E_clISt17integral_constantIbLb0EES17_EEDaS12_S13_EUlS12_E_NS1_11comp_targetILNS1_3genE9ELNS1_11target_archE1100ELNS1_3gpuE3ELNS1_3repE0EEENS1_30default_config_static_selectorELNS0_4arch9wavefront6targetE0EEEvT1_.num_vgpr, 0
	.set _ZN7rocprim17ROCPRIM_400000_NS6detail17trampoline_kernelINS0_14default_configENS1_25partition_config_selectorILNS1_17partition_subalgoE8EhNS0_10empty_typeEbEEZZNS1_14partition_implILS5_8ELb0ES3_jPKhPS6_PKS6_NS0_5tupleIJPhS6_EEENSE_IJSB_SB_EEENS0_18inequality_wrapperIN6hipcub16HIPCUB_304000_NS8EqualityEEEPlJS6_EEE10hipError_tPvRmT3_T4_T5_T6_T7_T9_mT8_P12ihipStream_tbDpT10_ENKUlT_T0_E_clISt17integral_constantIbLb0EES17_EEDaS12_S13_EUlS12_E_NS1_11comp_targetILNS1_3genE9ELNS1_11target_archE1100ELNS1_3gpuE3ELNS1_3repE0EEENS1_30default_config_static_selectorELNS0_4arch9wavefront6targetE0EEEvT1_.num_agpr, 0
	.set _ZN7rocprim17ROCPRIM_400000_NS6detail17trampoline_kernelINS0_14default_configENS1_25partition_config_selectorILNS1_17partition_subalgoE8EhNS0_10empty_typeEbEEZZNS1_14partition_implILS5_8ELb0ES3_jPKhPS6_PKS6_NS0_5tupleIJPhS6_EEENSE_IJSB_SB_EEENS0_18inequality_wrapperIN6hipcub16HIPCUB_304000_NS8EqualityEEEPlJS6_EEE10hipError_tPvRmT3_T4_T5_T6_T7_T9_mT8_P12ihipStream_tbDpT10_ENKUlT_T0_E_clISt17integral_constantIbLb0EES17_EEDaS12_S13_EUlS12_E_NS1_11comp_targetILNS1_3genE9ELNS1_11target_archE1100ELNS1_3gpuE3ELNS1_3repE0EEENS1_30default_config_static_selectorELNS0_4arch9wavefront6targetE0EEEvT1_.numbered_sgpr, 0
	.set _ZN7rocprim17ROCPRIM_400000_NS6detail17trampoline_kernelINS0_14default_configENS1_25partition_config_selectorILNS1_17partition_subalgoE8EhNS0_10empty_typeEbEEZZNS1_14partition_implILS5_8ELb0ES3_jPKhPS6_PKS6_NS0_5tupleIJPhS6_EEENSE_IJSB_SB_EEENS0_18inequality_wrapperIN6hipcub16HIPCUB_304000_NS8EqualityEEEPlJS6_EEE10hipError_tPvRmT3_T4_T5_T6_T7_T9_mT8_P12ihipStream_tbDpT10_ENKUlT_T0_E_clISt17integral_constantIbLb0EES17_EEDaS12_S13_EUlS12_E_NS1_11comp_targetILNS1_3genE9ELNS1_11target_archE1100ELNS1_3gpuE3ELNS1_3repE0EEENS1_30default_config_static_selectorELNS0_4arch9wavefront6targetE0EEEvT1_.num_named_barrier, 0
	.set _ZN7rocprim17ROCPRIM_400000_NS6detail17trampoline_kernelINS0_14default_configENS1_25partition_config_selectorILNS1_17partition_subalgoE8EhNS0_10empty_typeEbEEZZNS1_14partition_implILS5_8ELb0ES3_jPKhPS6_PKS6_NS0_5tupleIJPhS6_EEENSE_IJSB_SB_EEENS0_18inequality_wrapperIN6hipcub16HIPCUB_304000_NS8EqualityEEEPlJS6_EEE10hipError_tPvRmT3_T4_T5_T6_T7_T9_mT8_P12ihipStream_tbDpT10_ENKUlT_T0_E_clISt17integral_constantIbLb0EES17_EEDaS12_S13_EUlS12_E_NS1_11comp_targetILNS1_3genE9ELNS1_11target_archE1100ELNS1_3gpuE3ELNS1_3repE0EEENS1_30default_config_static_selectorELNS0_4arch9wavefront6targetE0EEEvT1_.private_seg_size, 0
	.set _ZN7rocprim17ROCPRIM_400000_NS6detail17trampoline_kernelINS0_14default_configENS1_25partition_config_selectorILNS1_17partition_subalgoE8EhNS0_10empty_typeEbEEZZNS1_14partition_implILS5_8ELb0ES3_jPKhPS6_PKS6_NS0_5tupleIJPhS6_EEENSE_IJSB_SB_EEENS0_18inequality_wrapperIN6hipcub16HIPCUB_304000_NS8EqualityEEEPlJS6_EEE10hipError_tPvRmT3_T4_T5_T6_T7_T9_mT8_P12ihipStream_tbDpT10_ENKUlT_T0_E_clISt17integral_constantIbLb0EES17_EEDaS12_S13_EUlS12_E_NS1_11comp_targetILNS1_3genE9ELNS1_11target_archE1100ELNS1_3gpuE3ELNS1_3repE0EEENS1_30default_config_static_selectorELNS0_4arch9wavefront6targetE0EEEvT1_.uses_vcc, 0
	.set _ZN7rocprim17ROCPRIM_400000_NS6detail17trampoline_kernelINS0_14default_configENS1_25partition_config_selectorILNS1_17partition_subalgoE8EhNS0_10empty_typeEbEEZZNS1_14partition_implILS5_8ELb0ES3_jPKhPS6_PKS6_NS0_5tupleIJPhS6_EEENSE_IJSB_SB_EEENS0_18inequality_wrapperIN6hipcub16HIPCUB_304000_NS8EqualityEEEPlJS6_EEE10hipError_tPvRmT3_T4_T5_T6_T7_T9_mT8_P12ihipStream_tbDpT10_ENKUlT_T0_E_clISt17integral_constantIbLb0EES17_EEDaS12_S13_EUlS12_E_NS1_11comp_targetILNS1_3genE9ELNS1_11target_archE1100ELNS1_3gpuE3ELNS1_3repE0EEENS1_30default_config_static_selectorELNS0_4arch9wavefront6targetE0EEEvT1_.uses_flat_scratch, 0
	.set _ZN7rocprim17ROCPRIM_400000_NS6detail17trampoline_kernelINS0_14default_configENS1_25partition_config_selectorILNS1_17partition_subalgoE8EhNS0_10empty_typeEbEEZZNS1_14partition_implILS5_8ELb0ES3_jPKhPS6_PKS6_NS0_5tupleIJPhS6_EEENSE_IJSB_SB_EEENS0_18inequality_wrapperIN6hipcub16HIPCUB_304000_NS8EqualityEEEPlJS6_EEE10hipError_tPvRmT3_T4_T5_T6_T7_T9_mT8_P12ihipStream_tbDpT10_ENKUlT_T0_E_clISt17integral_constantIbLb0EES17_EEDaS12_S13_EUlS12_E_NS1_11comp_targetILNS1_3genE9ELNS1_11target_archE1100ELNS1_3gpuE3ELNS1_3repE0EEENS1_30default_config_static_selectorELNS0_4arch9wavefront6targetE0EEEvT1_.has_dyn_sized_stack, 0
	.set _ZN7rocprim17ROCPRIM_400000_NS6detail17trampoline_kernelINS0_14default_configENS1_25partition_config_selectorILNS1_17partition_subalgoE8EhNS0_10empty_typeEbEEZZNS1_14partition_implILS5_8ELb0ES3_jPKhPS6_PKS6_NS0_5tupleIJPhS6_EEENSE_IJSB_SB_EEENS0_18inequality_wrapperIN6hipcub16HIPCUB_304000_NS8EqualityEEEPlJS6_EEE10hipError_tPvRmT3_T4_T5_T6_T7_T9_mT8_P12ihipStream_tbDpT10_ENKUlT_T0_E_clISt17integral_constantIbLb0EES17_EEDaS12_S13_EUlS12_E_NS1_11comp_targetILNS1_3genE9ELNS1_11target_archE1100ELNS1_3gpuE3ELNS1_3repE0EEENS1_30default_config_static_selectorELNS0_4arch9wavefront6targetE0EEEvT1_.has_recursion, 0
	.set _ZN7rocprim17ROCPRIM_400000_NS6detail17trampoline_kernelINS0_14default_configENS1_25partition_config_selectorILNS1_17partition_subalgoE8EhNS0_10empty_typeEbEEZZNS1_14partition_implILS5_8ELb0ES3_jPKhPS6_PKS6_NS0_5tupleIJPhS6_EEENSE_IJSB_SB_EEENS0_18inequality_wrapperIN6hipcub16HIPCUB_304000_NS8EqualityEEEPlJS6_EEE10hipError_tPvRmT3_T4_T5_T6_T7_T9_mT8_P12ihipStream_tbDpT10_ENKUlT_T0_E_clISt17integral_constantIbLb0EES17_EEDaS12_S13_EUlS12_E_NS1_11comp_targetILNS1_3genE9ELNS1_11target_archE1100ELNS1_3gpuE3ELNS1_3repE0EEENS1_30default_config_static_selectorELNS0_4arch9wavefront6targetE0EEEvT1_.has_indirect_call, 0
	.section	.AMDGPU.csdata,"",@progbits
; Kernel info:
; codeLenInByte = 0
; TotalNumSgprs: 0
; NumVgprs: 0
; ScratchSize: 0
; MemoryBound: 0
; FloatMode: 240
; IeeeMode: 1
; LDSByteSize: 0 bytes/workgroup (compile time only)
; SGPRBlocks: 0
; VGPRBlocks: 0
; NumSGPRsForWavesPerEU: 1
; NumVGPRsForWavesPerEU: 1
; NamedBarCnt: 0
; Occupancy: 16
; WaveLimiterHint : 0
; COMPUTE_PGM_RSRC2:SCRATCH_EN: 0
; COMPUTE_PGM_RSRC2:USER_SGPR: 2
; COMPUTE_PGM_RSRC2:TRAP_HANDLER: 0
; COMPUTE_PGM_RSRC2:TGID_X_EN: 1
; COMPUTE_PGM_RSRC2:TGID_Y_EN: 0
; COMPUTE_PGM_RSRC2:TGID_Z_EN: 0
; COMPUTE_PGM_RSRC2:TIDIG_COMP_CNT: 0
	.section	.text._ZN7rocprim17ROCPRIM_400000_NS6detail17trampoline_kernelINS0_14default_configENS1_25partition_config_selectorILNS1_17partition_subalgoE8EhNS0_10empty_typeEbEEZZNS1_14partition_implILS5_8ELb0ES3_jPKhPS6_PKS6_NS0_5tupleIJPhS6_EEENSE_IJSB_SB_EEENS0_18inequality_wrapperIN6hipcub16HIPCUB_304000_NS8EqualityEEEPlJS6_EEE10hipError_tPvRmT3_T4_T5_T6_T7_T9_mT8_P12ihipStream_tbDpT10_ENKUlT_T0_E_clISt17integral_constantIbLb0EES17_EEDaS12_S13_EUlS12_E_NS1_11comp_targetILNS1_3genE8ELNS1_11target_archE1030ELNS1_3gpuE2ELNS1_3repE0EEENS1_30default_config_static_selectorELNS0_4arch9wavefront6targetE0EEEvT1_,"axG",@progbits,_ZN7rocprim17ROCPRIM_400000_NS6detail17trampoline_kernelINS0_14default_configENS1_25partition_config_selectorILNS1_17partition_subalgoE8EhNS0_10empty_typeEbEEZZNS1_14partition_implILS5_8ELb0ES3_jPKhPS6_PKS6_NS0_5tupleIJPhS6_EEENSE_IJSB_SB_EEENS0_18inequality_wrapperIN6hipcub16HIPCUB_304000_NS8EqualityEEEPlJS6_EEE10hipError_tPvRmT3_T4_T5_T6_T7_T9_mT8_P12ihipStream_tbDpT10_ENKUlT_T0_E_clISt17integral_constantIbLb0EES17_EEDaS12_S13_EUlS12_E_NS1_11comp_targetILNS1_3genE8ELNS1_11target_archE1030ELNS1_3gpuE2ELNS1_3repE0EEENS1_30default_config_static_selectorELNS0_4arch9wavefront6targetE0EEEvT1_,comdat
	.protected	_ZN7rocprim17ROCPRIM_400000_NS6detail17trampoline_kernelINS0_14default_configENS1_25partition_config_selectorILNS1_17partition_subalgoE8EhNS0_10empty_typeEbEEZZNS1_14partition_implILS5_8ELb0ES3_jPKhPS6_PKS6_NS0_5tupleIJPhS6_EEENSE_IJSB_SB_EEENS0_18inequality_wrapperIN6hipcub16HIPCUB_304000_NS8EqualityEEEPlJS6_EEE10hipError_tPvRmT3_T4_T5_T6_T7_T9_mT8_P12ihipStream_tbDpT10_ENKUlT_T0_E_clISt17integral_constantIbLb0EES17_EEDaS12_S13_EUlS12_E_NS1_11comp_targetILNS1_3genE8ELNS1_11target_archE1030ELNS1_3gpuE2ELNS1_3repE0EEENS1_30default_config_static_selectorELNS0_4arch9wavefront6targetE0EEEvT1_ ; -- Begin function _ZN7rocprim17ROCPRIM_400000_NS6detail17trampoline_kernelINS0_14default_configENS1_25partition_config_selectorILNS1_17partition_subalgoE8EhNS0_10empty_typeEbEEZZNS1_14partition_implILS5_8ELb0ES3_jPKhPS6_PKS6_NS0_5tupleIJPhS6_EEENSE_IJSB_SB_EEENS0_18inequality_wrapperIN6hipcub16HIPCUB_304000_NS8EqualityEEEPlJS6_EEE10hipError_tPvRmT3_T4_T5_T6_T7_T9_mT8_P12ihipStream_tbDpT10_ENKUlT_T0_E_clISt17integral_constantIbLb0EES17_EEDaS12_S13_EUlS12_E_NS1_11comp_targetILNS1_3genE8ELNS1_11target_archE1030ELNS1_3gpuE2ELNS1_3repE0EEENS1_30default_config_static_selectorELNS0_4arch9wavefront6targetE0EEEvT1_
	.globl	_ZN7rocprim17ROCPRIM_400000_NS6detail17trampoline_kernelINS0_14default_configENS1_25partition_config_selectorILNS1_17partition_subalgoE8EhNS0_10empty_typeEbEEZZNS1_14partition_implILS5_8ELb0ES3_jPKhPS6_PKS6_NS0_5tupleIJPhS6_EEENSE_IJSB_SB_EEENS0_18inequality_wrapperIN6hipcub16HIPCUB_304000_NS8EqualityEEEPlJS6_EEE10hipError_tPvRmT3_T4_T5_T6_T7_T9_mT8_P12ihipStream_tbDpT10_ENKUlT_T0_E_clISt17integral_constantIbLb0EES17_EEDaS12_S13_EUlS12_E_NS1_11comp_targetILNS1_3genE8ELNS1_11target_archE1030ELNS1_3gpuE2ELNS1_3repE0EEENS1_30default_config_static_selectorELNS0_4arch9wavefront6targetE0EEEvT1_
	.p2align	8
	.type	_ZN7rocprim17ROCPRIM_400000_NS6detail17trampoline_kernelINS0_14default_configENS1_25partition_config_selectorILNS1_17partition_subalgoE8EhNS0_10empty_typeEbEEZZNS1_14partition_implILS5_8ELb0ES3_jPKhPS6_PKS6_NS0_5tupleIJPhS6_EEENSE_IJSB_SB_EEENS0_18inequality_wrapperIN6hipcub16HIPCUB_304000_NS8EqualityEEEPlJS6_EEE10hipError_tPvRmT3_T4_T5_T6_T7_T9_mT8_P12ihipStream_tbDpT10_ENKUlT_T0_E_clISt17integral_constantIbLb0EES17_EEDaS12_S13_EUlS12_E_NS1_11comp_targetILNS1_3genE8ELNS1_11target_archE1030ELNS1_3gpuE2ELNS1_3repE0EEENS1_30default_config_static_selectorELNS0_4arch9wavefront6targetE0EEEvT1_,@function
_ZN7rocprim17ROCPRIM_400000_NS6detail17trampoline_kernelINS0_14default_configENS1_25partition_config_selectorILNS1_17partition_subalgoE8EhNS0_10empty_typeEbEEZZNS1_14partition_implILS5_8ELb0ES3_jPKhPS6_PKS6_NS0_5tupleIJPhS6_EEENSE_IJSB_SB_EEENS0_18inequality_wrapperIN6hipcub16HIPCUB_304000_NS8EqualityEEEPlJS6_EEE10hipError_tPvRmT3_T4_T5_T6_T7_T9_mT8_P12ihipStream_tbDpT10_ENKUlT_T0_E_clISt17integral_constantIbLb0EES17_EEDaS12_S13_EUlS12_E_NS1_11comp_targetILNS1_3genE8ELNS1_11target_archE1030ELNS1_3gpuE2ELNS1_3repE0EEENS1_30default_config_static_selectorELNS0_4arch9wavefront6targetE0EEEvT1_: ; @_ZN7rocprim17ROCPRIM_400000_NS6detail17trampoline_kernelINS0_14default_configENS1_25partition_config_selectorILNS1_17partition_subalgoE8EhNS0_10empty_typeEbEEZZNS1_14partition_implILS5_8ELb0ES3_jPKhPS6_PKS6_NS0_5tupleIJPhS6_EEENSE_IJSB_SB_EEENS0_18inequality_wrapperIN6hipcub16HIPCUB_304000_NS8EqualityEEEPlJS6_EEE10hipError_tPvRmT3_T4_T5_T6_T7_T9_mT8_P12ihipStream_tbDpT10_ENKUlT_T0_E_clISt17integral_constantIbLb0EES17_EEDaS12_S13_EUlS12_E_NS1_11comp_targetILNS1_3genE8ELNS1_11target_archE1030ELNS1_3gpuE2ELNS1_3repE0EEENS1_30default_config_static_selectorELNS0_4arch9wavefront6targetE0EEEvT1_
; %bb.0:
	.section	.rodata,"a",@progbits
	.p2align	6, 0x0
	.amdhsa_kernel _ZN7rocprim17ROCPRIM_400000_NS6detail17trampoline_kernelINS0_14default_configENS1_25partition_config_selectorILNS1_17partition_subalgoE8EhNS0_10empty_typeEbEEZZNS1_14partition_implILS5_8ELb0ES3_jPKhPS6_PKS6_NS0_5tupleIJPhS6_EEENSE_IJSB_SB_EEENS0_18inequality_wrapperIN6hipcub16HIPCUB_304000_NS8EqualityEEEPlJS6_EEE10hipError_tPvRmT3_T4_T5_T6_T7_T9_mT8_P12ihipStream_tbDpT10_ENKUlT_T0_E_clISt17integral_constantIbLb0EES17_EEDaS12_S13_EUlS12_E_NS1_11comp_targetILNS1_3genE8ELNS1_11target_archE1030ELNS1_3gpuE2ELNS1_3repE0EEENS1_30default_config_static_selectorELNS0_4arch9wavefront6targetE0EEEvT1_
		.amdhsa_group_segment_fixed_size 0
		.amdhsa_private_segment_fixed_size 0
		.amdhsa_kernarg_size 112
		.amdhsa_user_sgpr_count 2
		.amdhsa_user_sgpr_dispatch_ptr 0
		.amdhsa_user_sgpr_queue_ptr 0
		.amdhsa_user_sgpr_kernarg_segment_ptr 1
		.amdhsa_user_sgpr_dispatch_id 0
		.amdhsa_user_sgpr_kernarg_preload_length 0
		.amdhsa_user_sgpr_kernarg_preload_offset 0
		.amdhsa_user_sgpr_private_segment_size 0
		.amdhsa_wavefront_size32 1
		.amdhsa_uses_dynamic_stack 0
		.amdhsa_enable_private_segment 0
		.amdhsa_system_sgpr_workgroup_id_x 1
		.amdhsa_system_sgpr_workgroup_id_y 0
		.amdhsa_system_sgpr_workgroup_id_z 0
		.amdhsa_system_sgpr_workgroup_info 0
		.amdhsa_system_vgpr_workitem_id 0
		.amdhsa_next_free_vgpr 1
		.amdhsa_next_free_sgpr 1
		.amdhsa_named_barrier_count 0
		.amdhsa_reserve_vcc 0
		.amdhsa_float_round_mode_32 0
		.amdhsa_float_round_mode_16_64 0
		.amdhsa_float_denorm_mode_32 3
		.amdhsa_float_denorm_mode_16_64 3
		.amdhsa_fp16_overflow 0
		.amdhsa_memory_ordered 1
		.amdhsa_forward_progress 1
		.amdhsa_inst_pref_size 0
		.amdhsa_round_robin_scheduling 0
		.amdhsa_exception_fp_ieee_invalid_op 0
		.amdhsa_exception_fp_denorm_src 0
		.amdhsa_exception_fp_ieee_div_zero 0
		.amdhsa_exception_fp_ieee_overflow 0
		.amdhsa_exception_fp_ieee_underflow 0
		.amdhsa_exception_fp_ieee_inexact 0
		.amdhsa_exception_int_div_zero 0
	.end_amdhsa_kernel
	.section	.text._ZN7rocprim17ROCPRIM_400000_NS6detail17trampoline_kernelINS0_14default_configENS1_25partition_config_selectorILNS1_17partition_subalgoE8EhNS0_10empty_typeEbEEZZNS1_14partition_implILS5_8ELb0ES3_jPKhPS6_PKS6_NS0_5tupleIJPhS6_EEENSE_IJSB_SB_EEENS0_18inequality_wrapperIN6hipcub16HIPCUB_304000_NS8EqualityEEEPlJS6_EEE10hipError_tPvRmT3_T4_T5_T6_T7_T9_mT8_P12ihipStream_tbDpT10_ENKUlT_T0_E_clISt17integral_constantIbLb0EES17_EEDaS12_S13_EUlS12_E_NS1_11comp_targetILNS1_3genE8ELNS1_11target_archE1030ELNS1_3gpuE2ELNS1_3repE0EEENS1_30default_config_static_selectorELNS0_4arch9wavefront6targetE0EEEvT1_,"axG",@progbits,_ZN7rocprim17ROCPRIM_400000_NS6detail17trampoline_kernelINS0_14default_configENS1_25partition_config_selectorILNS1_17partition_subalgoE8EhNS0_10empty_typeEbEEZZNS1_14partition_implILS5_8ELb0ES3_jPKhPS6_PKS6_NS0_5tupleIJPhS6_EEENSE_IJSB_SB_EEENS0_18inequality_wrapperIN6hipcub16HIPCUB_304000_NS8EqualityEEEPlJS6_EEE10hipError_tPvRmT3_T4_T5_T6_T7_T9_mT8_P12ihipStream_tbDpT10_ENKUlT_T0_E_clISt17integral_constantIbLb0EES17_EEDaS12_S13_EUlS12_E_NS1_11comp_targetILNS1_3genE8ELNS1_11target_archE1030ELNS1_3gpuE2ELNS1_3repE0EEENS1_30default_config_static_selectorELNS0_4arch9wavefront6targetE0EEEvT1_,comdat
.Lfunc_end141:
	.size	_ZN7rocprim17ROCPRIM_400000_NS6detail17trampoline_kernelINS0_14default_configENS1_25partition_config_selectorILNS1_17partition_subalgoE8EhNS0_10empty_typeEbEEZZNS1_14partition_implILS5_8ELb0ES3_jPKhPS6_PKS6_NS0_5tupleIJPhS6_EEENSE_IJSB_SB_EEENS0_18inequality_wrapperIN6hipcub16HIPCUB_304000_NS8EqualityEEEPlJS6_EEE10hipError_tPvRmT3_T4_T5_T6_T7_T9_mT8_P12ihipStream_tbDpT10_ENKUlT_T0_E_clISt17integral_constantIbLb0EES17_EEDaS12_S13_EUlS12_E_NS1_11comp_targetILNS1_3genE8ELNS1_11target_archE1030ELNS1_3gpuE2ELNS1_3repE0EEENS1_30default_config_static_selectorELNS0_4arch9wavefront6targetE0EEEvT1_, .Lfunc_end141-_ZN7rocprim17ROCPRIM_400000_NS6detail17trampoline_kernelINS0_14default_configENS1_25partition_config_selectorILNS1_17partition_subalgoE8EhNS0_10empty_typeEbEEZZNS1_14partition_implILS5_8ELb0ES3_jPKhPS6_PKS6_NS0_5tupleIJPhS6_EEENSE_IJSB_SB_EEENS0_18inequality_wrapperIN6hipcub16HIPCUB_304000_NS8EqualityEEEPlJS6_EEE10hipError_tPvRmT3_T4_T5_T6_T7_T9_mT8_P12ihipStream_tbDpT10_ENKUlT_T0_E_clISt17integral_constantIbLb0EES17_EEDaS12_S13_EUlS12_E_NS1_11comp_targetILNS1_3genE8ELNS1_11target_archE1030ELNS1_3gpuE2ELNS1_3repE0EEENS1_30default_config_static_selectorELNS0_4arch9wavefront6targetE0EEEvT1_
                                        ; -- End function
	.set _ZN7rocprim17ROCPRIM_400000_NS6detail17trampoline_kernelINS0_14default_configENS1_25partition_config_selectorILNS1_17partition_subalgoE8EhNS0_10empty_typeEbEEZZNS1_14partition_implILS5_8ELb0ES3_jPKhPS6_PKS6_NS0_5tupleIJPhS6_EEENSE_IJSB_SB_EEENS0_18inequality_wrapperIN6hipcub16HIPCUB_304000_NS8EqualityEEEPlJS6_EEE10hipError_tPvRmT3_T4_T5_T6_T7_T9_mT8_P12ihipStream_tbDpT10_ENKUlT_T0_E_clISt17integral_constantIbLb0EES17_EEDaS12_S13_EUlS12_E_NS1_11comp_targetILNS1_3genE8ELNS1_11target_archE1030ELNS1_3gpuE2ELNS1_3repE0EEENS1_30default_config_static_selectorELNS0_4arch9wavefront6targetE0EEEvT1_.num_vgpr, 0
	.set _ZN7rocprim17ROCPRIM_400000_NS6detail17trampoline_kernelINS0_14default_configENS1_25partition_config_selectorILNS1_17partition_subalgoE8EhNS0_10empty_typeEbEEZZNS1_14partition_implILS5_8ELb0ES3_jPKhPS6_PKS6_NS0_5tupleIJPhS6_EEENSE_IJSB_SB_EEENS0_18inequality_wrapperIN6hipcub16HIPCUB_304000_NS8EqualityEEEPlJS6_EEE10hipError_tPvRmT3_T4_T5_T6_T7_T9_mT8_P12ihipStream_tbDpT10_ENKUlT_T0_E_clISt17integral_constantIbLb0EES17_EEDaS12_S13_EUlS12_E_NS1_11comp_targetILNS1_3genE8ELNS1_11target_archE1030ELNS1_3gpuE2ELNS1_3repE0EEENS1_30default_config_static_selectorELNS0_4arch9wavefront6targetE0EEEvT1_.num_agpr, 0
	.set _ZN7rocprim17ROCPRIM_400000_NS6detail17trampoline_kernelINS0_14default_configENS1_25partition_config_selectorILNS1_17partition_subalgoE8EhNS0_10empty_typeEbEEZZNS1_14partition_implILS5_8ELb0ES3_jPKhPS6_PKS6_NS0_5tupleIJPhS6_EEENSE_IJSB_SB_EEENS0_18inequality_wrapperIN6hipcub16HIPCUB_304000_NS8EqualityEEEPlJS6_EEE10hipError_tPvRmT3_T4_T5_T6_T7_T9_mT8_P12ihipStream_tbDpT10_ENKUlT_T0_E_clISt17integral_constantIbLb0EES17_EEDaS12_S13_EUlS12_E_NS1_11comp_targetILNS1_3genE8ELNS1_11target_archE1030ELNS1_3gpuE2ELNS1_3repE0EEENS1_30default_config_static_selectorELNS0_4arch9wavefront6targetE0EEEvT1_.numbered_sgpr, 0
	.set _ZN7rocprim17ROCPRIM_400000_NS6detail17trampoline_kernelINS0_14default_configENS1_25partition_config_selectorILNS1_17partition_subalgoE8EhNS0_10empty_typeEbEEZZNS1_14partition_implILS5_8ELb0ES3_jPKhPS6_PKS6_NS0_5tupleIJPhS6_EEENSE_IJSB_SB_EEENS0_18inequality_wrapperIN6hipcub16HIPCUB_304000_NS8EqualityEEEPlJS6_EEE10hipError_tPvRmT3_T4_T5_T6_T7_T9_mT8_P12ihipStream_tbDpT10_ENKUlT_T0_E_clISt17integral_constantIbLb0EES17_EEDaS12_S13_EUlS12_E_NS1_11comp_targetILNS1_3genE8ELNS1_11target_archE1030ELNS1_3gpuE2ELNS1_3repE0EEENS1_30default_config_static_selectorELNS0_4arch9wavefront6targetE0EEEvT1_.num_named_barrier, 0
	.set _ZN7rocprim17ROCPRIM_400000_NS6detail17trampoline_kernelINS0_14default_configENS1_25partition_config_selectorILNS1_17partition_subalgoE8EhNS0_10empty_typeEbEEZZNS1_14partition_implILS5_8ELb0ES3_jPKhPS6_PKS6_NS0_5tupleIJPhS6_EEENSE_IJSB_SB_EEENS0_18inequality_wrapperIN6hipcub16HIPCUB_304000_NS8EqualityEEEPlJS6_EEE10hipError_tPvRmT3_T4_T5_T6_T7_T9_mT8_P12ihipStream_tbDpT10_ENKUlT_T0_E_clISt17integral_constantIbLb0EES17_EEDaS12_S13_EUlS12_E_NS1_11comp_targetILNS1_3genE8ELNS1_11target_archE1030ELNS1_3gpuE2ELNS1_3repE0EEENS1_30default_config_static_selectorELNS0_4arch9wavefront6targetE0EEEvT1_.private_seg_size, 0
	.set _ZN7rocprim17ROCPRIM_400000_NS6detail17trampoline_kernelINS0_14default_configENS1_25partition_config_selectorILNS1_17partition_subalgoE8EhNS0_10empty_typeEbEEZZNS1_14partition_implILS5_8ELb0ES3_jPKhPS6_PKS6_NS0_5tupleIJPhS6_EEENSE_IJSB_SB_EEENS0_18inequality_wrapperIN6hipcub16HIPCUB_304000_NS8EqualityEEEPlJS6_EEE10hipError_tPvRmT3_T4_T5_T6_T7_T9_mT8_P12ihipStream_tbDpT10_ENKUlT_T0_E_clISt17integral_constantIbLb0EES17_EEDaS12_S13_EUlS12_E_NS1_11comp_targetILNS1_3genE8ELNS1_11target_archE1030ELNS1_3gpuE2ELNS1_3repE0EEENS1_30default_config_static_selectorELNS0_4arch9wavefront6targetE0EEEvT1_.uses_vcc, 0
	.set _ZN7rocprim17ROCPRIM_400000_NS6detail17trampoline_kernelINS0_14default_configENS1_25partition_config_selectorILNS1_17partition_subalgoE8EhNS0_10empty_typeEbEEZZNS1_14partition_implILS5_8ELb0ES3_jPKhPS6_PKS6_NS0_5tupleIJPhS6_EEENSE_IJSB_SB_EEENS0_18inequality_wrapperIN6hipcub16HIPCUB_304000_NS8EqualityEEEPlJS6_EEE10hipError_tPvRmT3_T4_T5_T6_T7_T9_mT8_P12ihipStream_tbDpT10_ENKUlT_T0_E_clISt17integral_constantIbLb0EES17_EEDaS12_S13_EUlS12_E_NS1_11comp_targetILNS1_3genE8ELNS1_11target_archE1030ELNS1_3gpuE2ELNS1_3repE0EEENS1_30default_config_static_selectorELNS0_4arch9wavefront6targetE0EEEvT1_.uses_flat_scratch, 0
	.set _ZN7rocprim17ROCPRIM_400000_NS6detail17trampoline_kernelINS0_14default_configENS1_25partition_config_selectorILNS1_17partition_subalgoE8EhNS0_10empty_typeEbEEZZNS1_14partition_implILS5_8ELb0ES3_jPKhPS6_PKS6_NS0_5tupleIJPhS6_EEENSE_IJSB_SB_EEENS0_18inequality_wrapperIN6hipcub16HIPCUB_304000_NS8EqualityEEEPlJS6_EEE10hipError_tPvRmT3_T4_T5_T6_T7_T9_mT8_P12ihipStream_tbDpT10_ENKUlT_T0_E_clISt17integral_constantIbLb0EES17_EEDaS12_S13_EUlS12_E_NS1_11comp_targetILNS1_3genE8ELNS1_11target_archE1030ELNS1_3gpuE2ELNS1_3repE0EEENS1_30default_config_static_selectorELNS0_4arch9wavefront6targetE0EEEvT1_.has_dyn_sized_stack, 0
	.set _ZN7rocprim17ROCPRIM_400000_NS6detail17trampoline_kernelINS0_14default_configENS1_25partition_config_selectorILNS1_17partition_subalgoE8EhNS0_10empty_typeEbEEZZNS1_14partition_implILS5_8ELb0ES3_jPKhPS6_PKS6_NS0_5tupleIJPhS6_EEENSE_IJSB_SB_EEENS0_18inequality_wrapperIN6hipcub16HIPCUB_304000_NS8EqualityEEEPlJS6_EEE10hipError_tPvRmT3_T4_T5_T6_T7_T9_mT8_P12ihipStream_tbDpT10_ENKUlT_T0_E_clISt17integral_constantIbLb0EES17_EEDaS12_S13_EUlS12_E_NS1_11comp_targetILNS1_3genE8ELNS1_11target_archE1030ELNS1_3gpuE2ELNS1_3repE0EEENS1_30default_config_static_selectorELNS0_4arch9wavefront6targetE0EEEvT1_.has_recursion, 0
	.set _ZN7rocprim17ROCPRIM_400000_NS6detail17trampoline_kernelINS0_14default_configENS1_25partition_config_selectorILNS1_17partition_subalgoE8EhNS0_10empty_typeEbEEZZNS1_14partition_implILS5_8ELb0ES3_jPKhPS6_PKS6_NS0_5tupleIJPhS6_EEENSE_IJSB_SB_EEENS0_18inequality_wrapperIN6hipcub16HIPCUB_304000_NS8EqualityEEEPlJS6_EEE10hipError_tPvRmT3_T4_T5_T6_T7_T9_mT8_P12ihipStream_tbDpT10_ENKUlT_T0_E_clISt17integral_constantIbLb0EES17_EEDaS12_S13_EUlS12_E_NS1_11comp_targetILNS1_3genE8ELNS1_11target_archE1030ELNS1_3gpuE2ELNS1_3repE0EEENS1_30default_config_static_selectorELNS0_4arch9wavefront6targetE0EEEvT1_.has_indirect_call, 0
	.section	.AMDGPU.csdata,"",@progbits
; Kernel info:
; codeLenInByte = 0
; TotalNumSgprs: 0
; NumVgprs: 0
; ScratchSize: 0
; MemoryBound: 0
; FloatMode: 240
; IeeeMode: 1
; LDSByteSize: 0 bytes/workgroup (compile time only)
; SGPRBlocks: 0
; VGPRBlocks: 0
; NumSGPRsForWavesPerEU: 1
; NumVGPRsForWavesPerEU: 1
; NamedBarCnt: 0
; Occupancy: 16
; WaveLimiterHint : 0
; COMPUTE_PGM_RSRC2:SCRATCH_EN: 0
; COMPUTE_PGM_RSRC2:USER_SGPR: 2
; COMPUTE_PGM_RSRC2:TRAP_HANDLER: 0
; COMPUTE_PGM_RSRC2:TGID_X_EN: 1
; COMPUTE_PGM_RSRC2:TGID_Y_EN: 0
; COMPUTE_PGM_RSRC2:TGID_Z_EN: 0
; COMPUTE_PGM_RSRC2:TIDIG_COMP_CNT: 0
	.section	.text._ZN7rocprim17ROCPRIM_400000_NS6detail17trampoline_kernelINS0_14default_configENS1_25partition_config_selectorILNS1_17partition_subalgoE8EhNS0_10empty_typeEbEEZZNS1_14partition_implILS5_8ELb0ES3_jPKhPS6_PKS6_NS0_5tupleIJPhS6_EEENSE_IJSB_SB_EEENS0_18inequality_wrapperIN6hipcub16HIPCUB_304000_NS8EqualityEEEPlJS6_EEE10hipError_tPvRmT3_T4_T5_T6_T7_T9_mT8_P12ihipStream_tbDpT10_ENKUlT_T0_E_clISt17integral_constantIbLb1EES17_EEDaS12_S13_EUlS12_E_NS1_11comp_targetILNS1_3genE0ELNS1_11target_archE4294967295ELNS1_3gpuE0ELNS1_3repE0EEENS1_30default_config_static_selectorELNS0_4arch9wavefront6targetE0EEEvT1_,"axG",@progbits,_ZN7rocprim17ROCPRIM_400000_NS6detail17trampoline_kernelINS0_14default_configENS1_25partition_config_selectorILNS1_17partition_subalgoE8EhNS0_10empty_typeEbEEZZNS1_14partition_implILS5_8ELb0ES3_jPKhPS6_PKS6_NS0_5tupleIJPhS6_EEENSE_IJSB_SB_EEENS0_18inequality_wrapperIN6hipcub16HIPCUB_304000_NS8EqualityEEEPlJS6_EEE10hipError_tPvRmT3_T4_T5_T6_T7_T9_mT8_P12ihipStream_tbDpT10_ENKUlT_T0_E_clISt17integral_constantIbLb1EES17_EEDaS12_S13_EUlS12_E_NS1_11comp_targetILNS1_3genE0ELNS1_11target_archE4294967295ELNS1_3gpuE0ELNS1_3repE0EEENS1_30default_config_static_selectorELNS0_4arch9wavefront6targetE0EEEvT1_,comdat
	.protected	_ZN7rocprim17ROCPRIM_400000_NS6detail17trampoline_kernelINS0_14default_configENS1_25partition_config_selectorILNS1_17partition_subalgoE8EhNS0_10empty_typeEbEEZZNS1_14partition_implILS5_8ELb0ES3_jPKhPS6_PKS6_NS0_5tupleIJPhS6_EEENSE_IJSB_SB_EEENS0_18inequality_wrapperIN6hipcub16HIPCUB_304000_NS8EqualityEEEPlJS6_EEE10hipError_tPvRmT3_T4_T5_T6_T7_T9_mT8_P12ihipStream_tbDpT10_ENKUlT_T0_E_clISt17integral_constantIbLb1EES17_EEDaS12_S13_EUlS12_E_NS1_11comp_targetILNS1_3genE0ELNS1_11target_archE4294967295ELNS1_3gpuE0ELNS1_3repE0EEENS1_30default_config_static_selectorELNS0_4arch9wavefront6targetE0EEEvT1_ ; -- Begin function _ZN7rocprim17ROCPRIM_400000_NS6detail17trampoline_kernelINS0_14default_configENS1_25partition_config_selectorILNS1_17partition_subalgoE8EhNS0_10empty_typeEbEEZZNS1_14partition_implILS5_8ELb0ES3_jPKhPS6_PKS6_NS0_5tupleIJPhS6_EEENSE_IJSB_SB_EEENS0_18inequality_wrapperIN6hipcub16HIPCUB_304000_NS8EqualityEEEPlJS6_EEE10hipError_tPvRmT3_T4_T5_T6_T7_T9_mT8_P12ihipStream_tbDpT10_ENKUlT_T0_E_clISt17integral_constantIbLb1EES17_EEDaS12_S13_EUlS12_E_NS1_11comp_targetILNS1_3genE0ELNS1_11target_archE4294967295ELNS1_3gpuE0ELNS1_3repE0EEENS1_30default_config_static_selectorELNS0_4arch9wavefront6targetE0EEEvT1_
	.globl	_ZN7rocprim17ROCPRIM_400000_NS6detail17trampoline_kernelINS0_14default_configENS1_25partition_config_selectorILNS1_17partition_subalgoE8EhNS0_10empty_typeEbEEZZNS1_14partition_implILS5_8ELb0ES3_jPKhPS6_PKS6_NS0_5tupleIJPhS6_EEENSE_IJSB_SB_EEENS0_18inequality_wrapperIN6hipcub16HIPCUB_304000_NS8EqualityEEEPlJS6_EEE10hipError_tPvRmT3_T4_T5_T6_T7_T9_mT8_P12ihipStream_tbDpT10_ENKUlT_T0_E_clISt17integral_constantIbLb1EES17_EEDaS12_S13_EUlS12_E_NS1_11comp_targetILNS1_3genE0ELNS1_11target_archE4294967295ELNS1_3gpuE0ELNS1_3repE0EEENS1_30default_config_static_selectorELNS0_4arch9wavefront6targetE0EEEvT1_
	.p2align	8
	.type	_ZN7rocprim17ROCPRIM_400000_NS6detail17trampoline_kernelINS0_14default_configENS1_25partition_config_selectorILNS1_17partition_subalgoE8EhNS0_10empty_typeEbEEZZNS1_14partition_implILS5_8ELb0ES3_jPKhPS6_PKS6_NS0_5tupleIJPhS6_EEENSE_IJSB_SB_EEENS0_18inequality_wrapperIN6hipcub16HIPCUB_304000_NS8EqualityEEEPlJS6_EEE10hipError_tPvRmT3_T4_T5_T6_T7_T9_mT8_P12ihipStream_tbDpT10_ENKUlT_T0_E_clISt17integral_constantIbLb1EES17_EEDaS12_S13_EUlS12_E_NS1_11comp_targetILNS1_3genE0ELNS1_11target_archE4294967295ELNS1_3gpuE0ELNS1_3repE0EEENS1_30default_config_static_selectorELNS0_4arch9wavefront6targetE0EEEvT1_,@function
_ZN7rocprim17ROCPRIM_400000_NS6detail17trampoline_kernelINS0_14default_configENS1_25partition_config_selectorILNS1_17partition_subalgoE8EhNS0_10empty_typeEbEEZZNS1_14partition_implILS5_8ELb0ES3_jPKhPS6_PKS6_NS0_5tupleIJPhS6_EEENSE_IJSB_SB_EEENS0_18inequality_wrapperIN6hipcub16HIPCUB_304000_NS8EqualityEEEPlJS6_EEE10hipError_tPvRmT3_T4_T5_T6_T7_T9_mT8_P12ihipStream_tbDpT10_ENKUlT_T0_E_clISt17integral_constantIbLb1EES17_EEDaS12_S13_EUlS12_E_NS1_11comp_targetILNS1_3genE0ELNS1_11target_archE4294967295ELNS1_3gpuE0ELNS1_3repE0EEENS1_30default_config_static_selectorELNS0_4arch9wavefront6targetE0EEEvT1_: ; @_ZN7rocprim17ROCPRIM_400000_NS6detail17trampoline_kernelINS0_14default_configENS1_25partition_config_selectorILNS1_17partition_subalgoE8EhNS0_10empty_typeEbEEZZNS1_14partition_implILS5_8ELb0ES3_jPKhPS6_PKS6_NS0_5tupleIJPhS6_EEENSE_IJSB_SB_EEENS0_18inequality_wrapperIN6hipcub16HIPCUB_304000_NS8EqualityEEEPlJS6_EEE10hipError_tPvRmT3_T4_T5_T6_T7_T9_mT8_P12ihipStream_tbDpT10_ENKUlT_T0_E_clISt17integral_constantIbLb1EES17_EEDaS12_S13_EUlS12_E_NS1_11comp_targetILNS1_3genE0ELNS1_11target_archE4294967295ELNS1_3gpuE0ELNS1_3repE0EEENS1_30default_config_static_selectorELNS0_4arch9wavefront6targetE0EEEvT1_
; %bb.0:
	s_endpgm
	.section	.rodata,"a",@progbits
	.p2align	6, 0x0
	.amdhsa_kernel _ZN7rocprim17ROCPRIM_400000_NS6detail17trampoline_kernelINS0_14default_configENS1_25partition_config_selectorILNS1_17partition_subalgoE8EhNS0_10empty_typeEbEEZZNS1_14partition_implILS5_8ELb0ES3_jPKhPS6_PKS6_NS0_5tupleIJPhS6_EEENSE_IJSB_SB_EEENS0_18inequality_wrapperIN6hipcub16HIPCUB_304000_NS8EqualityEEEPlJS6_EEE10hipError_tPvRmT3_T4_T5_T6_T7_T9_mT8_P12ihipStream_tbDpT10_ENKUlT_T0_E_clISt17integral_constantIbLb1EES17_EEDaS12_S13_EUlS12_E_NS1_11comp_targetILNS1_3genE0ELNS1_11target_archE4294967295ELNS1_3gpuE0ELNS1_3repE0EEENS1_30default_config_static_selectorELNS0_4arch9wavefront6targetE0EEEvT1_
		.amdhsa_group_segment_fixed_size 0
		.amdhsa_private_segment_fixed_size 0
		.amdhsa_kernarg_size 128
		.amdhsa_user_sgpr_count 2
		.amdhsa_user_sgpr_dispatch_ptr 0
		.amdhsa_user_sgpr_queue_ptr 0
		.amdhsa_user_sgpr_kernarg_segment_ptr 1
		.amdhsa_user_sgpr_dispatch_id 0
		.amdhsa_user_sgpr_kernarg_preload_length 0
		.amdhsa_user_sgpr_kernarg_preload_offset 0
		.amdhsa_user_sgpr_private_segment_size 0
		.amdhsa_wavefront_size32 1
		.amdhsa_uses_dynamic_stack 0
		.amdhsa_enable_private_segment 0
		.amdhsa_system_sgpr_workgroup_id_x 1
		.amdhsa_system_sgpr_workgroup_id_y 0
		.amdhsa_system_sgpr_workgroup_id_z 0
		.amdhsa_system_sgpr_workgroup_info 0
		.amdhsa_system_vgpr_workitem_id 0
		.amdhsa_next_free_vgpr 1
		.amdhsa_next_free_sgpr 1
		.amdhsa_named_barrier_count 0
		.amdhsa_reserve_vcc 0
		.amdhsa_float_round_mode_32 0
		.amdhsa_float_round_mode_16_64 0
		.amdhsa_float_denorm_mode_32 3
		.amdhsa_float_denorm_mode_16_64 3
		.amdhsa_fp16_overflow 0
		.amdhsa_memory_ordered 1
		.amdhsa_forward_progress 1
		.amdhsa_inst_pref_size 1
		.amdhsa_round_robin_scheduling 0
		.amdhsa_exception_fp_ieee_invalid_op 0
		.amdhsa_exception_fp_denorm_src 0
		.amdhsa_exception_fp_ieee_div_zero 0
		.amdhsa_exception_fp_ieee_overflow 0
		.amdhsa_exception_fp_ieee_underflow 0
		.amdhsa_exception_fp_ieee_inexact 0
		.amdhsa_exception_int_div_zero 0
	.end_amdhsa_kernel
	.section	.text._ZN7rocprim17ROCPRIM_400000_NS6detail17trampoline_kernelINS0_14default_configENS1_25partition_config_selectorILNS1_17partition_subalgoE8EhNS0_10empty_typeEbEEZZNS1_14partition_implILS5_8ELb0ES3_jPKhPS6_PKS6_NS0_5tupleIJPhS6_EEENSE_IJSB_SB_EEENS0_18inequality_wrapperIN6hipcub16HIPCUB_304000_NS8EqualityEEEPlJS6_EEE10hipError_tPvRmT3_T4_T5_T6_T7_T9_mT8_P12ihipStream_tbDpT10_ENKUlT_T0_E_clISt17integral_constantIbLb1EES17_EEDaS12_S13_EUlS12_E_NS1_11comp_targetILNS1_3genE0ELNS1_11target_archE4294967295ELNS1_3gpuE0ELNS1_3repE0EEENS1_30default_config_static_selectorELNS0_4arch9wavefront6targetE0EEEvT1_,"axG",@progbits,_ZN7rocprim17ROCPRIM_400000_NS6detail17trampoline_kernelINS0_14default_configENS1_25partition_config_selectorILNS1_17partition_subalgoE8EhNS0_10empty_typeEbEEZZNS1_14partition_implILS5_8ELb0ES3_jPKhPS6_PKS6_NS0_5tupleIJPhS6_EEENSE_IJSB_SB_EEENS0_18inequality_wrapperIN6hipcub16HIPCUB_304000_NS8EqualityEEEPlJS6_EEE10hipError_tPvRmT3_T4_T5_T6_T7_T9_mT8_P12ihipStream_tbDpT10_ENKUlT_T0_E_clISt17integral_constantIbLb1EES17_EEDaS12_S13_EUlS12_E_NS1_11comp_targetILNS1_3genE0ELNS1_11target_archE4294967295ELNS1_3gpuE0ELNS1_3repE0EEENS1_30default_config_static_selectorELNS0_4arch9wavefront6targetE0EEEvT1_,comdat
.Lfunc_end142:
	.size	_ZN7rocprim17ROCPRIM_400000_NS6detail17trampoline_kernelINS0_14default_configENS1_25partition_config_selectorILNS1_17partition_subalgoE8EhNS0_10empty_typeEbEEZZNS1_14partition_implILS5_8ELb0ES3_jPKhPS6_PKS6_NS0_5tupleIJPhS6_EEENSE_IJSB_SB_EEENS0_18inequality_wrapperIN6hipcub16HIPCUB_304000_NS8EqualityEEEPlJS6_EEE10hipError_tPvRmT3_T4_T5_T6_T7_T9_mT8_P12ihipStream_tbDpT10_ENKUlT_T0_E_clISt17integral_constantIbLb1EES17_EEDaS12_S13_EUlS12_E_NS1_11comp_targetILNS1_3genE0ELNS1_11target_archE4294967295ELNS1_3gpuE0ELNS1_3repE0EEENS1_30default_config_static_selectorELNS0_4arch9wavefront6targetE0EEEvT1_, .Lfunc_end142-_ZN7rocprim17ROCPRIM_400000_NS6detail17trampoline_kernelINS0_14default_configENS1_25partition_config_selectorILNS1_17partition_subalgoE8EhNS0_10empty_typeEbEEZZNS1_14partition_implILS5_8ELb0ES3_jPKhPS6_PKS6_NS0_5tupleIJPhS6_EEENSE_IJSB_SB_EEENS0_18inequality_wrapperIN6hipcub16HIPCUB_304000_NS8EqualityEEEPlJS6_EEE10hipError_tPvRmT3_T4_T5_T6_T7_T9_mT8_P12ihipStream_tbDpT10_ENKUlT_T0_E_clISt17integral_constantIbLb1EES17_EEDaS12_S13_EUlS12_E_NS1_11comp_targetILNS1_3genE0ELNS1_11target_archE4294967295ELNS1_3gpuE0ELNS1_3repE0EEENS1_30default_config_static_selectorELNS0_4arch9wavefront6targetE0EEEvT1_
                                        ; -- End function
	.set _ZN7rocprim17ROCPRIM_400000_NS6detail17trampoline_kernelINS0_14default_configENS1_25partition_config_selectorILNS1_17partition_subalgoE8EhNS0_10empty_typeEbEEZZNS1_14partition_implILS5_8ELb0ES3_jPKhPS6_PKS6_NS0_5tupleIJPhS6_EEENSE_IJSB_SB_EEENS0_18inequality_wrapperIN6hipcub16HIPCUB_304000_NS8EqualityEEEPlJS6_EEE10hipError_tPvRmT3_T4_T5_T6_T7_T9_mT8_P12ihipStream_tbDpT10_ENKUlT_T0_E_clISt17integral_constantIbLb1EES17_EEDaS12_S13_EUlS12_E_NS1_11comp_targetILNS1_3genE0ELNS1_11target_archE4294967295ELNS1_3gpuE0ELNS1_3repE0EEENS1_30default_config_static_selectorELNS0_4arch9wavefront6targetE0EEEvT1_.num_vgpr, 0
	.set _ZN7rocprim17ROCPRIM_400000_NS6detail17trampoline_kernelINS0_14default_configENS1_25partition_config_selectorILNS1_17partition_subalgoE8EhNS0_10empty_typeEbEEZZNS1_14partition_implILS5_8ELb0ES3_jPKhPS6_PKS6_NS0_5tupleIJPhS6_EEENSE_IJSB_SB_EEENS0_18inequality_wrapperIN6hipcub16HIPCUB_304000_NS8EqualityEEEPlJS6_EEE10hipError_tPvRmT3_T4_T5_T6_T7_T9_mT8_P12ihipStream_tbDpT10_ENKUlT_T0_E_clISt17integral_constantIbLb1EES17_EEDaS12_S13_EUlS12_E_NS1_11comp_targetILNS1_3genE0ELNS1_11target_archE4294967295ELNS1_3gpuE0ELNS1_3repE0EEENS1_30default_config_static_selectorELNS0_4arch9wavefront6targetE0EEEvT1_.num_agpr, 0
	.set _ZN7rocprim17ROCPRIM_400000_NS6detail17trampoline_kernelINS0_14default_configENS1_25partition_config_selectorILNS1_17partition_subalgoE8EhNS0_10empty_typeEbEEZZNS1_14partition_implILS5_8ELb0ES3_jPKhPS6_PKS6_NS0_5tupleIJPhS6_EEENSE_IJSB_SB_EEENS0_18inequality_wrapperIN6hipcub16HIPCUB_304000_NS8EqualityEEEPlJS6_EEE10hipError_tPvRmT3_T4_T5_T6_T7_T9_mT8_P12ihipStream_tbDpT10_ENKUlT_T0_E_clISt17integral_constantIbLb1EES17_EEDaS12_S13_EUlS12_E_NS1_11comp_targetILNS1_3genE0ELNS1_11target_archE4294967295ELNS1_3gpuE0ELNS1_3repE0EEENS1_30default_config_static_selectorELNS0_4arch9wavefront6targetE0EEEvT1_.numbered_sgpr, 0
	.set _ZN7rocprim17ROCPRIM_400000_NS6detail17trampoline_kernelINS0_14default_configENS1_25partition_config_selectorILNS1_17partition_subalgoE8EhNS0_10empty_typeEbEEZZNS1_14partition_implILS5_8ELb0ES3_jPKhPS6_PKS6_NS0_5tupleIJPhS6_EEENSE_IJSB_SB_EEENS0_18inequality_wrapperIN6hipcub16HIPCUB_304000_NS8EqualityEEEPlJS6_EEE10hipError_tPvRmT3_T4_T5_T6_T7_T9_mT8_P12ihipStream_tbDpT10_ENKUlT_T0_E_clISt17integral_constantIbLb1EES17_EEDaS12_S13_EUlS12_E_NS1_11comp_targetILNS1_3genE0ELNS1_11target_archE4294967295ELNS1_3gpuE0ELNS1_3repE0EEENS1_30default_config_static_selectorELNS0_4arch9wavefront6targetE0EEEvT1_.num_named_barrier, 0
	.set _ZN7rocprim17ROCPRIM_400000_NS6detail17trampoline_kernelINS0_14default_configENS1_25partition_config_selectorILNS1_17partition_subalgoE8EhNS0_10empty_typeEbEEZZNS1_14partition_implILS5_8ELb0ES3_jPKhPS6_PKS6_NS0_5tupleIJPhS6_EEENSE_IJSB_SB_EEENS0_18inequality_wrapperIN6hipcub16HIPCUB_304000_NS8EqualityEEEPlJS6_EEE10hipError_tPvRmT3_T4_T5_T6_T7_T9_mT8_P12ihipStream_tbDpT10_ENKUlT_T0_E_clISt17integral_constantIbLb1EES17_EEDaS12_S13_EUlS12_E_NS1_11comp_targetILNS1_3genE0ELNS1_11target_archE4294967295ELNS1_3gpuE0ELNS1_3repE0EEENS1_30default_config_static_selectorELNS0_4arch9wavefront6targetE0EEEvT1_.private_seg_size, 0
	.set _ZN7rocprim17ROCPRIM_400000_NS6detail17trampoline_kernelINS0_14default_configENS1_25partition_config_selectorILNS1_17partition_subalgoE8EhNS0_10empty_typeEbEEZZNS1_14partition_implILS5_8ELb0ES3_jPKhPS6_PKS6_NS0_5tupleIJPhS6_EEENSE_IJSB_SB_EEENS0_18inequality_wrapperIN6hipcub16HIPCUB_304000_NS8EqualityEEEPlJS6_EEE10hipError_tPvRmT3_T4_T5_T6_T7_T9_mT8_P12ihipStream_tbDpT10_ENKUlT_T0_E_clISt17integral_constantIbLb1EES17_EEDaS12_S13_EUlS12_E_NS1_11comp_targetILNS1_3genE0ELNS1_11target_archE4294967295ELNS1_3gpuE0ELNS1_3repE0EEENS1_30default_config_static_selectorELNS0_4arch9wavefront6targetE0EEEvT1_.uses_vcc, 0
	.set _ZN7rocprim17ROCPRIM_400000_NS6detail17trampoline_kernelINS0_14default_configENS1_25partition_config_selectorILNS1_17partition_subalgoE8EhNS0_10empty_typeEbEEZZNS1_14partition_implILS5_8ELb0ES3_jPKhPS6_PKS6_NS0_5tupleIJPhS6_EEENSE_IJSB_SB_EEENS0_18inequality_wrapperIN6hipcub16HIPCUB_304000_NS8EqualityEEEPlJS6_EEE10hipError_tPvRmT3_T4_T5_T6_T7_T9_mT8_P12ihipStream_tbDpT10_ENKUlT_T0_E_clISt17integral_constantIbLb1EES17_EEDaS12_S13_EUlS12_E_NS1_11comp_targetILNS1_3genE0ELNS1_11target_archE4294967295ELNS1_3gpuE0ELNS1_3repE0EEENS1_30default_config_static_selectorELNS0_4arch9wavefront6targetE0EEEvT1_.uses_flat_scratch, 0
	.set _ZN7rocprim17ROCPRIM_400000_NS6detail17trampoline_kernelINS0_14default_configENS1_25partition_config_selectorILNS1_17partition_subalgoE8EhNS0_10empty_typeEbEEZZNS1_14partition_implILS5_8ELb0ES3_jPKhPS6_PKS6_NS0_5tupleIJPhS6_EEENSE_IJSB_SB_EEENS0_18inequality_wrapperIN6hipcub16HIPCUB_304000_NS8EqualityEEEPlJS6_EEE10hipError_tPvRmT3_T4_T5_T6_T7_T9_mT8_P12ihipStream_tbDpT10_ENKUlT_T0_E_clISt17integral_constantIbLb1EES17_EEDaS12_S13_EUlS12_E_NS1_11comp_targetILNS1_3genE0ELNS1_11target_archE4294967295ELNS1_3gpuE0ELNS1_3repE0EEENS1_30default_config_static_selectorELNS0_4arch9wavefront6targetE0EEEvT1_.has_dyn_sized_stack, 0
	.set _ZN7rocprim17ROCPRIM_400000_NS6detail17trampoline_kernelINS0_14default_configENS1_25partition_config_selectorILNS1_17partition_subalgoE8EhNS0_10empty_typeEbEEZZNS1_14partition_implILS5_8ELb0ES3_jPKhPS6_PKS6_NS0_5tupleIJPhS6_EEENSE_IJSB_SB_EEENS0_18inequality_wrapperIN6hipcub16HIPCUB_304000_NS8EqualityEEEPlJS6_EEE10hipError_tPvRmT3_T4_T5_T6_T7_T9_mT8_P12ihipStream_tbDpT10_ENKUlT_T0_E_clISt17integral_constantIbLb1EES17_EEDaS12_S13_EUlS12_E_NS1_11comp_targetILNS1_3genE0ELNS1_11target_archE4294967295ELNS1_3gpuE0ELNS1_3repE0EEENS1_30default_config_static_selectorELNS0_4arch9wavefront6targetE0EEEvT1_.has_recursion, 0
	.set _ZN7rocprim17ROCPRIM_400000_NS6detail17trampoline_kernelINS0_14default_configENS1_25partition_config_selectorILNS1_17partition_subalgoE8EhNS0_10empty_typeEbEEZZNS1_14partition_implILS5_8ELb0ES3_jPKhPS6_PKS6_NS0_5tupleIJPhS6_EEENSE_IJSB_SB_EEENS0_18inequality_wrapperIN6hipcub16HIPCUB_304000_NS8EqualityEEEPlJS6_EEE10hipError_tPvRmT3_T4_T5_T6_T7_T9_mT8_P12ihipStream_tbDpT10_ENKUlT_T0_E_clISt17integral_constantIbLb1EES17_EEDaS12_S13_EUlS12_E_NS1_11comp_targetILNS1_3genE0ELNS1_11target_archE4294967295ELNS1_3gpuE0ELNS1_3repE0EEENS1_30default_config_static_selectorELNS0_4arch9wavefront6targetE0EEEvT1_.has_indirect_call, 0
	.section	.AMDGPU.csdata,"",@progbits
; Kernel info:
; codeLenInByte = 4
; TotalNumSgprs: 0
; NumVgprs: 0
; ScratchSize: 0
; MemoryBound: 0
; FloatMode: 240
; IeeeMode: 1
; LDSByteSize: 0 bytes/workgroup (compile time only)
; SGPRBlocks: 0
; VGPRBlocks: 0
; NumSGPRsForWavesPerEU: 1
; NumVGPRsForWavesPerEU: 1
; NamedBarCnt: 0
; Occupancy: 16
; WaveLimiterHint : 0
; COMPUTE_PGM_RSRC2:SCRATCH_EN: 0
; COMPUTE_PGM_RSRC2:USER_SGPR: 2
; COMPUTE_PGM_RSRC2:TRAP_HANDLER: 0
; COMPUTE_PGM_RSRC2:TGID_X_EN: 1
; COMPUTE_PGM_RSRC2:TGID_Y_EN: 0
; COMPUTE_PGM_RSRC2:TGID_Z_EN: 0
; COMPUTE_PGM_RSRC2:TIDIG_COMP_CNT: 0
	.section	.text._ZN7rocprim17ROCPRIM_400000_NS6detail17trampoline_kernelINS0_14default_configENS1_25partition_config_selectorILNS1_17partition_subalgoE8EhNS0_10empty_typeEbEEZZNS1_14partition_implILS5_8ELb0ES3_jPKhPS6_PKS6_NS0_5tupleIJPhS6_EEENSE_IJSB_SB_EEENS0_18inequality_wrapperIN6hipcub16HIPCUB_304000_NS8EqualityEEEPlJS6_EEE10hipError_tPvRmT3_T4_T5_T6_T7_T9_mT8_P12ihipStream_tbDpT10_ENKUlT_T0_E_clISt17integral_constantIbLb1EES17_EEDaS12_S13_EUlS12_E_NS1_11comp_targetILNS1_3genE5ELNS1_11target_archE942ELNS1_3gpuE9ELNS1_3repE0EEENS1_30default_config_static_selectorELNS0_4arch9wavefront6targetE0EEEvT1_,"axG",@progbits,_ZN7rocprim17ROCPRIM_400000_NS6detail17trampoline_kernelINS0_14default_configENS1_25partition_config_selectorILNS1_17partition_subalgoE8EhNS0_10empty_typeEbEEZZNS1_14partition_implILS5_8ELb0ES3_jPKhPS6_PKS6_NS0_5tupleIJPhS6_EEENSE_IJSB_SB_EEENS0_18inequality_wrapperIN6hipcub16HIPCUB_304000_NS8EqualityEEEPlJS6_EEE10hipError_tPvRmT3_T4_T5_T6_T7_T9_mT8_P12ihipStream_tbDpT10_ENKUlT_T0_E_clISt17integral_constantIbLb1EES17_EEDaS12_S13_EUlS12_E_NS1_11comp_targetILNS1_3genE5ELNS1_11target_archE942ELNS1_3gpuE9ELNS1_3repE0EEENS1_30default_config_static_selectorELNS0_4arch9wavefront6targetE0EEEvT1_,comdat
	.protected	_ZN7rocprim17ROCPRIM_400000_NS6detail17trampoline_kernelINS0_14default_configENS1_25partition_config_selectorILNS1_17partition_subalgoE8EhNS0_10empty_typeEbEEZZNS1_14partition_implILS5_8ELb0ES3_jPKhPS6_PKS6_NS0_5tupleIJPhS6_EEENSE_IJSB_SB_EEENS0_18inequality_wrapperIN6hipcub16HIPCUB_304000_NS8EqualityEEEPlJS6_EEE10hipError_tPvRmT3_T4_T5_T6_T7_T9_mT8_P12ihipStream_tbDpT10_ENKUlT_T0_E_clISt17integral_constantIbLb1EES17_EEDaS12_S13_EUlS12_E_NS1_11comp_targetILNS1_3genE5ELNS1_11target_archE942ELNS1_3gpuE9ELNS1_3repE0EEENS1_30default_config_static_selectorELNS0_4arch9wavefront6targetE0EEEvT1_ ; -- Begin function _ZN7rocprim17ROCPRIM_400000_NS6detail17trampoline_kernelINS0_14default_configENS1_25partition_config_selectorILNS1_17partition_subalgoE8EhNS0_10empty_typeEbEEZZNS1_14partition_implILS5_8ELb0ES3_jPKhPS6_PKS6_NS0_5tupleIJPhS6_EEENSE_IJSB_SB_EEENS0_18inequality_wrapperIN6hipcub16HIPCUB_304000_NS8EqualityEEEPlJS6_EEE10hipError_tPvRmT3_T4_T5_T6_T7_T9_mT8_P12ihipStream_tbDpT10_ENKUlT_T0_E_clISt17integral_constantIbLb1EES17_EEDaS12_S13_EUlS12_E_NS1_11comp_targetILNS1_3genE5ELNS1_11target_archE942ELNS1_3gpuE9ELNS1_3repE0EEENS1_30default_config_static_selectorELNS0_4arch9wavefront6targetE0EEEvT1_
	.globl	_ZN7rocprim17ROCPRIM_400000_NS6detail17trampoline_kernelINS0_14default_configENS1_25partition_config_selectorILNS1_17partition_subalgoE8EhNS0_10empty_typeEbEEZZNS1_14partition_implILS5_8ELb0ES3_jPKhPS6_PKS6_NS0_5tupleIJPhS6_EEENSE_IJSB_SB_EEENS0_18inequality_wrapperIN6hipcub16HIPCUB_304000_NS8EqualityEEEPlJS6_EEE10hipError_tPvRmT3_T4_T5_T6_T7_T9_mT8_P12ihipStream_tbDpT10_ENKUlT_T0_E_clISt17integral_constantIbLb1EES17_EEDaS12_S13_EUlS12_E_NS1_11comp_targetILNS1_3genE5ELNS1_11target_archE942ELNS1_3gpuE9ELNS1_3repE0EEENS1_30default_config_static_selectorELNS0_4arch9wavefront6targetE0EEEvT1_
	.p2align	8
	.type	_ZN7rocprim17ROCPRIM_400000_NS6detail17trampoline_kernelINS0_14default_configENS1_25partition_config_selectorILNS1_17partition_subalgoE8EhNS0_10empty_typeEbEEZZNS1_14partition_implILS5_8ELb0ES3_jPKhPS6_PKS6_NS0_5tupleIJPhS6_EEENSE_IJSB_SB_EEENS0_18inequality_wrapperIN6hipcub16HIPCUB_304000_NS8EqualityEEEPlJS6_EEE10hipError_tPvRmT3_T4_T5_T6_T7_T9_mT8_P12ihipStream_tbDpT10_ENKUlT_T0_E_clISt17integral_constantIbLb1EES17_EEDaS12_S13_EUlS12_E_NS1_11comp_targetILNS1_3genE5ELNS1_11target_archE942ELNS1_3gpuE9ELNS1_3repE0EEENS1_30default_config_static_selectorELNS0_4arch9wavefront6targetE0EEEvT1_,@function
_ZN7rocprim17ROCPRIM_400000_NS6detail17trampoline_kernelINS0_14default_configENS1_25partition_config_selectorILNS1_17partition_subalgoE8EhNS0_10empty_typeEbEEZZNS1_14partition_implILS5_8ELb0ES3_jPKhPS6_PKS6_NS0_5tupleIJPhS6_EEENSE_IJSB_SB_EEENS0_18inequality_wrapperIN6hipcub16HIPCUB_304000_NS8EqualityEEEPlJS6_EEE10hipError_tPvRmT3_T4_T5_T6_T7_T9_mT8_P12ihipStream_tbDpT10_ENKUlT_T0_E_clISt17integral_constantIbLb1EES17_EEDaS12_S13_EUlS12_E_NS1_11comp_targetILNS1_3genE5ELNS1_11target_archE942ELNS1_3gpuE9ELNS1_3repE0EEENS1_30default_config_static_selectorELNS0_4arch9wavefront6targetE0EEEvT1_: ; @_ZN7rocprim17ROCPRIM_400000_NS6detail17trampoline_kernelINS0_14default_configENS1_25partition_config_selectorILNS1_17partition_subalgoE8EhNS0_10empty_typeEbEEZZNS1_14partition_implILS5_8ELb0ES3_jPKhPS6_PKS6_NS0_5tupleIJPhS6_EEENSE_IJSB_SB_EEENS0_18inequality_wrapperIN6hipcub16HIPCUB_304000_NS8EqualityEEEPlJS6_EEE10hipError_tPvRmT3_T4_T5_T6_T7_T9_mT8_P12ihipStream_tbDpT10_ENKUlT_T0_E_clISt17integral_constantIbLb1EES17_EEDaS12_S13_EUlS12_E_NS1_11comp_targetILNS1_3genE5ELNS1_11target_archE942ELNS1_3gpuE9ELNS1_3repE0EEENS1_30default_config_static_selectorELNS0_4arch9wavefront6targetE0EEEvT1_
; %bb.0:
	.section	.rodata,"a",@progbits
	.p2align	6, 0x0
	.amdhsa_kernel _ZN7rocprim17ROCPRIM_400000_NS6detail17trampoline_kernelINS0_14default_configENS1_25partition_config_selectorILNS1_17partition_subalgoE8EhNS0_10empty_typeEbEEZZNS1_14partition_implILS5_8ELb0ES3_jPKhPS6_PKS6_NS0_5tupleIJPhS6_EEENSE_IJSB_SB_EEENS0_18inequality_wrapperIN6hipcub16HIPCUB_304000_NS8EqualityEEEPlJS6_EEE10hipError_tPvRmT3_T4_T5_T6_T7_T9_mT8_P12ihipStream_tbDpT10_ENKUlT_T0_E_clISt17integral_constantIbLb1EES17_EEDaS12_S13_EUlS12_E_NS1_11comp_targetILNS1_3genE5ELNS1_11target_archE942ELNS1_3gpuE9ELNS1_3repE0EEENS1_30default_config_static_selectorELNS0_4arch9wavefront6targetE0EEEvT1_
		.amdhsa_group_segment_fixed_size 0
		.amdhsa_private_segment_fixed_size 0
		.amdhsa_kernarg_size 128
		.amdhsa_user_sgpr_count 2
		.amdhsa_user_sgpr_dispatch_ptr 0
		.amdhsa_user_sgpr_queue_ptr 0
		.amdhsa_user_sgpr_kernarg_segment_ptr 1
		.amdhsa_user_sgpr_dispatch_id 0
		.amdhsa_user_sgpr_kernarg_preload_length 0
		.amdhsa_user_sgpr_kernarg_preload_offset 0
		.amdhsa_user_sgpr_private_segment_size 0
		.amdhsa_wavefront_size32 1
		.amdhsa_uses_dynamic_stack 0
		.amdhsa_enable_private_segment 0
		.amdhsa_system_sgpr_workgroup_id_x 1
		.amdhsa_system_sgpr_workgroup_id_y 0
		.amdhsa_system_sgpr_workgroup_id_z 0
		.amdhsa_system_sgpr_workgroup_info 0
		.amdhsa_system_vgpr_workitem_id 0
		.amdhsa_next_free_vgpr 1
		.amdhsa_next_free_sgpr 1
		.amdhsa_named_barrier_count 0
		.amdhsa_reserve_vcc 0
		.amdhsa_float_round_mode_32 0
		.amdhsa_float_round_mode_16_64 0
		.amdhsa_float_denorm_mode_32 3
		.amdhsa_float_denorm_mode_16_64 3
		.amdhsa_fp16_overflow 0
		.amdhsa_memory_ordered 1
		.amdhsa_forward_progress 1
		.amdhsa_inst_pref_size 0
		.amdhsa_round_robin_scheduling 0
		.amdhsa_exception_fp_ieee_invalid_op 0
		.amdhsa_exception_fp_denorm_src 0
		.amdhsa_exception_fp_ieee_div_zero 0
		.amdhsa_exception_fp_ieee_overflow 0
		.amdhsa_exception_fp_ieee_underflow 0
		.amdhsa_exception_fp_ieee_inexact 0
		.amdhsa_exception_int_div_zero 0
	.end_amdhsa_kernel
	.section	.text._ZN7rocprim17ROCPRIM_400000_NS6detail17trampoline_kernelINS0_14default_configENS1_25partition_config_selectorILNS1_17partition_subalgoE8EhNS0_10empty_typeEbEEZZNS1_14partition_implILS5_8ELb0ES3_jPKhPS6_PKS6_NS0_5tupleIJPhS6_EEENSE_IJSB_SB_EEENS0_18inequality_wrapperIN6hipcub16HIPCUB_304000_NS8EqualityEEEPlJS6_EEE10hipError_tPvRmT3_T4_T5_T6_T7_T9_mT8_P12ihipStream_tbDpT10_ENKUlT_T0_E_clISt17integral_constantIbLb1EES17_EEDaS12_S13_EUlS12_E_NS1_11comp_targetILNS1_3genE5ELNS1_11target_archE942ELNS1_3gpuE9ELNS1_3repE0EEENS1_30default_config_static_selectorELNS0_4arch9wavefront6targetE0EEEvT1_,"axG",@progbits,_ZN7rocprim17ROCPRIM_400000_NS6detail17trampoline_kernelINS0_14default_configENS1_25partition_config_selectorILNS1_17partition_subalgoE8EhNS0_10empty_typeEbEEZZNS1_14partition_implILS5_8ELb0ES3_jPKhPS6_PKS6_NS0_5tupleIJPhS6_EEENSE_IJSB_SB_EEENS0_18inequality_wrapperIN6hipcub16HIPCUB_304000_NS8EqualityEEEPlJS6_EEE10hipError_tPvRmT3_T4_T5_T6_T7_T9_mT8_P12ihipStream_tbDpT10_ENKUlT_T0_E_clISt17integral_constantIbLb1EES17_EEDaS12_S13_EUlS12_E_NS1_11comp_targetILNS1_3genE5ELNS1_11target_archE942ELNS1_3gpuE9ELNS1_3repE0EEENS1_30default_config_static_selectorELNS0_4arch9wavefront6targetE0EEEvT1_,comdat
.Lfunc_end143:
	.size	_ZN7rocprim17ROCPRIM_400000_NS6detail17trampoline_kernelINS0_14default_configENS1_25partition_config_selectorILNS1_17partition_subalgoE8EhNS0_10empty_typeEbEEZZNS1_14partition_implILS5_8ELb0ES3_jPKhPS6_PKS6_NS0_5tupleIJPhS6_EEENSE_IJSB_SB_EEENS0_18inequality_wrapperIN6hipcub16HIPCUB_304000_NS8EqualityEEEPlJS6_EEE10hipError_tPvRmT3_T4_T5_T6_T7_T9_mT8_P12ihipStream_tbDpT10_ENKUlT_T0_E_clISt17integral_constantIbLb1EES17_EEDaS12_S13_EUlS12_E_NS1_11comp_targetILNS1_3genE5ELNS1_11target_archE942ELNS1_3gpuE9ELNS1_3repE0EEENS1_30default_config_static_selectorELNS0_4arch9wavefront6targetE0EEEvT1_, .Lfunc_end143-_ZN7rocprim17ROCPRIM_400000_NS6detail17trampoline_kernelINS0_14default_configENS1_25partition_config_selectorILNS1_17partition_subalgoE8EhNS0_10empty_typeEbEEZZNS1_14partition_implILS5_8ELb0ES3_jPKhPS6_PKS6_NS0_5tupleIJPhS6_EEENSE_IJSB_SB_EEENS0_18inequality_wrapperIN6hipcub16HIPCUB_304000_NS8EqualityEEEPlJS6_EEE10hipError_tPvRmT3_T4_T5_T6_T7_T9_mT8_P12ihipStream_tbDpT10_ENKUlT_T0_E_clISt17integral_constantIbLb1EES17_EEDaS12_S13_EUlS12_E_NS1_11comp_targetILNS1_3genE5ELNS1_11target_archE942ELNS1_3gpuE9ELNS1_3repE0EEENS1_30default_config_static_selectorELNS0_4arch9wavefront6targetE0EEEvT1_
                                        ; -- End function
	.set _ZN7rocprim17ROCPRIM_400000_NS6detail17trampoline_kernelINS0_14default_configENS1_25partition_config_selectorILNS1_17partition_subalgoE8EhNS0_10empty_typeEbEEZZNS1_14partition_implILS5_8ELb0ES3_jPKhPS6_PKS6_NS0_5tupleIJPhS6_EEENSE_IJSB_SB_EEENS0_18inequality_wrapperIN6hipcub16HIPCUB_304000_NS8EqualityEEEPlJS6_EEE10hipError_tPvRmT3_T4_T5_T6_T7_T9_mT8_P12ihipStream_tbDpT10_ENKUlT_T0_E_clISt17integral_constantIbLb1EES17_EEDaS12_S13_EUlS12_E_NS1_11comp_targetILNS1_3genE5ELNS1_11target_archE942ELNS1_3gpuE9ELNS1_3repE0EEENS1_30default_config_static_selectorELNS0_4arch9wavefront6targetE0EEEvT1_.num_vgpr, 0
	.set _ZN7rocprim17ROCPRIM_400000_NS6detail17trampoline_kernelINS0_14default_configENS1_25partition_config_selectorILNS1_17partition_subalgoE8EhNS0_10empty_typeEbEEZZNS1_14partition_implILS5_8ELb0ES3_jPKhPS6_PKS6_NS0_5tupleIJPhS6_EEENSE_IJSB_SB_EEENS0_18inequality_wrapperIN6hipcub16HIPCUB_304000_NS8EqualityEEEPlJS6_EEE10hipError_tPvRmT3_T4_T5_T6_T7_T9_mT8_P12ihipStream_tbDpT10_ENKUlT_T0_E_clISt17integral_constantIbLb1EES17_EEDaS12_S13_EUlS12_E_NS1_11comp_targetILNS1_3genE5ELNS1_11target_archE942ELNS1_3gpuE9ELNS1_3repE0EEENS1_30default_config_static_selectorELNS0_4arch9wavefront6targetE0EEEvT1_.num_agpr, 0
	.set _ZN7rocprim17ROCPRIM_400000_NS6detail17trampoline_kernelINS0_14default_configENS1_25partition_config_selectorILNS1_17partition_subalgoE8EhNS0_10empty_typeEbEEZZNS1_14partition_implILS5_8ELb0ES3_jPKhPS6_PKS6_NS0_5tupleIJPhS6_EEENSE_IJSB_SB_EEENS0_18inequality_wrapperIN6hipcub16HIPCUB_304000_NS8EqualityEEEPlJS6_EEE10hipError_tPvRmT3_T4_T5_T6_T7_T9_mT8_P12ihipStream_tbDpT10_ENKUlT_T0_E_clISt17integral_constantIbLb1EES17_EEDaS12_S13_EUlS12_E_NS1_11comp_targetILNS1_3genE5ELNS1_11target_archE942ELNS1_3gpuE9ELNS1_3repE0EEENS1_30default_config_static_selectorELNS0_4arch9wavefront6targetE0EEEvT1_.numbered_sgpr, 0
	.set _ZN7rocprim17ROCPRIM_400000_NS6detail17trampoline_kernelINS0_14default_configENS1_25partition_config_selectorILNS1_17partition_subalgoE8EhNS0_10empty_typeEbEEZZNS1_14partition_implILS5_8ELb0ES3_jPKhPS6_PKS6_NS0_5tupleIJPhS6_EEENSE_IJSB_SB_EEENS0_18inequality_wrapperIN6hipcub16HIPCUB_304000_NS8EqualityEEEPlJS6_EEE10hipError_tPvRmT3_T4_T5_T6_T7_T9_mT8_P12ihipStream_tbDpT10_ENKUlT_T0_E_clISt17integral_constantIbLb1EES17_EEDaS12_S13_EUlS12_E_NS1_11comp_targetILNS1_3genE5ELNS1_11target_archE942ELNS1_3gpuE9ELNS1_3repE0EEENS1_30default_config_static_selectorELNS0_4arch9wavefront6targetE0EEEvT1_.num_named_barrier, 0
	.set _ZN7rocprim17ROCPRIM_400000_NS6detail17trampoline_kernelINS0_14default_configENS1_25partition_config_selectorILNS1_17partition_subalgoE8EhNS0_10empty_typeEbEEZZNS1_14partition_implILS5_8ELb0ES3_jPKhPS6_PKS6_NS0_5tupleIJPhS6_EEENSE_IJSB_SB_EEENS0_18inequality_wrapperIN6hipcub16HIPCUB_304000_NS8EqualityEEEPlJS6_EEE10hipError_tPvRmT3_T4_T5_T6_T7_T9_mT8_P12ihipStream_tbDpT10_ENKUlT_T0_E_clISt17integral_constantIbLb1EES17_EEDaS12_S13_EUlS12_E_NS1_11comp_targetILNS1_3genE5ELNS1_11target_archE942ELNS1_3gpuE9ELNS1_3repE0EEENS1_30default_config_static_selectorELNS0_4arch9wavefront6targetE0EEEvT1_.private_seg_size, 0
	.set _ZN7rocprim17ROCPRIM_400000_NS6detail17trampoline_kernelINS0_14default_configENS1_25partition_config_selectorILNS1_17partition_subalgoE8EhNS0_10empty_typeEbEEZZNS1_14partition_implILS5_8ELb0ES3_jPKhPS6_PKS6_NS0_5tupleIJPhS6_EEENSE_IJSB_SB_EEENS0_18inequality_wrapperIN6hipcub16HIPCUB_304000_NS8EqualityEEEPlJS6_EEE10hipError_tPvRmT3_T4_T5_T6_T7_T9_mT8_P12ihipStream_tbDpT10_ENKUlT_T0_E_clISt17integral_constantIbLb1EES17_EEDaS12_S13_EUlS12_E_NS1_11comp_targetILNS1_3genE5ELNS1_11target_archE942ELNS1_3gpuE9ELNS1_3repE0EEENS1_30default_config_static_selectorELNS0_4arch9wavefront6targetE0EEEvT1_.uses_vcc, 0
	.set _ZN7rocprim17ROCPRIM_400000_NS6detail17trampoline_kernelINS0_14default_configENS1_25partition_config_selectorILNS1_17partition_subalgoE8EhNS0_10empty_typeEbEEZZNS1_14partition_implILS5_8ELb0ES3_jPKhPS6_PKS6_NS0_5tupleIJPhS6_EEENSE_IJSB_SB_EEENS0_18inequality_wrapperIN6hipcub16HIPCUB_304000_NS8EqualityEEEPlJS6_EEE10hipError_tPvRmT3_T4_T5_T6_T7_T9_mT8_P12ihipStream_tbDpT10_ENKUlT_T0_E_clISt17integral_constantIbLb1EES17_EEDaS12_S13_EUlS12_E_NS1_11comp_targetILNS1_3genE5ELNS1_11target_archE942ELNS1_3gpuE9ELNS1_3repE0EEENS1_30default_config_static_selectorELNS0_4arch9wavefront6targetE0EEEvT1_.uses_flat_scratch, 0
	.set _ZN7rocprim17ROCPRIM_400000_NS6detail17trampoline_kernelINS0_14default_configENS1_25partition_config_selectorILNS1_17partition_subalgoE8EhNS0_10empty_typeEbEEZZNS1_14partition_implILS5_8ELb0ES3_jPKhPS6_PKS6_NS0_5tupleIJPhS6_EEENSE_IJSB_SB_EEENS0_18inequality_wrapperIN6hipcub16HIPCUB_304000_NS8EqualityEEEPlJS6_EEE10hipError_tPvRmT3_T4_T5_T6_T7_T9_mT8_P12ihipStream_tbDpT10_ENKUlT_T0_E_clISt17integral_constantIbLb1EES17_EEDaS12_S13_EUlS12_E_NS1_11comp_targetILNS1_3genE5ELNS1_11target_archE942ELNS1_3gpuE9ELNS1_3repE0EEENS1_30default_config_static_selectorELNS0_4arch9wavefront6targetE0EEEvT1_.has_dyn_sized_stack, 0
	.set _ZN7rocprim17ROCPRIM_400000_NS6detail17trampoline_kernelINS0_14default_configENS1_25partition_config_selectorILNS1_17partition_subalgoE8EhNS0_10empty_typeEbEEZZNS1_14partition_implILS5_8ELb0ES3_jPKhPS6_PKS6_NS0_5tupleIJPhS6_EEENSE_IJSB_SB_EEENS0_18inequality_wrapperIN6hipcub16HIPCUB_304000_NS8EqualityEEEPlJS6_EEE10hipError_tPvRmT3_T4_T5_T6_T7_T9_mT8_P12ihipStream_tbDpT10_ENKUlT_T0_E_clISt17integral_constantIbLb1EES17_EEDaS12_S13_EUlS12_E_NS1_11comp_targetILNS1_3genE5ELNS1_11target_archE942ELNS1_3gpuE9ELNS1_3repE0EEENS1_30default_config_static_selectorELNS0_4arch9wavefront6targetE0EEEvT1_.has_recursion, 0
	.set _ZN7rocprim17ROCPRIM_400000_NS6detail17trampoline_kernelINS0_14default_configENS1_25partition_config_selectorILNS1_17partition_subalgoE8EhNS0_10empty_typeEbEEZZNS1_14partition_implILS5_8ELb0ES3_jPKhPS6_PKS6_NS0_5tupleIJPhS6_EEENSE_IJSB_SB_EEENS0_18inequality_wrapperIN6hipcub16HIPCUB_304000_NS8EqualityEEEPlJS6_EEE10hipError_tPvRmT3_T4_T5_T6_T7_T9_mT8_P12ihipStream_tbDpT10_ENKUlT_T0_E_clISt17integral_constantIbLb1EES17_EEDaS12_S13_EUlS12_E_NS1_11comp_targetILNS1_3genE5ELNS1_11target_archE942ELNS1_3gpuE9ELNS1_3repE0EEENS1_30default_config_static_selectorELNS0_4arch9wavefront6targetE0EEEvT1_.has_indirect_call, 0
	.section	.AMDGPU.csdata,"",@progbits
; Kernel info:
; codeLenInByte = 0
; TotalNumSgprs: 0
; NumVgprs: 0
; ScratchSize: 0
; MemoryBound: 0
; FloatMode: 240
; IeeeMode: 1
; LDSByteSize: 0 bytes/workgroup (compile time only)
; SGPRBlocks: 0
; VGPRBlocks: 0
; NumSGPRsForWavesPerEU: 1
; NumVGPRsForWavesPerEU: 1
; NamedBarCnt: 0
; Occupancy: 16
; WaveLimiterHint : 0
; COMPUTE_PGM_RSRC2:SCRATCH_EN: 0
; COMPUTE_PGM_RSRC2:USER_SGPR: 2
; COMPUTE_PGM_RSRC2:TRAP_HANDLER: 0
; COMPUTE_PGM_RSRC2:TGID_X_EN: 1
; COMPUTE_PGM_RSRC2:TGID_Y_EN: 0
; COMPUTE_PGM_RSRC2:TGID_Z_EN: 0
; COMPUTE_PGM_RSRC2:TIDIG_COMP_CNT: 0
	.section	.text._ZN7rocprim17ROCPRIM_400000_NS6detail17trampoline_kernelINS0_14default_configENS1_25partition_config_selectorILNS1_17partition_subalgoE8EhNS0_10empty_typeEbEEZZNS1_14partition_implILS5_8ELb0ES3_jPKhPS6_PKS6_NS0_5tupleIJPhS6_EEENSE_IJSB_SB_EEENS0_18inequality_wrapperIN6hipcub16HIPCUB_304000_NS8EqualityEEEPlJS6_EEE10hipError_tPvRmT3_T4_T5_T6_T7_T9_mT8_P12ihipStream_tbDpT10_ENKUlT_T0_E_clISt17integral_constantIbLb1EES17_EEDaS12_S13_EUlS12_E_NS1_11comp_targetILNS1_3genE4ELNS1_11target_archE910ELNS1_3gpuE8ELNS1_3repE0EEENS1_30default_config_static_selectorELNS0_4arch9wavefront6targetE0EEEvT1_,"axG",@progbits,_ZN7rocprim17ROCPRIM_400000_NS6detail17trampoline_kernelINS0_14default_configENS1_25partition_config_selectorILNS1_17partition_subalgoE8EhNS0_10empty_typeEbEEZZNS1_14partition_implILS5_8ELb0ES3_jPKhPS6_PKS6_NS0_5tupleIJPhS6_EEENSE_IJSB_SB_EEENS0_18inequality_wrapperIN6hipcub16HIPCUB_304000_NS8EqualityEEEPlJS6_EEE10hipError_tPvRmT3_T4_T5_T6_T7_T9_mT8_P12ihipStream_tbDpT10_ENKUlT_T0_E_clISt17integral_constantIbLb1EES17_EEDaS12_S13_EUlS12_E_NS1_11comp_targetILNS1_3genE4ELNS1_11target_archE910ELNS1_3gpuE8ELNS1_3repE0EEENS1_30default_config_static_selectorELNS0_4arch9wavefront6targetE0EEEvT1_,comdat
	.protected	_ZN7rocprim17ROCPRIM_400000_NS6detail17trampoline_kernelINS0_14default_configENS1_25partition_config_selectorILNS1_17partition_subalgoE8EhNS0_10empty_typeEbEEZZNS1_14partition_implILS5_8ELb0ES3_jPKhPS6_PKS6_NS0_5tupleIJPhS6_EEENSE_IJSB_SB_EEENS0_18inequality_wrapperIN6hipcub16HIPCUB_304000_NS8EqualityEEEPlJS6_EEE10hipError_tPvRmT3_T4_T5_T6_T7_T9_mT8_P12ihipStream_tbDpT10_ENKUlT_T0_E_clISt17integral_constantIbLb1EES17_EEDaS12_S13_EUlS12_E_NS1_11comp_targetILNS1_3genE4ELNS1_11target_archE910ELNS1_3gpuE8ELNS1_3repE0EEENS1_30default_config_static_selectorELNS0_4arch9wavefront6targetE0EEEvT1_ ; -- Begin function _ZN7rocprim17ROCPRIM_400000_NS6detail17trampoline_kernelINS0_14default_configENS1_25partition_config_selectorILNS1_17partition_subalgoE8EhNS0_10empty_typeEbEEZZNS1_14partition_implILS5_8ELb0ES3_jPKhPS6_PKS6_NS0_5tupleIJPhS6_EEENSE_IJSB_SB_EEENS0_18inequality_wrapperIN6hipcub16HIPCUB_304000_NS8EqualityEEEPlJS6_EEE10hipError_tPvRmT3_T4_T5_T6_T7_T9_mT8_P12ihipStream_tbDpT10_ENKUlT_T0_E_clISt17integral_constantIbLb1EES17_EEDaS12_S13_EUlS12_E_NS1_11comp_targetILNS1_3genE4ELNS1_11target_archE910ELNS1_3gpuE8ELNS1_3repE0EEENS1_30default_config_static_selectorELNS0_4arch9wavefront6targetE0EEEvT1_
	.globl	_ZN7rocprim17ROCPRIM_400000_NS6detail17trampoline_kernelINS0_14default_configENS1_25partition_config_selectorILNS1_17partition_subalgoE8EhNS0_10empty_typeEbEEZZNS1_14partition_implILS5_8ELb0ES3_jPKhPS6_PKS6_NS0_5tupleIJPhS6_EEENSE_IJSB_SB_EEENS0_18inequality_wrapperIN6hipcub16HIPCUB_304000_NS8EqualityEEEPlJS6_EEE10hipError_tPvRmT3_T4_T5_T6_T7_T9_mT8_P12ihipStream_tbDpT10_ENKUlT_T0_E_clISt17integral_constantIbLb1EES17_EEDaS12_S13_EUlS12_E_NS1_11comp_targetILNS1_3genE4ELNS1_11target_archE910ELNS1_3gpuE8ELNS1_3repE0EEENS1_30default_config_static_selectorELNS0_4arch9wavefront6targetE0EEEvT1_
	.p2align	8
	.type	_ZN7rocprim17ROCPRIM_400000_NS6detail17trampoline_kernelINS0_14default_configENS1_25partition_config_selectorILNS1_17partition_subalgoE8EhNS0_10empty_typeEbEEZZNS1_14partition_implILS5_8ELb0ES3_jPKhPS6_PKS6_NS0_5tupleIJPhS6_EEENSE_IJSB_SB_EEENS0_18inequality_wrapperIN6hipcub16HIPCUB_304000_NS8EqualityEEEPlJS6_EEE10hipError_tPvRmT3_T4_T5_T6_T7_T9_mT8_P12ihipStream_tbDpT10_ENKUlT_T0_E_clISt17integral_constantIbLb1EES17_EEDaS12_S13_EUlS12_E_NS1_11comp_targetILNS1_3genE4ELNS1_11target_archE910ELNS1_3gpuE8ELNS1_3repE0EEENS1_30default_config_static_selectorELNS0_4arch9wavefront6targetE0EEEvT1_,@function
_ZN7rocprim17ROCPRIM_400000_NS6detail17trampoline_kernelINS0_14default_configENS1_25partition_config_selectorILNS1_17partition_subalgoE8EhNS0_10empty_typeEbEEZZNS1_14partition_implILS5_8ELb0ES3_jPKhPS6_PKS6_NS0_5tupleIJPhS6_EEENSE_IJSB_SB_EEENS0_18inequality_wrapperIN6hipcub16HIPCUB_304000_NS8EqualityEEEPlJS6_EEE10hipError_tPvRmT3_T4_T5_T6_T7_T9_mT8_P12ihipStream_tbDpT10_ENKUlT_T0_E_clISt17integral_constantIbLb1EES17_EEDaS12_S13_EUlS12_E_NS1_11comp_targetILNS1_3genE4ELNS1_11target_archE910ELNS1_3gpuE8ELNS1_3repE0EEENS1_30default_config_static_selectorELNS0_4arch9wavefront6targetE0EEEvT1_: ; @_ZN7rocprim17ROCPRIM_400000_NS6detail17trampoline_kernelINS0_14default_configENS1_25partition_config_selectorILNS1_17partition_subalgoE8EhNS0_10empty_typeEbEEZZNS1_14partition_implILS5_8ELb0ES3_jPKhPS6_PKS6_NS0_5tupleIJPhS6_EEENSE_IJSB_SB_EEENS0_18inequality_wrapperIN6hipcub16HIPCUB_304000_NS8EqualityEEEPlJS6_EEE10hipError_tPvRmT3_T4_T5_T6_T7_T9_mT8_P12ihipStream_tbDpT10_ENKUlT_T0_E_clISt17integral_constantIbLb1EES17_EEDaS12_S13_EUlS12_E_NS1_11comp_targetILNS1_3genE4ELNS1_11target_archE910ELNS1_3gpuE8ELNS1_3repE0EEENS1_30default_config_static_selectorELNS0_4arch9wavefront6targetE0EEEvT1_
; %bb.0:
	.section	.rodata,"a",@progbits
	.p2align	6, 0x0
	.amdhsa_kernel _ZN7rocprim17ROCPRIM_400000_NS6detail17trampoline_kernelINS0_14default_configENS1_25partition_config_selectorILNS1_17partition_subalgoE8EhNS0_10empty_typeEbEEZZNS1_14partition_implILS5_8ELb0ES3_jPKhPS6_PKS6_NS0_5tupleIJPhS6_EEENSE_IJSB_SB_EEENS0_18inequality_wrapperIN6hipcub16HIPCUB_304000_NS8EqualityEEEPlJS6_EEE10hipError_tPvRmT3_T4_T5_T6_T7_T9_mT8_P12ihipStream_tbDpT10_ENKUlT_T0_E_clISt17integral_constantIbLb1EES17_EEDaS12_S13_EUlS12_E_NS1_11comp_targetILNS1_3genE4ELNS1_11target_archE910ELNS1_3gpuE8ELNS1_3repE0EEENS1_30default_config_static_selectorELNS0_4arch9wavefront6targetE0EEEvT1_
		.amdhsa_group_segment_fixed_size 0
		.amdhsa_private_segment_fixed_size 0
		.amdhsa_kernarg_size 128
		.amdhsa_user_sgpr_count 2
		.amdhsa_user_sgpr_dispatch_ptr 0
		.amdhsa_user_sgpr_queue_ptr 0
		.amdhsa_user_sgpr_kernarg_segment_ptr 1
		.amdhsa_user_sgpr_dispatch_id 0
		.amdhsa_user_sgpr_kernarg_preload_length 0
		.amdhsa_user_sgpr_kernarg_preload_offset 0
		.amdhsa_user_sgpr_private_segment_size 0
		.amdhsa_wavefront_size32 1
		.amdhsa_uses_dynamic_stack 0
		.amdhsa_enable_private_segment 0
		.amdhsa_system_sgpr_workgroup_id_x 1
		.amdhsa_system_sgpr_workgroup_id_y 0
		.amdhsa_system_sgpr_workgroup_id_z 0
		.amdhsa_system_sgpr_workgroup_info 0
		.amdhsa_system_vgpr_workitem_id 0
		.amdhsa_next_free_vgpr 1
		.amdhsa_next_free_sgpr 1
		.amdhsa_named_barrier_count 0
		.amdhsa_reserve_vcc 0
		.amdhsa_float_round_mode_32 0
		.amdhsa_float_round_mode_16_64 0
		.amdhsa_float_denorm_mode_32 3
		.amdhsa_float_denorm_mode_16_64 3
		.amdhsa_fp16_overflow 0
		.amdhsa_memory_ordered 1
		.amdhsa_forward_progress 1
		.amdhsa_inst_pref_size 0
		.amdhsa_round_robin_scheduling 0
		.amdhsa_exception_fp_ieee_invalid_op 0
		.amdhsa_exception_fp_denorm_src 0
		.amdhsa_exception_fp_ieee_div_zero 0
		.amdhsa_exception_fp_ieee_overflow 0
		.amdhsa_exception_fp_ieee_underflow 0
		.amdhsa_exception_fp_ieee_inexact 0
		.amdhsa_exception_int_div_zero 0
	.end_amdhsa_kernel
	.section	.text._ZN7rocprim17ROCPRIM_400000_NS6detail17trampoline_kernelINS0_14default_configENS1_25partition_config_selectorILNS1_17partition_subalgoE8EhNS0_10empty_typeEbEEZZNS1_14partition_implILS5_8ELb0ES3_jPKhPS6_PKS6_NS0_5tupleIJPhS6_EEENSE_IJSB_SB_EEENS0_18inequality_wrapperIN6hipcub16HIPCUB_304000_NS8EqualityEEEPlJS6_EEE10hipError_tPvRmT3_T4_T5_T6_T7_T9_mT8_P12ihipStream_tbDpT10_ENKUlT_T0_E_clISt17integral_constantIbLb1EES17_EEDaS12_S13_EUlS12_E_NS1_11comp_targetILNS1_3genE4ELNS1_11target_archE910ELNS1_3gpuE8ELNS1_3repE0EEENS1_30default_config_static_selectorELNS0_4arch9wavefront6targetE0EEEvT1_,"axG",@progbits,_ZN7rocprim17ROCPRIM_400000_NS6detail17trampoline_kernelINS0_14default_configENS1_25partition_config_selectorILNS1_17partition_subalgoE8EhNS0_10empty_typeEbEEZZNS1_14partition_implILS5_8ELb0ES3_jPKhPS6_PKS6_NS0_5tupleIJPhS6_EEENSE_IJSB_SB_EEENS0_18inequality_wrapperIN6hipcub16HIPCUB_304000_NS8EqualityEEEPlJS6_EEE10hipError_tPvRmT3_T4_T5_T6_T7_T9_mT8_P12ihipStream_tbDpT10_ENKUlT_T0_E_clISt17integral_constantIbLb1EES17_EEDaS12_S13_EUlS12_E_NS1_11comp_targetILNS1_3genE4ELNS1_11target_archE910ELNS1_3gpuE8ELNS1_3repE0EEENS1_30default_config_static_selectorELNS0_4arch9wavefront6targetE0EEEvT1_,comdat
.Lfunc_end144:
	.size	_ZN7rocprim17ROCPRIM_400000_NS6detail17trampoline_kernelINS0_14default_configENS1_25partition_config_selectorILNS1_17partition_subalgoE8EhNS0_10empty_typeEbEEZZNS1_14partition_implILS5_8ELb0ES3_jPKhPS6_PKS6_NS0_5tupleIJPhS6_EEENSE_IJSB_SB_EEENS0_18inequality_wrapperIN6hipcub16HIPCUB_304000_NS8EqualityEEEPlJS6_EEE10hipError_tPvRmT3_T4_T5_T6_T7_T9_mT8_P12ihipStream_tbDpT10_ENKUlT_T0_E_clISt17integral_constantIbLb1EES17_EEDaS12_S13_EUlS12_E_NS1_11comp_targetILNS1_3genE4ELNS1_11target_archE910ELNS1_3gpuE8ELNS1_3repE0EEENS1_30default_config_static_selectorELNS0_4arch9wavefront6targetE0EEEvT1_, .Lfunc_end144-_ZN7rocprim17ROCPRIM_400000_NS6detail17trampoline_kernelINS0_14default_configENS1_25partition_config_selectorILNS1_17partition_subalgoE8EhNS0_10empty_typeEbEEZZNS1_14partition_implILS5_8ELb0ES3_jPKhPS6_PKS6_NS0_5tupleIJPhS6_EEENSE_IJSB_SB_EEENS0_18inequality_wrapperIN6hipcub16HIPCUB_304000_NS8EqualityEEEPlJS6_EEE10hipError_tPvRmT3_T4_T5_T6_T7_T9_mT8_P12ihipStream_tbDpT10_ENKUlT_T0_E_clISt17integral_constantIbLb1EES17_EEDaS12_S13_EUlS12_E_NS1_11comp_targetILNS1_3genE4ELNS1_11target_archE910ELNS1_3gpuE8ELNS1_3repE0EEENS1_30default_config_static_selectorELNS0_4arch9wavefront6targetE0EEEvT1_
                                        ; -- End function
	.set _ZN7rocprim17ROCPRIM_400000_NS6detail17trampoline_kernelINS0_14default_configENS1_25partition_config_selectorILNS1_17partition_subalgoE8EhNS0_10empty_typeEbEEZZNS1_14partition_implILS5_8ELb0ES3_jPKhPS6_PKS6_NS0_5tupleIJPhS6_EEENSE_IJSB_SB_EEENS0_18inequality_wrapperIN6hipcub16HIPCUB_304000_NS8EqualityEEEPlJS6_EEE10hipError_tPvRmT3_T4_T5_T6_T7_T9_mT8_P12ihipStream_tbDpT10_ENKUlT_T0_E_clISt17integral_constantIbLb1EES17_EEDaS12_S13_EUlS12_E_NS1_11comp_targetILNS1_3genE4ELNS1_11target_archE910ELNS1_3gpuE8ELNS1_3repE0EEENS1_30default_config_static_selectorELNS0_4arch9wavefront6targetE0EEEvT1_.num_vgpr, 0
	.set _ZN7rocprim17ROCPRIM_400000_NS6detail17trampoline_kernelINS0_14default_configENS1_25partition_config_selectorILNS1_17partition_subalgoE8EhNS0_10empty_typeEbEEZZNS1_14partition_implILS5_8ELb0ES3_jPKhPS6_PKS6_NS0_5tupleIJPhS6_EEENSE_IJSB_SB_EEENS0_18inequality_wrapperIN6hipcub16HIPCUB_304000_NS8EqualityEEEPlJS6_EEE10hipError_tPvRmT3_T4_T5_T6_T7_T9_mT8_P12ihipStream_tbDpT10_ENKUlT_T0_E_clISt17integral_constantIbLb1EES17_EEDaS12_S13_EUlS12_E_NS1_11comp_targetILNS1_3genE4ELNS1_11target_archE910ELNS1_3gpuE8ELNS1_3repE0EEENS1_30default_config_static_selectorELNS0_4arch9wavefront6targetE0EEEvT1_.num_agpr, 0
	.set _ZN7rocprim17ROCPRIM_400000_NS6detail17trampoline_kernelINS0_14default_configENS1_25partition_config_selectorILNS1_17partition_subalgoE8EhNS0_10empty_typeEbEEZZNS1_14partition_implILS5_8ELb0ES3_jPKhPS6_PKS6_NS0_5tupleIJPhS6_EEENSE_IJSB_SB_EEENS0_18inequality_wrapperIN6hipcub16HIPCUB_304000_NS8EqualityEEEPlJS6_EEE10hipError_tPvRmT3_T4_T5_T6_T7_T9_mT8_P12ihipStream_tbDpT10_ENKUlT_T0_E_clISt17integral_constantIbLb1EES17_EEDaS12_S13_EUlS12_E_NS1_11comp_targetILNS1_3genE4ELNS1_11target_archE910ELNS1_3gpuE8ELNS1_3repE0EEENS1_30default_config_static_selectorELNS0_4arch9wavefront6targetE0EEEvT1_.numbered_sgpr, 0
	.set _ZN7rocprim17ROCPRIM_400000_NS6detail17trampoline_kernelINS0_14default_configENS1_25partition_config_selectorILNS1_17partition_subalgoE8EhNS0_10empty_typeEbEEZZNS1_14partition_implILS5_8ELb0ES3_jPKhPS6_PKS6_NS0_5tupleIJPhS6_EEENSE_IJSB_SB_EEENS0_18inequality_wrapperIN6hipcub16HIPCUB_304000_NS8EqualityEEEPlJS6_EEE10hipError_tPvRmT3_T4_T5_T6_T7_T9_mT8_P12ihipStream_tbDpT10_ENKUlT_T0_E_clISt17integral_constantIbLb1EES17_EEDaS12_S13_EUlS12_E_NS1_11comp_targetILNS1_3genE4ELNS1_11target_archE910ELNS1_3gpuE8ELNS1_3repE0EEENS1_30default_config_static_selectorELNS0_4arch9wavefront6targetE0EEEvT1_.num_named_barrier, 0
	.set _ZN7rocprim17ROCPRIM_400000_NS6detail17trampoline_kernelINS0_14default_configENS1_25partition_config_selectorILNS1_17partition_subalgoE8EhNS0_10empty_typeEbEEZZNS1_14partition_implILS5_8ELb0ES3_jPKhPS6_PKS6_NS0_5tupleIJPhS6_EEENSE_IJSB_SB_EEENS0_18inequality_wrapperIN6hipcub16HIPCUB_304000_NS8EqualityEEEPlJS6_EEE10hipError_tPvRmT3_T4_T5_T6_T7_T9_mT8_P12ihipStream_tbDpT10_ENKUlT_T0_E_clISt17integral_constantIbLb1EES17_EEDaS12_S13_EUlS12_E_NS1_11comp_targetILNS1_3genE4ELNS1_11target_archE910ELNS1_3gpuE8ELNS1_3repE0EEENS1_30default_config_static_selectorELNS0_4arch9wavefront6targetE0EEEvT1_.private_seg_size, 0
	.set _ZN7rocprim17ROCPRIM_400000_NS6detail17trampoline_kernelINS0_14default_configENS1_25partition_config_selectorILNS1_17partition_subalgoE8EhNS0_10empty_typeEbEEZZNS1_14partition_implILS5_8ELb0ES3_jPKhPS6_PKS6_NS0_5tupleIJPhS6_EEENSE_IJSB_SB_EEENS0_18inequality_wrapperIN6hipcub16HIPCUB_304000_NS8EqualityEEEPlJS6_EEE10hipError_tPvRmT3_T4_T5_T6_T7_T9_mT8_P12ihipStream_tbDpT10_ENKUlT_T0_E_clISt17integral_constantIbLb1EES17_EEDaS12_S13_EUlS12_E_NS1_11comp_targetILNS1_3genE4ELNS1_11target_archE910ELNS1_3gpuE8ELNS1_3repE0EEENS1_30default_config_static_selectorELNS0_4arch9wavefront6targetE0EEEvT1_.uses_vcc, 0
	.set _ZN7rocprim17ROCPRIM_400000_NS6detail17trampoline_kernelINS0_14default_configENS1_25partition_config_selectorILNS1_17partition_subalgoE8EhNS0_10empty_typeEbEEZZNS1_14partition_implILS5_8ELb0ES3_jPKhPS6_PKS6_NS0_5tupleIJPhS6_EEENSE_IJSB_SB_EEENS0_18inequality_wrapperIN6hipcub16HIPCUB_304000_NS8EqualityEEEPlJS6_EEE10hipError_tPvRmT3_T4_T5_T6_T7_T9_mT8_P12ihipStream_tbDpT10_ENKUlT_T0_E_clISt17integral_constantIbLb1EES17_EEDaS12_S13_EUlS12_E_NS1_11comp_targetILNS1_3genE4ELNS1_11target_archE910ELNS1_3gpuE8ELNS1_3repE0EEENS1_30default_config_static_selectorELNS0_4arch9wavefront6targetE0EEEvT1_.uses_flat_scratch, 0
	.set _ZN7rocprim17ROCPRIM_400000_NS6detail17trampoline_kernelINS0_14default_configENS1_25partition_config_selectorILNS1_17partition_subalgoE8EhNS0_10empty_typeEbEEZZNS1_14partition_implILS5_8ELb0ES3_jPKhPS6_PKS6_NS0_5tupleIJPhS6_EEENSE_IJSB_SB_EEENS0_18inequality_wrapperIN6hipcub16HIPCUB_304000_NS8EqualityEEEPlJS6_EEE10hipError_tPvRmT3_T4_T5_T6_T7_T9_mT8_P12ihipStream_tbDpT10_ENKUlT_T0_E_clISt17integral_constantIbLb1EES17_EEDaS12_S13_EUlS12_E_NS1_11comp_targetILNS1_3genE4ELNS1_11target_archE910ELNS1_3gpuE8ELNS1_3repE0EEENS1_30default_config_static_selectorELNS0_4arch9wavefront6targetE0EEEvT1_.has_dyn_sized_stack, 0
	.set _ZN7rocprim17ROCPRIM_400000_NS6detail17trampoline_kernelINS0_14default_configENS1_25partition_config_selectorILNS1_17partition_subalgoE8EhNS0_10empty_typeEbEEZZNS1_14partition_implILS5_8ELb0ES3_jPKhPS6_PKS6_NS0_5tupleIJPhS6_EEENSE_IJSB_SB_EEENS0_18inequality_wrapperIN6hipcub16HIPCUB_304000_NS8EqualityEEEPlJS6_EEE10hipError_tPvRmT3_T4_T5_T6_T7_T9_mT8_P12ihipStream_tbDpT10_ENKUlT_T0_E_clISt17integral_constantIbLb1EES17_EEDaS12_S13_EUlS12_E_NS1_11comp_targetILNS1_3genE4ELNS1_11target_archE910ELNS1_3gpuE8ELNS1_3repE0EEENS1_30default_config_static_selectorELNS0_4arch9wavefront6targetE0EEEvT1_.has_recursion, 0
	.set _ZN7rocprim17ROCPRIM_400000_NS6detail17trampoline_kernelINS0_14default_configENS1_25partition_config_selectorILNS1_17partition_subalgoE8EhNS0_10empty_typeEbEEZZNS1_14partition_implILS5_8ELb0ES3_jPKhPS6_PKS6_NS0_5tupleIJPhS6_EEENSE_IJSB_SB_EEENS0_18inequality_wrapperIN6hipcub16HIPCUB_304000_NS8EqualityEEEPlJS6_EEE10hipError_tPvRmT3_T4_T5_T6_T7_T9_mT8_P12ihipStream_tbDpT10_ENKUlT_T0_E_clISt17integral_constantIbLb1EES17_EEDaS12_S13_EUlS12_E_NS1_11comp_targetILNS1_3genE4ELNS1_11target_archE910ELNS1_3gpuE8ELNS1_3repE0EEENS1_30default_config_static_selectorELNS0_4arch9wavefront6targetE0EEEvT1_.has_indirect_call, 0
	.section	.AMDGPU.csdata,"",@progbits
; Kernel info:
; codeLenInByte = 0
; TotalNumSgprs: 0
; NumVgprs: 0
; ScratchSize: 0
; MemoryBound: 0
; FloatMode: 240
; IeeeMode: 1
; LDSByteSize: 0 bytes/workgroup (compile time only)
; SGPRBlocks: 0
; VGPRBlocks: 0
; NumSGPRsForWavesPerEU: 1
; NumVGPRsForWavesPerEU: 1
; NamedBarCnt: 0
; Occupancy: 16
; WaveLimiterHint : 0
; COMPUTE_PGM_RSRC2:SCRATCH_EN: 0
; COMPUTE_PGM_RSRC2:USER_SGPR: 2
; COMPUTE_PGM_RSRC2:TRAP_HANDLER: 0
; COMPUTE_PGM_RSRC2:TGID_X_EN: 1
; COMPUTE_PGM_RSRC2:TGID_Y_EN: 0
; COMPUTE_PGM_RSRC2:TGID_Z_EN: 0
; COMPUTE_PGM_RSRC2:TIDIG_COMP_CNT: 0
	.section	.text._ZN7rocprim17ROCPRIM_400000_NS6detail17trampoline_kernelINS0_14default_configENS1_25partition_config_selectorILNS1_17partition_subalgoE8EhNS0_10empty_typeEbEEZZNS1_14partition_implILS5_8ELb0ES3_jPKhPS6_PKS6_NS0_5tupleIJPhS6_EEENSE_IJSB_SB_EEENS0_18inequality_wrapperIN6hipcub16HIPCUB_304000_NS8EqualityEEEPlJS6_EEE10hipError_tPvRmT3_T4_T5_T6_T7_T9_mT8_P12ihipStream_tbDpT10_ENKUlT_T0_E_clISt17integral_constantIbLb1EES17_EEDaS12_S13_EUlS12_E_NS1_11comp_targetILNS1_3genE3ELNS1_11target_archE908ELNS1_3gpuE7ELNS1_3repE0EEENS1_30default_config_static_selectorELNS0_4arch9wavefront6targetE0EEEvT1_,"axG",@progbits,_ZN7rocprim17ROCPRIM_400000_NS6detail17trampoline_kernelINS0_14default_configENS1_25partition_config_selectorILNS1_17partition_subalgoE8EhNS0_10empty_typeEbEEZZNS1_14partition_implILS5_8ELb0ES3_jPKhPS6_PKS6_NS0_5tupleIJPhS6_EEENSE_IJSB_SB_EEENS0_18inequality_wrapperIN6hipcub16HIPCUB_304000_NS8EqualityEEEPlJS6_EEE10hipError_tPvRmT3_T4_T5_T6_T7_T9_mT8_P12ihipStream_tbDpT10_ENKUlT_T0_E_clISt17integral_constantIbLb1EES17_EEDaS12_S13_EUlS12_E_NS1_11comp_targetILNS1_3genE3ELNS1_11target_archE908ELNS1_3gpuE7ELNS1_3repE0EEENS1_30default_config_static_selectorELNS0_4arch9wavefront6targetE0EEEvT1_,comdat
	.protected	_ZN7rocprim17ROCPRIM_400000_NS6detail17trampoline_kernelINS0_14default_configENS1_25partition_config_selectorILNS1_17partition_subalgoE8EhNS0_10empty_typeEbEEZZNS1_14partition_implILS5_8ELb0ES3_jPKhPS6_PKS6_NS0_5tupleIJPhS6_EEENSE_IJSB_SB_EEENS0_18inequality_wrapperIN6hipcub16HIPCUB_304000_NS8EqualityEEEPlJS6_EEE10hipError_tPvRmT3_T4_T5_T6_T7_T9_mT8_P12ihipStream_tbDpT10_ENKUlT_T0_E_clISt17integral_constantIbLb1EES17_EEDaS12_S13_EUlS12_E_NS1_11comp_targetILNS1_3genE3ELNS1_11target_archE908ELNS1_3gpuE7ELNS1_3repE0EEENS1_30default_config_static_selectorELNS0_4arch9wavefront6targetE0EEEvT1_ ; -- Begin function _ZN7rocprim17ROCPRIM_400000_NS6detail17trampoline_kernelINS0_14default_configENS1_25partition_config_selectorILNS1_17partition_subalgoE8EhNS0_10empty_typeEbEEZZNS1_14partition_implILS5_8ELb0ES3_jPKhPS6_PKS6_NS0_5tupleIJPhS6_EEENSE_IJSB_SB_EEENS0_18inequality_wrapperIN6hipcub16HIPCUB_304000_NS8EqualityEEEPlJS6_EEE10hipError_tPvRmT3_T4_T5_T6_T7_T9_mT8_P12ihipStream_tbDpT10_ENKUlT_T0_E_clISt17integral_constantIbLb1EES17_EEDaS12_S13_EUlS12_E_NS1_11comp_targetILNS1_3genE3ELNS1_11target_archE908ELNS1_3gpuE7ELNS1_3repE0EEENS1_30default_config_static_selectorELNS0_4arch9wavefront6targetE0EEEvT1_
	.globl	_ZN7rocprim17ROCPRIM_400000_NS6detail17trampoline_kernelINS0_14default_configENS1_25partition_config_selectorILNS1_17partition_subalgoE8EhNS0_10empty_typeEbEEZZNS1_14partition_implILS5_8ELb0ES3_jPKhPS6_PKS6_NS0_5tupleIJPhS6_EEENSE_IJSB_SB_EEENS0_18inequality_wrapperIN6hipcub16HIPCUB_304000_NS8EqualityEEEPlJS6_EEE10hipError_tPvRmT3_T4_T5_T6_T7_T9_mT8_P12ihipStream_tbDpT10_ENKUlT_T0_E_clISt17integral_constantIbLb1EES17_EEDaS12_S13_EUlS12_E_NS1_11comp_targetILNS1_3genE3ELNS1_11target_archE908ELNS1_3gpuE7ELNS1_3repE0EEENS1_30default_config_static_selectorELNS0_4arch9wavefront6targetE0EEEvT1_
	.p2align	8
	.type	_ZN7rocprim17ROCPRIM_400000_NS6detail17trampoline_kernelINS0_14default_configENS1_25partition_config_selectorILNS1_17partition_subalgoE8EhNS0_10empty_typeEbEEZZNS1_14partition_implILS5_8ELb0ES3_jPKhPS6_PKS6_NS0_5tupleIJPhS6_EEENSE_IJSB_SB_EEENS0_18inequality_wrapperIN6hipcub16HIPCUB_304000_NS8EqualityEEEPlJS6_EEE10hipError_tPvRmT3_T4_T5_T6_T7_T9_mT8_P12ihipStream_tbDpT10_ENKUlT_T0_E_clISt17integral_constantIbLb1EES17_EEDaS12_S13_EUlS12_E_NS1_11comp_targetILNS1_3genE3ELNS1_11target_archE908ELNS1_3gpuE7ELNS1_3repE0EEENS1_30default_config_static_selectorELNS0_4arch9wavefront6targetE0EEEvT1_,@function
_ZN7rocprim17ROCPRIM_400000_NS6detail17trampoline_kernelINS0_14default_configENS1_25partition_config_selectorILNS1_17partition_subalgoE8EhNS0_10empty_typeEbEEZZNS1_14partition_implILS5_8ELb0ES3_jPKhPS6_PKS6_NS0_5tupleIJPhS6_EEENSE_IJSB_SB_EEENS0_18inequality_wrapperIN6hipcub16HIPCUB_304000_NS8EqualityEEEPlJS6_EEE10hipError_tPvRmT3_T4_T5_T6_T7_T9_mT8_P12ihipStream_tbDpT10_ENKUlT_T0_E_clISt17integral_constantIbLb1EES17_EEDaS12_S13_EUlS12_E_NS1_11comp_targetILNS1_3genE3ELNS1_11target_archE908ELNS1_3gpuE7ELNS1_3repE0EEENS1_30default_config_static_selectorELNS0_4arch9wavefront6targetE0EEEvT1_: ; @_ZN7rocprim17ROCPRIM_400000_NS6detail17trampoline_kernelINS0_14default_configENS1_25partition_config_selectorILNS1_17partition_subalgoE8EhNS0_10empty_typeEbEEZZNS1_14partition_implILS5_8ELb0ES3_jPKhPS6_PKS6_NS0_5tupleIJPhS6_EEENSE_IJSB_SB_EEENS0_18inequality_wrapperIN6hipcub16HIPCUB_304000_NS8EqualityEEEPlJS6_EEE10hipError_tPvRmT3_T4_T5_T6_T7_T9_mT8_P12ihipStream_tbDpT10_ENKUlT_T0_E_clISt17integral_constantIbLb1EES17_EEDaS12_S13_EUlS12_E_NS1_11comp_targetILNS1_3genE3ELNS1_11target_archE908ELNS1_3gpuE7ELNS1_3repE0EEENS1_30default_config_static_selectorELNS0_4arch9wavefront6targetE0EEEvT1_
; %bb.0:
	.section	.rodata,"a",@progbits
	.p2align	6, 0x0
	.amdhsa_kernel _ZN7rocprim17ROCPRIM_400000_NS6detail17trampoline_kernelINS0_14default_configENS1_25partition_config_selectorILNS1_17partition_subalgoE8EhNS0_10empty_typeEbEEZZNS1_14partition_implILS5_8ELb0ES3_jPKhPS6_PKS6_NS0_5tupleIJPhS6_EEENSE_IJSB_SB_EEENS0_18inequality_wrapperIN6hipcub16HIPCUB_304000_NS8EqualityEEEPlJS6_EEE10hipError_tPvRmT3_T4_T5_T6_T7_T9_mT8_P12ihipStream_tbDpT10_ENKUlT_T0_E_clISt17integral_constantIbLb1EES17_EEDaS12_S13_EUlS12_E_NS1_11comp_targetILNS1_3genE3ELNS1_11target_archE908ELNS1_3gpuE7ELNS1_3repE0EEENS1_30default_config_static_selectorELNS0_4arch9wavefront6targetE0EEEvT1_
		.amdhsa_group_segment_fixed_size 0
		.amdhsa_private_segment_fixed_size 0
		.amdhsa_kernarg_size 128
		.amdhsa_user_sgpr_count 2
		.amdhsa_user_sgpr_dispatch_ptr 0
		.amdhsa_user_sgpr_queue_ptr 0
		.amdhsa_user_sgpr_kernarg_segment_ptr 1
		.amdhsa_user_sgpr_dispatch_id 0
		.amdhsa_user_sgpr_kernarg_preload_length 0
		.amdhsa_user_sgpr_kernarg_preload_offset 0
		.amdhsa_user_sgpr_private_segment_size 0
		.amdhsa_wavefront_size32 1
		.amdhsa_uses_dynamic_stack 0
		.amdhsa_enable_private_segment 0
		.amdhsa_system_sgpr_workgroup_id_x 1
		.amdhsa_system_sgpr_workgroup_id_y 0
		.amdhsa_system_sgpr_workgroup_id_z 0
		.amdhsa_system_sgpr_workgroup_info 0
		.amdhsa_system_vgpr_workitem_id 0
		.amdhsa_next_free_vgpr 1
		.amdhsa_next_free_sgpr 1
		.amdhsa_named_barrier_count 0
		.amdhsa_reserve_vcc 0
		.amdhsa_float_round_mode_32 0
		.amdhsa_float_round_mode_16_64 0
		.amdhsa_float_denorm_mode_32 3
		.amdhsa_float_denorm_mode_16_64 3
		.amdhsa_fp16_overflow 0
		.amdhsa_memory_ordered 1
		.amdhsa_forward_progress 1
		.amdhsa_inst_pref_size 0
		.amdhsa_round_robin_scheduling 0
		.amdhsa_exception_fp_ieee_invalid_op 0
		.amdhsa_exception_fp_denorm_src 0
		.amdhsa_exception_fp_ieee_div_zero 0
		.amdhsa_exception_fp_ieee_overflow 0
		.amdhsa_exception_fp_ieee_underflow 0
		.amdhsa_exception_fp_ieee_inexact 0
		.amdhsa_exception_int_div_zero 0
	.end_amdhsa_kernel
	.section	.text._ZN7rocprim17ROCPRIM_400000_NS6detail17trampoline_kernelINS0_14default_configENS1_25partition_config_selectorILNS1_17partition_subalgoE8EhNS0_10empty_typeEbEEZZNS1_14partition_implILS5_8ELb0ES3_jPKhPS6_PKS6_NS0_5tupleIJPhS6_EEENSE_IJSB_SB_EEENS0_18inequality_wrapperIN6hipcub16HIPCUB_304000_NS8EqualityEEEPlJS6_EEE10hipError_tPvRmT3_T4_T5_T6_T7_T9_mT8_P12ihipStream_tbDpT10_ENKUlT_T0_E_clISt17integral_constantIbLb1EES17_EEDaS12_S13_EUlS12_E_NS1_11comp_targetILNS1_3genE3ELNS1_11target_archE908ELNS1_3gpuE7ELNS1_3repE0EEENS1_30default_config_static_selectorELNS0_4arch9wavefront6targetE0EEEvT1_,"axG",@progbits,_ZN7rocprim17ROCPRIM_400000_NS6detail17trampoline_kernelINS0_14default_configENS1_25partition_config_selectorILNS1_17partition_subalgoE8EhNS0_10empty_typeEbEEZZNS1_14partition_implILS5_8ELb0ES3_jPKhPS6_PKS6_NS0_5tupleIJPhS6_EEENSE_IJSB_SB_EEENS0_18inequality_wrapperIN6hipcub16HIPCUB_304000_NS8EqualityEEEPlJS6_EEE10hipError_tPvRmT3_T4_T5_T6_T7_T9_mT8_P12ihipStream_tbDpT10_ENKUlT_T0_E_clISt17integral_constantIbLb1EES17_EEDaS12_S13_EUlS12_E_NS1_11comp_targetILNS1_3genE3ELNS1_11target_archE908ELNS1_3gpuE7ELNS1_3repE0EEENS1_30default_config_static_selectorELNS0_4arch9wavefront6targetE0EEEvT1_,comdat
.Lfunc_end145:
	.size	_ZN7rocprim17ROCPRIM_400000_NS6detail17trampoline_kernelINS0_14default_configENS1_25partition_config_selectorILNS1_17partition_subalgoE8EhNS0_10empty_typeEbEEZZNS1_14partition_implILS5_8ELb0ES3_jPKhPS6_PKS6_NS0_5tupleIJPhS6_EEENSE_IJSB_SB_EEENS0_18inequality_wrapperIN6hipcub16HIPCUB_304000_NS8EqualityEEEPlJS6_EEE10hipError_tPvRmT3_T4_T5_T6_T7_T9_mT8_P12ihipStream_tbDpT10_ENKUlT_T0_E_clISt17integral_constantIbLb1EES17_EEDaS12_S13_EUlS12_E_NS1_11comp_targetILNS1_3genE3ELNS1_11target_archE908ELNS1_3gpuE7ELNS1_3repE0EEENS1_30default_config_static_selectorELNS0_4arch9wavefront6targetE0EEEvT1_, .Lfunc_end145-_ZN7rocprim17ROCPRIM_400000_NS6detail17trampoline_kernelINS0_14default_configENS1_25partition_config_selectorILNS1_17partition_subalgoE8EhNS0_10empty_typeEbEEZZNS1_14partition_implILS5_8ELb0ES3_jPKhPS6_PKS6_NS0_5tupleIJPhS6_EEENSE_IJSB_SB_EEENS0_18inequality_wrapperIN6hipcub16HIPCUB_304000_NS8EqualityEEEPlJS6_EEE10hipError_tPvRmT3_T4_T5_T6_T7_T9_mT8_P12ihipStream_tbDpT10_ENKUlT_T0_E_clISt17integral_constantIbLb1EES17_EEDaS12_S13_EUlS12_E_NS1_11comp_targetILNS1_3genE3ELNS1_11target_archE908ELNS1_3gpuE7ELNS1_3repE0EEENS1_30default_config_static_selectorELNS0_4arch9wavefront6targetE0EEEvT1_
                                        ; -- End function
	.set _ZN7rocprim17ROCPRIM_400000_NS6detail17trampoline_kernelINS0_14default_configENS1_25partition_config_selectorILNS1_17partition_subalgoE8EhNS0_10empty_typeEbEEZZNS1_14partition_implILS5_8ELb0ES3_jPKhPS6_PKS6_NS0_5tupleIJPhS6_EEENSE_IJSB_SB_EEENS0_18inequality_wrapperIN6hipcub16HIPCUB_304000_NS8EqualityEEEPlJS6_EEE10hipError_tPvRmT3_T4_T5_T6_T7_T9_mT8_P12ihipStream_tbDpT10_ENKUlT_T0_E_clISt17integral_constantIbLb1EES17_EEDaS12_S13_EUlS12_E_NS1_11comp_targetILNS1_3genE3ELNS1_11target_archE908ELNS1_3gpuE7ELNS1_3repE0EEENS1_30default_config_static_selectorELNS0_4arch9wavefront6targetE0EEEvT1_.num_vgpr, 0
	.set _ZN7rocprim17ROCPRIM_400000_NS6detail17trampoline_kernelINS0_14default_configENS1_25partition_config_selectorILNS1_17partition_subalgoE8EhNS0_10empty_typeEbEEZZNS1_14partition_implILS5_8ELb0ES3_jPKhPS6_PKS6_NS0_5tupleIJPhS6_EEENSE_IJSB_SB_EEENS0_18inequality_wrapperIN6hipcub16HIPCUB_304000_NS8EqualityEEEPlJS6_EEE10hipError_tPvRmT3_T4_T5_T6_T7_T9_mT8_P12ihipStream_tbDpT10_ENKUlT_T0_E_clISt17integral_constantIbLb1EES17_EEDaS12_S13_EUlS12_E_NS1_11comp_targetILNS1_3genE3ELNS1_11target_archE908ELNS1_3gpuE7ELNS1_3repE0EEENS1_30default_config_static_selectorELNS0_4arch9wavefront6targetE0EEEvT1_.num_agpr, 0
	.set _ZN7rocprim17ROCPRIM_400000_NS6detail17trampoline_kernelINS0_14default_configENS1_25partition_config_selectorILNS1_17partition_subalgoE8EhNS0_10empty_typeEbEEZZNS1_14partition_implILS5_8ELb0ES3_jPKhPS6_PKS6_NS0_5tupleIJPhS6_EEENSE_IJSB_SB_EEENS0_18inequality_wrapperIN6hipcub16HIPCUB_304000_NS8EqualityEEEPlJS6_EEE10hipError_tPvRmT3_T4_T5_T6_T7_T9_mT8_P12ihipStream_tbDpT10_ENKUlT_T0_E_clISt17integral_constantIbLb1EES17_EEDaS12_S13_EUlS12_E_NS1_11comp_targetILNS1_3genE3ELNS1_11target_archE908ELNS1_3gpuE7ELNS1_3repE0EEENS1_30default_config_static_selectorELNS0_4arch9wavefront6targetE0EEEvT1_.numbered_sgpr, 0
	.set _ZN7rocprim17ROCPRIM_400000_NS6detail17trampoline_kernelINS0_14default_configENS1_25partition_config_selectorILNS1_17partition_subalgoE8EhNS0_10empty_typeEbEEZZNS1_14partition_implILS5_8ELb0ES3_jPKhPS6_PKS6_NS0_5tupleIJPhS6_EEENSE_IJSB_SB_EEENS0_18inequality_wrapperIN6hipcub16HIPCUB_304000_NS8EqualityEEEPlJS6_EEE10hipError_tPvRmT3_T4_T5_T6_T7_T9_mT8_P12ihipStream_tbDpT10_ENKUlT_T0_E_clISt17integral_constantIbLb1EES17_EEDaS12_S13_EUlS12_E_NS1_11comp_targetILNS1_3genE3ELNS1_11target_archE908ELNS1_3gpuE7ELNS1_3repE0EEENS1_30default_config_static_selectorELNS0_4arch9wavefront6targetE0EEEvT1_.num_named_barrier, 0
	.set _ZN7rocprim17ROCPRIM_400000_NS6detail17trampoline_kernelINS0_14default_configENS1_25partition_config_selectorILNS1_17partition_subalgoE8EhNS0_10empty_typeEbEEZZNS1_14partition_implILS5_8ELb0ES3_jPKhPS6_PKS6_NS0_5tupleIJPhS6_EEENSE_IJSB_SB_EEENS0_18inequality_wrapperIN6hipcub16HIPCUB_304000_NS8EqualityEEEPlJS6_EEE10hipError_tPvRmT3_T4_T5_T6_T7_T9_mT8_P12ihipStream_tbDpT10_ENKUlT_T0_E_clISt17integral_constantIbLb1EES17_EEDaS12_S13_EUlS12_E_NS1_11comp_targetILNS1_3genE3ELNS1_11target_archE908ELNS1_3gpuE7ELNS1_3repE0EEENS1_30default_config_static_selectorELNS0_4arch9wavefront6targetE0EEEvT1_.private_seg_size, 0
	.set _ZN7rocprim17ROCPRIM_400000_NS6detail17trampoline_kernelINS0_14default_configENS1_25partition_config_selectorILNS1_17partition_subalgoE8EhNS0_10empty_typeEbEEZZNS1_14partition_implILS5_8ELb0ES3_jPKhPS6_PKS6_NS0_5tupleIJPhS6_EEENSE_IJSB_SB_EEENS0_18inequality_wrapperIN6hipcub16HIPCUB_304000_NS8EqualityEEEPlJS6_EEE10hipError_tPvRmT3_T4_T5_T6_T7_T9_mT8_P12ihipStream_tbDpT10_ENKUlT_T0_E_clISt17integral_constantIbLb1EES17_EEDaS12_S13_EUlS12_E_NS1_11comp_targetILNS1_3genE3ELNS1_11target_archE908ELNS1_3gpuE7ELNS1_3repE0EEENS1_30default_config_static_selectorELNS0_4arch9wavefront6targetE0EEEvT1_.uses_vcc, 0
	.set _ZN7rocprim17ROCPRIM_400000_NS6detail17trampoline_kernelINS0_14default_configENS1_25partition_config_selectorILNS1_17partition_subalgoE8EhNS0_10empty_typeEbEEZZNS1_14partition_implILS5_8ELb0ES3_jPKhPS6_PKS6_NS0_5tupleIJPhS6_EEENSE_IJSB_SB_EEENS0_18inequality_wrapperIN6hipcub16HIPCUB_304000_NS8EqualityEEEPlJS6_EEE10hipError_tPvRmT3_T4_T5_T6_T7_T9_mT8_P12ihipStream_tbDpT10_ENKUlT_T0_E_clISt17integral_constantIbLb1EES17_EEDaS12_S13_EUlS12_E_NS1_11comp_targetILNS1_3genE3ELNS1_11target_archE908ELNS1_3gpuE7ELNS1_3repE0EEENS1_30default_config_static_selectorELNS0_4arch9wavefront6targetE0EEEvT1_.uses_flat_scratch, 0
	.set _ZN7rocprim17ROCPRIM_400000_NS6detail17trampoline_kernelINS0_14default_configENS1_25partition_config_selectorILNS1_17partition_subalgoE8EhNS0_10empty_typeEbEEZZNS1_14partition_implILS5_8ELb0ES3_jPKhPS6_PKS6_NS0_5tupleIJPhS6_EEENSE_IJSB_SB_EEENS0_18inequality_wrapperIN6hipcub16HIPCUB_304000_NS8EqualityEEEPlJS6_EEE10hipError_tPvRmT3_T4_T5_T6_T7_T9_mT8_P12ihipStream_tbDpT10_ENKUlT_T0_E_clISt17integral_constantIbLb1EES17_EEDaS12_S13_EUlS12_E_NS1_11comp_targetILNS1_3genE3ELNS1_11target_archE908ELNS1_3gpuE7ELNS1_3repE0EEENS1_30default_config_static_selectorELNS0_4arch9wavefront6targetE0EEEvT1_.has_dyn_sized_stack, 0
	.set _ZN7rocprim17ROCPRIM_400000_NS6detail17trampoline_kernelINS0_14default_configENS1_25partition_config_selectorILNS1_17partition_subalgoE8EhNS0_10empty_typeEbEEZZNS1_14partition_implILS5_8ELb0ES3_jPKhPS6_PKS6_NS0_5tupleIJPhS6_EEENSE_IJSB_SB_EEENS0_18inequality_wrapperIN6hipcub16HIPCUB_304000_NS8EqualityEEEPlJS6_EEE10hipError_tPvRmT3_T4_T5_T6_T7_T9_mT8_P12ihipStream_tbDpT10_ENKUlT_T0_E_clISt17integral_constantIbLb1EES17_EEDaS12_S13_EUlS12_E_NS1_11comp_targetILNS1_3genE3ELNS1_11target_archE908ELNS1_3gpuE7ELNS1_3repE0EEENS1_30default_config_static_selectorELNS0_4arch9wavefront6targetE0EEEvT1_.has_recursion, 0
	.set _ZN7rocprim17ROCPRIM_400000_NS6detail17trampoline_kernelINS0_14default_configENS1_25partition_config_selectorILNS1_17partition_subalgoE8EhNS0_10empty_typeEbEEZZNS1_14partition_implILS5_8ELb0ES3_jPKhPS6_PKS6_NS0_5tupleIJPhS6_EEENSE_IJSB_SB_EEENS0_18inequality_wrapperIN6hipcub16HIPCUB_304000_NS8EqualityEEEPlJS6_EEE10hipError_tPvRmT3_T4_T5_T6_T7_T9_mT8_P12ihipStream_tbDpT10_ENKUlT_T0_E_clISt17integral_constantIbLb1EES17_EEDaS12_S13_EUlS12_E_NS1_11comp_targetILNS1_3genE3ELNS1_11target_archE908ELNS1_3gpuE7ELNS1_3repE0EEENS1_30default_config_static_selectorELNS0_4arch9wavefront6targetE0EEEvT1_.has_indirect_call, 0
	.section	.AMDGPU.csdata,"",@progbits
; Kernel info:
; codeLenInByte = 0
; TotalNumSgprs: 0
; NumVgprs: 0
; ScratchSize: 0
; MemoryBound: 0
; FloatMode: 240
; IeeeMode: 1
; LDSByteSize: 0 bytes/workgroup (compile time only)
; SGPRBlocks: 0
; VGPRBlocks: 0
; NumSGPRsForWavesPerEU: 1
; NumVGPRsForWavesPerEU: 1
; NamedBarCnt: 0
; Occupancy: 16
; WaveLimiterHint : 0
; COMPUTE_PGM_RSRC2:SCRATCH_EN: 0
; COMPUTE_PGM_RSRC2:USER_SGPR: 2
; COMPUTE_PGM_RSRC2:TRAP_HANDLER: 0
; COMPUTE_PGM_RSRC2:TGID_X_EN: 1
; COMPUTE_PGM_RSRC2:TGID_Y_EN: 0
; COMPUTE_PGM_RSRC2:TGID_Z_EN: 0
; COMPUTE_PGM_RSRC2:TIDIG_COMP_CNT: 0
	.section	.text._ZN7rocprim17ROCPRIM_400000_NS6detail17trampoline_kernelINS0_14default_configENS1_25partition_config_selectorILNS1_17partition_subalgoE8EhNS0_10empty_typeEbEEZZNS1_14partition_implILS5_8ELb0ES3_jPKhPS6_PKS6_NS0_5tupleIJPhS6_EEENSE_IJSB_SB_EEENS0_18inequality_wrapperIN6hipcub16HIPCUB_304000_NS8EqualityEEEPlJS6_EEE10hipError_tPvRmT3_T4_T5_T6_T7_T9_mT8_P12ihipStream_tbDpT10_ENKUlT_T0_E_clISt17integral_constantIbLb1EES17_EEDaS12_S13_EUlS12_E_NS1_11comp_targetILNS1_3genE2ELNS1_11target_archE906ELNS1_3gpuE6ELNS1_3repE0EEENS1_30default_config_static_selectorELNS0_4arch9wavefront6targetE0EEEvT1_,"axG",@progbits,_ZN7rocprim17ROCPRIM_400000_NS6detail17trampoline_kernelINS0_14default_configENS1_25partition_config_selectorILNS1_17partition_subalgoE8EhNS0_10empty_typeEbEEZZNS1_14partition_implILS5_8ELb0ES3_jPKhPS6_PKS6_NS0_5tupleIJPhS6_EEENSE_IJSB_SB_EEENS0_18inequality_wrapperIN6hipcub16HIPCUB_304000_NS8EqualityEEEPlJS6_EEE10hipError_tPvRmT3_T4_T5_T6_T7_T9_mT8_P12ihipStream_tbDpT10_ENKUlT_T0_E_clISt17integral_constantIbLb1EES17_EEDaS12_S13_EUlS12_E_NS1_11comp_targetILNS1_3genE2ELNS1_11target_archE906ELNS1_3gpuE6ELNS1_3repE0EEENS1_30default_config_static_selectorELNS0_4arch9wavefront6targetE0EEEvT1_,comdat
	.protected	_ZN7rocprim17ROCPRIM_400000_NS6detail17trampoline_kernelINS0_14default_configENS1_25partition_config_selectorILNS1_17partition_subalgoE8EhNS0_10empty_typeEbEEZZNS1_14partition_implILS5_8ELb0ES3_jPKhPS6_PKS6_NS0_5tupleIJPhS6_EEENSE_IJSB_SB_EEENS0_18inequality_wrapperIN6hipcub16HIPCUB_304000_NS8EqualityEEEPlJS6_EEE10hipError_tPvRmT3_T4_T5_T6_T7_T9_mT8_P12ihipStream_tbDpT10_ENKUlT_T0_E_clISt17integral_constantIbLb1EES17_EEDaS12_S13_EUlS12_E_NS1_11comp_targetILNS1_3genE2ELNS1_11target_archE906ELNS1_3gpuE6ELNS1_3repE0EEENS1_30default_config_static_selectorELNS0_4arch9wavefront6targetE0EEEvT1_ ; -- Begin function _ZN7rocprim17ROCPRIM_400000_NS6detail17trampoline_kernelINS0_14default_configENS1_25partition_config_selectorILNS1_17partition_subalgoE8EhNS0_10empty_typeEbEEZZNS1_14partition_implILS5_8ELb0ES3_jPKhPS6_PKS6_NS0_5tupleIJPhS6_EEENSE_IJSB_SB_EEENS0_18inequality_wrapperIN6hipcub16HIPCUB_304000_NS8EqualityEEEPlJS6_EEE10hipError_tPvRmT3_T4_T5_T6_T7_T9_mT8_P12ihipStream_tbDpT10_ENKUlT_T0_E_clISt17integral_constantIbLb1EES17_EEDaS12_S13_EUlS12_E_NS1_11comp_targetILNS1_3genE2ELNS1_11target_archE906ELNS1_3gpuE6ELNS1_3repE0EEENS1_30default_config_static_selectorELNS0_4arch9wavefront6targetE0EEEvT1_
	.globl	_ZN7rocprim17ROCPRIM_400000_NS6detail17trampoline_kernelINS0_14default_configENS1_25partition_config_selectorILNS1_17partition_subalgoE8EhNS0_10empty_typeEbEEZZNS1_14partition_implILS5_8ELb0ES3_jPKhPS6_PKS6_NS0_5tupleIJPhS6_EEENSE_IJSB_SB_EEENS0_18inequality_wrapperIN6hipcub16HIPCUB_304000_NS8EqualityEEEPlJS6_EEE10hipError_tPvRmT3_T4_T5_T6_T7_T9_mT8_P12ihipStream_tbDpT10_ENKUlT_T0_E_clISt17integral_constantIbLb1EES17_EEDaS12_S13_EUlS12_E_NS1_11comp_targetILNS1_3genE2ELNS1_11target_archE906ELNS1_3gpuE6ELNS1_3repE0EEENS1_30default_config_static_selectorELNS0_4arch9wavefront6targetE0EEEvT1_
	.p2align	8
	.type	_ZN7rocprim17ROCPRIM_400000_NS6detail17trampoline_kernelINS0_14default_configENS1_25partition_config_selectorILNS1_17partition_subalgoE8EhNS0_10empty_typeEbEEZZNS1_14partition_implILS5_8ELb0ES3_jPKhPS6_PKS6_NS0_5tupleIJPhS6_EEENSE_IJSB_SB_EEENS0_18inequality_wrapperIN6hipcub16HIPCUB_304000_NS8EqualityEEEPlJS6_EEE10hipError_tPvRmT3_T4_T5_T6_T7_T9_mT8_P12ihipStream_tbDpT10_ENKUlT_T0_E_clISt17integral_constantIbLb1EES17_EEDaS12_S13_EUlS12_E_NS1_11comp_targetILNS1_3genE2ELNS1_11target_archE906ELNS1_3gpuE6ELNS1_3repE0EEENS1_30default_config_static_selectorELNS0_4arch9wavefront6targetE0EEEvT1_,@function
_ZN7rocprim17ROCPRIM_400000_NS6detail17trampoline_kernelINS0_14default_configENS1_25partition_config_selectorILNS1_17partition_subalgoE8EhNS0_10empty_typeEbEEZZNS1_14partition_implILS5_8ELb0ES3_jPKhPS6_PKS6_NS0_5tupleIJPhS6_EEENSE_IJSB_SB_EEENS0_18inequality_wrapperIN6hipcub16HIPCUB_304000_NS8EqualityEEEPlJS6_EEE10hipError_tPvRmT3_T4_T5_T6_T7_T9_mT8_P12ihipStream_tbDpT10_ENKUlT_T0_E_clISt17integral_constantIbLb1EES17_EEDaS12_S13_EUlS12_E_NS1_11comp_targetILNS1_3genE2ELNS1_11target_archE906ELNS1_3gpuE6ELNS1_3repE0EEENS1_30default_config_static_selectorELNS0_4arch9wavefront6targetE0EEEvT1_: ; @_ZN7rocprim17ROCPRIM_400000_NS6detail17trampoline_kernelINS0_14default_configENS1_25partition_config_selectorILNS1_17partition_subalgoE8EhNS0_10empty_typeEbEEZZNS1_14partition_implILS5_8ELb0ES3_jPKhPS6_PKS6_NS0_5tupleIJPhS6_EEENSE_IJSB_SB_EEENS0_18inequality_wrapperIN6hipcub16HIPCUB_304000_NS8EqualityEEEPlJS6_EEE10hipError_tPvRmT3_T4_T5_T6_T7_T9_mT8_P12ihipStream_tbDpT10_ENKUlT_T0_E_clISt17integral_constantIbLb1EES17_EEDaS12_S13_EUlS12_E_NS1_11comp_targetILNS1_3genE2ELNS1_11target_archE906ELNS1_3gpuE6ELNS1_3repE0EEENS1_30default_config_static_selectorELNS0_4arch9wavefront6targetE0EEEvT1_
; %bb.0:
	.section	.rodata,"a",@progbits
	.p2align	6, 0x0
	.amdhsa_kernel _ZN7rocprim17ROCPRIM_400000_NS6detail17trampoline_kernelINS0_14default_configENS1_25partition_config_selectorILNS1_17partition_subalgoE8EhNS0_10empty_typeEbEEZZNS1_14partition_implILS5_8ELb0ES3_jPKhPS6_PKS6_NS0_5tupleIJPhS6_EEENSE_IJSB_SB_EEENS0_18inequality_wrapperIN6hipcub16HIPCUB_304000_NS8EqualityEEEPlJS6_EEE10hipError_tPvRmT3_T4_T5_T6_T7_T9_mT8_P12ihipStream_tbDpT10_ENKUlT_T0_E_clISt17integral_constantIbLb1EES17_EEDaS12_S13_EUlS12_E_NS1_11comp_targetILNS1_3genE2ELNS1_11target_archE906ELNS1_3gpuE6ELNS1_3repE0EEENS1_30default_config_static_selectorELNS0_4arch9wavefront6targetE0EEEvT1_
		.amdhsa_group_segment_fixed_size 0
		.amdhsa_private_segment_fixed_size 0
		.amdhsa_kernarg_size 128
		.amdhsa_user_sgpr_count 2
		.amdhsa_user_sgpr_dispatch_ptr 0
		.amdhsa_user_sgpr_queue_ptr 0
		.amdhsa_user_sgpr_kernarg_segment_ptr 1
		.amdhsa_user_sgpr_dispatch_id 0
		.amdhsa_user_sgpr_kernarg_preload_length 0
		.amdhsa_user_sgpr_kernarg_preload_offset 0
		.amdhsa_user_sgpr_private_segment_size 0
		.amdhsa_wavefront_size32 1
		.amdhsa_uses_dynamic_stack 0
		.amdhsa_enable_private_segment 0
		.amdhsa_system_sgpr_workgroup_id_x 1
		.amdhsa_system_sgpr_workgroup_id_y 0
		.amdhsa_system_sgpr_workgroup_id_z 0
		.amdhsa_system_sgpr_workgroup_info 0
		.amdhsa_system_vgpr_workitem_id 0
		.amdhsa_next_free_vgpr 1
		.amdhsa_next_free_sgpr 1
		.amdhsa_named_barrier_count 0
		.amdhsa_reserve_vcc 0
		.amdhsa_float_round_mode_32 0
		.amdhsa_float_round_mode_16_64 0
		.amdhsa_float_denorm_mode_32 3
		.amdhsa_float_denorm_mode_16_64 3
		.amdhsa_fp16_overflow 0
		.amdhsa_memory_ordered 1
		.amdhsa_forward_progress 1
		.amdhsa_inst_pref_size 0
		.amdhsa_round_robin_scheduling 0
		.amdhsa_exception_fp_ieee_invalid_op 0
		.amdhsa_exception_fp_denorm_src 0
		.amdhsa_exception_fp_ieee_div_zero 0
		.amdhsa_exception_fp_ieee_overflow 0
		.amdhsa_exception_fp_ieee_underflow 0
		.amdhsa_exception_fp_ieee_inexact 0
		.amdhsa_exception_int_div_zero 0
	.end_amdhsa_kernel
	.section	.text._ZN7rocprim17ROCPRIM_400000_NS6detail17trampoline_kernelINS0_14default_configENS1_25partition_config_selectorILNS1_17partition_subalgoE8EhNS0_10empty_typeEbEEZZNS1_14partition_implILS5_8ELb0ES3_jPKhPS6_PKS6_NS0_5tupleIJPhS6_EEENSE_IJSB_SB_EEENS0_18inequality_wrapperIN6hipcub16HIPCUB_304000_NS8EqualityEEEPlJS6_EEE10hipError_tPvRmT3_T4_T5_T6_T7_T9_mT8_P12ihipStream_tbDpT10_ENKUlT_T0_E_clISt17integral_constantIbLb1EES17_EEDaS12_S13_EUlS12_E_NS1_11comp_targetILNS1_3genE2ELNS1_11target_archE906ELNS1_3gpuE6ELNS1_3repE0EEENS1_30default_config_static_selectorELNS0_4arch9wavefront6targetE0EEEvT1_,"axG",@progbits,_ZN7rocprim17ROCPRIM_400000_NS6detail17trampoline_kernelINS0_14default_configENS1_25partition_config_selectorILNS1_17partition_subalgoE8EhNS0_10empty_typeEbEEZZNS1_14partition_implILS5_8ELb0ES3_jPKhPS6_PKS6_NS0_5tupleIJPhS6_EEENSE_IJSB_SB_EEENS0_18inequality_wrapperIN6hipcub16HIPCUB_304000_NS8EqualityEEEPlJS6_EEE10hipError_tPvRmT3_T4_T5_T6_T7_T9_mT8_P12ihipStream_tbDpT10_ENKUlT_T0_E_clISt17integral_constantIbLb1EES17_EEDaS12_S13_EUlS12_E_NS1_11comp_targetILNS1_3genE2ELNS1_11target_archE906ELNS1_3gpuE6ELNS1_3repE0EEENS1_30default_config_static_selectorELNS0_4arch9wavefront6targetE0EEEvT1_,comdat
.Lfunc_end146:
	.size	_ZN7rocprim17ROCPRIM_400000_NS6detail17trampoline_kernelINS0_14default_configENS1_25partition_config_selectorILNS1_17partition_subalgoE8EhNS0_10empty_typeEbEEZZNS1_14partition_implILS5_8ELb0ES3_jPKhPS6_PKS6_NS0_5tupleIJPhS6_EEENSE_IJSB_SB_EEENS0_18inequality_wrapperIN6hipcub16HIPCUB_304000_NS8EqualityEEEPlJS6_EEE10hipError_tPvRmT3_T4_T5_T6_T7_T9_mT8_P12ihipStream_tbDpT10_ENKUlT_T0_E_clISt17integral_constantIbLb1EES17_EEDaS12_S13_EUlS12_E_NS1_11comp_targetILNS1_3genE2ELNS1_11target_archE906ELNS1_3gpuE6ELNS1_3repE0EEENS1_30default_config_static_selectorELNS0_4arch9wavefront6targetE0EEEvT1_, .Lfunc_end146-_ZN7rocprim17ROCPRIM_400000_NS6detail17trampoline_kernelINS0_14default_configENS1_25partition_config_selectorILNS1_17partition_subalgoE8EhNS0_10empty_typeEbEEZZNS1_14partition_implILS5_8ELb0ES3_jPKhPS6_PKS6_NS0_5tupleIJPhS6_EEENSE_IJSB_SB_EEENS0_18inequality_wrapperIN6hipcub16HIPCUB_304000_NS8EqualityEEEPlJS6_EEE10hipError_tPvRmT3_T4_T5_T6_T7_T9_mT8_P12ihipStream_tbDpT10_ENKUlT_T0_E_clISt17integral_constantIbLb1EES17_EEDaS12_S13_EUlS12_E_NS1_11comp_targetILNS1_3genE2ELNS1_11target_archE906ELNS1_3gpuE6ELNS1_3repE0EEENS1_30default_config_static_selectorELNS0_4arch9wavefront6targetE0EEEvT1_
                                        ; -- End function
	.set _ZN7rocprim17ROCPRIM_400000_NS6detail17trampoline_kernelINS0_14default_configENS1_25partition_config_selectorILNS1_17partition_subalgoE8EhNS0_10empty_typeEbEEZZNS1_14partition_implILS5_8ELb0ES3_jPKhPS6_PKS6_NS0_5tupleIJPhS6_EEENSE_IJSB_SB_EEENS0_18inequality_wrapperIN6hipcub16HIPCUB_304000_NS8EqualityEEEPlJS6_EEE10hipError_tPvRmT3_T4_T5_T6_T7_T9_mT8_P12ihipStream_tbDpT10_ENKUlT_T0_E_clISt17integral_constantIbLb1EES17_EEDaS12_S13_EUlS12_E_NS1_11comp_targetILNS1_3genE2ELNS1_11target_archE906ELNS1_3gpuE6ELNS1_3repE0EEENS1_30default_config_static_selectorELNS0_4arch9wavefront6targetE0EEEvT1_.num_vgpr, 0
	.set _ZN7rocprim17ROCPRIM_400000_NS6detail17trampoline_kernelINS0_14default_configENS1_25partition_config_selectorILNS1_17partition_subalgoE8EhNS0_10empty_typeEbEEZZNS1_14partition_implILS5_8ELb0ES3_jPKhPS6_PKS6_NS0_5tupleIJPhS6_EEENSE_IJSB_SB_EEENS0_18inequality_wrapperIN6hipcub16HIPCUB_304000_NS8EqualityEEEPlJS6_EEE10hipError_tPvRmT3_T4_T5_T6_T7_T9_mT8_P12ihipStream_tbDpT10_ENKUlT_T0_E_clISt17integral_constantIbLb1EES17_EEDaS12_S13_EUlS12_E_NS1_11comp_targetILNS1_3genE2ELNS1_11target_archE906ELNS1_3gpuE6ELNS1_3repE0EEENS1_30default_config_static_selectorELNS0_4arch9wavefront6targetE0EEEvT1_.num_agpr, 0
	.set _ZN7rocprim17ROCPRIM_400000_NS6detail17trampoline_kernelINS0_14default_configENS1_25partition_config_selectorILNS1_17partition_subalgoE8EhNS0_10empty_typeEbEEZZNS1_14partition_implILS5_8ELb0ES3_jPKhPS6_PKS6_NS0_5tupleIJPhS6_EEENSE_IJSB_SB_EEENS0_18inequality_wrapperIN6hipcub16HIPCUB_304000_NS8EqualityEEEPlJS6_EEE10hipError_tPvRmT3_T4_T5_T6_T7_T9_mT8_P12ihipStream_tbDpT10_ENKUlT_T0_E_clISt17integral_constantIbLb1EES17_EEDaS12_S13_EUlS12_E_NS1_11comp_targetILNS1_3genE2ELNS1_11target_archE906ELNS1_3gpuE6ELNS1_3repE0EEENS1_30default_config_static_selectorELNS0_4arch9wavefront6targetE0EEEvT1_.numbered_sgpr, 0
	.set _ZN7rocprim17ROCPRIM_400000_NS6detail17trampoline_kernelINS0_14default_configENS1_25partition_config_selectorILNS1_17partition_subalgoE8EhNS0_10empty_typeEbEEZZNS1_14partition_implILS5_8ELb0ES3_jPKhPS6_PKS6_NS0_5tupleIJPhS6_EEENSE_IJSB_SB_EEENS0_18inequality_wrapperIN6hipcub16HIPCUB_304000_NS8EqualityEEEPlJS6_EEE10hipError_tPvRmT3_T4_T5_T6_T7_T9_mT8_P12ihipStream_tbDpT10_ENKUlT_T0_E_clISt17integral_constantIbLb1EES17_EEDaS12_S13_EUlS12_E_NS1_11comp_targetILNS1_3genE2ELNS1_11target_archE906ELNS1_3gpuE6ELNS1_3repE0EEENS1_30default_config_static_selectorELNS0_4arch9wavefront6targetE0EEEvT1_.num_named_barrier, 0
	.set _ZN7rocprim17ROCPRIM_400000_NS6detail17trampoline_kernelINS0_14default_configENS1_25partition_config_selectorILNS1_17partition_subalgoE8EhNS0_10empty_typeEbEEZZNS1_14partition_implILS5_8ELb0ES3_jPKhPS6_PKS6_NS0_5tupleIJPhS6_EEENSE_IJSB_SB_EEENS0_18inequality_wrapperIN6hipcub16HIPCUB_304000_NS8EqualityEEEPlJS6_EEE10hipError_tPvRmT3_T4_T5_T6_T7_T9_mT8_P12ihipStream_tbDpT10_ENKUlT_T0_E_clISt17integral_constantIbLb1EES17_EEDaS12_S13_EUlS12_E_NS1_11comp_targetILNS1_3genE2ELNS1_11target_archE906ELNS1_3gpuE6ELNS1_3repE0EEENS1_30default_config_static_selectorELNS0_4arch9wavefront6targetE0EEEvT1_.private_seg_size, 0
	.set _ZN7rocprim17ROCPRIM_400000_NS6detail17trampoline_kernelINS0_14default_configENS1_25partition_config_selectorILNS1_17partition_subalgoE8EhNS0_10empty_typeEbEEZZNS1_14partition_implILS5_8ELb0ES3_jPKhPS6_PKS6_NS0_5tupleIJPhS6_EEENSE_IJSB_SB_EEENS0_18inequality_wrapperIN6hipcub16HIPCUB_304000_NS8EqualityEEEPlJS6_EEE10hipError_tPvRmT3_T4_T5_T6_T7_T9_mT8_P12ihipStream_tbDpT10_ENKUlT_T0_E_clISt17integral_constantIbLb1EES17_EEDaS12_S13_EUlS12_E_NS1_11comp_targetILNS1_3genE2ELNS1_11target_archE906ELNS1_3gpuE6ELNS1_3repE0EEENS1_30default_config_static_selectorELNS0_4arch9wavefront6targetE0EEEvT1_.uses_vcc, 0
	.set _ZN7rocprim17ROCPRIM_400000_NS6detail17trampoline_kernelINS0_14default_configENS1_25partition_config_selectorILNS1_17partition_subalgoE8EhNS0_10empty_typeEbEEZZNS1_14partition_implILS5_8ELb0ES3_jPKhPS6_PKS6_NS0_5tupleIJPhS6_EEENSE_IJSB_SB_EEENS0_18inequality_wrapperIN6hipcub16HIPCUB_304000_NS8EqualityEEEPlJS6_EEE10hipError_tPvRmT3_T4_T5_T6_T7_T9_mT8_P12ihipStream_tbDpT10_ENKUlT_T0_E_clISt17integral_constantIbLb1EES17_EEDaS12_S13_EUlS12_E_NS1_11comp_targetILNS1_3genE2ELNS1_11target_archE906ELNS1_3gpuE6ELNS1_3repE0EEENS1_30default_config_static_selectorELNS0_4arch9wavefront6targetE0EEEvT1_.uses_flat_scratch, 0
	.set _ZN7rocprim17ROCPRIM_400000_NS6detail17trampoline_kernelINS0_14default_configENS1_25partition_config_selectorILNS1_17partition_subalgoE8EhNS0_10empty_typeEbEEZZNS1_14partition_implILS5_8ELb0ES3_jPKhPS6_PKS6_NS0_5tupleIJPhS6_EEENSE_IJSB_SB_EEENS0_18inequality_wrapperIN6hipcub16HIPCUB_304000_NS8EqualityEEEPlJS6_EEE10hipError_tPvRmT3_T4_T5_T6_T7_T9_mT8_P12ihipStream_tbDpT10_ENKUlT_T0_E_clISt17integral_constantIbLb1EES17_EEDaS12_S13_EUlS12_E_NS1_11comp_targetILNS1_3genE2ELNS1_11target_archE906ELNS1_3gpuE6ELNS1_3repE0EEENS1_30default_config_static_selectorELNS0_4arch9wavefront6targetE0EEEvT1_.has_dyn_sized_stack, 0
	.set _ZN7rocprim17ROCPRIM_400000_NS6detail17trampoline_kernelINS0_14default_configENS1_25partition_config_selectorILNS1_17partition_subalgoE8EhNS0_10empty_typeEbEEZZNS1_14partition_implILS5_8ELb0ES3_jPKhPS6_PKS6_NS0_5tupleIJPhS6_EEENSE_IJSB_SB_EEENS0_18inequality_wrapperIN6hipcub16HIPCUB_304000_NS8EqualityEEEPlJS6_EEE10hipError_tPvRmT3_T4_T5_T6_T7_T9_mT8_P12ihipStream_tbDpT10_ENKUlT_T0_E_clISt17integral_constantIbLb1EES17_EEDaS12_S13_EUlS12_E_NS1_11comp_targetILNS1_3genE2ELNS1_11target_archE906ELNS1_3gpuE6ELNS1_3repE0EEENS1_30default_config_static_selectorELNS0_4arch9wavefront6targetE0EEEvT1_.has_recursion, 0
	.set _ZN7rocprim17ROCPRIM_400000_NS6detail17trampoline_kernelINS0_14default_configENS1_25partition_config_selectorILNS1_17partition_subalgoE8EhNS0_10empty_typeEbEEZZNS1_14partition_implILS5_8ELb0ES3_jPKhPS6_PKS6_NS0_5tupleIJPhS6_EEENSE_IJSB_SB_EEENS0_18inequality_wrapperIN6hipcub16HIPCUB_304000_NS8EqualityEEEPlJS6_EEE10hipError_tPvRmT3_T4_T5_T6_T7_T9_mT8_P12ihipStream_tbDpT10_ENKUlT_T0_E_clISt17integral_constantIbLb1EES17_EEDaS12_S13_EUlS12_E_NS1_11comp_targetILNS1_3genE2ELNS1_11target_archE906ELNS1_3gpuE6ELNS1_3repE0EEENS1_30default_config_static_selectorELNS0_4arch9wavefront6targetE0EEEvT1_.has_indirect_call, 0
	.section	.AMDGPU.csdata,"",@progbits
; Kernel info:
; codeLenInByte = 0
; TotalNumSgprs: 0
; NumVgprs: 0
; ScratchSize: 0
; MemoryBound: 0
; FloatMode: 240
; IeeeMode: 1
; LDSByteSize: 0 bytes/workgroup (compile time only)
; SGPRBlocks: 0
; VGPRBlocks: 0
; NumSGPRsForWavesPerEU: 1
; NumVGPRsForWavesPerEU: 1
; NamedBarCnt: 0
; Occupancy: 16
; WaveLimiterHint : 0
; COMPUTE_PGM_RSRC2:SCRATCH_EN: 0
; COMPUTE_PGM_RSRC2:USER_SGPR: 2
; COMPUTE_PGM_RSRC2:TRAP_HANDLER: 0
; COMPUTE_PGM_RSRC2:TGID_X_EN: 1
; COMPUTE_PGM_RSRC2:TGID_Y_EN: 0
; COMPUTE_PGM_RSRC2:TGID_Z_EN: 0
; COMPUTE_PGM_RSRC2:TIDIG_COMP_CNT: 0
	.section	.text._ZN7rocprim17ROCPRIM_400000_NS6detail17trampoline_kernelINS0_14default_configENS1_25partition_config_selectorILNS1_17partition_subalgoE8EhNS0_10empty_typeEbEEZZNS1_14partition_implILS5_8ELb0ES3_jPKhPS6_PKS6_NS0_5tupleIJPhS6_EEENSE_IJSB_SB_EEENS0_18inequality_wrapperIN6hipcub16HIPCUB_304000_NS8EqualityEEEPlJS6_EEE10hipError_tPvRmT3_T4_T5_T6_T7_T9_mT8_P12ihipStream_tbDpT10_ENKUlT_T0_E_clISt17integral_constantIbLb1EES17_EEDaS12_S13_EUlS12_E_NS1_11comp_targetILNS1_3genE10ELNS1_11target_archE1200ELNS1_3gpuE4ELNS1_3repE0EEENS1_30default_config_static_selectorELNS0_4arch9wavefront6targetE0EEEvT1_,"axG",@progbits,_ZN7rocprim17ROCPRIM_400000_NS6detail17trampoline_kernelINS0_14default_configENS1_25partition_config_selectorILNS1_17partition_subalgoE8EhNS0_10empty_typeEbEEZZNS1_14partition_implILS5_8ELb0ES3_jPKhPS6_PKS6_NS0_5tupleIJPhS6_EEENSE_IJSB_SB_EEENS0_18inequality_wrapperIN6hipcub16HIPCUB_304000_NS8EqualityEEEPlJS6_EEE10hipError_tPvRmT3_T4_T5_T6_T7_T9_mT8_P12ihipStream_tbDpT10_ENKUlT_T0_E_clISt17integral_constantIbLb1EES17_EEDaS12_S13_EUlS12_E_NS1_11comp_targetILNS1_3genE10ELNS1_11target_archE1200ELNS1_3gpuE4ELNS1_3repE0EEENS1_30default_config_static_selectorELNS0_4arch9wavefront6targetE0EEEvT1_,comdat
	.protected	_ZN7rocprim17ROCPRIM_400000_NS6detail17trampoline_kernelINS0_14default_configENS1_25partition_config_selectorILNS1_17partition_subalgoE8EhNS0_10empty_typeEbEEZZNS1_14partition_implILS5_8ELb0ES3_jPKhPS6_PKS6_NS0_5tupleIJPhS6_EEENSE_IJSB_SB_EEENS0_18inequality_wrapperIN6hipcub16HIPCUB_304000_NS8EqualityEEEPlJS6_EEE10hipError_tPvRmT3_T4_T5_T6_T7_T9_mT8_P12ihipStream_tbDpT10_ENKUlT_T0_E_clISt17integral_constantIbLb1EES17_EEDaS12_S13_EUlS12_E_NS1_11comp_targetILNS1_3genE10ELNS1_11target_archE1200ELNS1_3gpuE4ELNS1_3repE0EEENS1_30default_config_static_selectorELNS0_4arch9wavefront6targetE0EEEvT1_ ; -- Begin function _ZN7rocprim17ROCPRIM_400000_NS6detail17trampoline_kernelINS0_14default_configENS1_25partition_config_selectorILNS1_17partition_subalgoE8EhNS0_10empty_typeEbEEZZNS1_14partition_implILS5_8ELb0ES3_jPKhPS6_PKS6_NS0_5tupleIJPhS6_EEENSE_IJSB_SB_EEENS0_18inequality_wrapperIN6hipcub16HIPCUB_304000_NS8EqualityEEEPlJS6_EEE10hipError_tPvRmT3_T4_T5_T6_T7_T9_mT8_P12ihipStream_tbDpT10_ENKUlT_T0_E_clISt17integral_constantIbLb1EES17_EEDaS12_S13_EUlS12_E_NS1_11comp_targetILNS1_3genE10ELNS1_11target_archE1200ELNS1_3gpuE4ELNS1_3repE0EEENS1_30default_config_static_selectorELNS0_4arch9wavefront6targetE0EEEvT1_
	.globl	_ZN7rocprim17ROCPRIM_400000_NS6detail17trampoline_kernelINS0_14default_configENS1_25partition_config_selectorILNS1_17partition_subalgoE8EhNS0_10empty_typeEbEEZZNS1_14partition_implILS5_8ELb0ES3_jPKhPS6_PKS6_NS0_5tupleIJPhS6_EEENSE_IJSB_SB_EEENS0_18inequality_wrapperIN6hipcub16HIPCUB_304000_NS8EqualityEEEPlJS6_EEE10hipError_tPvRmT3_T4_T5_T6_T7_T9_mT8_P12ihipStream_tbDpT10_ENKUlT_T0_E_clISt17integral_constantIbLb1EES17_EEDaS12_S13_EUlS12_E_NS1_11comp_targetILNS1_3genE10ELNS1_11target_archE1200ELNS1_3gpuE4ELNS1_3repE0EEENS1_30default_config_static_selectorELNS0_4arch9wavefront6targetE0EEEvT1_
	.p2align	8
	.type	_ZN7rocprim17ROCPRIM_400000_NS6detail17trampoline_kernelINS0_14default_configENS1_25partition_config_selectorILNS1_17partition_subalgoE8EhNS0_10empty_typeEbEEZZNS1_14partition_implILS5_8ELb0ES3_jPKhPS6_PKS6_NS0_5tupleIJPhS6_EEENSE_IJSB_SB_EEENS0_18inequality_wrapperIN6hipcub16HIPCUB_304000_NS8EqualityEEEPlJS6_EEE10hipError_tPvRmT3_T4_T5_T6_T7_T9_mT8_P12ihipStream_tbDpT10_ENKUlT_T0_E_clISt17integral_constantIbLb1EES17_EEDaS12_S13_EUlS12_E_NS1_11comp_targetILNS1_3genE10ELNS1_11target_archE1200ELNS1_3gpuE4ELNS1_3repE0EEENS1_30default_config_static_selectorELNS0_4arch9wavefront6targetE0EEEvT1_,@function
_ZN7rocprim17ROCPRIM_400000_NS6detail17trampoline_kernelINS0_14default_configENS1_25partition_config_selectorILNS1_17partition_subalgoE8EhNS0_10empty_typeEbEEZZNS1_14partition_implILS5_8ELb0ES3_jPKhPS6_PKS6_NS0_5tupleIJPhS6_EEENSE_IJSB_SB_EEENS0_18inequality_wrapperIN6hipcub16HIPCUB_304000_NS8EqualityEEEPlJS6_EEE10hipError_tPvRmT3_T4_T5_T6_T7_T9_mT8_P12ihipStream_tbDpT10_ENKUlT_T0_E_clISt17integral_constantIbLb1EES17_EEDaS12_S13_EUlS12_E_NS1_11comp_targetILNS1_3genE10ELNS1_11target_archE1200ELNS1_3gpuE4ELNS1_3repE0EEENS1_30default_config_static_selectorELNS0_4arch9wavefront6targetE0EEEvT1_: ; @_ZN7rocprim17ROCPRIM_400000_NS6detail17trampoline_kernelINS0_14default_configENS1_25partition_config_selectorILNS1_17partition_subalgoE8EhNS0_10empty_typeEbEEZZNS1_14partition_implILS5_8ELb0ES3_jPKhPS6_PKS6_NS0_5tupleIJPhS6_EEENSE_IJSB_SB_EEENS0_18inequality_wrapperIN6hipcub16HIPCUB_304000_NS8EqualityEEEPlJS6_EEE10hipError_tPvRmT3_T4_T5_T6_T7_T9_mT8_P12ihipStream_tbDpT10_ENKUlT_T0_E_clISt17integral_constantIbLb1EES17_EEDaS12_S13_EUlS12_E_NS1_11comp_targetILNS1_3genE10ELNS1_11target_archE1200ELNS1_3gpuE4ELNS1_3repE0EEENS1_30default_config_static_selectorELNS0_4arch9wavefront6targetE0EEEvT1_
; %bb.0:
	.section	.rodata,"a",@progbits
	.p2align	6, 0x0
	.amdhsa_kernel _ZN7rocprim17ROCPRIM_400000_NS6detail17trampoline_kernelINS0_14default_configENS1_25partition_config_selectorILNS1_17partition_subalgoE8EhNS0_10empty_typeEbEEZZNS1_14partition_implILS5_8ELb0ES3_jPKhPS6_PKS6_NS0_5tupleIJPhS6_EEENSE_IJSB_SB_EEENS0_18inequality_wrapperIN6hipcub16HIPCUB_304000_NS8EqualityEEEPlJS6_EEE10hipError_tPvRmT3_T4_T5_T6_T7_T9_mT8_P12ihipStream_tbDpT10_ENKUlT_T0_E_clISt17integral_constantIbLb1EES17_EEDaS12_S13_EUlS12_E_NS1_11comp_targetILNS1_3genE10ELNS1_11target_archE1200ELNS1_3gpuE4ELNS1_3repE0EEENS1_30default_config_static_selectorELNS0_4arch9wavefront6targetE0EEEvT1_
		.amdhsa_group_segment_fixed_size 0
		.amdhsa_private_segment_fixed_size 0
		.amdhsa_kernarg_size 128
		.amdhsa_user_sgpr_count 2
		.amdhsa_user_sgpr_dispatch_ptr 0
		.amdhsa_user_sgpr_queue_ptr 0
		.amdhsa_user_sgpr_kernarg_segment_ptr 1
		.amdhsa_user_sgpr_dispatch_id 0
		.amdhsa_user_sgpr_kernarg_preload_length 0
		.amdhsa_user_sgpr_kernarg_preload_offset 0
		.amdhsa_user_sgpr_private_segment_size 0
		.amdhsa_wavefront_size32 1
		.amdhsa_uses_dynamic_stack 0
		.amdhsa_enable_private_segment 0
		.amdhsa_system_sgpr_workgroup_id_x 1
		.amdhsa_system_sgpr_workgroup_id_y 0
		.amdhsa_system_sgpr_workgroup_id_z 0
		.amdhsa_system_sgpr_workgroup_info 0
		.amdhsa_system_vgpr_workitem_id 0
		.amdhsa_next_free_vgpr 1
		.amdhsa_next_free_sgpr 1
		.amdhsa_named_barrier_count 0
		.amdhsa_reserve_vcc 0
		.amdhsa_float_round_mode_32 0
		.amdhsa_float_round_mode_16_64 0
		.amdhsa_float_denorm_mode_32 3
		.amdhsa_float_denorm_mode_16_64 3
		.amdhsa_fp16_overflow 0
		.amdhsa_memory_ordered 1
		.amdhsa_forward_progress 1
		.amdhsa_inst_pref_size 0
		.amdhsa_round_robin_scheduling 0
		.amdhsa_exception_fp_ieee_invalid_op 0
		.amdhsa_exception_fp_denorm_src 0
		.amdhsa_exception_fp_ieee_div_zero 0
		.amdhsa_exception_fp_ieee_overflow 0
		.amdhsa_exception_fp_ieee_underflow 0
		.amdhsa_exception_fp_ieee_inexact 0
		.amdhsa_exception_int_div_zero 0
	.end_amdhsa_kernel
	.section	.text._ZN7rocprim17ROCPRIM_400000_NS6detail17trampoline_kernelINS0_14default_configENS1_25partition_config_selectorILNS1_17partition_subalgoE8EhNS0_10empty_typeEbEEZZNS1_14partition_implILS5_8ELb0ES3_jPKhPS6_PKS6_NS0_5tupleIJPhS6_EEENSE_IJSB_SB_EEENS0_18inequality_wrapperIN6hipcub16HIPCUB_304000_NS8EqualityEEEPlJS6_EEE10hipError_tPvRmT3_T4_T5_T6_T7_T9_mT8_P12ihipStream_tbDpT10_ENKUlT_T0_E_clISt17integral_constantIbLb1EES17_EEDaS12_S13_EUlS12_E_NS1_11comp_targetILNS1_3genE10ELNS1_11target_archE1200ELNS1_3gpuE4ELNS1_3repE0EEENS1_30default_config_static_selectorELNS0_4arch9wavefront6targetE0EEEvT1_,"axG",@progbits,_ZN7rocprim17ROCPRIM_400000_NS6detail17trampoline_kernelINS0_14default_configENS1_25partition_config_selectorILNS1_17partition_subalgoE8EhNS0_10empty_typeEbEEZZNS1_14partition_implILS5_8ELb0ES3_jPKhPS6_PKS6_NS0_5tupleIJPhS6_EEENSE_IJSB_SB_EEENS0_18inequality_wrapperIN6hipcub16HIPCUB_304000_NS8EqualityEEEPlJS6_EEE10hipError_tPvRmT3_T4_T5_T6_T7_T9_mT8_P12ihipStream_tbDpT10_ENKUlT_T0_E_clISt17integral_constantIbLb1EES17_EEDaS12_S13_EUlS12_E_NS1_11comp_targetILNS1_3genE10ELNS1_11target_archE1200ELNS1_3gpuE4ELNS1_3repE0EEENS1_30default_config_static_selectorELNS0_4arch9wavefront6targetE0EEEvT1_,comdat
.Lfunc_end147:
	.size	_ZN7rocprim17ROCPRIM_400000_NS6detail17trampoline_kernelINS0_14default_configENS1_25partition_config_selectorILNS1_17partition_subalgoE8EhNS0_10empty_typeEbEEZZNS1_14partition_implILS5_8ELb0ES3_jPKhPS6_PKS6_NS0_5tupleIJPhS6_EEENSE_IJSB_SB_EEENS0_18inequality_wrapperIN6hipcub16HIPCUB_304000_NS8EqualityEEEPlJS6_EEE10hipError_tPvRmT3_T4_T5_T6_T7_T9_mT8_P12ihipStream_tbDpT10_ENKUlT_T0_E_clISt17integral_constantIbLb1EES17_EEDaS12_S13_EUlS12_E_NS1_11comp_targetILNS1_3genE10ELNS1_11target_archE1200ELNS1_3gpuE4ELNS1_3repE0EEENS1_30default_config_static_selectorELNS0_4arch9wavefront6targetE0EEEvT1_, .Lfunc_end147-_ZN7rocprim17ROCPRIM_400000_NS6detail17trampoline_kernelINS0_14default_configENS1_25partition_config_selectorILNS1_17partition_subalgoE8EhNS0_10empty_typeEbEEZZNS1_14partition_implILS5_8ELb0ES3_jPKhPS6_PKS6_NS0_5tupleIJPhS6_EEENSE_IJSB_SB_EEENS0_18inequality_wrapperIN6hipcub16HIPCUB_304000_NS8EqualityEEEPlJS6_EEE10hipError_tPvRmT3_T4_T5_T6_T7_T9_mT8_P12ihipStream_tbDpT10_ENKUlT_T0_E_clISt17integral_constantIbLb1EES17_EEDaS12_S13_EUlS12_E_NS1_11comp_targetILNS1_3genE10ELNS1_11target_archE1200ELNS1_3gpuE4ELNS1_3repE0EEENS1_30default_config_static_selectorELNS0_4arch9wavefront6targetE0EEEvT1_
                                        ; -- End function
	.set _ZN7rocprim17ROCPRIM_400000_NS6detail17trampoline_kernelINS0_14default_configENS1_25partition_config_selectorILNS1_17partition_subalgoE8EhNS0_10empty_typeEbEEZZNS1_14partition_implILS5_8ELb0ES3_jPKhPS6_PKS6_NS0_5tupleIJPhS6_EEENSE_IJSB_SB_EEENS0_18inequality_wrapperIN6hipcub16HIPCUB_304000_NS8EqualityEEEPlJS6_EEE10hipError_tPvRmT3_T4_T5_T6_T7_T9_mT8_P12ihipStream_tbDpT10_ENKUlT_T0_E_clISt17integral_constantIbLb1EES17_EEDaS12_S13_EUlS12_E_NS1_11comp_targetILNS1_3genE10ELNS1_11target_archE1200ELNS1_3gpuE4ELNS1_3repE0EEENS1_30default_config_static_selectorELNS0_4arch9wavefront6targetE0EEEvT1_.num_vgpr, 0
	.set _ZN7rocprim17ROCPRIM_400000_NS6detail17trampoline_kernelINS0_14default_configENS1_25partition_config_selectorILNS1_17partition_subalgoE8EhNS0_10empty_typeEbEEZZNS1_14partition_implILS5_8ELb0ES3_jPKhPS6_PKS6_NS0_5tupleIJPhS6_EEENSE_IJSB_SB_EEENS0_18inequality_wrapperIN6hipcub16HIPCUB_304000_NS8EqualityEEEPlJS6_EEE10hipError_tPvRmT3_T4_T5_T6_T7_T9_mT8_P12ihipStream_tbDpT10_ENKUlT_T0_E_clISt17integral_constantIbLb1EES17_EEDaS12_S13_EUlS12_E_NS1_11comp_targetILNS1_3genE10ELNS1_11target_archE1200ELNS1_3gpuE4ELNS1_3repE0EEENS1_30default_config_static_selectorELNS0_4arch9wavefront6targetE0EEEvT1_.num_agpr, 0
	.set _ZN7rocprim17ROCPRIM_400000_NS6detail17trampoline_kernelINS0_14default_configENS1_25partition_config_selectorILNS1_17partition_subalgoE8EhNS0_10empty_typeEbEEZZNS1_14partition_implILS5_8ELb0ES3_jPKhPS6_PKS6_NS0_5tupleIJPhS6_EEENSE_IJSB_SB_EEENS0_18inequality_wrapperIN6hipcub16HIPCUB_304000_NS8EqualityEEEPlJS6_EEE10hipError_tPvRmT3_T4_T5_T6_T7_T9_mT8_P12ihipStream_tbDpT10_ENKUlT_T0_E_clISt17integral_constantIbLb1EES17_EEDaS12_S13_EUlS12_E_NS1_11comp_targetILNS1_3genE10ELNS1_11target_archE1200ELNS1_3gpuE4ELNS1_3repE0EEENS1_30default_config_static_selectorELNS0_4arch9wavefront6targetE0EEEvT1_.numbered_sgpr, 0
	.set _ZN7rocprim17ROCPRIM_400000_NS6detail17trampoline_kernelINS0_14default_configENS1_25partition_config_selectorILNS1_17partition_subalgoE8EhNS0_10empty_typeEbEEZZNS1_14partition_implILS5_8ELb0ES3_jPKhPS6_PKS6_NS0_5tupleIJPhS6_EEENSE_IJSB_SB_EEENS0_18inequality_wrapperIN6hipcub16HIPCUB_304000_NS8EqualityEEEPlJS6_EEE10hipError_tPvRmT3_T4_T5_T6_T7_T9_mT8_P12ihipStream_tbDpT10_ENKUlT_T0_E_clISt17integral_constantIbLb1EES17_EEDaS12_S13_EUlS12_E_NS1_11comp_targetILNS1_3genE10ELNS1_11target_archE1200ELNS1_3gpuE4ELNS1_3repE0EEENS1_30default_config_static_selectorELNS0_4arch9wavefront6targetE0EEEvT1_.num_named_barrier, 0
	.set _ZN7rocprim17ROCPRIM_400000_NS6detail17trampoline_kernelINS0_14default_configENS1_25partition_config_selectorILNS1_17partition_subalgoE8EhNS0_10empty_typeEbEEZZNS1_14partition_implILS5_8ELb0ES3_jPKhPS6_PKS6_NS0_5tupleIJPhS6_EEENSE_IJSB_SB_EEENS0_18inequality_wrapperIN6hipcub16HIPCUB_304000_NS8EqualityEEEPlJS6_EEE10hipError_tPvRmT3_T4_T5_T6_T7_T9_mT8_P12ihipStream_tbDpT10_ENKUlT_T0_E_clISt17integral_constantIbLb1EES17_EEDaS12_S13_EUlS12_E_NS1_11comp_targetILNS1_3genE10ELNS1_11target_archE1200ELNS1_3gpuE4ELNS1_3repE0EEENS1_30default_config_static_selectorELNS0_4arch9wavefront6targetE0EEEvT1_.private_seg_size, 0
	.set _ZN7rocprim17ROCPRIM_400000_NS6detail17trampoline_kernelINS0_14default_configENS1_25partition_config_selectorILNS1_17partition_subalgoE8EhNS0_10empty_typeEbEEZZNS1_14partition_implILS5_8ELb0ES3_jPKhPS6_PKS6_NS0_5tupleIJPhS6_EEENSE_IJSB_SB_EEENS0_18inequality_wrapperIN6hipcub16HIPCUB_304000_NS8EqualityEEEPlJS6_EEE10hipError_tPvRmT3_T4_T5_T6_T7_T9_mT8_P12ihipStream_tbDpT10_ENKUlT_T0_E_clISt17integral_constantIbLb1EES17_EEDaS12_S13_EUlS12_E_NS1_11comp_targetILNS1_3genE10ELNS1_11target_archE1200ELNS1_3gpuE4ELNS1_3repE0EEENS1_30default_config_static_selectorELNS0_4arch9wavefront6targetE0EEEvT1_.uses_vcc, 0
	.set _ZN7rocprim17ROCPRIM_400000_NS6detail17trampoline_kernelINS0_14default_configENS1_25partition_config_selectorILNS1_17partition_subalgoE8EhNS0_10empty_typeEbEEZZNS1_14partition_implILS5_8ELb0ES3_jPKhPS6_PKS6_NS0_5tupleIJPhS6_EEENSE_IJSB_SB_EEENS0_18inequality_wrapperIN6hipcub16HIPCUB_304000_NS8EqualityEEEPlJS6_EEE10hipError_tPvRmT3_T4_T5_T6_T7_T9_mT8_P12ihipStream_tbDpT10_ENKUlT_T0_E_clISt17integral_constantIbLb1EES17_EEDaS12_S13_EUlS12_E_NS1_11comp_targetILNS1_3genE10ELNS1_11target_archE1200ELNS1_3gpuE4ELNS1_3repE0EEENS1_30default_config_static_selectorELNS0_4arch9wavefront6targetE0EEEvT1_.uses_flat_scratch, 0
	.set _ZN7rocprim17ROCPRIM_400000_NS6detail17trampoline_kernelINS0_14default_configENS1_25partition_config_selectorILNS1_17partition_subalgoE8EhNS0_10empty_typeEbEEZZNS1_14partition_implILS5_8ELb0ES3_jPKhPS6_PKS6_NS0_5tupleIJPhS6_EEENSE_IJSB_SB_EEENS0_18inequality_wrapperIN6hipcub16HIPCUB_304000_NS8EqualityEEEPlJS6_EEE10hipError_tPvRmT3_T4_T5_T6_T7_T9_mT8_P12ihipStream_tbDpT10_ENKUlT_T0_E_clISt17integral_constantIbLb1EES17_EEDaS12_S13_EUlS12_E_NS1_11comp_targetILNS1_3genE10ELNS1_11target_archE1200ELNS1_3gpuE4ELNS1_3repE0EEENS1_30default_config_static_selectorELNS0_4arch9wavefront6targetE0EEEvT1_.has_dyn_sized_stack, 0
	.set _ZN7rocprim17ROCPRIM_400000_NS6detail17trampoline_kernelINS0_14default_configENS1_25partition_config_selectorILNS1_17partition_subalgoE8EhNS0_10empty_typeEbEEZZNS1_14partition_implILS5_8ELb0ES3_jPKhPS6_PKS6_NS0_5tupleIJPhS6_EEENSE_IJSB_SB_EEENS0_18inequality_wrapperIN6hipcub16HIPCUB_304000_NS8EqualityEEEPlJS6_EEE10hipError_tPvRmT3_T4_T5_T6_T7_T9_mT8_P12ihipStream_tbDpT10_ENKUlT_T0_E_clISt17integral_constantIbLb1EES17_EEDaS12_S13_EUlS12_E_NS1_11comp_targetILNS1_3genE10ELNS1_11target_archE1200ELNS1_3gpuE4ELNS1_3repE0EEENS1_30default_config_static_selectorELNS0_4arch9wavefront6targetE0EEEvT1_.has_recursion, 0
	.set _ZN7rocprim17ROCPRIM_400000_NS6detail17trampoline_kernelINS0_14default_configENS1_25partition_config_selectorILNS1_17partition_subalgoE8EhNS0_10empty_typeEbEEZZNS1_14partition_implILS5_8ELb0ES3_jPKhPS6_PKS6_NS0_5tupleIJPhS6_EEENSE_IJSB_SB_EEENS0_18inequality_wrapperIN6hipcub16HIPCUB_304000_NS8EqualityEEEPlJS6_EEE10hipError_tPvRmT3_T4_T5_T6_T7_T9_mT8_P12ihipStream_tbDpT10_ENKUlT_T0_E_clISt17integral_constantIbLb1EES17_EEDaS12_S13_EUlS12_E_NS1_11comp_targetILNS1_3genE10ELNS1_11target_archE1200ELNS1_3gpuE4ELNS1_3repE0EEENS1_30default_config_static_selectorELNS0_4arch9wavefront6targetE0EEEvT1_.has_indirect_call, 0
	.section	.AMDGPU.csdata,"",@progbits
; Kernel info:
; codeLenInByte = 0
; TotalNumSgprs: 0
; NumVgprs: 0
; ScratchSize: 0
; MemoryBound: 0
; FloatMode: 240
; IeeeMode: 1
; LDSByteSize: 0 bytes/workgroup (compile time only)
; SGPRBlocks: 0
; VGPRBlocks: 0
; NumSGPRsForWavesPerEU: 1
; NumVGPRsForWavesPerEU: 1
; NamedBarCnt: 0
; Occupancy: 16
; WaveLimiterHint : 0
; COMPUTE_PGM_RSRC2:SCRATCH_EN: 0
; COMPUTE_PGM_RSRC2:USER_SGPR: 2
; COMPUTE_PGM_RSRC2:TRAP_HANDLER: 0
; COMPUTE_PGM_RSRC2:TGID_X_EN: 1
; COMPUTE_PGM_RSRC2:TGID_Y_EN: 0
; COMPUTE_PGM_RSRC2:TGID_Z_EN: 0
; COMPUTE_PGM_RSRC2:TIDIG_COMP_CNT: 0
	.section	.text._ZN7rocprim17ROCPRIM_400000_NS6detail17trampoline_kernelINS0_14default_configENS1_25partition_config_selectorILNS1_17partition_subalgoE8EhNS0_10empty_typeEbEEZZNS1_14partition_implILS5_8ELb0ES3_jPKhPS6_PKS6_NS0_5tupleIJPhS6_EEENSE_IJSB_SB_EEENS0_18inequality_wrapperIN6hipcub16HIPCUB_304000_NS8EqualityEEEPlJS6_EEE10hipError_tPvRmT3_T4_T5_T6_T7_T9_mT8_P12ihipStream_tbDpT10_ENKUlT_T0_E_clISt17integral_constantIbLb1EES17_EEDaS12_S13_EUlS12_E_NS1_11comp_targetILNS1_3genE9ELNS1_11target_archE1100ELNS1_3gpuE3ELNS1_3repE0EEENS1_30default_config_static_selectorELNS0_4arch9wavefront6targetE0EEEvT1_,"axG",@progbits,_ZN7rocprim17ROCPRIM_400000_NS6detail17trampoline_kernelINS0_14default_configENS1_25partition_config_selectorILNS1_17partition_subalgoE8EhNS0_10empty_typeEbEEZZNS1_14partition_implILS5_8ELb0ES3_jPKhPS6_PKS6_NS0_5tupleIJPhS6_EEENSE_IJSB_SB_EEENS0_18inequality_wrapperIN6hipcub16HIPCUB_304000_NS8EqualityEEEPlJS6_EEE10hipError_tPvRmT3_T4_T5_T6_T7_T9_mT8_P12ihipStream_tbDpT10_ENKUlT_T0_E_clISt17integral_constantIbLb1EES17_EEDaS12_S13_EUlS12_E_NS1_11comp_targetILNS1_3genE9ELNS1_11target_archE1100ELNS1_3gpuE3ELNS1_3repE0EEENS1_30default_config_static_selectorELNS0_4arch9wavefront6targetE0EEEvT1_,comdat
	.protected	_ZN7rocprim17ROCPRIM_400000_NS6detail17trampoline_kernelINS0_14default_configENS1_25partition_config_selectorILNS1_17partition_subalgoE8EhNS0_10empty_typeEbEEZZNS1_14partition_implILS5_8ELb0ES3_jPKhPS6_PKS6_NS0_5tupleIJPhS6_EEENSE_IJSB_SB_EEENS0_18inequality_wrapperIN6hipcub16HIPCUB_304000_NS8EqualityEEEPlJS6_EEE10hipError_tPvRmT3_T4_T5_T6_T7_T9_mT8_P12ihipStream_tbDpT10_ENKUlT_T0_E_clISt17integral_constantIbLb1EES17_EEDaS12_S13_EUlS12_E_NS1_11comp_targetILNS1_3genE9ELNS1_11target_archE1100ELNS1_3gpuE3ELNS1_3repE0EEENS1_30default_config_static_selectorELNS0_4arch9wavefront6targetE0EEEvT1_ ; -- Begin function _ZN7rocprim17ROCPRIM_400000_NS6detail17trampoline_kernelINS0_14default_configENS1_25partition_config_selectorILNS1_17partition_subalgoE8EhNS0_10empty_typeEbEEZZNS1_14partition_implILS5_8ELb0ES3_jPKhPS6_PKS6_NS0_5tupleIJPhS6_EEENSE_IJSB_SB_EEENS0_18inequality_wrapperIN6hipcub16HIPCUB_304000_NS8EqualityEEEPlJS6_EEE10hipError_tPvRmT3_T4_T5_T6_T7_T9_mT8_P12ihipStream_tbDpT10_ENKUlT_T0_E_clISt17integral_constantIbLb1EES17_EEDaS12_S13_EUlS12_E_NS1_11comp_targetILNS1_3genE9ELNS1_11target_archE1100ELNS1_3gpuE3ELNS1_3repE0EEENS1_30default_config_static_selectorELNS0_4arch9wavefront6targetE0EEEvT1_
	.globl	_ZN7rocprim17ROCPRIM_400000_NS6detail17trampoline_kernelINS0_14default_configENS1_25partition_config_selectorILNS1_17partition_subalgoE8EhNS0_10empty_typeEbEEZZNS1_14partition_implILS5_8ELb0ES3_jPKhPS6_PKS6_NS0_5tupleIJPhS6_EEENSE_IJSB_SB_EEENS0_18inequality_wrapperIN6hipcub16HIPCUB_304000_NS8EqualityEEEPlJS6_EEE10hipError_tPvRmT3_T4_T5_T6_T7_T9_mT8_P12ihipStream_tbDpT10_ENKUlT_T0_E_clISt17integral_constantIbLb1EES17_EEDaS12_S13_EUlS12_E_NS1_11comp_targetILNS1_3genE9ELNS1_11target_archE1100ELNS1_3gpuE3ELNS1_3repE0EEENS1_30default_config_static_selectorELNS0_4arch9wavefront6targetE0EEEvT1_
	.p2align	8
	.type	_ZN7rocprim17ROCPRIM_400000_NS6detail17trampoline_kernelINS0_14default_configENS1_25partition_config_selectorILNS1_17partition_subalgoE8EhNS0_10empty_typeEbEEZZNS1_14partition_implILS5_8ELb0ES3_jPKhPS6_PKS6_NS0_5tupleIJPhS6_EEENSE_IJSB_SB_EEENS0_18inequality_wrapperIN6hipcub16HIPCUB_304000_NS8EqualityEEEPlJS6_EEE10hipError_tPvRmT3_T4_T5_T6_T7_T9_mT8_P12ihipStream_tbDpT10_ENKUlT_T0_E_clISt17integral_constantIbLb1EES17_EEDaS12_S13_EUlS12_E_NS1_11comp_targetILNS1_3genE9ELNS1_11target_archE1100ELNS1_3gpuE3ELNS1_3repE0EEENS1_30default_config_static_selectorELNS0_4arch9wavefront6targetE0EEEvT1_,@function
_ZN7rocprim17ROCPRIM_400000_NS6detail17trampoline_kernelINS0_14default_configENS1_25partition_config_selectorILNS1_17partition_subalgoE8EhNS0_10empty_typeEbEEZZNS1_14partition_implILS5_8ELb0ES3_jPKhPS6_PKS6_NS0_5tupleIJPhS6_EEENSE_IJSB_SB_EEENS0_18inequality_wrapperIN6hipcub16HIPCUB_304000_NS8EqualityEEEPlJS6_EEE10hipError_tPvRmT3_T4_T5_T6_T7_T9_mT8_P12ihipStream_tbDpT10_ENKUlT_T0_E_clISt17integral_constantIbLb1EES17_EEDaS12_S13_EUlS12_E_NS1_11comp_targetILNS1_3genE9ELNS1_11target_archE1100ELNS1_3gpuE3ELNS1_3repE0EEENS1_30default_config_static_selectorELNS0_4arch9wavefront6targetE0EEEvT1_: ; @_ZN7rocprim17ROCPRIM_400000_NS6detail17trampoline_kernelINS0_14default_configENS1_25partition_config_selectorILNS1_17partition_subalgoE8EhNS0_10empty_typeEbEEZZNS1_14partition_implILS5_8ELb0ES3_jPKhPS6_PKS6_NS0_5tupleIJPhS6_EEENSE_IJSB_SB_EEENS0_18inequality_wrapperIN6hipcub16HIPCUB_304000_NS8EqualityEEEPlJS6_EEE10hipError_tPvRmT3_T4_T5_T6_T7_T9_mT8_P12ihipStream_tbDpT10_ENKUlT_T0_E_clISt17integral_constantIbLb1EES17_EEDaS12_S13_EUlS12_E_NS1_11comp_targetILNS1_3genE9ELNS1_11target_archE1100ELNS1_3gpuE3ELNS1_3repE0EEENS1_30default_config_static_selectorELNS0_4arch9wavefront6targetE0EEEvT1_
; %bb.0:
	.section	.rodata,"a",@progbits
	.p2align	6, 0x0
	.amdhsa_kernel _ZN7rocprim17ROCPRIM_400000_NS6detail17trampoline_kernelINS0_14default_configENS1_25partition_config_selectorILNS1_17partition_subalgoE8EhNS0_10empty_typeEbEEZZNS1_14partition_implILS5_8ELb0ES3_jPKhPS6_PKS6_NS0_5tupleIJPhS6_EEENSE_IJSB_SB_EEENS0_18inequality_wrapperIN6hipcub16HIPCUB_304000_NS8EqualityEEEPlJS6_EEE10hipError_tPvRmT3_T4_T5_T6_T7_T9_mT8_P12ihipStream_tbDpT10_ENKUlT_T0_E_clISt17integral_constantIbLb1EES17_EEDaS12_S13_EUlS12_E_NS1_11comp_targetILNS1_3genE9ELNS1_11target_archE1100ELNS1_3gpuE3ELNS1_3repE0EEENS1_30default_config_static_selectorELNS0_4arch9wavefront6targetE0EEEvT1_
		.amdhsa_group_segment_fixed_size 0
		.amdhsa_private_segment_fixed_size 0
		.amdhsa_kernarg_size 128
		.amdhsa_user_sgpr_count 2
		.amdhsa_user_sgpr_dispatch_ptr 0
		.amdhsa_user_sgpr_queue_ptr 0
		.amdhsa_user_sgpr_kernarg_segment_ptr 1
		.amdhsa_user_sgpr_dispatch_id 0
		.amdhsa_user_sgpr_kernarg_preload_length 0
		.amdhsa_user_sgpr_kernarg_preload_offset 0
		.amdhsa_user_sgpr_private_segment_size 0
		.amdhsa_wavefront_size32 1
		.amdhsa_uses_dynamic_stack 0
		.amdhsa_enable_private_segment 0
		.amdhsa_system_sgpr_workgroup_id_x 1
		.amdhsa_system_sgpr_workgroup_id_y 0
		.amdhsa_system_sgpr_workgroup_id_z 0
		.amdhsa_system_sgpr_workgroup_info 0
		.amdhsa_system_vgpr_workitem_id 0
		.amdhsa_next_free_vgpr 1
		.amdhsa_next_free_sgpr 1
		.amdhsa_named_barrier_count 0
		.amdhsa_reserve_vcc 0
		.amdhsa_float_round_mode_32 0
		.amdhsa_float_round_mode_16_64 0
		.amdhsa_float_denorm_mode_32 3
		.amdhsa_float_denorm_mode_16_64 3
		.amdhsa_fp16_overflow 0
		.amdhsa_memory_ordered 1
		.amdhsa_forward_progress 1
		.amdhsa_inst_pref_size 0
		.amdhsa_round_robin_scheduling 0
		.amdhsa_exception_fp_ieee_invalid_op 0
		.amdhsa_exception_fp_denorm_src 0
		.amdhsa_exception_fp_ieee_div_zero 0
		.amdhsa_exception_fp_ieee_overflow 0
		.amdhsa_exception_fp_ieee_underflow 0
		.amdhsa_exception_fp_ieee_inexact 0
		.amdhsa_exception_int_div_zero 0
	.end_amdhsa_kernel
	.section	.text._ZN7rocprim17ROCPRIM_400000_NS6detail17trampoline_kernelINS0_14default_configENS1_25partition_config_selectorILNS1_17partition_subalgoE8EhNS0_10empty_typeEbEEZZNS1_14partition_implILS5_8ELb0ES3_jPKhPS6_PKS6_NS0_5tupleIJPhS6_EEENSE_IJSB_SB_EEENS0_18inequality_wrapperIN6hipcub16HIPCUB_304000_NS8EqualityEEEPlJS6_EEE10hipError_tPvRmT3_T4_T5_T6_T7_T9_mT8_P12ihipStream_tbDpT10_ENKUlT_T0_E_clISt17integral_constantIbLb1EES17_EEDaS12_S13_EUlS12_E_NS1_11comp_targetILNS1_3genE9ELNS1_11target_archE1100ELNS1_3gpuE3ELNS1_3repE0EEENS1_30default_config_static_selectorELNS0_4arch9wavefront6targetE0EEEvT1_,"axG",@progbits,_ZN7rocprim17ROCPRIM_400000_NS6detail17trampoline_kernelINS0_14default_configENS1_25partition_config_selectorILNS1_17partition_subalgoE8EhNS0_10empty_typeEbEEZZNS1_14partition_implILS5_8ELb0ES3_jPKhPS6_PKS6_NS0_5tupleIJPhS6_EEENSE_IJSB_SB_EEENS0_18inequality_wrapperIN6hipcub16HIPCUB_304000_NS8EqualityEEEPlJS6_EEE10hipError_tPvRmT3_T4_T5_T6_T7_T9_mT8_P12ihipStream_tbDpT10_ENKUlT_T0_E_clISt17integral_constantIbLb1EES17_EEDaS12_S13_EUlS12_E_NS1_11comp_targetILNS1_3genE9ELNS1_11target_archE1100ELNS1_3gpuE3ELNS1_3repE0EEENS1_30default_config_static_selectorELNS0_4arch9wavefront6targetE0EEEvT1_,comdat
.Lfunc_end148:
	.size	_ZN7rocprim17ROCPRIM_400000_NS6detail17trampoline_kernelINS0_14default_configENS1_25partition_config_selectorILNS1_17partition_subalgoE8EhNS0_10empty_typeEbEEZZNS1_14partition_implILS5_8ELb0ES3_jPKhPS6_PKS6_NS0_5tupleIJPhS6_EEENSE_IJSB_SB_EEENS0_18inequality_wrapperIN6hipcub16HIPCUB_304000_NS8EqualityEEEPlJS6_EEE10hipError_tPvRmT3_T4_T5_T6_T7_T9_mT8_P12ihipStream_tbDpT10_ENKUlT_T0_E_clISt17integral_constantIbLb1EES17_EEDaS12_S13_EUlS12_E_NS1_11comp_targetILNS1_3genE9ELNS1_11target_archE1100ELNS1_3gpuE3ELNS1_3repE0EEENS1_30default_config_static_selectorELNS0_4arch9wavefront6targetE0EEEvT1_, .Lfunc_end148-_ZN7rocprim17ROCPRIM_400000_NS6detail17trampoline_kernelINS0_14default_configENS1_25partition_config_selectorILNS1_17partition_subalgoE8EhNS0_10empty_typeEbEEZZNS1_14partition_implILS5_8ELb0ES3_jPKhPS6_PKS6_NS0_5tupleIJPhS6_EEENSE_IJSB_SB_EEENS0_18inequality_wrapperIN6hipcub16HIPCUB_304000_NS8EqualityEEEPlJS6_EEE10hipError_tPvRmT3_T4_T5_T6_T7_T9_mT8_P12ihipStream_tbDpT10_ENKUlT_T0_E_clISt17integral_constantIbLb1EES17_EEDaS12_S13_EUlS12_E_NS1_11comp_targetILNS1_3genE9ELNS1_11target_archE1100ELNS1_3gpuE3ELNS1_3repE0EEENS1_30default_config_static_selectorELNS0_4arch9wavefront6targetE0EEEvT1_
                                        ; -- End function
	.set _ZN7rocprim17ROCPRIM_400000_NS6detail17trampoline_kernelINS0_14default_configENS1_25partition_config_selectorILNS1_17partition_subalgoE8EhNS0_10empty_typeEbEEZZNS1_14partition_implILS5_8ELb0ES3_jPKhPS6_PKS6_NS0_5tupleIJPhS6_EEENSE_IJSB_SB_EEENS0_18inequality_wrapperIN6hipcub16HIPCUB_304000_NS8EqualityEEEPlJS6_EEE10hipError_tPvRmT3_T4_T5_T6_T7_T9_mT8_P12ihipStream_tbDpT10_ENKUlT_T0_E_clISt17integral_constantIbLb1EES17_EEDaS12_S13_EUlS12_E_NS1_11comp_targetILNS1_3genE9ELNS1_11target_archE1100ELNS1_3gpuE3ELNS1_3repE0EEENS1_30default_config_static_selectorELNS0_4arch9wavefront6targetE0EEEvT1_.num_vgpr, 0
	.set _ZN7rocprim17ROCPRIM_400000_NS6detail17trampoline_kernelINS0_14default_configENS1_25partition_config_selectorILNS1_17partition_subalgoE8EhNS0_10empty_typeEbEEZZNS1_14partition_implILS5_8ELb0ES3_jPKhPS6_PKS6_NS0_5tupleIJPhS6_EEENSE_IJSB_SB_EEENS0_18inequality_wrapperIN6hipcub16HIPCUB_304000_NS8EqualityEEEPlJS6_EEE10hipError_tPvRmT3_T4_T5_T6_T7_T9_mT8_P12ihipStream_tbDpT10_ENKUlT_T0_E_clISt17integral_constantIbLb1EES17_EEDaS12_S13_EUlS12_E_NS1_11comp_targetILNS1_3genE9ELNS1_11target_archE1100ELNS1_3gpuE3ELNS1_3repE0EEENS1_30default_config_static_selectorELNS0_4arch9wavefront6targetE0EEEvT1_.num_agpr, 0
	.set _ZN7rocprim17ROCPRIM_400000_NS6detail17trampoline_kernelINS0_14default_configENS1_25partition_config_selectorILNS1_17partition_subalgoE8EhNS0_10empty_typeEbEEZZNS1_14partition_implILS5_8ELb0ES3_jPKhPS6_PKS6_NS0_5tupleIJPhS6_EEENSE_IJSB_SB_EEENS0_18inequality_wrapperIN6hipcub16HIPCUB_304000_NS8EqualityEEEPlJS6_EEE10hipError_tPvRmT3_T4_T5_T6_T7_T9_mT8_P12ihipStream_tbDpT10_ENKUlT_T0_E_clISt17integral_constantIbLb1EES17_EEDaS12_S13_EUlS12_E_NS1_11comp_targetILNS1_3genE9ELNS1_11target_archE1100ELNS1_3gpuE3ELNS1_3repE0EEENS1_30default_config_static_selectorELNS0_4arch9wavefront6targetE0EEEvT1_.numbered_sgpr, 0
	.set _ZN7rocprim17ROCPRIM_400000_NS6detail17trampoline_kernelINS0_14default_configENS1_25partition_config_selectorILNS1_17partition_subalgoE8EhNS0_10empty_typeEbEEZZNS1_14partition_implILS5_8ELb0ES3_jPKhPS6_PKS6_NS0_5tupleIJPhS6_EEENSE_IJSB_SB_EEENS0_18inequality_wrapperIN6hipcub16HIPCUB_304000_NS8EqualityEEEPlJS6_EEE10hipError_tPvRmT3_T4_T5_T6_T7_T9_mT8_P12ihipStream_tbDpT10_ENKUlT_T0_E_clISt17integral_constantIbLb1EES17_EEDaS12_S13_EUlS12_E_NS1_11comp_targetILNS1_3genE9ELNS1_11target_archE1100ELNS1_3gpuE3ELNS1_3repE0EEENS1_30default_config_static_selectorELNS0_4arch9wavefront6targetE0EEEvT1_.num_named_barrier, 0
	.set _ZN7rocprim17ROCPRIM_400000_NS6detail17trampoline_kernelINS0_14default_configENS1_25partition_config_selectorILNS1_17partition_subalgoE8EhNS0_10empty_typeEbEEZZNS1_14partition_implILS5_8ELb0ES3_jPKhPS6_PKS6_NS0_5tupleIJPhS6_EEENSE_IJSB_SB_EEENS0_18inequality_wrapperIN6hipcub16HIPCUB_304000_NS8EqualityEEEPlJS6_EEE10hipError_tPvRmT3_T4_T5_T6_T7_T9_mT8_P12ihipStream_tbDpT10_ENKUlT_T0_E_clISt17integral_constantIbLb1EES17_EEDaS12_S13_EUlS12_E_NS1_11comp_targetILNS1_3genE9ELNS1_11target_archE1100ELNS1_3gpuE3ELNS1_3repE0EEENS1_30default_config_static_selectorELNS0_4arch9wavefront6targetE0EEEvT1_.private_seg_size, 0
	.set _ZN7rocprim17ROCPRIM_400000_NS6detail17trampoline_kernelINS0_14default_configENS1_25partition_config_selectorILNS1_17partition_subalgoE8EhNS0_10empty_typeEbEEZZNS1_14partition_implILS5_8ELb0ES3_jPKhPS6_PKS6_NS0_5tupleIJPhS6_EEENSE_IJSB_SB_EEENS0_18inequality_wrapperIN6hipcub16HIPCUB_304000_NS8EqualityEEEPlJS6_EEE10hipError_tPvRmT3_T4_T5_T6_T7_T9_mT8_P12ihipStream_tbDpT10_ENKUlT_T0_E_clISt17integral_constantIbLb1EES17_EEDaS12_S13_EUlS12_E_NS1_11comp_targetILNS1_3genE9ELNS1_11target_archE1100ELNS1_3gpuE3ELNS1_3repE0EEENS1_30default_config_static_selectorELNS0_4arch9wavefront6targetE0EEEvT1_.uses_vcc, 0
	.set _ZN7rocprim17ROCPRIM_400000_NS6detail17trampoline_kernelINS0_14default_configENS1_25partition_config_selectorILNS1_17partition_subalgoE8EhNS0_10empty_typeEbEEZZNS1_14partition_implILS5_8ELb0ES3_jPKhPS6_PKS6_NS0_5tupleIJPhS6_EEENSE_IJSB_SB_EEENS0_18inequality_wrapperIN6hipcub16HIPCUB_304000_NS8EqualityEEEPlJS6_EEE10hipError_tPvRmT3_T4_T5_T6_T7_T9_mT8_P12ihipStream_tbDpT10_ENKUlT_T0_E_clISt17integral_constantIbLb1EES17_EEDaS12_S13_EUlS12_E_NS1_11comp_targetILNS1_3genE9ELNS1_11target_archE1100ELNS1_3gpuE3ELNS1_3repE0EEENS1_30default_config_static_selectorELNS0_4arch9wavefront6targetE0EEEvT1_.uses_flat_scratch, 0
	.set _ZN7rocprim17ROCPRIM_400000_NS6detail17trampoline_kernelINS0_14default_configENS1_25partition_config_selectorILNS1_17partition_subalgoE8EhNS0_10empty_typeEbEEZZNS1_14partition_implILS5_8ELb0ES3_jPKhPS6_PKS6_NS0_5tupleIJPhS6_EEENSE_IJSB_SB_EEENS0_18inequality_wrapperIN6hipcub16HIPCUB_304000_NS8EqualityEEEPlJS6_EEE10hipError_tPvRmT3_T4_T5_T6_T7_T9_mT8_P12ihipStream_tbDpT10_ENKUlT_T0_E_clISt17integral_constantIbLb1EES17_EEDaS12_S13_EUlS12_E_NS1_11comp_targetILNS1_3genE9ELNS1_11target_archE1100ELNS1_3gpuE3ELNS1_3repE0EEENS1_30default_config_static_selectorELNS0_4arch9wavefront6targetE0EEEvT1_.has_dyn_sized_stack, 0
	.set _ZN7rocprim17ROCPRIM_400000_NS6detail17trampoline_kernelINS0_14default_configENS1_25partition_config_selectorILNS1_17partition_subalgoE8EhNS0_10empty_typeEbEEZZNS1_14partition_implILS5_8ELb0ES3_jPKhPS6_PKS6_NS0_5tupleIJPhS6_EEENSE_IJSB_SB_EEENS0_18inequality_wrapperIN6hipcub16HIPCUB_304000_NS8EqualityEEEPlJS6_EEE10hipError_tPvRmT3_T4_T5_T6_T7_T9_mT8_P12ihipStream_tbDpT10_ENKUlT_T0_E_clISt17integral_constantIbLb1EES17_EEDaS12_S13_EUlS12_E_NS1_11comp_targetILNS1_3genE9ELNS1_11target_archE1100ELNS1_3gpuE3ELNS1_3repE0EEENS1_30default_config_static_selectorELNS0_4arch9wavefront6targetE0EEEvT1_.has_recursion, 0
	.set _ZN7rocprim17ROCPRIM_400000_NS6detail17trampoline_kernelINS0_14default_configENS1_25partition_config_selectorILNS1_17partition_subalgoE8EhNS0_10empty_typeEbEEZZNS1_14partition_implILS5_8ELb0ES3_jPKhPS6_PKS6_NS0_5tupleIJPhS6_EEENSE_IJSB_SB_EEENS0_18inequality_wrapperIN6hipcub16HIPCUB_304000_NS8EqualityEEEPlJS6_EEE10hipError_tPvRmT3_T4_T5_T6_T7_T9_mT8_P12ihipStream_tbDpT10_ENKUlT_T0_E_clISt17integral_constantIbLb1EES17_EEDaS12_S13_EUlS12_E_NS1_11comp_targetILNS1_3genE9ELNS1_11target_archE1100ELNS1_3gpuE3ELNS1_3repE0EEENS1_30default_config_static_selectorELNS0_4arch9wavefront6targetE0EEEvT1_.has_indirect_call, 0
	.section	.AMDGPU.csdata,"",@progbits
; Kernel info:
; codeLenInByte = 0
; TotalNumSgprs: 0
; NumVgprs: 0
; ScratchSize: 0
; MemoryBound: 0
; FloatMode: 240
; IeeeMode: 1
; LDSByteSize: 0 bytes/workgroup (compile time only)
; SGPRBlocks: 0
; VGPRBlocks: 0
; NumSGPRsForWavesPerEU: 1
; NumVGPRsForWavesPerEU: 1
; NamedBarCnt: 0
; Occupancy: 16
; WaveLimiterHint : 0
; COMPUTE_PGM_RSRC2:SCRATCH_EN: 0
; COMPUTE_PGM_RSRC2:USER_SGPR: 2
; COMPUTE_PGM_RSRC2:TRAP_HANDLER: 0
; COMPUTE_PGM_RSRC2:TGID_X_EN: 1
; COMPUTE_PGM_RSRC2:TGID_Y_EN: 0
; COMPUTE_PGM_RSRC2:TGID_Z_EN: 0
; COMPUTE_PGM_RSRC2:TIDIG_COMP_CNT: 0
	.section	.text._ZN7rocprim17ROCPRIM_400000_NS6detail17trampoline_kernelINS0_14default_configENS1_25partition_config_selectorILNS1_17partition_subalgoE8EhNS0_10empty_typeEbEEZZNS1_14partition_implILS5_8ELb0ES3_jPKhPS6_PKS6_NS0_5tupleIJPhS6_EEENSE_IJSB_SB_EEENS0_18inequality_wrapperIN6hipcub16HIPCUB_304000_NS8EqualityEEEPlJS6_EEE10hipError_tPvRmT3_T4_T5_T6_T7_T9_mT8_P12ihipStream_tbDpT10_ENKUlT_T0_E_clISt17integral_constantIbLb1EES17_EEDaS12_S13_EUlS12_E_NS1_11comp_targetILNS1_3genE8ELNS1_11target_archE1030ELNS1_3gpuE2ELNS1_3repE0EEENS1_30default_config_static_selectorELNS0_4arch9wavefront6targetE0EEEvT1_,"axG",@progbits,_ZN7rocprim17ROCPRIM_400000_NS6detail17trampoline_kernelINS0_14default_configENS1_25partition_config_selectorILNS1_17partition_subalgoE8EhNS0_10empty_typeEbEEZZNS1_14partition_implILS5_8ELb0ES3_jPKhPS6_PKS6_NS0_5tupleIJPhS6_EEENSE_IJSB_SB_EEENS0_18inequality_wrapperIN6hipcub16HIPCUB_304000_NS8EqualityEEEPlJS6_EEE10hipError_tPvRmT3_T4_T5_T6_T7_T9_mT8_P12ihipStream_tbDpT10_ENKUlT_T0_E_clISt17integral_constantIbLb1EES17_EEDaS12_S13_EUlS12_E_NS1_11comp_targetILNS1_3genE8ELNS1_11target_archE1030ELNS1_3gpuE2ELNS1_3repE0EEENS1_30default_config_static_selectorELNS0_4arch9wavefront6targetE0EEEvT1_,comdat
	.protected	_ZN7rocprim17ROCPRIM_400000_NS6detail17trampoline_kernelINS0_14default_configENS1_25partition_config_selectorILNS1_17partition_subalgoE8EhNS0_10empty_typeEbEEZZNS1_14partition_implILS5_8ELb0ES3_jPKhPS6_PKS6_NS0_5tupleIJPhS6_EEENSE_IJSB_SB_EEENS0_18inequality_wrapperIN6hipcub16HIPCUB_304000_NS8EqualityEEEPlJS6_EEE10hipError_tPvRmT3_T4_T5_T6_T7_T9_mT8_P12ihipStream_tbDpT10_ENKUlT_T0_E_clISt17integral_constantIbLb1EES17_EEDaS12_S13_EUlS12_E_NS1_11comp_targetILNS1_3genE8ELNS1_11target_archE1030ELNS1_3gpuE2ELNS1_3repE0EEENS1_30default_config_static_selectorELNS0_4arch9wavefront6targetE0EEEvT1_ ; -- Begin function _ZN7rocprim17ROCPRIM_400000_NS6detail17trampoline_kernelINS0_14default_configENS1_25partition_config_selectorILNS1_17partition_subalgoE8EhNS0_10empty_typeEbEEZZNS1_14partition_implILS5_8ELb0ES3_jPKhPS6_PKS6_NS0_5tupleIJPhS6_EEENSE_IJSB_SB_EEENS0_18inequality_wrapperIN6hipcub16HIPCUB_304000_NS8EqualityEEEPlJS6_EEE10hipError_tPvRmT3_T4_T5_T6_T7_T9_mT8_P12ihipStream_tbDpT10_ENKUlT_T0_E_clISt17integral_constantIbLb1EES17_EEDaS12_S13_EUlS12_E_NS1_11comp_targetILNS1_3genE8ELNS1_11target_archE1030ELNS1_3gpuE2ELNS1_3repE0EEENS1_30default_config_static_selectorELNS0_4arch9wavefront6targetE0EEEvT1_
	.globl	_ZN7rocprim17ROCPRIM_400000_NS6detail17trampoline_kernelINS0_14default_configENS1_25partition_config_selectorILNS1_17partition_subalgoE8EhNS0_10empty_typeEbEEZZNS1_14partition_implILS5_8ELb0ES3_jPKhPS6_PKS6_NS0_5tupleIJPhS6_EEENSE_IJSB_SB_EEENS0_18inequality_wrapperIN6hipcub16HIPCUB_304000_NS8EqualityEEEPlJS6_EEE10hipError_tPvRmT3_T4_T5_T6_T7_T9_mT8_P12ihipStream_tbDpT10_ENKUlT_T0_E_clISt17integral_constantIbLb1EES17_EEDaS12_S13_EUlS12_E_NS1_11comp_targetILNS1_3genE8ELNS1_11target_archE1030ELNS1_3gpuE2ELNS1_3repE0EEENS1_30default_config_static_selectorELNS0_4arch9wavefront6targetE0EEEvT1_
	.p2align	8
	.type	_ZN7rocprim17ROCPRIM_400000_NS6detail17trampoline_kernelINS0_14default_configENS1_25partition_config_selectorILNS1_17partition_subalgoE8EhNS0_10empty_typeEbEEZZNS1_14partition_implILS5_8ELb0ES3_jPKhPS6_PKS6_NS0_5tupleIJPhS6_EEENSE_IJSB_SB_EEENS0_18inequality_wrapperIN6hipcub16HIPCUB_304000_NS8EqualityEEEPlJS6_EEE10hipError_tPvRmT3_T4_T5_T6_T7_T9_mT8_P12ihipStream_tbDpT10_ENKUlT_T0_E_clISt17integral_constantIbLb1EES17_EEDaS12_S13_EUlS12_E_NS1_11comp_targetILNS1_3genE8ELNS1_11target_archE1030ELNS1_3gpuE2ELNS1_3repE0EEENS1_30default_config_static_selectorELNS0_4arch9wavefront6targetE0EEEvT1_,@function
_ZN7rocprim17ROCPRIM_400000_NS6detail17trampoline_kernelINS0_14default_configENS1_25partition_config_selectorILNS1_17partition_subalgoE8EhNS0_10empty_typeEbEEZZNS1_14partition_implILS5_8ELb0ES3_jPKhPS6_PKS6_NS0_5tupleIJPhS6_EEENSE_IJSB_SB_EEENS0_18inequality_wrapperIN6hipcub16HIPCUB_304000_NS8EqualityEEEPlJS6_EEE10hipError_tPvRmT3_T4_T5_T6_T7_T9_mT8_P12ihipStream_tbDpT10_ENKUlT_T0_E_clISt17integral_constantIbLb1EES17_EEDaS12_S13_EUlS12_E_NS1_11comp_targetILNS1_3genE8ELNS1_11target_archE1030ELNS1_3gpuE2ELNS1_3repE0EEENS1_30default_config_static_selectorELNS0_4arch9wavefront6targetE0EEEvT1_: ; @_ZN7rocprim17ROCPRIM_400000_NS6detail17trampoline_kernelINS0_14default_configENS1_25partition_config_selectorILNS1_17partition_subalgoE8EhNS0_10empty_typeEbEEZZNS1_14partition_implILS5_8ELb0ES3_jPKhPS6_PKS6_NS0_5tupleIJPhS6_EEENSE_IJSB_SB_EEENS0_18inequality_wrapperIN6hipcub16HIPCUB_304000_NS8EqualityEEEPlJS6_EEE10hipError_tPvRmT3_T4_T5_T6_T7_T9_mT8_P12ihipStream_tbDpT10_ENKUlT_T0_E_clISt17integral_constantIbLb1EES17_EEDaS12_S13_EUlS12_E_NS1_11comp_targetILNS1_3genE8ELNS1_11target_archE1030ELNS1_3gpuE2ELNS1_3repE0EEENS1_30default_config_static_selectorELNS0_4arch9wavefront6targetE0EEEvT1_
; %bb.0:
	.section	.rodata,"a",@progbits
	.p2align	6, 0x0
	.amdhsa_kernel _ZN7rocprim17ROCPRIM_400000_NS6detail17trampoline_kernelINS0_14default_configENS1_25partition_config_selectorILNS1_17partition_subalgoE8EhNS0_10empty_typeEbEEZZNS1_14partition_implILS5_8ELb0ES3_jPKhPS6_PKS6_NS0_5tupleIJPhS6_EEENSE_IJSB_SB_EEENS0_18inequality_wrapperIN6hipcub16HIPCUB_304000_NS8EqualityEEEPlJS6_EEE10hipError_tPvRmT3_T4_T5_T6_T7_T9_mT8_P12ihipStream_tbDpT10_ENKUlT_T0_E_clISt17integral_constantIbLb1EES17_EEDaS12_S13_EUlS12_E_NS1_11comp_targetILNS1_3genE8ELNS1_11target_archE1030ELNS1_3gpuE2ELNS1_3repE0EEENS1_30default_config_static_selectorELNS0_4arch9wavefront6targetE0EEEvT1_
		.amdhsa_group_segment_fixed_size 0
		.amdhsa_private_segment_fixed_size 0
		.amdhsa_kernarg_size 128
		.amdhsa_user_sgpr_count 2
		.amdhsa_user_sgpr_dispatch_ptr 0
		.amdhsa_user_sgpr_queue_ptr 0
		.amdhsa_user_sgpr_kernarg_segment_ptr 1
		.amdhsa_user_sgpr_dispatch_id 0
		.amdhsa_user_sgpr_kernarg_preload_length 0
		.amdhsa_user_sgpr_kernarg_preload_offset 0
		.amdhsa_user_sgpr_private_segment_size 0
		.amdhsa_wavefront_size32 1
		.amdhsa_uses_dynamic_stack 0
		.amdhsa_enable_private_segment 0
		.amdhsa_system_sgpr_workgroup_id_x 1
		.amdhsa_system_sgpr_workgroup_id_y 0
		.amdhsa_system_sgpr_workgroup_id_z 0
		.amdhsa_system_sgpr_workgroup_info 0
		.amdhsa_system_vgpr_workitem_id 0
		.amdhsa_next_free_vgpr 1
		.amdhsa_next_free_sgpr 1
		.amdhsa_named_barrier_count 0
		.amdhsa_reserve_vcc 0
		.amdhsa_float_round_mode_32 0
		.amdhsa_float_round_mode_16_64 0
		.amdhsa_float_denorm_mode_32 3
		.amdhsa_float_denorm_mode_16_64 3
		.amdhsa_fp16_overflow 0
		.amdhsa_memory_ordered 1
		.amdhsa_forward_progress 1
		.amdhsa_inst_pref_size 0
		.amdhsa_round_robin_scheduling 0
		.amdhsa_exception_fp_ieee_invalid_op 0
		.amdhsa_exception_fp_denorm_src 0
		.amdhsa_exception_fp_ieee_div_zero 0
		.amdhsa_exception_fp_ieee_overflow 0
		.amdhsa_exception_fp_ieee_underflow 0
		.amdhsa_exception_fp_ieee_inexact 0
		.amdhsa_exception_int_div_zero 0
	.end_amdhsa_kernel
	.section	.text._ZN7rocprim17ROCPRIM_400000_NS6detail17trampoline_kernelINS0_14default_configENS1_25partition_config_selectorILNS1_17partition_subalgoE8EhNS0_10empty_typeEbEEZZNS1_14partition_implILS5_8ELb0ES3_jPKhPS6_PKS6_NS0_5tupleIJPhS6_EEENSE_IJSB_SB_EEENS0_18inequality_wrapperIN6hipcub16HIPCUB_304000_NS8EqualityEEEPlJS6_EEE10hipError_tPvRmT3_T4_T5_T6_T7_T9_mT8_P12ihipStream_tbDpT10_ENKUlT_T0_E_clISt17integral_constantIbLb1EES17_EEDaS12_S13_EUlS12_E_NS1_11comp_targetILNS1_3genE8ELNS1_11target_archE1030ELNS1_3gpuE2ELNS1_3repE0EEENS1_30default_config_static_selectorELNS0_4arch9wavefront6targetE0EEEvT1_,"axG",@progbits,_ZN7rocprim17ROCPRIM_400000_NS6detail17trampoline_kernelINS0_14default_configENS1_25partition_config_selectorILNS1_17partition_subalgoE8EhNS0_10empty_typeEbEEZZNS1_14partition_implILS5_8ELb0ES3_jPKhPS6_PKS6_NS0_5tupleIJPhS6_EEENSE_IJSB_SB_EEENS0_18inequality_wrapperIN6hipcub16HIPCUB_304000_NS8EqualityEEEPlJS6_EEE10hipError_tPvRmT3_T4_T5_T6_T7_T9_mT8_P12ihipStream_tbDpT10_ENKUlT_T0_E_clISt17integral_constantIbLb1EES17_EEDaS12_S13_EUlS12_E_NS1_11comp_targetILNS1_3genE8ELNS1_11target_archE1030ELNS1_3gpuE2ELNS1_3repE0EEENS1_30default_config_static_selectorELNS0_4arch9wavefront6targetE0EEEvT1_,comdat
.Lfunc_end149:
	.size	_ZN7rocprim17ROCPRIM_400000_NS6detail17trampoline_kernelINS0_14default_configENS1_25partition_config_selectorILNS1_17partition_subalgoE8EhNS0_10empty_typeEbEEZZNS1_14partition_implILS5_8ELb0ES3_jPKhPS6_PKS6_NS0_5tupleIJPhS6_EEENSE_IJSB_SB_EEENS0_18inequality_wrapperIN6hipcub16HIPCUB_304000_NS8EqualityEEEPlJS6_EEE10hipError_tPvRmT3_T4_T5_T6_T7_T9_mT8_P12ihipStream_tbDpT10_ENKUlT_T0_E_clISt17integral_constantIbLb1EES17_EEDaS12_S13_EUlS12_E_NS1_11comp_targetILNS1_3genE8ELNS1_11target_archE1030ELNS1_3gpuE2ELNS1_3repE0EEENS1_30default_config_static_selectorELNS0_4arch9wavefront6targetE0EEEvT1_, .Lfunc_end149-_ZN7rocprim17ROCPRIM_400000_NS6detail17trampoline_kernelINS0_14default_configENS1_25partition_config_selectorILNS1_17partition_subalgoE8EhNS0_10empty_typeEbEEZZNS1_14partition_implILS5_8ELb0ES3_jPKhPS6_PKS6_NS0_5tupleIJPhS6_EEENSE_IJSB_SB_EEENS0_18inequality_wrapperIN6hipcub16HIPCUB_304000_NS8EqualityEEEPlJS6_EEE10hipError_tPvRmT3_T4_T5_T6_T7_T9_mT8_P12ihipStream_tbDpT10_ENKUlT_T0_E_clISt17integral_constantIbLb1EES17_EEDaS12_S13_EUlS12_E_NS1_11comp_targetILNS1_3genE8ELNS1_11target_archE1030ELNS1_3gpuE2ELNS1_3repE0EEENS1_30default_config_static_selectorELNS0_4arch9wavefront6targetE0EEEvT1_
                                        ; -- End function
	.set _ZN7rocprim17ROCPRIM_400000_NS6detail17trampoline_kernelINS0_14default_configENS1_25partition_config_selectorILNS1_17partition_subalgoE8EhNS0_10empty_typeEbEEZZNS1_14partition_implILS5_8ELb0ES3_jPKhPS6_PKS6_NS0_5tupleIJPhS6_EEENSE_IJSB_SB_EEENS0_18inequality_wrapperIN6hipcub16HIPCUB_304000_NS8EqualityEEEPlJS6_EEE10hipError_tPvRmT3_T4_T5_T6_T7_T9_mT8_P12ihipStream_tbDpT10_ENKUlT_T0_E_clISt17integral_constantIbLb1EES17_EEDaS12_S13_EUlS12_E_NS1_11comp_targetILNS1_3genE8ELNS1_11target_archE1030ELNS1_3gpuE2ELNS1_3repE0EEENS1_30default_config_static_selectorELNS0_4arch9wavefront6targetE0EEEvT1_.num_vgpr, 0
	.set _ZN7rocprim17ROCPRIM_400000_NS6detail17trampoline_kernelINS0_14default_configENS1_25partition_config_selectorILNS1_17partition_subalgoE8EhNS0_10empty_typeEbEEZZNS1_14partition_implILS5_8ELb0ES3_jPKhPS6_PKS6_NS0_5tupleIJPhS6_EEENSE_IJSB_SB_EEENS0_18inequality_wrapperIN6hipcub16HIPCUB_304000_NS8EqualityEEEPlJS6_EEE10hipError_tPvRmT3_T4_T5_T6_T7_T9_mT8_P12ihipStream_tbDpT10_ENKUlT_T0_E_clISt17integral_constantIbLb1EES17_EEDaS12_S13_EUlS12_E_NS1_11comp_targetILNS1_3genE8ELNS1_11target_archE1030ELNS1_3gpuE2ELNS1_3repE0EEENS1_30default_config_static_selectorELNS0_4arch9wavefront6targetE0EEEvT1_.num_agpr, 0
	.set _ZN7rocprim17ROCPRIM_400000_NS6detail17trampoline_kernelINS0_14default_configENS1_25partition_config_selectorILNS1_17partition_subalgoE8EhNS0_10empty_typeEbEEZZNS1_14partition_implILS5_8ELb0ES3_jPKhPS6_PKS6_NS0_5tupleIJPhS6_EEENSE_IJSB_SB_EEENS0_18inequality_wrapperIN6hipcub16HIPCUB_304000_NS8EqualityEEEPlJS6_EEE10hipError_tPvRmT3_T4_T5_T6_T7_T9_mT8_P12ihipStream_tbDpT10_ENKUlT_T0_E_clISt17integral_constantIbLb1EES17_EEDaS12_S13_EUlS12_E_NS1_11comp_targetILNS1_3genE8ELNS1_11target_archE1030ELNS1_3gpuE2ELNS1_3repE0EEENS1_30default_config_static_selectorELNS0_4arch9wavefront6targetE0EEEvT1_.numbered_sgpr, 0
	.set _ZN7rocprim17ROCPRIM_400000_NS6detail17trampoline_kernelINS0_14default_configENS1_25partition_config_selectorILNS1_17partition_subalgoE8EhNS0_10empty_typeEbEEZZNS1_14partition_implILS5_8ELb0ES3_jPKhPS6_PKS6_NS0_5tupleIJPhS6_EEENSE_IJSB_SB_EEENS0_18inequality_wrapperIN6hipcub16HIPCUB_304000_NS8EqualityEEEPlJS6_EEE10hipError_tPvRmT3_T4_T5_T6_T7_T9_mT8_P12ihipStream_tbDpT10_ENKUlT_T0_E_clISt17integral_constantIbLb1EES17_EEDaS12_S13_EUlS12_E_NS1_11comp_targetILNS1_3genE8ELNS1_11target_archE1030ELNS1_3gpuE2ELNS1_3repE0EEENS1_30default_config_static_selectorELNS0_4arch9wavefront6targetE0EEEvT1_.num_named_barrier, 0
	.set _ZN7rocprim17ROCPRIM_400000_NS6detail17trampoline_kernelINS0_14default_configENS1_25partition_config_selectorILNS1_17partition_subalgoE8EhNS0_10empty_typeEbEEZZNS1_14partition_implILS5_8ELb0ES3_jPKhPS6_PKS6_NS0_5tupleIJPhS6_EEENSE_IJSB_SB_EEENS0_18inequality_wrapperIN6hipcub16HIPCUB_304000_NS8EqualityEEEPlJS6_EEE10hipError_tPvRmT3_T4_T5_T6_T7_T9_mT8_P12ihipStream_tbDpT10_ENKUlT_T0_E_clISt17integral_constantIbLb1EES17_EEDaS12_S13_EUlS12_E_NS1_11comp_targetILNS1_3genE8ELNS1_11target_archE1030ELNS1_3gpuE2ELNS1_3repE0EEENS1_30default_config_static_selectorELNS0_4arch9wavefront6targetE0EEEvT1_.private_seg_size, 0
	.set _ZN7rocprim17ROCPRIM_400000_NS6detail17trampoline_kernelINS0_14default_configENS1_25partition_config_selectorILNS1_17partition_subalgoE8EhNS0_10empty_typeEbEEZZNS1_14partition_implILS5_8ELb0ES3_jPKhPS6_PKS6_NS0_5tupleIJPhS6_EEENSE_IJSB_SB_EEENS0_18inequality_wrapperIN6hipcub16HIPCUB_304000_NS8EqualityEEEPlJS6_EEE10hipError_tPvRmT3_T4_T5_T6_T7_T9_mT8_P12ihipStream_tbDpT10_ENKUlT_T0_E_clISt17integral_constantIbLb1EES17_EEDaS12_S13_EUlS12_E_NS1_11comp_targetILNS1_3genE8ELNS1_11target_archE1030ELNS1_3gpuE2ELNS1_3repE0EEENS1_30default_config_static_selectorELNS0_4arch9wavefront6targetE0EEEvT1_.uses_vcc, 0
	.set _ZN7rocprim17ROCPRIM_400000_NS6detail17trampoline_kernelINS0_14default_configENS1_25partition_config_selectorILNS1_17partition_subalgoE8EhNS0_10empty_typeEbEEZZNS1_14partition_implILS5_8ELb0ES3_jPKhPS6_PKS6_NS0_5tupleIJPhS6_EEENSE_IJSB_SB_EEENS0_18inequality_wrapperIN6hipcub16HIPCUB_304000_NS8EqualityEEEPlJS6_EEE10hipError_tPvRmT3_T4_T5_T6_T7_T9_mT8_P12ihipStream_tbDpT10_ENKUlT_T0_E_clISt17integral_constantIbLb1EES17_EEDaS12_S13_EUlS12_E_NS1_11comp_targetILNS1_3genE8ELNS1_11target_archE1030ELNS1_3gpuE2ELNS1_3repE0EEENS1_30default_config_static_selectorELNS0_4arch9wavefront6targetE0EEEvT1_.uses_flat_scratch, 0
	.set _ZN7rocprim17ROCPRIM_400000_NS6detail17trampoline_kernelINS0_14default_configENS1_25partition_config_selectorILNS1_17partition_subalgoE8EhNS0_10empty_typeEbEEZZNS1_14partition_implILS5_8ELb0ES3_jPKhPS6_PKS6_NS0_5tupleIJPhS6_EEENSE_IJSB_SB_EEENS0_18inequality_wrapperIN6hipcub16HIPCUB_304000_NS8EqualityEEEPlJS6_EEE10hipError_tPvRmT3_T4_T5_T6_T7_T9_mT8_P12ihipStream_tbDpT10_ENKUlT_T0_E_clISt17integral_constantIbLb1EES17_EEDaS12_S13_EUlS12_E_NS1_11comp_targetILNS1_3genE8ELNS1_11target_archE1030ELNS1_3gpuE2ELNS1_3repE0EEENS1_30default_config_static_selectorELNS0_4arch9wavefront6targetE0EEEvT1_.has_dyn_sized_stack, 0
	.set _ZN7rocprim17ROCPRIM_400000_NS6detail17trampoline_kernelINS0_14default_configENS1_25partition_config_selectorILNS1_17partition_subalgoE8EhNS0_10empty_typeEbEEZZNS1_14partition_implILS5_8ELb0ES3_jPKhPS6_PKS6_NS0_5tupleIJPhS6_EEENSE_IJSB_SB_EEENS0_18inequality_wrapperIN6hipcub16HIPCUB_304000_NS8EqualityEEEPlJS6_EEE10hipError_tPvRmT3_T4_T5_T6_T7_T9_mT8_P12ihipStream_tbDpT10_ENKUlT_T0_E_clISt17integral_constantIbLb1EES17_EEDaS12_S13_EUlS12_E_NS1_11comp_targetILNS1_3genE8ELNS1_11target_archE1030ELNS1_3gpuE2ELNS1_3repE0EEENS1_30default_config_static_selectorELNS0_4arch9wavefront6targetE0EEEvT1_.has_recursion, 0
	.set _ZN7rocprim17ROCPRIM_400000_NS6detail17trampoline_kernelINS0_14default_configENS1_25partition_config_selectorILNS1_17partition_subalgoE8EhNS0_10empty_typeEbEEZZNS1_14partition_implILS5_8ELb0ES3_jPKhPS6_PKS6_NS0_5tupleIJPhS6_EEENSE_IJSB_SB_EEENS0_18inequality_wrapperIN6hipcub16HIPCUB_304000_NS8EqualityEEEPlJS6_EEE10hipError_tPvRmT3_T4_T5_T6_T7_T9_mT8_P12ihipStream_tbDpT10_ENKUlT_T0_E_clISt17integral_constantIbLb1EES17_EEDaS12_S13_EUlS12_E_NS1_11comp_targetILNS1_3genE8ELNS1_11target_archE1030ELNS1_3gpuE2ELNS1_3repE0EEENS1_30default_config_static_selectorELNS0_4arch9wavefront6targetE0EEEvT1_.has_indirect_call, 0
	.section	.AMDGPU.csdata,"",@progbits
; Kernel info:
; codeLenInByte = 0
; TotalNumSgprs: 0
; NumVgprs: 0
; ScratchSize: 0
; MemoryBound: 0
; FloatMode: 240
; IeeeMode: 1
; LDSByteSize: 0 bytes/workgroup (compile time only)
; SGPRBlocks: 0
; VGPRBlocks: 0
; NumSGPRsForWavesPerEU: 1
; NumVGPRsForWavesPerEU: 1
; NamedBarCnt: 0
; Occupancy: 16
; WaveLimiterHint : 0
; COMPUTE_PGM_RSRC2:SCRATCH_EN: 0
; COMPUTE_PGM_RSRC2:USER_SGPR: 2
; COMPUTE_PGM_RSRC2:TRAP_HANDLER: 0
; COMPUTE_PGM_RSRC2:TGID_X_EN: 1
; COMPUTE_PGM_RSRC2:TGID_Y_EN: 0
; COMPUTE_PGM_RSRC2:TGID_Z_EN: 0
; COMPUTE_PGM_RSRC2:TIDIG_COMP_CNT: 0
	.section	.text._ZN7rocprim17ROCPRIM_400000_NS6detail17trampoline_kernelINS0_14default_configENS1_25partition_config_selectorILNS1_17partition_subalgoE8EhNS0_10empty_typeEbEEZZNS1_14partition_implILS5_8ELb0ES3_jPKhPS6_PKS6_NS0_5tupleIJPhS6_EEENSE_IJSB_SB_EEENS0_18inequality_wrapperIN6hipcub16HIPCUB_304000_NS8EqualityEEEPlJS6_EEE10hipError_tPvRmT3_T4_T5_T6_T7_T9_mT8_P12ihipStream_tbDpT10_ENKUlT_T0_E_clISt17integral_constantIbLb1EES16_IbLb0EEEEDaS12_S13_EUlS12_E_NS1_11comp_targetILNS1_3genE0ELNS1_11target_archE4294967295ELNS1_3gpuE0ELNS1_3repE0EEENS1_30default_config_static_selectorELNS0_4arch9wavefront6targetE0EEEvT1_,"axG",@progbits,_ZN7rocprim17ROCPRIM_400000_NS6detail17trampoline_kernelINS0_14default_configENS1_25partition_config_selectorILNS1_17partition_subalgoE8EhNS0_10empty_typeEbEEZZNS1_14partition_implILS5_8ELb0ES3_jPKhPS6_PKS6_NS0_5tupleIJPhS6_EEENSE_IJSB_SB_EEENS0_18inequality_wrapperIN6hipcub16HIPCUB_304000_NS8EqualityEEEPlJS6_EEE10hipError_tPvRmT3_T4_T5_T6_T7_T9_mT8_P12ihipStream_tbDpT10_ENKUlT_T0_E_clISt17integral_constantIbLb1EES16_IbLb0EEEEDaS12_S13_EUlS12_E_NS1_11comp_targetILNS1_3genE0ELNS1_11target_archE4294967295ELNS1_3gpuE0ELNS1_3repE0EEENS1_30default_config_static_selectorELNS0_4arch9wavefront6targetE0EEEvT1_,comdat
	.protected	_ZN7rocprim17ROCPRIM_400000_NS6detail17trampoline_kernelINS0_14default_configENS1_25partition_config_selectorILNS1_17partition_subalgoE8EhNS0_10empty_typeEbEEZZNS1_14partition_implILS5_8ELb0ES3_jPKhPS6_PKS6_NS0_5tupleIJPhS6_EEENSE_IJSB_SB_EEENS0_18inequality_wrapperIN6hipcub16HIPCUB_304000_NS8EqualityEEEPlJS6_EEE10hipError_tPvRmT3_T4_T5_T6_T7_T9_mT8_P12ihipStream_tbDpT10_ENKUlT_T0_E_clISt17integral_constantIbLb1EES16_IbLb0EEEEDaS12_S13_EUlS12_E_NS1_11comp_targetILNS1_3genE0ELNS1_11target_archE4294967295ELNS1_3gpuE0ELNS1_3repE0EEENS1_30default_config_static_selectorELNS0_4arch9wavefront6targetE0EEEvT1_ ; -- Begin function _ZN7rocprim17ROCPRIM_400000_NS6detail17trampoline_kernelINS0_14default_configENS1_25partition_config_selectorILNS1_17partition_subalgoE8EhNS0_10empty_typeEbEEZZNS1_14partition_implILS5_8ELb0ES3_jPKhPS6_PKS6_NS0_5tupleIJPhS6_EEENSE_IJSB_SB_EEENS0_18inequality_wrapperIN6hipcub16HIPCUB_304000_NS8EqualityEEEPlJS6_EEE10hipError_tPvRmT3_T4_T5_T6_T7_T9_mT8_P12ihipStream_tbDpT10_ENKUlT_T0_E_clISt17integral_constantIbLb1EES16_IbLb0EEEEDaS12_S13_EUlS12_E_NS1_11comp_targetILNS1_3genE0ELNS1_11target_archE4294967295ELNS1_3gpuE0ELNS1_3repE0EEENS1_30default_config_static_selectorELNS0_4arch9wavefront6targetE0EEEvT1_
	.globl	_ZN7rocprim17ROCPRIM_400000_NS6detail17trampoline_kernelINS0_14default_configENS1_25partition_config_selectorILNS1_17partition_subalgoE8EhNS0_10empty_typeEbEEZZNS1_14partition_implILS5_8ELb0ES3_jPKhPS6_PKS6_NS0_5tupleIJPhS6_EEENSE_IJSB_SB_EEENS0_18inequality_wrapperIN6hipcub16HIPCUB_304000_NS8EqualityEEEPlJS6_EEE10hipError_tPvRmT3_T4_T5_T6_T7_T9_mT8_P12ihipStream_tbDpT10_ENKUlT_T0_E_clISt17integral_constantIbLb1EES16_IbLb0EEEEDaS12_S13_EUlS12_E_NS1_11comp_targetILNS1_3genE0ELNS1_11target_archE4294967295ELNS1_3gpuE0ELNS1_3repE0EEENS1_30default_config_static_selectorELNS0_4arch9wavefront6targetE0EEEvT1_
	.p2align	8
	.type	_ZN7rocprim17ROCPRIM_400000_NS6detail17trampoline_kernelINS0_14default_configENS1_25partition_config_selectorILNS1_17partition_subalgoE8EhNS0_10empty_typeEbEEZZNS1_14partition_implILS5_8ELb0ES3_jPKhPS6_PKS6_NS0_5tupleIJPhS6_EEENSE_IJSB_SB_EEENS0_18inequality_wrapperIN6hipcub16HIPCUB_304000_NS8EqualityEEEPlJS6_EEE10hipError_tPvRmT3_T4_T5_T6_T7_T9_mT8_P12ihipStream_tbDpT10_ENKUlT_T0_E_clISt17integral_constantIbLb1EES16_IbLb0EEEEDaS12_S13_EUlS12_E_NS1_11comp_targetILNS1_3genE0ELNS1_11target_archE4294967295ELNS1_3gpuE0ELNS1_3repE0EEENS1_30default_config_static_selectorELNS0_4arch9wavefront6targetE0EEEvT1_,@function
_ZN7rocprim17ROCPRIM_400000_NS6detail17trampoline_kernelINS0_14default_configENS1_25partition_config_selectorILNS1_17partition_subalgoE8EhNS0_10empty_typeEbEEZZNS1_14partition_implILS5_8ELb0ES3_jPKhPS6_PKS6_NS0_5tupleIJPhS6_EEENSE_IJSB_SB_EEENS0_18inequality_wrapperIN6hipcub16HIPCUB_304000_NS8EqualityEEEPlJS6_EEE10hipError_tPvRmT3_T4_T5_T6_T7_T9_mT8_P12ihipStream_tbDpT10_ENKUlT_T0_E_clISt17integral_constantIbLb1EES16_IbLb0EEEEDaS12_S13_EUlS12_E_NS1_11comp_targetILNS1_3genE0ELNS1_11target_archE4294967295ELNS1_3gpuE0ELNS1_3repE0EEENS1_30default_config_static_selectorELNS0_4arch9wavefront6targetE0EEEvT1_: ; @_ZN7rocprim17ROCPRIM_400000_NS6detail17trampoline_kernelINS0_14default_configENS1_25partition_config_selectorILNS1_17partition_subalgoE8EhNS0_10empty_typeEbEEZZNS1_14partition_implILS5_8ELb0ES3_jPKhPS6_PKS6_NS0_5tupleIJPhS6_EEENSE_IJSB_SB_EEENS0_18inequality_wrapperIN6hipcub16HIPCUB_304000_NS8EqualityEEEPlJS6_EEE10hipError_tPvRmT3_T4_T5_T6_T7_T9_mT8_P12ihipStream_tbDpT10_ENKUlT_T0_E_clISt17integral_constantIbLb1EES16_IbLb0EEEEDaS12_S13_EUlS12_E_NS1_11comp_targetILNS1_3genE0ELNS1_11target_archE4294967295ELNS1_3gpuE0ELNS1_3repE0EEENS1_30default_config_static_selectorELNS0_4arch9wavefront6targetE0EEEvT1_
; %bb.0:
	s_endpgm
	.section	.rodata,"a",@progbits
	.p2align	6, 0x0
	.amdhsa_kernel _ZN7rocprim17ROCPRIM_400000_NS6detail17trampoline_kernelINS0_14default_configENS1_25partition_config_selectorILNS1_17partition_subalgoE8EhNS0_10empty_typeEbEEZZNS1_14partition_implILS5_8ELb0ES3_jPKhPS6_PKS6_NS0_5tupleIJPhS6_EEENSE_IJSB_SB_EEENS0_18inequality_wrapperIN6hipcub16HIPCUB_304000_NS8EqualityEEEPlJS6_EEE10hipError_tPvRmT3_T4_T5_T6_T7_T9_mT8_P12ihipStream_tbDpT10_ENKUlT_T0_E_clISt17integral_constantIbLb1EES16_IbLb0EEEEDaS12_S13_EUlS12_E_NS1_11comp_targetILNS1_3genE0ELNS1_11target_archE4294967295ELNS1_3gpuE0ELNS1_3repE0EEENS1_30default_config_static_selectorELNS0_4arch9wavefront6targetE0EEEvT1_
		.amdhsa_group_segment_fixed_size 0
		.amdhsa_private_segment_fixed_size 0
		.amdhsa_kernarg_size 112
		.amdhsa_user_sgpr_count 2
		.amdhsa_user_sgpr_dispatch_ptr 0
		.amdhsa_user_sgpr_queue_ptr 0
		.amdhsa_user_sgpr_kernarg_segment_ptr 1
		.amdhsa_user_sgpr_dispatch_id 0
		.amdhsa_user_sgpr_kernarg_preload_length 0
		.amdhsa_user_sgpr_kernarg_preload_offset 0
		.amdhsa_user_sgpr_private_segment_size 0
		.amdhsa_wavefront_size32 1
		.amdhsa_uses_dynamic_stack 0
		.amdhsa_enable_private_segment 0
		.amdhsa_system_sgpr_workgroup_id_x 1
		.amdhsa_system_sgpr_workgroup_id_y 0
		.amdhsa_system_sgpr_workgroup_id_z 0
		.amdhsa_system_sgpr_workgroup_info 0
		.amdhsa_system_vgpr_workitem_id 0
		.amdhsa_next_free_vgpr 1
		.amdhsa_next_free_sgpr 1
		.amdhsa_named_barrier_count 0
		.amdhsa_reserve_vcc 0
		.amdhsa_float_round_mode_32 0
		.amdhsa_float_round_mode_16_64 0
		.amdhsa_float_denorm_mode_32 3
		.amdhsa_float_denorm_mode_16_64 3
		.amdhsa_fp16_overflow 0
		.amdhsa_memory_ordered 1
		.amdhsa_forward_progress 1
		.amdhsa_inst_pref_size 1
		.amdhsa_round_robin_scheduling 0
		.amdhsa_exception_fp_ieee_invalid_op 0
		.amdhsa_exception_fp_denorm_src 0
		.amdhsa_exception_fp_ieee_div_zero 0
		.amdhsa_exception_fp_ieee_overflow 0
		.amdhsa_exception_fp_ieee_underflow 0
		.amdhsa_exception_fp_ieee_inexact 0
		.amdhsa_exception_int_div_zero 0
	.end_amdhsa_kernel
	.section	.text._ZN7rocprim17ROCPRIM_400000_NS6detail17trampoline_kernelINS0_14default_configENS1_25partition_config_selectorILNS1_17partition_subalgoE8EhNS0_10empty_typeEbEEZZNS1_14partition_implILS5_8ELb0ES3_jPKhPS6_PKS6_NS0_5tupleIJPhS6_EEENSE_IJSB_SB_EEENS0_18inequality_wrapperIN6hipcub16HIPCUB_304000_NS8EqualityEEEPlJS6_EEE10hipError_tPvRmT3_T4_T5_T6_T7_T9_mT8_P12ihipStream_tbDpT10_ENKUlT_T0_E_clISt17integral_constantIbLb1EES16_IbLb0EEEEDaS12_S13_EUlS12_E_NS1_11comp_targetILNS1_3genE0ELNS1_11target_archE4294967295ELNS1_3gpuE0ELNS1_3repE0EEENS1_30default_config_static_selectorELNS0_4arch9wavefront6targetE0EEEvT1_,"axG",@progbits,_ZN7rocprim17ROCPRIM_400000_NS6detail17trampoline_kernelINS0_14default_configENS1_25partition_config_selectorILNS1_17partition_subalgoE8EhNS0_10empty_typeEbEEZZNS1_14partition_implILS5_8ELb0ES3_jPKhPS6_PKS6_NS0_5tupleIJPhS6_EEENSE_IJSB_SB_EEENS0_18inequality_wrapperIN6hipcub16HIPCUB_304000_NS8EqualityEEEPlJS6_EEE10hipError_tPvRmT3_T4_T5_T6_T7_T9_mT8_P12ihipStream_tbDpT10_ENKUlT_T0_E_clISt17integral_constantIbLb1EES16_IbLb0EEEEDaS12_S13_EUlS12_E_NS1_11comp_targetILNS1_3genE0ELNS1_11target_archE4294967295ELNS1_3gpuE0ELNS1_3repE0EEENS1_30default_config_static_selectorELNS0_4arch9wavefront6targetE0EEEvT1_,comdat
.Lfunc_end150:
	.size	_ZN7rocprim17ROCPRIM_400000_NS6detail17trampoline_kernelINS0_14default_configENS1_25partition_config_selectorILNS1_17partition_subalgoE8EhNS0_10empty_typeEbEEZZNS1_14partition_implILS5_8ELb0ES3_jPKhPS6_PKS6_NS0_5tupleIJPhS6_EEENSE_IJSB_SB_EEENS0_18inequality_wrapperIN6hipcub16HIPCUB_304000_NS8EqualityEEEPlJS6_EEE10hipError_tPvRmT3_T4_T5_T6_T7_T9_mT8_P12ihipStream_tbDpT10_ENKUlT_T0_E_clISt17integral_constantIbLb1EES16_IbLb0EEEEDaS12_S13_EUlS12_E_NS1_11comp_targetILNS1_3genE0ELNS1_11target_archE4294967295ELNS1_3gpuE0ELNS1_3repE0EEENS1_30default_config_static_selectorELNS0_4arch9wavefront6targetE0EEEvT1_, .Lfunc_end150-_ZN7rocprim17ROCPRIM_400000_NS6detail17trampoline_kernelINS0_14default_configENS1_25partition_config_selectorILNS1_17partition_subalgoE8EhNS0_10empty_typeEbEEZZNS1_14partition_implILS5_8ELb0ES3_jPKhPS6_PKS6_NS0_5tupleIJPhS6_EEENSE_IJSB_SB_EEENS0_18inequality_wrapperIN6hipcub16HIPCUB_304000_NS8EqualityEEEPlJS6_EEE10hipError_tPvRmT3_T4_T5_T6_T7_T9_mT8_P12ihipStream_tbDpT10_ENKUlT_T0_E_clISt17integral_constantIbLb1EES16_IbLb0EEEEDaS12_S13_EUlS12_E_NS1_11comp_targetILNS1_3genE0ELNS1_11target_archE4294967295ELNS1_3gpuE0ELNS1_3repE0EEENS1_30default_config_static_selectorELNS0_4arch9wavefront6targetE0EEEvT1_
                                        ; -- End function
	.set _ZN7rocprim17ROCPRIM_400000_NS6detail17trampoline_kernelINS0_14default_configENS1_25partition_config_selectorILNS1_17partition_subalgoE8EhNS0_10empty_typeEbEEZZNS1_14partition_implILS5_8ELb0ES3_jPKhPS6_PKS6_NS0_5tupleIJPhS6_EEENSE_IJSB_SB_EEENS0_18inequality_wrapperIN6hipcub16HIPCUB_304000_NS8EqualityEEEPlJS6_EEE10hipError_tPvRmT3_T4_T5_T6_T7_T9_mT8_P12ihipStream_tbDpT10_ENKUlT_T0_E_clISt17integral_constantIbLb1EES16_IbLb0EEEEDaS12_S13_EUlS12_E_NS1_11comp_targetILNS1_3genE0ELNS1_11target_archE4294967295ELNS1_3gpuE0ELNS1_3repE0EEENS1_30default_config_static_selectorELNS0_4arch9wavefront6targetE0EEEvT1_.num_vgpr, 0
	.set _ZN7rocprim17ROCPRIM_400000_NS6detail17trampoline_kernelINS0_14default_configENS1_25partition_config_selectorILNS1_17partition_subalgoE8EhNS0_10empty_typeEbEEZZNS1_14partition_implILS5_8ELb0ES3_jPKhPS6_PKS6_NS0_5tupleIJPhS6_EEENSE_IJSB_SB_EEENS0_18inequality_wrapperIN6hipcub16HIPCUB_304000_NS8EqualityEEEPlJS6_EEE10hipError_tPvRmT3_T4_T5_T6_T7_T9_mT8_P12ihipStream_tbDpT10_ENKUlT_T0_E_clISt17integral_constantIbLb1EES16_IbLb0EEEEDaS12_S13_EUlS12_E_NS1_11comp_targetILNS1_3genE0ELNS1_11target_archE4294967295ELNS1_3gpuE0ELNS1_3repE0EEENS1_30default_config_static_selectorELNS0_4arch9wavefront6targetE0EEEvT1_.num_agpr, 0
	.set _ZN7rocprim17ROCPRIM_400000_NS6detail17trampoline_kernelINS0_14default_configENS1_25partition_config_selectorILNS1_17partition_subalgoE8EhNS0_10empty_typeEbEEZZNS1_14partition_implILS5_8ELb0ES3_jPKhPS6_PKS6_NS0_5tupleIJPhS6_EEENSE_IJSB_SB_EEENS0_18inequality_wrapperIN6hipcub16HIPCUB_304000_NS8EqualityEEEPlJS6_EEE10hipError_tPvRmT3_T4_T5_T6_T7_T9_mT8_P12ihipStream_tbDpT10_ENKUlT_T0_E_clISt17integral_constantIbLb1EES16_IbLb0EEEEDaS12_S13_EUlS12_E_NS1_11comp_targetILNS1_3genE0ELNS1_11target_archE4294967295ELNS1_3gpuE0ELNS1_3repE0EEENS1_30default_config_static_selectorELNS0_4arch9wavefront6targetE0EEEvT1_.numbered_sgpr, 0
	.set _ZN7rocprim17ROCPRIM_400000_NS6detail17trampoline_kernelINS0_14default_configENS1_25partition_config_selectorILNS1_17partition_subalgoE8EhNS0_10empty_typeEbEEZZNS1_14partition_implILS5_8ELb0ES3_jPKhPS6_PKS6_NS0_5tupleIJPhS6_EEENSE_IJSB_SB_EEENS0_18inequality_wrapperIN6hipcub16HIPCUB_304000_NS8EqualityEEEPlJS6_EEE10hipError_tPvRmT3_T4_T5_T6_T7_T9_mT8_P12ihipStream_tbDpT10_ENKUlT_T0_E_clISt17integral_constantIbLb1EES16_IbLb0EEEEDaS12_S13_EUlS12_E_NS1_11comp_targetILNS1_3genE0ELNS1_11target_archE4294967295ELNS1_3gpuE0ELNS1_3repE0EEENS1_30default_config_static_selectorELNS0_4arch9wavefront6targetE0EEEvT1_.num_named_barrier, 0
	.set _ZN7rocprim17ROCPRIM_400000_NS6detail17trampoline_kernelINS0_14default_configENS1_25partition_config_selectorILNS1_17partition_subalgoE8EhNS0_10empty_typeEbEEZZNS1_14partition_implILS5_8ELb0ES3_jPKhPS6_PKS6_NS0_5tupleIJPhS6_EEENSE_IJSB_SB_EEENS0_18inequality_wrapperIN6hipcub16HIPCUB_304000_NS8EqualityEEEPlJS6_EEE10hipError_tPvRmT3_T4_T5_T6_T7_T9_mT8_P12ihipStream_tbDpT10_ENKUlT_T0_E_clISt17integral_constantIbLb1EES16_IbLb0EEEEDaS12_S13_EUlS12_E_NS1_11comp_targetILNS1_3genE0ELNS1_11target_archE4294967295ELNS1_3gpuE0ELNS1_3repE0EEENS1_30default_config_static_selectorELNS0_4arch9wavefront6targetE0EEEvT1_.private_seg_size, 0
	.set _ZN7rocprim17ROCPRIM_400000_NS6detail17trampoline_kernelINS0_14default_configENS1_25partition_config_selectorILNS1_17partition_subalgoE8EhNS0_10empty_typeEbEEZZNS1_14partition_implILS5_8ELb0ES3_jPKhPS6_PKS6_NS0_5tupleIJPhS6_EEENSE_IJSB_SB_EEENS0_18inequality_wrapperIN6hipcub16HIPCUB_304000_NS8EqualityEEEPlJS6_EEE10hipError_tPvRmT3_T4_T5_T6_T7_T9_mT8_P12ihipStream_tbDpT10_ENKUlT_T0_E_clISt17integral_constantIbLb1EES16_IbLb0EEEEDaS12_S13_EUlS12_E_NS1_11comp_targetILNS1_3genE0ELNS1_11target_archE4294967295ELNS1_3gpuE0ELNS1_3repE0EEENS1_30default_config_static_selectorELNS0_4arch9wavefront6targetE0EEEvT1_.uses_vcc, 0
	.set _ZN7rocprim17ROCPRIM_400000_NS6detail17trampoline_kernelINS0_14default_configENS1_25partition_config_selectorILNS1_17partition_subalgoE8EhNS0_10empty_typeEbEEZZNS1_14partition_implILS5_8ELb0ES3_jPKhPS6_PKS6_NS0_5tupleIJPhS6_EEENSE_IJSB_SB_EEENS0_18inequality_wrapperIN6hipcub16HIPCUB_304000_NS8EqualityEEEPlJS6_EEE10hipError_tPvRmT3_T4_T5_T6_T7_T9_mT8_P12ihipStream_tbDpT10_ENKUlT_T0_E_clISt17integral_constantIbLb1EES16_IbLb0EEEEDaS12_S13_EUlS12_E_NS1_11comp_targetILNS1_3genE0ELNS1_11target_archE4294967295ELNS1_3gpuE0ELNS1_3repE0EEENS1_30default_config_static_selectorELNS0_4arch9wavefront6targetE0EEEvT1_.uses_flat_scratch, 0
	.set _ZN7rocprim17ROCPRIM_400000_NS6detail17trampoline_kernelINS0_14default_configENS1_25partition_config_selectorILNS1_17partition_subalgoE8EhNS0_10empty_typeEbEEZZNS1_14partition_implILS5_8ELb0ES3_jPKhPS6_PKS6_NS0_5tupleIJPhS6_EEENSE_IJSB_SB_EEENS0_18inequality_wrapperIN6hipcub16HIPCUB_304000_NS8EqualityEEEPlJS6_EEE10hipError_tPvRmT3_T4_T5_T6_T7_T9_mT8_P12ihipStream_tbDpT10_ENKUlT_T0_E_clISt17integral_constantIbLb1EES16_IbLb0EEEEDaS12_S13_EUlS12_E_NS1_11comp_targetILNS1_3genE0ELNS1_11target_archE4294967295ELNS1_3gpuE0ELNS1_3repE0EEENS1_30default_config_static_selectorELNS0_4arch9wavefront6targetE0EEEvT1_.has_dyn_sized_stack, 0
	.set _ZN7rocprim17ROCPRIM_400000_NS6detail17trampoline_kernelINS0_14default_configENS1_25partition_config_selectorILNS1_17partition_subalgoE8EhNS0_10empty_typeEbEEZZNS1_14partition_implILS5_8ELb0ES3_jPKhPS6_PKS6_NS0_5tupleIJPhS6_EEENSE_IJSB_SB_EEENS0_18inequality_wrapperIN6hipcub16HIPCUB_304000_NS8EqualityEEEPlJS6_EEE10hipError_tPvRmT3_T4_T5_T6_T7_T9_mT8_P12ihipStream_tbDpT10_ENKUlT_T0_E_clISt17integral_constantIbLb1EES16_IbLb0EEEEDaS12_S13_EUlS12_E_NS1_11comp_targetILNS1_3genE0ELNS1_11target_archE4294967295ELNS1_3gpuE0ELNS1_3repE0EEENS1_30default_config_static_selectorELNS0_4arch9wavefront6targetE0EEEvT1_.has_recursion, 0
	.set _ZN7rocprim17ROCPRIM_400000_NS6detail17trampoline_kernelINS0_14default_configENS1_25partition_config_selectorILNS1_17partition_subalgoE8EhNS0_10empty_typeEbEEZZNS1_14partition_implILS5_8ELb0ES3_jPKhPS6_PKS6_NS0_5tupleIJPhS6_EEENSE_IJSB_SB_EEENS0_18inequality_wrapperIN6hipcub16HIPCUB_304000_NS8EqualityEEEPlJS6_EEE10hipError_tPvRmT3_T4_T5_T6_T7_T9_mT8_P12ihipStream_tbDpT10_ENKUlT_T0_E_clISt17integral_constantIbLb1EES16_IbLb0EEEEDaS12_S13_EUlS12_E_NS1_11comp_targetILNS1_3genE0ELNS1_11target_archE4294967295ELNS1_3gpuE0ELNS1_3repE0EEENS1_30default_config_static_selectorELNS0_4arch9wavefront6targetE0EEEvT1_.has_indirect_call, 0
	.section	.AMDGPU.csdata,"",@progbits
; Kernel info:
; codeLenInByte = 4
; TotalNumSgprs: 0
; NumVgprs: 0
; ScratchSize: 0
; MemoryBound: 0
; FloatMode: 240
; IeeeMode: 1
; LDSByteSize: 0 bytes/workgroup (compile time only)
; SGPRBlocks: 0
; VGPRBlocks: 0
; NumSGPRsForWavesPerEU: 1
; NumVGPRsForWavesPerEU: 1
; NamedBarCnt: 0
; Occupancy: 16
; WaveLimiterHint : 0
; COMPUTE_PGM_RSRC2:SCRATCH_EN: 0
; COMPUTE_PGM_RSRC2:USER_SGPR: 2
; COMPUTE_PGM_RSRC2:TRAP_HANDLER: 0
; COMPUTE_PGM_RSRC2:TGID_X_EN: 1
; COMPUTE_PGM_RSRC2:TGID_Y_EN: 0
; COMPUTE_PGM_RSRC2:TGID_Z_EN: 0
; COMPUTE_PGM_RSRC2:TIDIG_COMP_CNT: 0
	.section	.text._ZN7rocprim17ROCPRIM_400000_NS6detail17trampoline_kernelINS0_14default_configENS1_25partition_config_selectorILNS1_17partition_subalgoE8EhNS0_10empty_typeEbEEZZNS1_14partition_implILS5_8ELb0ES3_jPKhPS6_PKS6_NS0_5tupleIJPhS6_EEENSE_IJSB_SB_EEENS0_18inequality_wrapperIN6hipcub16HIPCUB_304000_NS8EqualityEEEPlJS6_EEE10hipError_tPvRmT3_T4_T5_T6_T7_T9_mT8_P12ihipStream_tbDpT10_ENKUlT_T0_E_clISt17integral_constantIbLb1EES16_IbLb0EEEEDaS12_S13_EUlS12_E_NS1_11comp_targetILNS1_3genE5ELNS1_11target_archE942ELNS1_3gpuE9ELNS1_3repE0EEENS1_30default_config_static_selectorELNS0_4arch9wavefront6targetE0EEEvT1_,"axG",@progbits,_ZN7rocprim17ROCPRIM_400000_NS6detail17trampoline_kernelINS0_14default_configENS1_25partition_config_selectorILNS1_17partition_subalgoE8EhNS0_10empty_typeEbEEZZNS1_14partition_implILS5_8ELb0ES3_jPKhPS6_PKS6_NS0_5tupleIJPhS6_EEENSE_IJSB_SB_EEENS0_18inequality_wrapperIN6hipcub16HIPCUB_304000_NS8EqualityEEEPlJS6_EEE10hipError_tPvRmT3_T4_T5_T6_T7_T9_mT8_P12ihipStream_tbDpT10_ENKUlT_T0_E_clISt17integral_constantIbLb1EES16_IbLb0EEEEDaS12_S13_EUlS12_E_NS1_11comp_targetILNS1_3genE5ELNS1_11target_archE942ELNS1_3gpuE9ELNS1_3repE0EEENS1_30default_config_static_selectorELNS0_4arch9wavefront6targetE0EEEvT1_,comdat
	.protected	_ZN7rocprim17ROCPRIM_400000_NS6detail17trampoline_kernelINS0_14default_configENS1_25partition_config_selectorILNS1_17partition_subalgoE8EhNS0_10empty_typeEbEEZZNS1_14partition_implILS5_8ELb0ES3_jPKhPS6_PKS6_NS0_5tupleIJPhS6_EEENSE_IJSB_SB_EEENS0_18inequality_wrapperIN6hipcub16HIPCUB_304000_NS8EqualityEEEPlJS6_EEE10hipError_tPvRmT3_T4_T5_T6_T7_T9_mT8_P12ihipStream_tbDpT10_ENKUlT_T0_E_clISt17integral_constantIbLb1EES16_IbLb0EEEEDaS12_S13_EUlS12_E_NS1_11comp_targetILNS1_3genE5ELNS1_11target_archE942ELNS1_3gpuE9ELNS1_3repE0EEENS1_30default_config_static_selectorELNS0_4arch9wavefront6targetE0EEEvT1_ ; -- Begin function _ZN7rocprim17ROCPRIM_400000_NS6detail17trampoline_kernelINS0_14default_configENS1_25partition_config_selectorILNS1_17partition_subalgoE8EhNS0_10empty_typeEbEEZZNS1_14partition_implILS5_8ELb0ES3_jPKhPS6_PKS6_NS0_5tupleIJPhS6_EEENSE_IJSB_SB_EEENS0_18inequality_wrapperIN6hipcub16HIPCUB_304000_NS8EqualityEEEPlJS6_EEE10hipError_tPvRmT3_T4_T5_T6_T7_T9_mT8_P12ihipStream_tbDpT10_ENKUlT_T0_E_clISt17integral_constantIbLb1EES16_IbLb0EEEEDaS12_S13_EUlS12_E_NS1_11comp_targetILNS1_3genE5ELNS1_11target_archE942ELNS1_3gpuE9ELNS1_3repE0EEENS1_30default_config_static_selectorELNS0_4arch9wavefront6targetE0EEEvT1_
	.globl	_ZN7rocprim17ROCPRIM_400000_NS6detail17trampoline_kernelINS0_14default_configENS1_25partition_config_selectorILNS1_17partition_subalgoE8EhNS0_10empty_typeEbEEZZNS1_14partition_implILS5_8ELb0ES3_jPKhPS6_PKS6_NS0_5tupleIJPhS6_EEENSE_IJSB_SB_EEENS0_18inequality_wrapperIN6hipcub16HIPCUB_304000_NS8EqualityEEEPlJS6_EEE10hipError_tPvRmT3_T4_T5_T6_T7_T9_mT8_P12ihipStream_tbDpT10_ENKUlT_T0_E_clISt17integral_constantIbLb1EES16_IbLb0EEEEDaS12_S13_EUlS12_E_NS1_11comp_targetILNS1_3genE5ELNS1_11target_archE942ELNS1_3gpuE9ELNS1_3repE0EEENS1_30default_config_static_selectorELNS0_4arch9wavefront6targetE0EEEvT1_
	.p2align	8
	.type	_ZN7rocprim17ROCPRIM_400000_NS6detail17trampoline_kernelINS0_14default_configENS1_25partition_config_selectorILNS1_17partition_subalgoE8EhNS0_10empty_typeEbEEZZNS1_14partition_implILS5_8ELb0ES3_jPKhPS6_PKS6_NS0_5tupleIJPhS6_EEENSE_IJSB_SB_EEENS0_18inequality_wrapperIN6hipcub16HIPCUB_304000_NS8EqualityEEEPlJS6_EEE10hipError_tPvRmT3_T4_T5_T6_T7_T9_mT8_P12ihipStream_tbDpT10_ENKUlT_T0_E_clISt17integral_constantIbLb1EES16_IbLb0EEEEDaS12_S13_EUlS12_E_NS1_11comp_targetILNS1_3genE5ELNS1_11target_archE942ELNS1_3gpuE9ELNS1_3repE0EEENS1_30default_config_static_selectorELNS0_4arch9wavefront6targetE0EEEvT1_,@function
_ZN7rocprim17ROCPRIM_400000_NS6detail17trampoline_kernelINS0_14default_configENS1_25partition_config_selectorILNS1_17partition_subalgoE8EhNS0_10empty_typeEbEEZZNS1_14partition_implILS5_8ELb0ES3_jPKhPS6_PKS6_NS0_5tupleIJPhS6_EEENSE_IJSB_SB_EEENS0_18inequality_wrapperIN6hipcub16HIPCUB_304000_NS8EqualityEEEPlJS6_EEE10hipError_tPvRmT3_T4_T5_T6_T7_T9_mT8_P12ihipStream_tbDpT10_ENKUlT_T0_E_clISt17integral_constantIbLb1EES16_IbLb0EEEEDaS12_S13_EUlS12_E_NS1_11comp_targetILNS1_3genE5ELNS1_11target_archE942ELNS1_3gpuE9ELNS1_3repE0EEENS1_30default_config_static_selectorELNS0_4arch9wavefront6targetE0EEEvT1_: ; @_ZN7rocprim17ROCPRIM_400000_NS6detail17trampoline_kernelINS0_14default_configENS1_25partition_config_selectorILNS1_17partition_subalgoE8EhNS0_10empty_typeEbEEZZNS1_14partition_implILS5_8ELb0ES3_jPKhPS6_PKS6_NS0_5tupleIJPhS6_EEENSE_IJSB_SB_EEENS0_18inequality_wrapperIN6hipcub16HIPCUB_304000_NS8EqualityEEEPlJS6_EEE10hipError_tPvRmT3_T4_T5_T6_T7_T9_mT8_P12ihipStream_tbDpT10_ENKUlT_T0_E_clISt17integral_constantIbLb1EES16_IbLb0EEEEDaS12_S13_EUlS12_E_NS1_11comp_targetILNS1_3genE5ELNS1_11target_archE942ELNS1_3gpuE9ELNS1_3repE0EEENS1_30default_config_static_selectorELNS0_4arch9wavefront6targetE0EEEvT1_
; %bb.0:
	.section	.rodata,"a",@progbits
	.p2align	6, 0x0
	.amdhsa_kernel _ZN7rocprim17ROCPRIM_400000_NS6detail17trampoline_kernelINS0_14default_configENS1_25partition_config_selectorILNS1_17partition_subalgoE8EhNS0_10empty_typeEbEEZZNS1_14partition_implILS5_8ELb0ES3_jPKhPS6_PKS6_NS0_5tupleIJPhS6_EEENSE_IJSB_SB_EEENS0_18inequality_wrapperIN6hipcub16HIPCUB_304000_NS8EqualityEEEPlJS6_EEE10hipError_tPvRmT3_T4_T5_T6_T7_T9_mT8_P12ihipStream_tbDpT10_ENKUlT_T0_E_clISt17integral_constantIbLb1EES16_IbLb0EEEEDaS12_S13_EUlS12_E_NS1_11comp_targetILNS1_3genE5ELNS1_11target_archE942ELNS1_3gpuE9ELNS1_3repE0EEENS1_30default_config_static_selectorELNS0_4arch9wavefront6targetE0EEEvT1_
		.amdhsa_group_segment_fixed_size 0
		.amdhsa_private_segment_fixed_size 0
		.amdhsa_kernarg_size 112
		.amdhsa_user_sgpr_count 2
		.amdhsa_user_sgpr_dispatch_ptr 0
		.amdhsa_user_sgpr_queue_ptr 0
		.amdhsa_user_sgpr_kernarg_segment_ptr 1
		.amdhsa_user_sgpr_dispatch_id 0
		.amdhsa_user_sgpr_kernarg_preload_length 0
		.amdhsa_user_sgpr_kernarg_preload_offset 0
		.amdhsa_user_sgpr_private_segment_size 0
		.amdhsa_wavefront_size32 1
		.amdhsa_uses_dynamic_stack 0
		.amdhsa_enable_private_segment 0
		.amdhsa_system_sgpr_workgroup_id_x 1
		.amdhsa_system_sgpr_workgroup_id_y 0
		.amdhsa_system_sgpr_workgroup_id_z 0
		.amdhsa_system_sgpr_workgroup_info 0
		.amdhsa_system_vgpr_workitem_id 0
		.amdhsa_next_free_vgpr 1
		.amdhsa_next_free_sgpr 1
		.amdhsa_named_barrier_count 0
		.amdhsa_reserve_vcc 0
		.amdhsa_float_round_mode_32 0
		.amdhsa_float_round_mode_16_64 0
		.amdhsa_float_denorm_mode_32 3
		.amdhsa_float_denorm_mode_16_64 3
		.amdhsa_fp16_overflow 0
		.amdhsa_memory_ordered 1
		.amdhsa_forward_progress 1
		.amdhsa_inst_pref_size 0
		.amdhsa_round_robin_scheduling 0
		.amdhsa_exception_fp_ieee_invalid_op 0
		.amdhsa_exception_fp_denorm_src 0
		.amdhsa_exception_fp_ieee_div_zero 0
		.amdhsa_exception_fp_ieee_overflow 0
		.amdhsa_exception_fp_ieee_underflow 0
		.amdhsa_exception_fp_ieee_inexact 0
		.amdhsa_exception_int_div_zero 0
	.end_amdhsa_kernel
	.section	.text._ZN7rocprim17ROCPRIM_400000_NS6detail17trampoline_kernelINS0_14default_configENS1_25partition_config_selectorILNS1_17partition_subalgoE8EhNS0_10empty_typeEbEEZZNS1_14partition_implILS5_8ELb0ES3_jPKhPS6_PKS6_NS0_5tupleIJPhS6_EEENSE_IJSB_SB_EEENS0_18inequality_wrapperIN6hipcub16HIPCUB_304000_NS8EqualityEEEPlJS6_EEE10hipError_tPvRmT3_T4_T5_T6_T7_T9_mT8_P12ihipStream_tbDpT10_ENKUlT_T0_E_clISt17integral_constantIbLb1EES16_IbLb0EEEEDaS12_S13_EUlS12_E_NS1_11comp_targetILNS1_3genE5ELNS1_11target_archE942ELNS1_3gpuE9ELNS1_3repE0EEENS1_30default_config_static_selectorELNS0_4arch9wavefront6targetE0EEEvT1_,"axG",@progbits,_ZN7rocprim17ROCPRIM_400000_NS6detail17trampoline_kernelINS0_14default_configENS1_25partition_config_selectorILNS1_17partition_subalgoE8EhNS0_10empty_typeEbEEZZNS1_14partition_implILS5_8ELb0ES3_jPKhPS6_PKS6_NS0_5tupleIJPhS6_EEENSE_IJSB_SB_EEENS0_18inequality_wrapperIN6hipcub16HIPCUB_304000_NS8EqualityEEEPlJS6_EEE10hipError_tPvRmT3_T4_T5_T6_T7_T9_mT8_P12ihipStream_tbDpT10_ENKUlT_T0_E_clISt17integral_constantIbLb1EES16_IbLb0EEEEDaS12_S13_EUlS12_E_NS1_11comp_targetILNS1_3genE5ELNS1_11target_archE942ELNS1_3gpuE9ELNS1_3repE0EEENS1_30default_config_static_selectorELNS0_4arch9wavefront6targetE0EEEvT1_,comdat
.Lfunc_end151:
	.size	_ZN7rocprim17ROCPRIM_400000_NS6detail17trampoline_kernelINS0_14default_configENS1_25partition_config_selectorILNS1_17partition_subalgoE8EhNS0_10empty_typeEbEEZZNS1_14partition_implILS5_8ELb0ES3_jPKhPS6_PKS6_NS0_5tupleIJPhS6_EEENSE_IJSB_SB_EEENS0_18inequality_wrapperIN6hipcub16HIPCUB_304000_NS8EqualityEEEPlJS6_EEE10hipError_tPvRmT3_T4_T5_T6_T7_T9_mT8_P12ihipStream_tbDpT10_ENKUlT_T0_E_clISt17integral_constantIbLb1EES16_IbLb0EEEEDaS12_S13_EUlS12_E_NS1_11comp_targetILNS1_3genE5ELNS1_11target_archE942ELNS1_3gpuE9ELNS1_3repE0EEENS1_30default_config_static_selectorELNS0_4arch9wavefront6targetE0EEEvT1_, .Lfunc_end151-_ZN7rocprim17ROCPRIM_400000_NS6detail17trampoline_kernelINS0_14default_configENS1_25partition_config_selectorILNS1_17partition_subalgoE8EhNS0_10empty_typeEbEEZZNS1_14partition_implILS5_8ELb0ES3_jPKhPS6_PKS6_NS0_5tupleIJPhS6_EEENSE_IJSB_SB_EEENS0_18inequality_wrapperIN6hipcub16HIPCUB_304000_NS8EqualityEEEPlJS6_EEE10hipError_tPvRmT3_T4_T5_T6_T7_T9_mT8_P12ihipStream_tbDpT10_ENKUlT_T0_E_clISt17integral_constantIbLb1EES16_IbLb0EEEEDaS12_S13_EUlS12_E_NS1_11comp_targetILNS1_3genE5ELNS1_11target_archE942ELNS1_3gpuE9ELNS1_3repE0EEENS1_30default_config_static_selectorELNS0_4arch9wavefront6targetE0EEEvT1_
                                        ; -- End function
	.set _ZN7rocprim17ROCPRIM_400000_NS6detail17trampoline_kernelINS0_14default_configENS1_25partition_config_selectorILNS1_17partition_subalgoE8EhNS0_10empty_typeEbEEZZNS1_14partition_implILS5_8ELb0ES3_jPKhPS6_PKS6_NS0_5tupleIJPhS6_EEENSE_IJSB_SB_EEENS0_18inequality_wrapperIN6hipcub16HIPCUB_304000_NS8EqualityEEEPlJS6_EEE10hipError_tPvRmT3_T4_T5_T6_T7_T9_mT8_P12ihipStream_tbDpT10_ENKUlT_T0_E_clISt17integral_constantIbLb1EES16_IbLb0EEEEDaS12_S13_EUlS12_E_NS1_11comp_targetILNS1_3genE5ELNS1_11target_archE942ELNS1_3gpuE9ELNS1_3repE0EEENS1_30default_config_static_selectorELNS0_4arch9wavefront6targetE0EEEvT1_.num_vgpr, 0
	.set _ZN7rocprim17ROCPRIM_400000_NS6detail17trampoline_kernelINS0_14default_configENS1_25partition_config_selectorILNS1_17partition_subalgoE8EhNS0_10empty_typeEbEEZZNS1_14partition_implILS5_8ELb0ES3_jPKhPS6_PKS6_NS0_5tupleIJPhS6_EEENSE_IJSB_SB_EEENS0_18inequality_wrapperIN6hipcub16HIPCUB_304000_NS8EqualityEEEPlJS6_EEE10hipError_tPvRmT3_T4_T5_T6_T7_T9_mT8_P12ihipStream_tbDpT10_ENKUlT_T0_E_clISt17integral_constantIbLb1EES16_IbLb0EEEEDaS12_S13_EUlS12_E_NS1_11comp_targetILNS1_3genE5ELNS1_11target_archE942ELNS1_3gpuE9ELNS1_3repE0EEENS1_30default_config_static_selectorELNS0_4arch9wavefront6targetE0EEEvT1_.num_agpr, 0
	.set _ZN7rocprim17ROCPRIM_400000_NS6detail17trampoline_kernelINS0_14default_configENS1_25partition_config_selectorILNS1_17partition_subalgoE8EhNS0_10empty_typeEbEEZZNS1_14partition_implILS5_8ELb0ES3_jPKhPS6_PKS6_NS0_5tupleIJPhS6_EEENSE_IJSB_SB_EEENS0_18inequality_wrapperIN6hipcub16HIPCUB_304000_NS8EqualityEEEPlJS6_EEE10hipError_tPvRmT3_T4_T5_T6_T7_T9_mT8_P12ihipStream_tbDpT10_ENKUlT_T0_E_clISt17integral_constantIbLb1EES16_IbLb0EEEEDaS12_S13_EUlS12_E_NS1_11comp_targetILNS1_3genE5ELNS1_11target_archE942ELNS1_3gpuE9ELNS1_3repE0EEENS1_30default_config_static_selectorELNS0_4arch9wavefront6targetE0EEEvT1_.numbered_sgpr, 0
	.set _ZN7rocprim17ROCPRIM_400000_NS6detail17trampoline_kernelINS0_14default_configENS1_25partition_config_selectorILNS1_17partition_subalgoE8EhNS0_10empty_typeEbEEZZNS1_14partition_implILS5_8ELb0ES3_jPKhPS6_PKS6_NS0_5tupleIJPhS6_EEENSE_IJSB_SB_EEENS0_18inequality_wrapperIN6hipcub16HIPCUB_304000_NS8EqualityEEEPlJS6_EEE10hipError_tPvRmT3_T4_T5_T6_T7_T9_mT8_P12ihipStream_tbDpT10_ENKUlT_T0_E_clISt17integral_constantIbLb1EES16_IbLb0EEEEDaS12_S13_EUlS12_E_NS1_11comp_targetILNS1_3genE5ELNS1_11target_archE942ELNS1_3gpuE9ELNS1_3repE0EEENS1_30default_config_static_selectorELNS0_4arch9wavefront6targetE0EEEvT1_.num_named_barrier, 0
	.set _ZN7rocprim17ROCPRIM_400000_NS6detail17trampoline_kernelINS0_14default_configENS1_25partition_config_selectorILNS1_17partition_subalgoE8EhNS0_10empty_typeEbEEZZNS1_14partition_implILS5_8ELb0ES3_jPKhPS6_PKS6_NS0_5tupleIJPhS6_EEENSE_IJSB_SB_EEENS0_18inequality_wrapperIN6hipcub16HIPCUB_304000_NS8EqualityEEEPlJS6_EEE10hipError_tPvRmT3_T4_T5_T6_T7_T9_mT8_P12ihipStream_tbDpT10_ENKUlT_T0_E_clISt17integral_constantIbLb1EES16_IbLb0EEEEDaS12_S13_EUlS12_E_NS1_11comp_targetILNS1_3genE5ELNS1_11target_archE942ELNS1_3gpuE9ELNS1_3repE0EEENS1_30default_config_static_selectorELNS0_4arch9wavefront6targetE0EEEvT1_.private_seg_size, 0
	.set _ZN7rocprim17ROCPRIM_400000_NS6detail17trampoline_kernelINS0_14default_configENS1_25partition_config_selectorILNS1_17partition_subalgoE8EhNS0_10empty_typeEbEEZZNS1_14partition_implILS5_8ELb0ES3_jPKhPS6_PKS6_NS0_5tupleIJPhS6_EEENSE_IJSB_SB_EEENS0_18inequality_wrapperIN6hipcub16HIPCUB_304000_NS8EqualityEEEPlJS6_EEE10hipError_tPvRmT3_T4_T5_T6_T7_T9_mT8_P12ihipStream_tbDpT10_ENKUlT_T0_E_clISt17integral_constantIbLb1EES16_IbLb0EEEEDaS12_S13_EUlS12_E_NS1_11comp_targetILNS1_3genE5ELNS1_11target_archE942ELNS1_3gpuE9ELNS1_3repE0EEENS1_30default_config_static_selectorELNS0_4arch9wavefront6targetE0EEEvT1_.uses_vcc, 0
	.set _ZN7rocprim17ROCPRIM_400000_NS6detail17trampoline_kernelINS0_14default_configENS1_25partition_config_selectorILNS1_17partition_subalgoE8EhNS0_10empty_typeEbEEZZNS1_14partition_implILS5_8ELb0ES3_jPKhPS6_PKS6_NS0_5tupleIJPhS6_EEENSE_IJSB_SB_EEENS0_18inequality_wrapperIN6hipcub16HIPCUB_304000_NS8EqualityEEEPlJS6_EEE10hipError_tPvRmT3_T4_T5_T6_T7_T9_mT8_P12ihipStream_tbDpT10_ENKUlT_T0_E_clISt17integral_constantIbLb1EES16_IbLb0EEEEDaS12_S13_EUlS12_E_NS1_11comp_targetILNS1_3genE5ELNS1_11target_archE942ELNS1_3gpuE9ELNS1_3repE0EEENS1_30default_config_static_selectorELNS0_4arch9wavefront6targetE0EEEvT1_.uses_flat_scratch, 0
	.set _ZN7rocprim17ROCPRIM_400000_NS6detail17trampoline_kernelINS0_14default_configENS1_25partition_config_selectorILNS1_17partition_subalgoE8EhNS0_10empty_typeEbEEZZNS1_14partition_implILS5_8ELb0ES3_jPKhPS6_PKS6_NS0_5tupleIJPhS6_EEENSE_IJSB_SB_EEENS0_18inequality_wrapperIN6hipcub16HIPCUB_304000_NS8EqualityEEEPlJS6_EEE10hipError_tPvRmT3_T4_T5_T6_T7_T9_mT8_P12ihipStream_tbDpT10_ENKUlT_T0_E_clISt17integral_constantIbLb1EES16_IbLb0EEEEDaS12_S13_EUlS12_E_NS1_11comp_targetILNS1_3genE5ELNS1_11target_archE942ELNS1_3gpuE9ELNS1_3repE0EEENS1_30default_config_static_selectorELNS0_4arch9wavefront6targetE0EEEvT1_.has_dyn_sized_stack, 0
	.set _ZN7rocprim17ROCPRIM_400000_NS6detail17trampoline_kernelINS0_14default_configENS1_25partition_config_selectorILNS1_17partition_subalgoE8EhNS0_10empty_typeEbEEZZNS1_14partition_implILS5_8ELb0ES3_jPKhPS6_PKS6_NS0_5tupleIJPhS6_EEENSE_IJSB_SB_EEENS0_18inequality_wrapperIN6hipcub16HIPCUB_304000_NS8EqualityEEEPlJS6_EEE10hipError_tPvRmT3_T4_T5_T6_T7_T9_mT8_P12ihipStream_tbDpT10_ENKUlT_T0_E_clISt17integral_constantIbLb1EES16_IbLb0EEEEDaS12_S13_EUlS12_E_NS1_11comp_targetILNS1_3genE5ELNS1_11target_archE942ELNS1_3gpuE9ELNS1_3repE0EEENS1_30default_config_static_selectorELNS0_4arch9wavefront6targetE0EEEvT1_.has_recursion, 0
	.set _ZN7rocprim17ROCPRIM_400000_NS6detail17trampoline_kernelINS0_14default_configENS1_25partition_config_selectorILNS1_17partition_subalgoE8EhNS0_10empty_typeEbEEZZNS1_14partition_implILS5_8ELb0ES3_jPKhPS6_PKS6_NS0_5tupleIJPhS6_EEENSE_IJSB_SB_EEENS0_18inequality_wrapperIN6hipcub16HIPCUB_304000_NS8EqualityEEEPlJS6_EEE10hipError_tPvRmT3_T4_T5_T6_T7_T9_mT8_P12ihipStream_tbDpT10_ENKUlT_T0_E_clISt17integral_constantIbLb1EES16_IbLb0EEEEDaS12_S13_EUlS12_E_NS1_11comp_targetILNS1_3genE5ELNS1_11target_archE942ELNS1_3gpuE9ELNS1_3repE0EEENS1_30default_config_static_selectorELNS0_4arch9wavefront6targetE0EEEvT1_.has_indirect_call, 0
	.section	.AMDGPU.csdata,"",@progbits
; Kernel info:
; codeLenInByte = 0
; TotalNumSgprs: 0
; NumVgprs: 0
; ScratchSize: 0
; MemoryBound: 0
; FloatMode: 240
; IeeeMode: 1
; LDSByteSize: 0 bytes/workgroup (compile time only)
; SGPRBlocks: 0
; VGPRBlocks: 0
; NumSGPRsForWavesPerEU: 1
; NumVGPRsForWavesPerEU: 1
; NamedBarCnt: 0
; Occupancy: 16
; WaveLimiterHint : 0
; COMPUTE_PGM_RSRC2:SCRATCH_EN: 0
; COMPUTE_PGM_RSRC2:USER_SGPR: 2
; COMPUTE_PGM_RSRC2:TRAP_HANDLER: 0
; COMPUTE_PGM_RSRC2:TGID_X_EN: 1
; COMPUTE_PGM_RSRC2:TGID_Y_EN: 0
; COMPUTE_PGM_RSRC2:TGID_Z_EN: 0
; COMPUTE_PGM_RSRC2:TIDIG_COMP_CNT: 0
	.section	.text._ZN7rocprim17ROCPRIM_400000_NS6detail17trampoline_kernelINS0_14default_configENS1_25partition_config_selectorILNS1_17partition_subalgoE8EhNS0_10empty_typeEbEEZZNS1_14partition_implILS5_8ELb0ES3_jPKhPS6_PKS6_NS0_5tupleIJPhS6_EEENSE_IJSB_SB_EEENS0_18inequality_wrapperIN6hipcub16HIPCUB_304000_NS8EqualityEEEPlJS6_EEE10hipError_tPvRmT3_T4_T5_T6_T7_T9_mT8_P12ihipStream_tbDpT10_ENKUlT_T0_E_clISt17integral_constantIbLb1EES16_IbLb0EEEEDaS12_S13_EUlS12_E_NS1_11comp_targetILNS1_3genE4ELNS1_11target_archE910ELNS1_3gpuE8ELNS1_3repE0EEENS1_30default_config_static_selectorELNS0_4arch9wavefront6targetE0EEEvT1_,"axG",@progbits,_ZN7rocprim17ROCPRIM_400000_NS6detail17trampoline_kernelINS0_14default_configENS1_25partition_config_selectorILNS1_17partition_subalgoE8EhNS0_10empty_typeEbEEZZNS1_14partition_implILS5_8ELb0ES3_jPKhPS6_PKS6_NS0_5tupleIJPhS6_EEENSE_IJSB_SB_EEENS0_18inequality_wrapperIN6hipcub16HIPCUB_304000_NS8EqualityEEEPlJS6_EEE10hipError_tPvRmT3_T4_T5_T6_T7_T9_mT8_P12ihipStream_tbDpT10_ENKUlT_T0_E_clISt17integral_constantIbLb1EES16_IbLb0EEEEDaS12_S13_EUlS12_E_NS1_11comp_targetILNS1_3genE4ELNS1_11target_archE910ELNS1_3gpuE8ELNS1_3repE0EEENS1_30default_config_static_selectorELNS0_4arch9wavefront6targetE0EEEvT1_,comdat
	.protected	_ZN7rocprim17ROCPRIM_400000_NS6detail17trampoline_kernelINS0_14default_configENS1_25partition_config_selectorILNS1_17partition_subalgoE8EhNS0_10empty_typeEbEEZZNS1_14partition_implILS5_8ELb0ES3_jPKhPS6_PKS6_NS0_5tupleIJPhS6_EEENSE_IJSB_SB_EEENS0_18inequality_wrapperIN6hipcub16HIPCUB_304000_NS8EqualityEEEPlJS6_EEE10hipError_tPvRmT3_T4_T5_T6_T7_T9_mT8_P12ihipStream_tbDpT10_ENKUlT_T0_E_clISt17integral_constantIbLb1EES16_IbLb0EEEEDaS12_S13_EUlS12_E_NS1_11comp_targetILNS1_3genE4ELNS1_11target_archE910ELNS1_3gpuE8ELNS1_3repE0EEENS1_30default_config_static_selectorELNS0_4arch9wavefront6targetE0EEEvT1_ ; -- Begin function _ZN7rocprim17ROCPRIM_400000_NS6detail17trampoline_kernelINS0_14default_configENS1_25partition_config_selectorILNS1_17partition_subalgoE8EhNS0_10empty_typeEbEEZZNS1_14partition_implILS5_8ELb0ES3_jPKhPS6_PKS6_NS0_5tupleIJPhS6_EEENSE_IJSB_SB_EEENS0_18inequality_wrapperIN6hipcub16HIPCUB_304000_NS8EqualityEEEPlJS6_EEE10hipError_tPvRmT3_T4_T5_T6_T7_T9_mT8_P12ihipStream_tbDpT10_ENKUlT_T0_E_clISt17integral_constantIbLb1EES16_IbLb0EEEEDaS12_S13_EUlS12_E_NS1_11comp_targetILNS1_3genE4ELNS1_11target_archE910ELNS1_3gpuE8ELNS1_3repE0EEENS1_30default_config_static_selectorELNS0_4arch9wavefront6targetE0EEEvT1_
	.globl	_ZN7rocprim17ROCPRIM_400000_NS6detail17trampoline_kernelINS0_14default_configENS1_25partition_config_selectorILNS1_17partition_subalgoE8EhNS0_10empty_typeEbEEZZNS1_14partition_implILS5_8ELb0ES3_jPKhPS6_PKS6_NS0_5tupleIJPhS6_EEENSE_IJSB_SB_EEENS0_18inequality_wrapperIN6hipcub16HIPCUB_304000_NS8EqualityEEEPlJS6_EEE10hipError_tPvRmT3_T4_T5_T6_T7_T9_mT8_P12ihipStream_tbDpT10_ENKUlT_T0_E_clISt17integral_constantIbLb1EES16_IbLb0EEEEDaS12_S13_EUlS12_E_NS1_11comp_targetILNS1_3genE4ELNS1_11target_archE910ELNS1_3gpuE8ELNS1_3repE0EEENS1_30default_config_static_selectorELNS0_4arch9wavefront6targetE0EEEvT1_
	.p2align	8
	.type	_ZN7rocprim17ROCPRIM_400000_NS6detail17trampoline_kernelINS0_14default_configENS1_25partition_config_selectorILNS1_17partition_subalgoE8EhNS0_10empty_typeEbEEZZNS1_14partition_implILS5_8ELb0ES3_jPKhPS6_PKS6_NS0_5tupleIJPhS6_EEENSE_IJSB_SB_EEENS0_18inequality_wrapperIN6hipcub16HIPCUB_304000_NS8EqualityEEEPlJS6_EEE10hipError_tPvRmT3_T4_T5_T6_T7_T9_mT8_P12ihipStream_tbDpT10_ENKUlT_T0_E_clISt17integral_constantIbLb1EES16_IbLb0EEEEDaS12_S13_EUlS12_E_NS1_11comp_targetILNS1_3genE4ELNS1_11target_archE910ELNS1_3gpuE8ELNS1_3repE0EEENS1_30default_config_static_selectorELNS0_4arch9wavefront6targetE0EEEvT1_,@function
_ZN7rocprim17ROCPRIM_400000_NS6detail17trampoline_kernelINS0_14default_configENS1_25partition_config_selectorILNS1_17partition_subalgoE8EhNS0_10empty_typeEbEEZZNS1_14partition_implILS5_8ELb0ES3_jPKhPS6_PKS6_NS0_5tupleIJPhS6_EEENSE_IJSB_SB_EEENS0_18inequality_wrapperIN6hipcub16HIPCUB_304000_NS8EqualityEEEPlJS6_EEE10hipError_tPvRmT3_T4_T5_T6_T7_T9_mT8_P12ihipStream_tbDpT10_ENKUlT_T0_E_clISt17integral_constantIbLb1EES16_IbLb0EEEEDaS12_S13_EUlS12_E_NS1_11comp_targetILNS1_3genE4ELNS1_11target_archE910ELNS1_3gpuE8ELNS1_3repE0EEENS1_30default_config_static_selectorELNS0_4arch9wavefront6targetE0EEEvT1_: ; @_ZN7rocprim17ROCPRIM_400000_NS6detail17trampoline_kernelINS0_14default_configENS1_25partition_config_selectorILNS1_17partition_subalgoE8EhNS0_10empty_typeEbEEZZNS1_14partition_implILS5_8ELb0ES3_jPKhPS6_PKS6_NS0_5tupleIJPhS6_EEENSE_IJSB_SB_EEENS0_18inequality_wrapperIN6hipcub16HIPCUB_304000_NS8EqualityEEEPlJS6_EEE10hipError_tPvRmT3_T4_T5_T6_T7_T9_mT8_P12ihipStream_tbDpT10_ENKUlT_T0_E_clISt17integral_constantIbLb1EES16_IbLb0EEEEDaS12_S13_EUlS12_E_NS1_11comp_targetILNS1_3genE4ELNS1_11target_archE910ELNS1_3gpuE8ELNS1_3repE0EEENS1_30default_config_static_selectorELNS0_4arch9wavefront6targetE0EEEvT1_
; %bb.0:
	.section	.rodata,"a",@progbits
	.p2align	6, 0x0
	.amdhsa_kernel _ZN7rocprim17ROCPRIM_400000_NS6detail17trampoline_kernelINS0_14default_configENS1_25partition_config_selectorILNS1_17partition_subalgoE8EhNS0_10empty_typeEbEEZZNS1_14partition_implILS5_8ELb0ES3_jPKhPS6_PKS6_NS0_5tupleIJPhS6_EEENSE_IJSB_SB_EEENS0_18inequality_wrapperIN6hipcub16HIPCUB_304000_NS8EqualityEEEPlJS6_EEE10hipError_tPvRmT3_T4_T5_T6_T7_T9_mT8_P12ihipStream_tbDpT10_ENKUlT_T0_E_clISt17integral_constantIbLb1EES16_IbLb0EEEEDaS12_S13_EUlS12_E_NS1_11comp_targetILNS1_3genE4ELNS1_11target_archE910ELNS1_3gpuE8ELNS1_3repE0EEENS1_30default_config_static_selectorELNS0_4arch9wavefront6targetE0EEEvT1_
		.amdhsa_group_segment_fixed_size 0
		.amdhsa_private_segment_fixed_size 0
		.amdhsa_kernarg_size 112
		.amdhsa_user_sgpr_count 2
		.amdhsa_user_sgpr_dispatch_ptr 0
		.amdhsa_user_sgpr_queue_ptr 0
		.amdhsa_user_sgpr_kernarg_segment_ptr 1
		.amdhsa_user_sgpr_dispatch_id 0
		.amdhsa_user_sgpr_kernarg_preload_length 0
		.amdhsa_user_sgpr_kernarg_preload_offset 0
		.amdhsa_user_sgpr_private_segment_size 0
		.amdhsa_wavefront_size32 1
		.amdhsa_uses_dynamic_stack 0
		.amdhsa_enable_private_segment 0
		.amdhsa_system_sgpr_workgroup_id_x 1
		.amdhsa_system_sgpr_workgroup_id_y 0
		.amdhsa_system_sgpr_workgroup_id_z 0
		.amdhsa_system_sgpr_workgroup_info 0
		.amdhsa_system_vgpr_workitem_id 0
		.amdhsa_next_free_vgpr 1
		.amdhsa_next_free_sgpr 1
		.amdhsa_named_barrier_count 0
		.amdhsa_reserve_vcc 0
		.amdhsa_float_round_mode_32 0
		.amdhsa_float_round_mode_16_64 0
		.amdhsa_float_denorm_mode_32 3
		.amdhsa_float_denorm_mode_16_64 3
		.amdhsa_fp16_overflow 0
		.amdhsa_memory_ordered 1
		.amdhsa_forward_progress 1
		.amdhsa_inst_pref_size 0
		.amdhsa_round_robin_scheduling 0
		.amdhsa_exception_fp_ieee_invalid_op 0
		.amdhsa_exception_fp_denorm_src 0
		.amdhsa_exception_fp_ieee_div_zero 0
		.amdhsa_exception_fp_ieee_overflow 0
		.amdhsa_exception_fp_ieee_underflow 0
		.amdhsa_exception_fp_ieee_inexact 0
		.amdhsa_exception_int_div_zero 0
	.end_amdhsa_kernel
	.section	.text._ZN7rocprim17ROCPRIM_400000_NS6detail17trampoline_kernelINS0_14default_configENS1_25partition_config_selectorILNS1_17partition_subalgoE8EhNS0_10empty_typeEbEEZZNS1_14partition_implILS5_8ELb0ES3_jPKhPS6_PKS6_NS0_5tupleIJPhS6_EEENSE_IJSB_SB_EEENS0_18inequality_wrapperIN6hipcub16HIPCUB_304000_NS8EqualityEEEPlJS6_EEE10hipError_tPvRmT3_T4_T5_T6_T7_T9_mT8_P12ihipStream_tbDpT10_ENKUlT_T0_E_clISt17integral_constantIbLb1EES16_IbLb0EEEEDaS12_S13_EUlS12_E_NS1_11comp_targetILNS1_3genE4ELNS1_11target_archE910ELNS1_3gpuE8ELNS1_3repE0EEENS1_30default_config_static_selectorELNS0_4arch9wavefront6targetE0EEEvT1_,"axG",@progbits,_ZN7rocprim17ROCPRIM_400000_NS6detail17trampoline_kernelINS0_14default_configENS1_25partition_config_selectorILNS1_17partition_subalgoE8EhNS0_10empty_typeEbEEZZNS1_14partition_implILS5_8ELb0ES3_jPKhPS6_PKS6_NS0_5tupleIJPhS6_EEENSE_IJSB_SB_EEENS0_18inequality_wrapperIN6hipcub16HIPCUB_304000_NS8EqualityEEEPlJS6_EEE10hipError_tPvRmT3_T4_T5_T6_T7_T9_mT8_P12ihipStream_tbDpT10_ENKUlT_T0_E_clISt17integral_constantIbLb1EES16_IbLb0EEEEDaS12_S13_EUlS12_E_NS1_11comp_targetILNS1_3genE4ELNS1_11target_archE910ELNS1_3gpuE8ELNS1_3repE0EEENS1_30default_config_static_selectorELNS0_4arch9wavefront6targetE0EEEvT1_,comdat
.Lfunc_end152:
	.size	_ZN7rocprim17ROCPRIM_400000_NS6detail17trampoline_kernelINS0_14default_configENS1_25partition_config_selectorILNS1_17partition_subalgoE8EhNS0_10empty_typeEbEEZZNS1_14partition_implILS5_8ELb0ES3_jPKhPS6_PKS6_NS0_5tupleIJPhS6_EEENSE_IJSB_SB_EEENS0_18inequality_wrapperIN6hipcub16HIPCUB_304000_NS8EqualityEEEPlJS6_EEE10hipError_tPvRmT3_T4_T5_T6_T7_T9_mT8_P12ihipStream_tbDpT10_ENKUlT_T0_E_clISt17integral_constantIbLb1EES16_IbLb0EEEEDaS12_S13_EUlS12_E_NS1_11comp_targetILNS1_3genE4ELNS1_11target_archE910ELNS1_3gpuE8ELNS1_3repE0EEENS1_30default_config_static_selectorELNS0_4arch9wavefront6targetE0EEEvT1_, .Lfunc_end152-_ZN7rocprim17ROCPRIM_400000_NS6detail17trampoline_kernelINS0_14default_configENS1_25partition_config_selectorILNS1_17partition_subalgoE8EhNS0_10empty_typeEbEEZZNS1_14partition_implILS5_8ELb0ES3_jPKhPS6_PKS6_NS0_5tupleIJPhS6_EEENSE_IJSB_SB_EEENS0_18inequality_wrapperIN6hipcub16HIPCUB_304000_NS8EqualityEEEPlJS6_EEE10hipError_tPvRmT3_T4_T5_T6_T7_T9_mT8_P12ihipStream_tbDpT10_ENKUlT_T0_E_clISt17integral_constantIbLb1EES16_IbLb0EEEEDaS12_S13_EUlS12_E_NS1_11comp_targetILNS1_3genE4ELNS1_11target_archE910ELNS1_3gpuE8ELNS1_3repE0EEENS1_30default_config_static_selectorELNS0_4arch9wavefront6targetE0EEEvT1_
                                        ; -- End function
	.set _ZN7rocprim17ROCPRIM_400000_NS6detail17trampoline_kernelINS0_14default_configENS1_25partition_config_selectorILNS1_17partition_subalgoE8EhNS0_10empty_typeEbEEZZNS1_14partition_implILS5_8ELb0ES3_jPKhPS6_PKS6_NS0_5tupleIJPhS6_EEENSE_IJSB_SB_EEENS0_18inequality_wrapperIN6hipcub16HIPCUB_304000_NS8EqualityEEEPlJS6_EEE10hipError_tPvRmT3_T4_T5_T6_T7_T9_mT8_P12ihipStream_tbDpT10_ENKUlT_T0_E_clISt17integral_constantIbLb1EES16_IbLb0EEEEDaS12_S13_EUlS12_E_NS1_11comp_targetILNS1_3genE4ELNS1_11target_archE910ELNS1_3gpuE8ELNS1_3repE0EEENS1_30default_config_static_selectorELNS0_4arch9wavefront6targetE0EEEvT1_.num_vgpr, 0
	.set _ZN7rocprim17ROCPRIM_400000_NS6detail17trampoline_kernelINS0_14default_configENS1_25partition_config_selectorILNS1_17partition_subalgoE8EhNS0_10empty_typeEbEEZZNS1_14partition_implILS5_8ELb0ES3_jPKhPS6_PKS6_NS0_5tupleIJPhS6_EEENSE_IJSB_SB_EEENS0_18inequality_wrapperIN6hipcub16HIPCUB_304000_NS8EqualityEEEPlJS6_EEE10hipError_tPvRmT3_T4_T5_T6_T7_T9_mT8_P12ihipStream_tbDpT10_ENKUlT_T0_E_clISt17integral_constantIbLb1EES16_IbLb0EEEEDaS12_S13_EUlS12_E_NS1_11comp_targetILNS1_3genE4ELNS1_11target_archE910ELNS1_3gpuE8ELNS1_3repE0EEENS1_30default_config_static_selectorELNS0_4arch9wavefront6targetE0EEEvT1_.num_agpr, 0
	.set _ZN7rocprim17ROCPRIM_400000_NS6detail17trampoline_kernelINS0_14default_configENS1_25partition_config_selectorILNS1_17partition_subalgoE8EhNS0_10empty_typeEbEEZZNS1_14partition_implILS5_8ELb0ES3_jPKhPS6_PKS6_NS0_5tupleIJPhS6_EEENSE_IJSB_SB_EEENS0_18inequality_wrapperIN6hipcub16HIPCUB_304000_NS8EqualityEEEPlJS6_EEE10hipError_tPvRmT3_T4_T5_T6_T7_T9_mT8_P12ihipStream_tbDpT10_ENKUlT_T0_E_clISt17integral_constantIbLb1EES16_IbLb0EEEEDaS12_S13_EUlS12_E_NS1_11comp_targetILNS1_3genE4ELNS1_11target_archE910ELNS1_3gpuE8ELNS1_3repE0EEENS1_30default_config_static_selectorELNS0_4arch9wavefront6targetE0EEEvT1_.numbered_sgpr, 0
	.set _ZN7rocprim17ROCPRIM_400000_NS6detail17trampoline_kernelINS0_14default_configENS1_25partition_config_selectorILNS1_17partition_subalgoE8EhNS0_10empty_typeEbEEZZNS1_14partition_implILS5_8ELb0ES3_jPKhPS6_PKS6_NS0_5tupleIJPhS6_EEENSE_IJSB_SB_EEENS0_18inequality_wrapperIN6hipcub16HIPCUB_304000_NS8EqualityEEEPlJS6_EEE10hipError_tPvRmT3_T4_T5_T6_T7_T9_mT8_P12ihipStream_tbDpT10_ENKUlT_T0_E_clISt17integral_constantIbLb1EES16_IbLb0EEEEDaS12_S13_EUlS12_E_NS1_11comp_targetILNS1_3genE4ELNS1_11target_archE910ELNS1_3gpuE8ELNS1_3repE0EEENS1_30default_config_static_selectorELNS0_4arch9wavefront6targetE0EEEvT1_.num_named_barrier, 0
	.set _ZN7rocprim17ROCPRIM_400000_NS6detail17trampoline_kernelINS0_14default_configENS1_25partition_config_selectorILNS1_17partition_subalgoE8EhNS0_10empty_typeEbEEZZNS1_14partition_implILS5_8ELb0ES3_jPKhPS6_PKS6_NS0_5tupleIJPhS6_EEENSE_IJSB_SB_EEENS0_18inequality_wrapperIN6hipcub16HIPCUB_304000_NS8EqualityEEEPlJS6_EEE10hipError_tPvRmT3_T4_T5_T6_T7_T9_mT8_P12ihipStream_tbDpT10_ENKUlT_T0_E_clISt17integral_constantIbLb1EES16_IbLb0EEEEDaS12_S13_EUlS12_E_NS1_11comp_targetILNS1_3genE4ELNS1_11target_archE910ELNS1_3gpuE8ELNS1_3repE0EEENS1_30default_config_static_selectorELNS0_4arch9wavefront6targetE0EEEvT1_.private_seg_size, 0
	.set _ZN7rocprim17ROCPRIM_400000_NS6detail17trampoline_kernelINS0_14default_configENS1_25partition_config_selectorILNS1_17partition_subalgoE8EhNS0_10empty_typeEbEEZZNS1_14partition_implILS5_8ELb0ES3_jPKhPS6_PKS6_NS0_5tupleIJPhS6_EEENSE_IJSB_SB_EEENS0_18inequality_wrapperIN6hipcub16HIPCUB_304000_NS8EqualityEEEPlJS6_EEE10hipError_tPvRmT3_T4_T5_T6_T7_T9_mT8_P12ihipStream_tbDpT10_ENKUlT_T0_E_clISt17integral_constantIbLb1EES16_IbLb0EEEEDaS12_S13_EUlS12_E_NS1_11comp_targetILNS1_3genE4ELNS1_11target_archE910ELNS1_3gpuE8ELNS1_3repE0EEENS1_30default_config_static_selectorELNS0_4arch9wavefront6targetE0EEEvT1_.uses_vcc, 0
	.set _ZN7rocprim17ROCPRIM_400000_NS6detail17trampoline_kernelINS0_14default_configENS1_25partition_config_selectorILNS1_17partition_subalgoE8EhNS0_10empty_typeEbEEZZNS1_14partition_implILS5_8ELb0ES3_jPKhPS6_PKS6_NS0_5tupleIJPhS6_EEENSE_IJSB_SB_EEENS0_18inequality_wrapperIN6hipcub16HIPCUB_304000_NS8EqualityEEEPlJS6_EEE10hipError_tPvRmT3_T4_T5_T6_T7_T9_mT8_P12ihipStream_tbDpT10_ENKUlT_T0_E_clISt17integral_constantIbLb1EES16_IbLb0EEEEDaS12_S13_EUlS12_E_NS1_11comp_targetILNS1_3genE4ELNS1_11target_archE910ELNS1_3gpuE8ELNS1_3repE0EEENS1_30default_config_static_selectorELNS0_4arch9wavefront6targetE0EEEvT1_.uses_flat_scratch, 0
	.set _ZN7rocprim17ROCPRIM_400000_NS6detail17trampoline_kernelINS0_14default_configENS1_25partition_config_selectorILNS1_17partition_subalgoE8EhNS0_10empty_typeEbEEZZNS1_14partition_implILS5_8ELb0ES3_jPKhPS6_PKS6_NS0_5tupleIJPhS6_EEENSE_IJSB_SB_EEENS0_18inequality_wrapperIN6hipcub16HIPCUB_304000_NS8EqualityEEEPlJS6_EEE10hipError_tPvRmT3_T4_T5_T6_T7_T9_mT8_P12ihipStream_tbDpT10_ENKUlT_T0_E_clISt17integral_constantIbLb1EES16_IbLb0EEEEDaS12_S13_EUlS12_E_NS1_11comp_targetILNS1_3genE4ELNS1_11target_archE910ELNS1_3gpuE8ELNS1_3repE0EEENS1_30default_config_static_selectorELNS0_4arch9wavefront6targetE0EEEvT1_.has_dyn_sized_stack, 0
	.set _ZN7rocprim17ROCPRIM_400000_NS6detail17trampoline_kernelINS0_14default_configENS1_25partition_config_selectorILNS1_17partition_subalgoE8EhNS0_10empty_typeEbEEZZNS1_14partition_implILS5_8ELb0ES3_jPKhPS6_PKS6_NS0_5tupleIJPhS6_EEENSE_IJSB_SB_EEENS0_18inequality_wrapperIN6hipcub16HIPCUB_304000_NS8EqualityEEEPlJS6_EEE10hipError_tPvRmT3_T4_T5_T6_T7_T9_mT8_P12ihipStream_tbDpT10_ENKUlT_T0_E_clISt17integral_constantIbLb1EES16_IbLb0EEEEDaS12_S13_EUlS12_E_NS1_11comp_targetILNS1_3genE4ELNS1_11target_archE910ELNS1_3gpuE8ELNS1_3repE0EEENS1_30default_config_static_selectorELNS0_4arch9wavefront6targetE0EEEvT1_.has_recursion, 0
	.set _ZN7rocprim17ROCPRIM_400000_NS6detail17trampoline_kernelINS0_14default_configENS1_25partition_config_selectorILNS1_17partition_subalgoE8EhNS0_10empty_typeEbEEZZNS1_14partition_implILS5_8ELb0ES3_jPKhPS6_PKS6_NS0_5tupleIJPhS6_EEENSE_IJSB_SB_EEENS0_18inequality_wrapperIN6hipcub16HIPCUB_304000_NS8EqualityEEEPlJS6_EEE10hipError_tPvRmT3_T4_T5_T6_T7_T9_mT8_P12ihipStream_tbDpT10_ENKUlT_T0_E_clISt17integral_constantIbLb1EES16_IbLb0EEEEDaS12_S13_EUlS12_E_NS1_11comp_targetILNS1_3genE4ELNS1_11target_archE910ELNS1_3gpuE8ELNS1_3repE0EEENS1_30default_config_static_selectorELNS0_4arch9wavefront6targetE0EEEvT1_.has_indirect_call, 0
	.section	.AMDGPU.csdata,"",@progbits
; Kernel info:
; codeLenInByte = 0
; TotalNumSgprs: 0
; NumVgprs: 0
; ScratchSize: 0
; MemoryBound: 0
; FloatMode: 240
; IeeeMode: 1
; LDSByteSize: 0 bytes/workgroup (compile time only)
; SGPRBlocks: 0
; VGPRBlocks: 0
; NumSGPRsForWavesPerEU: 1
; NumVGPRsForWavesPerEU: 1
; NamedBarCnt: 0
; Occupancy: 16
; WaveLimiterHint : 0
; COMPUTE_PGM_RSRC2:SCRATCH_EN: 0
; COMPUTE_PGM_RSRC2:USER_SGPR: 2
; COMPUTE_PGM_RSRC2:TRAP_HANDLER: 0
; COMPUTE_PGM_RSRC2:TGID_X_EN: 1
; COMPUTE_PGM_RSRC2:TGID_Y_EN: 0
; COMPUTE_PGM_RSRC2:TGID_Z_EN: 0
; COMPUTE_PGM_RSRC2:TIDIG_COMP_CNT: 0
	.section	.text._ZN7rocprim17ROCPRIM_400000_NS6detail17trampoline_kernelINS0_14default_configENS1_25partition_config_selectorILNS1_17partition_subalgoE8EhNS0_10empty_typeEbEEZZNS1_14partition_implILS5_8ELb0ES3_jPKhPS6_PKS6_NS0_5tupleIJPhS6_EEENSE_IJSB_SB_EEENS0_18inequality_wrapperIN6hipcub16HIPCUB_304000_NS8EqualityEEEPlJS6_EEE10hipError_tPvRmT3_T4_T5_T6_T7_T9_mT8_P12ihipStream_tbDpT10_ENKUlT_T0_E_clISt17integral_constantIbLb1EES16_IbLb0EEEEDaS12_S13_EUlS12_E_NS1_11comp_targetILNS1_3genE3ELNS1_11target_archE908ELNS1_3gpuE7ELNS1_3repE0EEENS1_30default_config_static_selectorELNS0_4arch9wavefront6targetE0EEEvT1_,"axG",@progbits,_ZN7rocprim17ROCPRIM_400000_NS6detail17trampoline_kernelINS0_14default_configENS1_25partition_config_selectorILNS1_17partition_subalgoE8EhNS0_10empty_typeEbEEZZNS1_14partition_implILS5_8ELb0ES3_jPKhPS6_PKS6_NS0_5tupleIJPhS6_EEENSE_IJSB_SB_EEENS0_18inequality_wrapperIN6hipcub16HIPCUB_304000_NS8EqualityEEEPlJS6_EEE10hipError_tPvRmT3_T4_T5_T6_T7_T9_mT8_P12ihipStream_tbDpT10_ENKUlT_T0_E_clISt17integral_constantIbLb1EES16_IbLb0EEEEDaS12_S13_EUlS12_E_NS1_11comp_targetILNS1_3genE3ELNS1_11target_archE908ELNS1_3gpuE7ELNS1_3repE0EEENS1_30default_config_static_selectorELNS0_4arch9wavefront6targetE0EEEvT1_,comdat
	.protected	_ZN7rocprim17ROCPRIM_400000_NS6detail17trampoline_kernelINS0_14default_configENS1_25partition_config_selectorILNS1_17partition_subalgoE8EhNS0_10empty_typeEbEEZZNS1_14partition_implILS5_8ELb0ES3_jPKhPS6_PKS6_NS0_5tupleIJPhS6_EEENSE_IJSB_SB_EEENS0_18inequality_wrapperIN6hipcub16HIPCUB_304000_NS8EqualityEEEPlJS6_EEE10hipError_tPvRmT3_T4_T5_T6_T7_T9_mT8_P12ihipStream_tbDpT10_ENKUlT_T0_E_clISt17integral_constantIbLb1EES16_IbLb0EEEEDaS12_S13_EUlS12_E_NS1_11comp_targetILNS1_3genE3ELNS1_11target_archE908ELNS1_3gpuE7ELNS1_3repE0EEENS1_30default_config_static_selectorELNS0_4arch9wavefront6targetE0EEEvT1_ ; -- Begin function _ZN7rocprim17ROCPRIM_400000_NS6detail17trampoline_kernelINS0_14default_configENS1_25partition_config_selectorILNS1_17partition_subalgoE8EhNS0_10empty_typeEbEEZZNS1_14partition_implILS5_8ELb0ES3_jPKhPS6_PKS6_NS0_5tupleIJPhS6_EEENSE_IJSB_SB_EEENS0_18inequality_wrapperIN6hipcub16HIPCUB_304000_NS8EqualityEEEPlJS6_EEE10hipError_tPvRmT3_T4_T5_T6_T7_T9_mT8_P12ihipStream_tbDpT10_ENKUlT_T0_E_clISt17integral_constantIbLb1EES16_IbLb0EEEEDaS12_S13_EUlS12_E_NS1_11comp_targetILNS1_3genE3ELNS1_11target_archE908ELNS1_3gpuE7ELNS1_3repE0EEENS1_30default_config_static_selectorELNS0_4arch9wavefront6targetE0EEEvT1_
	.globl	_ZN7rocprim17ROCPRIM_400000_NS6detail17trampoline_kernelINS0_14default_configENS1_25partition_config_selectorILNS1_17partition_subalgoE8EhNS0_10empty_typeEbEEZZNS1_14partition_implILS5_8ELb0ES3_jPKhPS6_PKS6_NS0_5tupleIJPhS6_EEENSE_IJSB_SB_EEENS0_18inequality_wrapperIN6hipcub16HIPCUB_304000_NS8EqualityEEEPlJS6_EEE10hipError_tPvRmT3_T4_T5_T6_T7_T9_mT8_P12ihipStream_tbDpT10_ENKUlT_T0_E_clISt17integral_constantIbLb1EES16_IbLb0EEEEDaS12_S13_EUlS12_E_NS1_11comp_targetILNS1_3genE3ELNS1_11target_archE908ELNS1_3gpuE7ELNS1_3repE0EEENS1_30default_config_static_selectorELNS0_4arch9wavefront6targetE0EEEvT1_
	.p2align	8
	.type	_ZN7rocprim17ROCPRIM_400000_NS6detail17trampoline_kernelINS0_14default_configENS1_25partition_config_selectorILNS1_17partition_subalgoE8EhNS0_10empty_typeEbEEZZNS1_14partition_implILS5_8ELb0ES3_jPKhPS6_PKS6_NS0_5tupleIJPhS6_EEENSE_IJSB_SB_EEENS0_18inequality_wrapperIN6hipcub16HIPCUB_304000_NS8EqualityEEEPlJS6_EEE10hipError_tPvRmT3_T4_T5_T6_T7_T9_mT8_P12ihipStream_tbDpT10_ENKUlT_T0_E_clISt17integral_constantIbLb1EES16_IbLb0EEEEDaS12_S13_EUlS12_E_NS1_11comp_targetILNS1_3genE3ELNS1_11target_archE908ELNS1_3gpuE7ELNS1_3repE0EEENS1_30default_config_static_selectorELNS0_4arch9wavefront6targetE0EEEvT1_,@function
_ZN7rocprim17ROCPRIM_400000_NS6detail17trampoline_kernelINS0_14default_configENS1_25partition_config_selectorILNS1_17partition_subalgoE8EhNS0_10empty_typeEbEEZZNS1_14partition_implILS5_8ELb0ES3_jPKhPS6_PKS6_NS0_5tupleIJPhS6_EEENSE_IJSB_SB_EEENS0_18inequality_wrapperIN6hipcub16HIPCUB_304000_NS8EqualityEEEPlJS6_EEE10hipError_tPvRmT3_T4_T5_T6_T7_T9_mT8_P12ihipStream_tbDpT10_ENKUlT_T0_E_clISt17integral_constantIbLb1EES16_IbLb0EEEEDaS12_S13_EUlS12_E_NS1_11comp_targetILNS1_3genE3ELNS1_11target_archE908ELNS1_3gpuE7ELNS1_3repE0EEENS1_30default_config_static_selectorELNS0_4arch9wavefront6targetE0EEEvT1_: ; @_ZN7rocprim17ROCPRIM_400000_NS6detail17trampoline_kernelINS0_14default_configENS1_25partition_config_selectorILNS1_17partition_subalgoE8EhNS0_10empty_typeEbEEZZNS1_14partition_implILS5_8ELb0ES3_jPKhPS6_PKS6_NS0_5tupleIJPhS6_EEENSE_IJSB_SB_EEENS0_18inequality_wrapperIN6hipcub16HIPCUB_304000_NS8EqualityEEEPlJS6_EEE10hipError_tPvRmT3_T4_T5_T6_T7_T9_mT8_P12ihipStream_tbDpT10_ENKUlT_T0_E_clISt17integral_constantIbLb1EES16_IbLb0EEEEDaS12_S13_EUlS12_E_NS1_11comp_targetILNS1_3genE3ELNS1_11target_archE908ELNS1_3gpuE7ELNS1_3repE0EEENS1_30default_config_static_selectorELNS0_4arch9wavefront6targetE0EEEvT1_
; %bb.0:
	.section	.rodata,"a",@progbits
	.p2align	6, 0x0
	.amdhsa_kernel _ZN7rocprim17ROCPRIM_400000_NS6detail17trampoline_kernelINS0_14default_configENS1_25partition_config_selectorILNS1_17partition_subalgoE8EhNS0_10empty_typeEbEEZZNS1_14partition_implILS5_8ELb0ES3_jPKhPS6_PKS6_NS0_5tupleIJPhS6_EEENSE_IJSB_SB_EEENS0_18inequality_wrapperIN6hipcub16HIPCUB_304000_NS8EqualityEEEPlJS6_EEE10hipError_tPvRmT3_T4_T5_T6_T7_T9_mT8_P12ihipStream_tbDpT10_ENKUlT_T0_E_clISt17integral_constantIbLb1EES16_IbLb0EEEEDaS12_S13_EUlS12_E_NS1_11comp_targetILNS1_3genE3ELNS1_11target_archE908ELNS1_3gpuE7ELNS1_3repE0EEENS1_30default_config_static_selectorELNS0_4arch9wavefront6targetE0EEEvT1_
		.amdhsa_group_segment_fixed_size 0
		.amdhsa_private_segment_fixed_size 0
		.amdhsa_kernarg_size 112
		.amdhsa_user_sgpr_count 2
		.amdhsa_user_sgpr_dispatch_ptr 0
		.amdhsa_user_sgpr_queue_ptr 0
		.amdhsa_user_sgpr_kernarg_segment_ptr 1
		.amdhsa_user_sgpr_dispatch_id 0
		.amdhsa_user_sgpr_kernarg_preload_length 0
		.amdhsa_user_sgpr_kernarg_preload_offset 0
		.amdhsa_user_sgpr_private_segment_size 0
		.amdhsa_wavefront_size32 1
		.amdhsa_uses_dynamic_stack 0
		.amdhsa_enable_private_segment 0
		.amdhsa_system_sgpr_workgroup_id_x 1
		.amdhsa_system_sgpr_workgroup_id_y 0
		.amdhsa_system_sgpr_workgroup_id_z 0
		.amdhsa_system_sgpr_workgroup_info 0
		.amdhsa_system_vgpr_workitem_id 0
		.amdhsa_next_free_vgpr 1
		.amdhsa_next_free_sgpr 1
		.amdhsa_named_barrier_count 0
		.amdhsa_reserve_vcc 0
		.amdhsa_float_round_mode_32 0
		.amdhsa_float_round_mode_16_64 0
		.amdhsa_float_denorm_mode_32 3
		.amdhsa_float_denorm_mode_16_64 3
		.amdhsa_fp16_overflow 0
		.amdhsa_memory_ordered 1
		.amdhsa_forward_progress 1
		.amdhsa_inst_pref_size 0
		.amdhsa_round_robin_scheduling 0
		.amdhsa_exception_fp_ieee_invalid_op 0
		.amdhsa_exception_fp_denorm_src 0
		.amdhsa_exception_fp_ieee_div_zero 0
		.amdhsa_exception_fp_ieee_overflow 0
		.amdhsa_exception_fp_ieee_underflow 0
		.amdhsa_exception_fp_ieee_inexact 0
		.amdhsa_exception_int_div_zero 0
	.end_amdhsa_kernel
	.section	.text._ZN7rocprim17ROCPRIM_400000_NS6detail17trampoline_kernelINS0_14default_configENS1_25partition_config_selectorILNS1_17partition_subalgoE8EhNS0_10empty_typeEbEEZZNS1_14partition_implILS5_8ELb0ES3_jPKhPS6_PKS6_NS0_5tupleIJPhS6_EEENSE_IJSB_SB_EEENS0_18inequality_wrapperIN6hipcub16HIPCUB_304000_NS8EqualityEEEPlJS6_EEE10hipError_tPvRmT3_T4_T5_T6_T7_T9_mT8_P12ihipStream_tbDpT10_ENKUlT_T0_E_clISt17integral_constantIbLb1EES16_IbLb0EEEEDaS12_S13_EUlS12_E_NS1_11comp_targetILNS1_3genE3ELNS1_11target_archE908ELNS1_3gpuE7ELNS1_3repE0EEENS1_30default_config_static_selectorELNS0_4arch9wavefront6targetE0EEEvT1_,"axG",@progbits,_ZN7rocprim17ROCPRIM_400000_NS6detail17trampoline_kernelINS0_14default_configENS1_25partition_config_selectorILNS1_17partition_subalgoE8EhNS0_10empty_typeEbEEZZNS1_14partition_implILS5_8ELb0ES3_jPKhPS6_PKS6_NS0_5tupleIJPhS6_EEENSE_IJSB_SB_EEENS0_18inequality_wrapperIN6hipcub16HIPCUB_304000_NS8EqualityEEEPlJS6_EEE10hipError_tPvRmT3_T4_T5_T6_T7_T9_mT8_P12ihipStream_tbDpT10_ENKUlT_T0_E_clISt17integral_constantIbLb1EES16_IbLb0EEEEDaS12_S13_EUlS12_E_NS1_11comp_targetILNS1_3genE3ELNS1_11target_archE908ELNS1_3gpuE7ELNS1_3repE0EEENS1_30default_config_static_selectorELNS0_4arch9wavefront6targetE0EEEvT1_,comdat
.Lfunc_end153:
	.size	_ZN7rocprim17ROCPRIM_400000_NS6detail17trampoline_kernelINS0_14default_configENS1_25partition_config_selectorILNS1_17partition_subalgoE8EhNS0_10empty_typeEbEEZZNS1_14partition_implILS5_8ELb0ES3_jPKhPS6_PKS6_NS0_5tupleIJPhS6_EEENSE_IJSB_SB_EEENS0_18inequality_wrapperIN6hipcub16HIPCUB_304000_NS8EqualityEEEPlJS6_EEE10hipError_tPvRmT3_T4_T5_T6_T7_T9_mT8_P12ihipStream_tbDpT10_ENKUlT_T0_E_clISt17integral_constantIbLb1EES16_IbLb0EEEEDaS12_S13_EUlS12_E_NS1_11comp_targetILNS1_3genE3ELNS1_11target_archE908ELNS1_3gpuE7ELNS1_3repE0EEENS1_30default_config_static_selectorELNS0_4arch9wavefront6targetE0EEEvT1_, .Lfunc_end153-_ZN7rocprim17ROCPRIM_400000_NS6detail17trampoline_kernelINS0_14default_configENS1_25partition_config_selectorILNS1_17partition_subalgoE8EhNS0_10empty_typeEbEEZZNS1_14partition_implILS5_8ELb0ES3_jPKhPS6_PKS6_NS0_5tupleIJPhS6_EEENSE_IJSB_SB_EEENS0_18inequality_wrapperIN6hipcub16HIPCUB_304000_NS8EqualityEEEPlJS6_EEE10hipError_tPvRmT3_T4_T5_T6_T7_T9_mT8_P12ihipStream_tbDpT10_ENKUlT_T0_E_clISt17integral_constantIbLb1EES16_IbLb0EEEEDaS12_S13_EUlS12_E_NS1_11comp_targetILNS1_3genE3ELNS1_11target_archE908ELNS1_3gpuE7ELNS1_3repE0EEENS1_30default_config_static_selectorELNS0_4arch9wavefront6targetE0EEEvT1_
                                        ; -- End function
	.set _ZN7rocprim17ROCPRIM_400000_NS6detail17trampoline_kernelINS0_14default_configENS1_25partition_config_selectorILNS1_17partition_subalgoE8EhNS0_10empty_typeEbEEZZNS1_14partition_implILS5_8ELb0ES3_jPKhPS6_PKS6_NS0_5tupleIJPhS6_EEENSE_IJSB_SB_EEENS0_18inequality_wrapperIN6hipcub16HIPCUB_304000_NS8EqualityEEEPlJS6_EEE10hipError_tPvRmT3_T4_T5_T6_T7_T9_mT8_P12ihipStream_tbDpT10_ENKUlT_T0_E_clISt17integral_constantIbLb1EES16_IbLb0EEEEDaS12_S13_EUlS12_E_NS1_11comp_targetILNS1_3genE3ELNS1_11target_archE908ELNS1_3gpuE7ELNS1_3repE0EEENS1_30default_config_static_selectorELNS0_4arch9wavefront6targetE0EEEvT1_.num_vgpr, 0
	.set _ZN7rocprim17ROCPRIM_400000_NS6detail17trampoline_kernelINS0_14default_configENS1_25partition_config_selectorILNS1_17partition_subalgoE8EhNS0_10empty_typeEbEEZZNS1_14partition_implILS5_8ELb0ES3_jPKhPS6_PKS6_NS0_5tupleIJPhS6_EEENSE_IJSB_SB_EEENS0_18inequality_wrapperIN6hipcub16HIPCUB_304000_NS8EqualityEEEPlJS6_EEE10hipError_tPvRmT3_T4_T5_T6_T7_T9_mT8_P12ihipStream_tbDpT10_ENKUlT_T0_E_clISt17integral_constantIbLb1EES16_IbLb0EEEEDaS12_S13_EUlS12_E_NS1_11comp_targetILNS1_3genE3ELNS1_11target_archE908ELNS1_3gpuE7ELNS1_3repE0EEENS1_30default_config_static_selectorELNS0_4arch9wavefront6targetE0EEEvT1_.num_agpr, 0
	.set _ZN7rocprim17ROCPRIM_400000_NS6detail17trampoline_kernelINS0_14default_configENS1_25partition_config_selectorILNS1_17partition_subalgoE8EhNS0_10empty_typeEbEEZZNS1_14partition_implILS5_8ELb0ES3_jPKhPS6_PKS6_NS0_5tupleIJPhS6_EEENSE_IJSB_SB_EEENS0_18inequality_wrapperIN6hipcub16HIPCUB_304000_NS8EqualityEEEPlJS6_EEE10hipError_tPvRmT3_T4_T5_T6_T7_T9_mT8_P12ihipStream_tbDpT10_ENKUlT_T0_E_clISt17integral_constantIbLb1EES16_IbLb0EEEEDaS12_S13_EUlS12_E_NS1_11comp_targetILNS1_3genE3ELNS1_11target_archE908ELNS1_3gpuE7ELNS1_3repE0EEENS1_30default_config_static_selectorELNS0_4arch9wavefront6targetE0EEEvT1_.numbered_sgpr, 0
	.set _ZN7rocprim17ROCPRIM_400000_NS6detail17trampoline_kernelINS0_14default_configENS1_25partition_config_selectorILNS1_17partition_subalgoE8EhNS0_10empty_typeEbEEZZNS1_14partition_implILS5_8ELb0ES3_jPKhPS6_PKS6_NS0_5tupleIJPhS6_EEENSE_IJSB_SB_EEENS0_18inequality_wrapperIN6hipcub16HIPCUB_304000_NS8EqualityEEEPlJS6_EEE10hipError_tPvRmT3_T4_T5_T6_T7_T9_mT8_P12ihipStream_tbDpT10_ENKUlT_T0_E_clISt17integral_constantIbLb1EES16_IbLb0EEEEDaS12_S13_EUlS12_E_NS1_11comp_targetILNS1_3genE3ELNS1_11target_archE908ELNS1_3gpuE7ELNS1_3repE0EEENS1_30default_config_static_selectorELNS0_4arch9wavefront6targetE0EEEvT1_.num_named_barrier, 0
	.set _ZN7rocprim17ROCPRIM_400000_NS6detail17trampoline_kernelINS0_14default_configENS1_25partition_config_selectorILNS1_17partition_subalgoE8EhNS0_10empty_typeEbEEZZNS1_14partition_implILS5_8ELb0ES3_jPKhPS6_PKS6_NS0_5tupleIJPhS6_EEENSE_IJSB_SB_EEENS0_18inequality_wrapperIN6hipcub16HIPCUB_304000_NS8EqualityEEEPlJS6_EEE10hipError_tPvRmT3_T4_T5_T6_T7_T9_mT8_P12ihipStream_tbDpT10_ENKUlT_T0_E_clISt17integral_constantIbLb1EES16_IbLb0EEEEDaS12_S13_EUlS12_E_NS1_11comp_targetILNS1_3genE3ELNS1_11target_archE908ELNS1_3gpuE7ELNS1_3repE0EEENS1_30default_config_static_selectorELNS0_4arch9wavefront6targetE0EEEvT1_.private_seg_size, 0
	.set _ZN7rocprim17ROCPRIM_400000_NS6detail17trampoline_kernelINS0_14default_configENS1_25partition_config_selectorILNS1_17partition_subalgoE8EhNS0_10empty_typeEbEEZZNS1_14partition_implILS5_8ELb0ES3_jPKhPS6_PKS6_NS0_5tupleIJPhS6_EEENSE_IJSB_SB_EEENS0_18inequality_wrapperIN6hipcub16HIPCUB_304000_NS8EqualityEEEPlJS6_EEE10hipError_tPvRmT3_T4_T5_T6_T7_T9_mT8_P12ihipStream_tbDpT10_ENKUlT_T0_E_clISt17integral_constantIbLb1EES16_IbLb0EEEEDaS12_S13_EUlS12_E_NS1_11comp_targetILNS1_3genE3ELNS1_11target_archE908ELNS1_3gpuE7ELNS1_3repE0EEENS1_30default_config_static_selectorELNS0_4arch9wavefront6targetE0EEEvT1_.uses_vcc, 0
	.set _ZN7rocprim17ROCPRIM_400000_NS6detail17trampoline_kernelINS0_14default_configENS1_25partition_config_selectorILNS1_17partition_subalgoE8EhNS0_10empty_typeEbEEZZNS1_14partition_implILS5_8ELb0ES3_jPKhPS6_PKS6_NS0_5tupleIJPhS6_EEENSE_IJSB_SB_EEENS0_18inequality_wrapperIN6hipcub16HIPCUB_304000_NS8EqualityEEEPlJS6_EEE10hipError_tPvRmT3_T4_T5_T6_T7_T9_mT8_P12ihipStream_tbDpT10_ENKUlT_T0_E_clISt17integral_constantIbLb1EES16_IbLb0EEEEDaS12_S13_EUlS12_E_NS1_11comp_targetILNS1_3genE3ELNS1_11target_archE908ELNS1_3gpuE7ELNS1_3repE0EEENS1_30default_config_static_selectorELNS0_4arch9wavefront6targetE0EEEvT1_.uses_flat_scratch, 0
	.set _ZN7rocprim17ROCPRIM_400000_NS6detail17trampoline_kernelINS0_14default_configENS1_25partition_config_selectorILNS1_17partition_subalgoE8EhNS0_10empty_typeEbEEZZNS1_14partition_implILS5_8ELb0ES3_jPKhPS6_PKS6_NS0_5tupleIJPhS6_EEENSE_IJSB_SB_EEENS0_18inequality_wrapperIN6hipcub16HIPCUB_304000_NS8EqualityEEEPlJS6_EEE10hipError_tPvRmT3_T4_T5_T6_T7_T9_mT8_P12ihipStream_tbDpT10_ENKUlT_T0_E_clISt17integral_constantIbLb1EES16_IbLb0EEEEDaS12_S13_EUlS12_E_NS1_11comp_targetILNS1_3genE3ELNS1_11target_archE908ELNS1_3gpuE7ELNS1_3repE0EEENS1_30default_config_static_selectorELNS0_4arch9wavefront6targetE0EEEvT1_.has_dyn_sized_stack, 0
	.set _ZN7rocprim17ROCPRIM_400000_NS6detail17trampoline_kernelINS0_14default_configENS1_25partition_config_selectorILNS1_17partition_subalgoE8EhNS0_10empty_typeEbEEZZNS1_14partition_implILS5_8ELb0ES3_jPKhPS6_PKS6_NS0_5tupleIJPhS6_EEENSE_IJSB_SB_EEENS0_18inequality_wrapperIN6hipcub16HIPCUB_304000_NS8EqualityEEEPlJS6_EEE10hipError_tPvRmT3_T4_T5_T6_T7_T9_mT8_P12ihipStream_tbDpT10_ENKUlT_T0_E_clISt17integral_constantIbLb1EES16_IbLb0EEEEDaS12_S13_EUlS12_E_NS1_11comp_targetILNS1_3genE3ELNS1_11target_archE908ELNS1_3gpuE7ELNS1_3repE0EEENS1_30default_config_static_selectorELNS0_4arch9wavefront6targetE0EEEvT1_.has_recursion, 0
	.set _ZN7rocprim17ROCPRIM_400000_NS6detail17trampoline_kernelINS0_14default_configENS1_25partition_config_selectorILNS1_17partition_subalgoE8EhNS0_10empty_typeEbEEZZNS1_14partition_implILS5_8ELb0ES3_jPKhPS6_PKS6_NS0_5tupleIJPhS6_EEENSE_IJSB_SB_EEENS0_18inequality_wrapperIN6hipcub16HIPCUB_304000_NS8EqualityEEEPlJS6_EEE10hipError_tPvRmT3_T4_T5_T6_T7_T9_mT8_P12ihipStream_tbDpT10_ENKUlT_T0_E_clISt17integral_constantIbLb1EES16_IbLb0EEEEDaS12_S13_EUlS12_E_NS1_11comp_targetILNS1_3genE3ELNS1_11target_archE908ELNS1_3gpuE7ELNS1_3repE0EEENS1_30default_config_static_selectorELNS0_4arch9wavefront6targetE0EEEvT1_.has_indirect_call, 0
	.section	.AMDGPU.csdata,"",@progbits
; Kernel info:
; codeLenInByte = 0
; TotalNumSgprs: 0
; NumVgprs: 0
; ScratchSize: 0
; MemoryBound: 0
; FloatMode: 240
; IeeeMode: 1
; LDSByteSize: 0 bytes/workgroup (compile time only)
; SGPRBlocks: 0
; VGPRBlocks: 0
; NumSGPRsForWavesPerEU: 1
; NumVGPRsForWavesPerEU: 1
; NamedBarCnt: 0
; Occupancy: 16
; WaveLimiterHint : 0
; COMPUTE_PGM_RSRC2:SCRATCH_EN: 0
; COMPUTE_PGM_RSRC2:USER_SGPR: 2
; COMPUTE_PGM_RSRC2:TRAP_HANDLER: 0
; COMPUTE_PGM_RSRC2:TGID_X_EN: 1
; COMPUTE_PGM_RSRC2:TGID_Y_EN: 0
; COMPUTE_PGM_RSRC2:TGID_Z_EN: 0
; COMPUTE_PGM_RSRC2:TIDIG_COMP_CNT: 0
	.section	.text._ZN7rocprim17ROCPRIM_400000_NS6detail17trampoline_kernelINS0_14default_configENS1_25partition_config_selectorILNS1_17partition_subalgoE8EhNS0_10empty_typeEbEEZZNS1_14partition_implILS5_8ELb0ES3_jPKhPS6_PKS6_NS0_5tupleIJPhS6_EEENSE_IJSB_SB_EEENS0_18inequality_wrapperIN6hipcub16HIPCUB_304000_NS8EqualityEEEPlJS6_EEE10hipError_tPvRmT3_T4_T5_T6_T7_T9_mT8_P12ihipStream_tbDpT10_ENKUlT_T0_E_clISt17integral_constantIbLb1EES16_IbLb0EEEEDaS12_S13_EUlS12_E_NS1_11comp_targetILNS1_3genE2ELNS1_11target_archE906ELNS1_3gpuE6ELNS1_3repE0EEENS1_30default_config_static_selectorELNS0_4arch9wavefront6targetE0EEEvT1_,"axG",@progbits,_ZN7rocprim17ROCPRIM_400000_NS6detail17trampoline_kernelINS0_14default_configENS1_25partition_config_selectorILNS1_17partition_subalgoE8EhNS0_10empty_typeEbEEZZNS1_14partition_implILS5_8ELb0ES3_jPKhPS6_PKS6_NS0_5tupleIJPhS6_EEENSE_IJSB_SB_EEENS0_18inequality_wrapperIN6hipcub16HIPCUB_304000_NS8EqualityEEEPlJS6_EEE10hipError_tPvRmT3_T4_T5_T6_T7_T9_mT8_P12ihipStream_tbDpT10_ENKUlT_T0_E_clISt17integral_constantIbLb1EES16_IbLb0EEEEDaS12_S13_EUlS12_E_NS1_11comp_targetILNS1_3genE2ELNS1_11target_archE906ELNS1_3gpuE6ELNS1_3repE0EEENS1_30default_config_static_selectorELNS0_4arch9wavefront6targetE0EEEvT1_,comdat
	.protected	_ZN7rocprim17ROCPRIM_400000_NS6detail17trampoline_kernelINS0_14default_configENS1_25partition_config_selectorILNS1_17partition_subalgoE8EhNS0_10empty_typeEbEEZZNS1_14partition_implILS5_8ELb0ES3_jPKhPS6_PKS6_NS0_5tupleIJPhS6_EEENSE_IJSB_SB_EEENS0_18inequality_wrapperIN6hipcub16HIPCUB_304000_NS8EqualityEEEPlJS6_EEE10hipError_tPvRmT3_T4_T5_T6_T7_T9_mT8_P12ihipStream_tbDpT10_ENKUlT_T0_E_clISt17integral_constantIbLb1EES16_IbLb0EEEEDaS12_S13_EUlS12_E_NS1_11comp_targetILNS1_3genE2ELNS1_11target_archE906ELNS1_3gpuE6ELNS1_3repE0EEENS1_30default_config_static_selectorELNS0_4arch9wavefront6targetE0EEEvT1_ ; -- Begin function _ZN7rocprim17ROCPRIM_400000_NS6detail17trampoline_kernelINS0_14default_configENS1_25partition_config_selectorILNS1_17partition_subalgoE8EhNS0_10empty_typeEbEEZZNS1_14partition_implILS5_8ELb0ES3_jPKhPS6_PKS6_NS0_5tupleIJPhS6_EEENSE_IJSB_SB_EEENS0_18inequality_wrapperIN6hipcub16HIPCUB_304000_NS8EqualityEEEPlJS6_EEE10hipError_tPvRmT3_T4_T5_T6_T7_T9_mT8_P12ihipStream_tbDpT10_ENKUlT_T0_E_clISt17integral_constantIbLb1EES16_IbLb0EEEEDaS12_S13_EUlS12_E_NS1_11comp_targetILNS1_3genE2ELNS1_11target_archE906ELNS1_3gpuE6ELNS1_3repE0EEENS1_30default_config_static_selectorELNS0_4arch9wavefront6targetE0EEEvT1_
	.globl	_ZN7rocprim17ROCPRIM_400000_NS6detail17trampoline_kernelINS0_14default_configENS1_25partition_config_selectorILNS1_17partition_subalgoE8EhNS0_10empty_typeEbEEZZNS1_14partition_implILS5_8ELb0ES3_jPKhPS6_PKS6_NS0_5tupleIJPhS6_EEENSE_IJSB_SB_EEENS0_18inequality_wrapperIN6hipcub16HIPCUB_304000_NS8EqualityEEEPlJS6_EEE10hipError_tPvRmT3_T4_T5_T6_T7_T9_mT8_P12ihipStream_tbDpT10_ENKUlT_T0_E_clISt17integral_constantIbLb1EES16_IbLb0EEEEDaS12_S13_EUlS12_E_NS1_11comp_targetILNS1_3genE2ELNS1_11target_archE906ELNS1_3gpuE6ELNS1_3repE0EEENS1_30default_config_static_selectorELNS0_4arch9wavefront6targetE0EEEvT1_
	.p2align	8
	.type	_ZN7rocprim17ROCPRIM_400000_NS6detail17trampoline_kernelINS0_14default_configENS1_25partition_config_selectorILNS1_17partition_subalgoE8EhNS0_10empty_typeEbEEZZNS1_14partition_implILS5_8ELb0ES3_jPKhPS6_PKS6_NS0_5tupleIJPhS6_EEENSE_IJSB_SB_EEENS0_18inequality_wrapperIN6hipcub16HIPCUB_304000_NS8EqualityEEEPlJS6_EEE10hipError_tPvRmT3_T4_T5_T6_T7_T9_mT8_P12ihipStream_tbDpT10_ENKUlT_T0_E_clISt17integral_constantIbLb1EES16_IbLb0EEEEDaS12_S13_EUlS12_E_NS1_11comp_targetILNS1_3genE2ELNS1_11target_archE906ELNS1_3gpuE6ELNS1_3repE0EEENS1_30default_config_static_selectorELNS0_4arch9wavefront6targetE0EEEvT1_,@function
_ZN7rocprim17ROCPRIM_400000_NS6detail17trampoline_kernelINS0_14default_configENS1_25partition_config_selectorILNS1_17partition_subalgoE8EhNS0_10empty_typeEbEEZZNS1_14partition_implILS5_8ELb0ES3_jPKhPS6_PKS6_NS0_5tupleIJPhS6_EEENSE_IJSB_SB_EEENS0_18inequality_wrapperIN6hipcub16HIPCUB_304000_NS8EqualityEEEPlJS6_EEE10hipError_tPvRmT3_T4_T5_T6_T7_T9_mT8_P12ihipStream_tbDpT10_ENKUlT_T0_E_clISt17integral_constantIbLb1EES16_IbLb0EEEEDaS12_S13_EUlS12_E_NS1_11comp_targetILNS1_3genE2ELNS1_11target_archE906ELNS1_3gpuE6ELNS1_3repE0EEENS1_30default_config_static_selectorELNS0_4arch9wavefront6targetE0EEEvT1_: ; @_ZN7rocprim17ROCPRIM_400000_NS6detail17trampoline_kernelINS0_14default_configENS1_25partition_config_selectorILNS1_17partition_subalgoE8EhNS0_10empty_typeEbEEZZNS1_14partition_implILS5_8ELb0ES3_jPKhPS6_PKS6_NS0_5tupleIJPhS6_EEENSE_IJSB_SB_EEENS0_18inequality_wrapperIN6hipcub16HIPCUB_304000_NS8EqualityEEEPlJS6_EEE10hipError_tPvRmT3_T4_T5_T6_T7_T9_mT8_P12ihipStream_tbDpT10_ENKUlT_T0_E_clISt17integral_constantIbLb1EES16_IbLb0EEEEDaS12_S13_EUlS12_E_NS1_11comp_targetILNS1_3genE2ELNS1_11target_archE906ELNS1_3gpuE6ELNS1_3repE0EEENS1_30default_config_static_selectorELNS0_4arch9wavefront6targetE0EEEvT1_
; %bb.0:
	.section	.rodata,"a",@progbits
	.p2align	6, 0x0
	.amdhsa_kernel _ZN7rocprim17ROCPRIM_400000_NS6detail17trampoline_kernelINS0_14default_configENS1_25partition_config_selectorILNS1_17partition_subalgoE8EhNS0_10empty_typeEbEEZZNS1_14partition_implILS5_8ELb0ES3_jPKhPS6_PKS6_NS0_5tupleIJPhS6_EEENSE_IJSB_SB_EEENS0_18inequality_wrapperIN6hipcub16HIPCUB_304000_NS8EqualityEEEPlJS6_EEE10hipError_tPvRmT3_T4_T5_T6_T7_T9_mT8_P12ihipStream_tbDpT10_ENKUlT_T0_E_clISt17integral_constantIbLb1EES16_IbLb0EEEEDaS12_S13_EUlS12_E_NS1_11comp_targetILNS1_3genE2ELNS1_11target_archE906ELNS1_3gpuE6ELNS1_3repE0EEENS1_30default_config_static_selectorELNS0_4arch9wavefront6targetE0EEEvT1_
		.amdhsa_group_segment_fixed_size 0
		.amdhsa_private_segment_fixed_size 0
		.amdhsa_kernarg_size 112
		.amdhsa_user_sgpr_count 2
		.amdhsa_user_sgpr_dispatch_ptr 0
		.amdhsa_user_sgpr_queue_ptr 0
		.amdhsa_user_sgpr_kernarg_segment_ptr 1
		.amdhsa_user_sgpr_dispatch_id 0
		.amdhsa_user_sgpr_kernarg_preload_length 0
		.amdhsa_user_sgpr_kernarg_preload_offset 0
		.amdhsa_user_sgpr_private_segment_size 0
		.amdhsa_wavefront_size32 1
		.amdhsa_uses_dynamic_stack 0
		.amdhsa_enable_private_segment 0
		.amdhsa_system_sgpr_workgroup_id_x 1
		.amdhsa_system_sgpr_workgroup_id_y 0
		.amdhsa_system_sgpr_workgroup_id_z 0
		.amdhsa_system_sgpr_workgroup_info 0
		.amdhsa_system_vgpr_workitem_id 0
		.amdhsa_next_free_vgpr 1
		.amdhsa_next_free_sgpr 1
		.amdhsa_named_barrier_count 0
		.amdhsa_reserve_vcc 0
		.amdhsa_float_round_mode_32 0
		.amdhsa_float_round_mode_16_64 0
		.amdhsa_float_denorm_mode_32 3
		.amdhsa_float_denorm_mode_16_64 3
		.amdhsa_fp16_overflow 0
		.amdhsa_memory_ordered 1
		.amdhsa_forward_progress 1
		.amdhsa_inst_pref_size 0
		.amdhsa_round_robin_scheduling 0
		.amdhsa_exception_fp_ieee_invalid_op 0
		.amdhsa_exception_fp_denorm_src 0
		.amdhsa_exception_fp_ieee_div_zero 0
		.amdhsa_exception_fp_ieee_overflow 0
		.amdhsa_exception_fp_ieee_underflow 0
		.amdhsa_exception_fp_ieee_inexact 0
		.amdhsa_exception_int_div_zero 0
	.end_amdhsa_kernel
	.section	.text._ZN7rocprim17ROCPRIM_400000_NS6detail17trampoline_kernelINS0_14default_configENS1_25partition_config_selectorILNS1_17partition_subalgoE8EhNS0_10empty_typeEbEEZZNS1_14partition_implILS5_8ELb0ES3_jPKhPS6_PKS6_NS0_5tupleIJPhS6_EEENSE_IJSB_SB_EEENS0_18inequality_wrapperIN6hipcub16HIPCUB_304000_NS8EqualityEEEPlJS6_EEE10hipError_tPvRmT3_T4_T5_T6_T7_T9_mT8_P12ihipStream_tbDpT10_ENKUlT_T0_E_clISt17integral_constantIbLb1EES16_IbLb0EEEEDaS12_S13_EUlS12_E_NS1_11comp_targetILNS1_3genE2ELNS1_11target_archE906ELNS1_3gpuE6ELNS1_3repE0EEENS1_30default_config_static_selectorELNS0_4arch9wavefront6targetE0EEEvT1_,"axG",@progbits,_ZN7rocprim17ROCPRIM_400000_NS6detail17trampoline_kernelINS0_14default_configENS1_25partition_config_selectorILNS1_17partition_subalgoE8EhNS0_10empty_typeEbEEZZNS1_14partition_implILS5_8ELb0ES3_jPKhPS6_PKS6_NS0_5tupleIJPhS6_EEENSE_IJSB_SB_EEENS0_18inequality_wrapperIN6hipcub16HIPCUB_304000_NS8EqualityEEEPlJS6_EEE10hipError_tPvRmT3_T4_T5_T6_T7_T9_mT8_P12ihipStream_tbDpT10_ENKUlT_T0_E_clISt17integral_constantIbLb1EES16_IbLb0EEEEDaS12_S13_EUlS12_E_NS1_11comp_targetILNS1_3genE2ELNS1_11target_archE906ELNS1_3gpuE6ELNS1_3repE0EEENS1_30default_config_static_selectorELNS0_4arch9wavefront6targetE0EEEvT1_,comdat
.Lfunc_end154:
	.size	_ZN7rocprim17ROCPRIM_400000_NS6detail17trampoline_kernelINS0_14default_configENS1_25partition_config_selectorILNS1_17partition_subalgoE8EhNS0_10empty_typeEbEEZZNS1_14partition_implILS5_8ELb0ES3_jPKhPS6_PKS6_NS0_5tupleIJPhS6_EEENSE_IJSB_SB_EEENS0_18inequality_wrapperIN6hipcub16HIPCUB_304000_NS8EqualityEEEPlJS6_EEE10hipError_tPvRmT3_T4_T5_T6_T7_T9_mT8_P12ihipStream_tbDpT10_ENKUlT_T0_E_clISt17integral_constantIbLb1EES16_IbLb0EEEEDaS12_S13_EUlS12_E_NS1_11comp_targetILNS1_3genE2ELNS1_11target_archE906ELNS1_3gpuE6ELNS1_3repE0EEENS1_30default_config_static_selectorELNS0_4arch9wavefront6targetE0EEEvT1_, .Lfunc_end154-_ZN7rocprim17ROCPRIM_400000_NS6detail17trampoline_kernelINS0_14default_configENS1_25partition_config_selectorILNS1_17partition_subalgoE8EhNS0_10empty_typeEbEEZZNS1_14partition_implILS5_8ELb0ES3_jPKhPS6_PKS6_NS0_5tupleIJPhS6_EEENSE_IJSB_SB_EEENS0_18inequality_wrapperIN6hipcub16HIPCUB_304000_NS8EqualityEEEPlJS6_EEE10hipError_tPvRmT3_T4_T5_T6_T7_T9_mT8_P12ihipStream_tbDpT10_ENKUlT_T0_E_clISt17integral_constantIbLb1EES16_IbLb0EEEEDaS12_S13_EUlS12_E_NS1_11comp_targetILNS1_3genE2ELNS1_11target_archE906ELNS1_3gpuE6ELNS1_3repE0EEENS1_30default_config_static_selectorELNS0_4arch9wavefront6targetE0EEEvT1_
                                        ; -- End function
	.set _ZN7rocprim17ROCPRIM_400000_NS6detail17trampoline_kernelINS0_14default_configENS1_25partition_config_selectorILNS1_17partition_subalgoE8EhNS0_10empty_typeEbEEZZNS1_14partition_implILS5_8ELb0ES3_jPKhPS6_PKS6_NS0_5tupleIJPhS6_EEENSE_IJSB_SB_EEENS0_18inequality_wrapperIN6hipcub16HIPCUB_304000_NS8EqualityEEEPlJS6_EEE10hipError_tPvRmT3_T4_T5_T6_T7_T9_mT8_P12ihipStream_tbDpT10_ENKUlT_T0_E_clISt17integral_constantIbLb1EES16_IbLb0EEEEDaS12_S13_EUlS12_E_NS1_11comp_targetILNS1_3genE2ELNS1_11target_archE906ELNS1_3gpuE6ELNS1_3repE0EEENS1_30default_config_static_selectorELNS0_4arch9wavefront6targetE0EEEvT1_.num_vgpr, 0
	.set _ZN7rocprim17ROCPRIM_400000_NS6detail17trampoline_kernelINS0_14default_configENS1_25partition_config_selectorILNS1_17partition_subalgoE8EhNS0_10empty_typeEbEEZZNS1_14partition_implILS5_8ELb0ES3_jPKhPS6_PKS6_NS0_5tupleIJPhS6_EEENSE_IJSB_SB_EEENS0_18inequality_wrapperIN6hipcub16HIPCUB_304000_NS8EqualityEEEPlJS6_EEE10hipError_tPvRmT3_T4_T5_T6_T7_T9_mT8_P12ihipStream_tbDpT10_ENKUlT_T0_E_clISt17integral_constantIbLb1EES16_IbLb0EEEEDaS12_S13_EUlS12_E_NS1_11comp_targetILNS1_3genE2ELNS1_11target_archE906ELNS1_3gpuE6ELNS1_3repE0EEENS1_30default_config_static_selectorELNS0_4arch9wavefront6targetE0EEEvT1_.num_agpr, 0
	.set _ZN7rocprim17ROCPRIM_400000_NS6detail17trampoline_kernelINS0_14default_configENS1_25partition_config_selectorILNS1_17partition_subalgoE8EhNS0_10empty_typeEbEEZZNS1_14partition_implILS5_8ELb0ES3_jPKhPS6_PKS6_NS0_5tupleIJPhS6_EEENSE_IJSB_SB_EEENS0_18inequality_wrapperIN6hipcub16HIPCUB_304000_NS8EqualityEEEPlJS6_EEE10hipError_tPvRmT3_T4_T5_T6_T7_T9_mT8_P12ihipStream_tbDpT10_ENKUlT_T0_E_clISt17integral_constantIbLb1EES16_IbLb0EEEEDaS12_S13_EUlS12_E_NS1_11comp_targetILNS1_3genE2ELNS1_11target_archE906ELNS1_3gpuE6ELNS1_3repE0EEENS1_30default_config_static_selectorELNS0_4arch9wavefront6targetE0EEEvT1_.numbered_sgpr, 0
	.set _ZN7rocprim17ROCPRIM_400000_NS6detail17trampoline_kernelINS0_14default_configENS1_25partition_config_selectorILNS1_17partition_subalgoE8EhNS0_10empty_typeEbEEZZNS1_14partition_implILS5_8ELb0ES3_jPKhPS6_PKS6_NS0_5tupleIJPhS6_EEENSE_IJSB_SB_EEENS0_18inequality_wrapperIN6hipcub16HIPCUB_304000_NS8EqualityEEEPlJS6_EEE10hipError_tPvRmT3_T4_T5_T6_T7_T9_mT8_P12ihipStream_tbDpT10_ENKUlT_T0_E_clISt17integral_constantIbLb1EES16_IbLb0EEEEDaS12_S13_EUlS12_E_NS1_11comp_targetILNS1_3genE2ELNS1_11target_archE906ELNS1_3gpuE6ELNS1_3repE0EEENS1_30default_config_static_selectorELNS0_4arch9wavefront6targetE0EEEvT1_.num_named_barrier, 0
	.set _ZN7rocprim17ROCPRIM_400000_NS6detail17trampoline_kernelINS0_14default_configENS1_25partition_config_selectorILNS1_17partition_subalgoE8EhNS0_10empty_typeEbEEZZNS1_14partition_implILS5_8ELb0ES3_jPKhPS6_PKS6_NS0_5tupleIJPhS6_EEENSE_IJSB_SB_EEENS0_18inequality_wrapperIN6hipcub16HIPCUB_304000_NS8EqualityEEEPlJS6_EEE10hipError_tPvRmT3_T4_T5_T6_T7_T9_mT8_P12ihipStream_tbDpT10_ENKUlT_T0_E_clISt17integral_constantIbLb1EES16_IbLb0EEEEDaS12_S13_EUlS12_E_NS1_11comp_targetILNS1_3genE2ELNS1_11target_archE906ELNS1_3gpuE6ELNS1_3repE0EEENS1_30default_config_static_selectorELNS0_4arch9wavefront6targetE0EEEvT1_.private_seg_size, 0
	.set _ZN7rocprim17ROCPRIM_400000_NS6detail17trampoline_kernelINS0_14default_configENS1_25partition_config_selectorILNS1_17partition_subalgoE8EhNS0_10empty_typeEbEEZZNS1_14partition_implILS5_8ELb0ES3_jPKhPS6_PKS6_NS0_5tupleIJPhS6_EEENSE_IJSB_SB_EEENS0_18inequality_wrapperIN6hipcub16HIPCUB_304000_NS8EqualityEEEPlJS6_EEE10hipError_tPvRmT3_T4_T5_T6_T7_T9_mT8_P12ihipStream_tbDpT10_ENKUlT_T0_E_clISt17integral_constantIbLb1EES16_IbLb0EEEEDaS12_S13_EUlS12_E_NS1_11comp_targetILNS1_3genE2ELNS1_11target_archE906ELNS1_3gpuE6ELNS1_3repE0EEENS1_30default_config_static_selectorELNS0_4arch9wavefront6targetE0EEEvT1_.uses_vcc, 0
	.set _ZN7rocprim17ROCPRIM_400000_NS6detail17trampoline_kernelINS0_14default_configENS1_25partition_config_selectorILNS1_17partition_subalgoE8EhNS0_10empty_typeEbEEZZNS1_14partition_implILS5_8ELb0ES3_jPKhPS6_PKS6_NS0_5tupleIJPhS6_EEENSE_IJSB_SB_EEENS0_18inequality_wrapperIN6hipcub16HIPCUB_304000_NS8EqualityEEEPlJS6_EEE10hipError_tPvRmT3_T4_T5_T6_T7_T9_mT8_P12ihipStream_tbDpT10_ENKUlT_T0_E_clISt17integral_constantIbLb1EES16_IbLb0EEEEDaS12_S13_EUlS12_E_NS1_11comp_targetILNS1_3genE2ELNS1_11target_archE906ELNS1_3gpuE6ELNS1_3repE0EEENS1_30default_config_static_selectorELNS0_4arch9wavefront6targetE0EEEvT1_.uses_flat_scratch, 0
	.set _ZN7rocprim17ROCPRIM_400000_NS6detail17trampoline_kernelINS0_14default_configENS1_25partition_config_selectorILNS1_17partition_subalgoE8EhNS0_10empty_typeEbEEZZNS1_14partition_implILS5_8ELb0ES3_jPKhPS6_PKS6_NS0_5tupleIJPhS6_EEENSE_IJSB_SB_EEENS0_18inequality_wrapperIN6hipcub16HIPCUB_304000_NS8EqualityEEEPlJS6_EEE10hipError_tPvRmT3_T4_T5_T6_T7_T9_mT8_P12ihipStream_tbDpT10_ENKUlT_T0_E_clISt17integral_constantIbLb1EES16_IbLb0EEEEDaS12_S13_EUlS12_E_NS1_11comp_targetILNS1_3genE2ELNS1_11target_archE906ELNS1_3gpuE6ELNS1_3repE0EEENS1_30default_config_static_selectorELNS0_4arch9wavefront6targetE0EEEvT1_.has_dyn_sized_stack, 0
	.set _ZN7rocprim17ROCPRIM_400000_NS6detail17trampoline_kernelINS0_14default_configENS1_25partition_config_selectorILNS1_17partition_subalgoE8EhNS0_10empty_typeEbEEZZNS1_14partition_implILS5_8ELb0ES3_jPKhPS6_PKS6_NS0_5tupleIJPhS6_EEENSE_IJSB_SB_EEENS0_18inequality_wrapperIN6hipcub16HIPCUB_304000_NS8EqualityEEEPlJS6_EEE10hipError_tPvRmT3_T4_T5_T6_T7_T9_mT8_P12ihipStream_tbDpT10_ENKUlT_T0_E_clISt17integral_constantIbLb1EES16_IbLb0EEEEDaS12_S13_EUlS12_E_NS1_11comp_targetILNS1_3genE2ELNS1_11target_archE906ELNS1_3gpuE6ELNS1_3repE0EEENS1_30default_config_static_selectorELNS0_4arch9wavefront6targetE0EEEvT1_.has_recursion, 0
	.set _ZN7rocprim17ROCPRIM_400000_NS6detail17trampoline_kernelINS0_14default_configENS1_25partition_config_selectorILNS1_17partition_subalgoE8EhNS0_10empty_typeEbEEZZNS1_14partition_implILS5_8ELb0ES3_jPKhPS6_PKS6_NS0_5tupleIJPhS6_EEENSE_IJSB_SB_EEENS0_18inequality_wrapperIN6hipcub16HIPCUB_304000_NS8EqualityEEEPlJS6_EEE10hipError_tPvRmT3_T4_T5_T6_T7_T9_mT8_P12ihipStream_tbDpT10_ENKUlT_T0_E_clISt17integral_constantIbLb1EES16_IbLb0EEEEDaS12_S13_EUlS12_E_NS1_11comp_targetILNS1_3genE2ELNS1_11target_archE906ELNS1_3gpuE6ELNS1_3repE0EEENS1_30default_config_static_selectorELNS0_4arch9wavefront6targetE0EEEvT1_.has_indirect_call, 0
	.section	.AMDGPU.csdata,"",@progbits
; Kernel info:
; codeLenInByte = 0
; TotalNumSgprs: 0
; NumVgprs: 0
; ScratchSize: 0
; MemoryBound: 0
; FloatMode: 240
; IeeeMode: 1
; LDSByteSize: 0 bytes/workgroup (compile time only)
; SGPRBlocks: 0
; VGPRBlocks: 0
; NumSGPRsForWavesPerEU: 1
; NumVGPRsForWavesPerEU: 1
; NamedBarCnt: 0
; Occupancy: 16
; WaveLimiterHint : 0
; COMPUTE_PGM_RSRC2:SCRATCH_EN: 0
; COMPUTE_PGM_RSRC2:USER_SGPR: 2
; COMPUTE_PGM_RSRC2:TRAP_HANDLER: 0
; COMPUTE_PGM_RSRC2:TGID_X_EN: 1
; COMPUTE_PGM_RSRC2:TGID_Y_EN: 0
; COMPUTE_PGM_RSRC2:TGID_Z_EN: 0
; COMPUTE_PGM_RSRC2:TIDIG_COMP_CNT: 0
	.section	.text._ZN7rocprim17ROCPRIM_400000_NS6detail17trampoline_kernelINS0_14default_configENS1_25partition_config_selectorILNS1_17partition_subalgoE8EhNS0_10empty_typeEbEEZZNS1_14partition_implILS5_8ELb0ES3_jPKhPS6_PKS6_NS0_5tupleIJPhS6_EEENSE_IJSB_SB_EEENS0_18inequality_wrapperIN6hipcub16HIPCUB_304000_NS8EqualityEEEPlJS6_EEE10hipError_tPvRmT3_T4_T5_T6_T7_T9_mT8_P12ihipStream_tbDpT10_ENKUlT_T0_E_clISt17integral_constantIbLb1EES16_IbLb0EEEEDaS12_S13_EUlS12_E_NS1_11comp_targetILNS1_3genE10ELNS1_11target_archE1200ELNS1_3gpuE4ELNS1_3repE0EEENS1_30default_config_static_selectorELNS0_4arch9wavefront6targetE0EEEvT1_,"axG",@progbits,_ZN7rocprim17ROCPRIM_400000_NS6detail17trampoline_kernelINS0_14default_configENS1_25partition_config_selectorILNS1_17partition_subalgoE8EhNS0_10empty_typeEbEEZZNS1_14partition_implILS5_8ELb0ES3_jPKhPS6_PKS6_NS0_5tupleIJPhS6_EEENSE_IJSB_SB_EEENS0_18inequality_wrapperIN6hipcub16HIPCUB_304000_NS8EqualityEEEPlJS6_EEE10hipError_tPvRmT3_T4_T5_T6_T7_T9_mT8_P12ihipStream_tbDpT10_ENKUlT_T0_E_clISt17integral_constantIbLb1EES16_IbLb0EEEEDaS12_S13_EUlS12_E_NS1_11comp_targetILNS1_3genE10ELNS1_11target_archE1200ELNS1_3gpuE4ELNS1_3repE0EEENS1_30default_config_static_selectorELNS0_4arch9wavefront6targetE0EEEvT1_,comdat
	.protected	_ZN7rocprim17ROCPRIM_400000_NS6detail17trampoline_kernelINS0_14default_configENS1_25partition_config_selectorILNS1_17partition_subalgoE8EhNS0_10empty_typeEbEEZZNS1_14partition_implILS5_8ELb0ES3_jPKhPS6_PKS6_NS0_5tupleIJPhS6_EEENSE_IJSB_SB_EEENS0_18inequality_wrapperIN6hipcub16HIPCUB_304000_NS8EqualityEEEPlJS6_EEE10hipError_tPvRmT3_T4_T5_T6_T7_T9_mT8_P12ihipStream_tbDpT10_ENKUlT_T0_E_clISt17integral_constantIbLb1EES16_IbLb0EEEEDaS12_S13_EUlS12_E_NS1_11comp_targetILNS1_3genE10ELNS1_11target_archE1200ELNS1_3gpuE4ELNS1_3repE0EEENS1_30default_config_static_selectorELNS0_4arch9wavefront6targetE0EEEvT1_ ; -- Begin function _ZN7rocprim17ROCPRIM_400000_NS6detail17trampoline_kernelINS0_14default_configENS1_25partition_config_selectorILNS1_17partition_subalgoE8EhNS0_10empty_typeEbEEZZNS1_14partition_implILS5_8ELb0ES3_jPKhPS6_PKS6_NS0_5tupleIJPhS6_EEENSE_IJSB_SB_EEENS0_18inequality_wrapperIN6hipcub16HIPCUB_304000_NS8EqualityEEEPlJS6_EEE10hipError_tPvRmT3_T4_T5_T6_T7_T9_mT8_P12ihipStream_tbDpT10_ENKUlT_T0_E_clISt17integral_constantIbLb1EES16_IbLb0EEEEDaS12_S13_EUlS12_E_NS1_11comp_targetILNS1_3genE10ELNS1_11target_archE1200ELNS1_3gpuE4ELNS1_3repE0EEENS1_30default_config_static_selectorELNS0_4arch9wavefront6targetE0EEEvT1_
	.globl	_ZN7rocprim17ROCPRIM_400000_NS6detail17trampoline_kernelINS0_14default_configENS1_25partition_config_selectorILNS1_17partition_subalgoE8EhNS0_10empty_typeEbEEZZNS1_14partition_implILS5_8ELb0ES3_jPKhPS6_PKS6_NS0_5tupleIJPhS6_EEENSE_IJSB_SB_EEENS0_18inequality_wrapperIN6hipcub16HIPCUB_304000_NS8EqualityEEEPlJS6_EEE10hipError_tPvRmT3_T4_T5_T6_T7_T9_mT8_P12ihipStream_tbDpT10_ENKUlT_T0_E_clISt17integral_constantIbLb1EES16_IbLb0EEEEDaS12_S13_EUlS12_E_NS1_11comp_targetILNS1_3genE10ELNS1_11target_archE1200ELNS1_3gpuE4ELNS1_3repE0EEENS1_30default_config_static_selectorELNS0_4arch9wavefront6targetE0EEEvT1_
	.p2align	8
	.type	_ZN7rocprim17ROCPRIM_400000_NS6detail17trampoline_kernelINS0_14default_configENS1_25partition_config_selectorILNS1_17partition_subalgoE8EhNS0_10empty_typeEbEEZZNS1_14partition_implILS5_8ELb0ES3_jPKhPS6_PKS6_NS0_5tupleIJPhS6_EEENSE_IJSB_SB_EEENS0_18inequality_wrapperIN6hipcub16HIPCUB_304000_NS8EqualityEEEPlJS6_EEE10hipError_tPvRmT3_T4_T5_T6_T7_T9_mT8_P12ihipStream_tbDpT10_ENKUlT_T0_E_clISt17integral_constantIbLb1EES16_IbLb0EEEEDaS12_S13_EUlS12_E_NS1_11comp_targetILNS1_3genE10ELNS1_11target_archE1200ELNS1_3gpuE4ELNS1_3repE0EEENS1_30default_config_static_selectorELNS0_4arch9wavefront6targetE0EEEvT1_,@function
_ZN7rocprim17ROCPRIM_400000_NS6detail17trampoline_kernelINS0_14default_configENS1_25partition_config_selectorILNS1_17partition_subalgoE8EhNS0_10empty_typeEbEEZZNS1_14partition_implILS5_8ELb0ES3_jPKhPS6_PKS6_NS0_5tupleIJPhS6_EEENSE_IJSB_SB_EEENS0_18inequality_wrapperIN6hipcub16HIPCUB_304000_NS8EqualityEEEPlJS6_EEE10hipError_tPvRmT3_T4_T5_T6_T7_T9_mT8_P12ihipStream_tbDpT10_ENKUlT_T0_E_clISt17integral_constantIbLb1EES16_IbLb0EEEEDaS12_S13_EUlS12_E_NS1_11comp_targetILNS1_3genE10ELNS1_11target_archE1200ELNS1_3gpuE4ELNS1_3repE0EEENS1_30default_config_static_selectorELNS0_4arch9wavefront6targetE0EEEvT1_: ; @_ZN7rocprim17ROCPRIM_400000_NS6detail17trampoline_kernelINS0_14default_configENS1_25partition_config_selectorILNS1_17partition_subalgoE8EhNS0_10empty_typeEbEEZZNS1_14partition_implILS5_8ELb0ES3_jPKhPS6_PKS6_NS0_5tupleIJPhS6_EEENSE_IJSB_SB_EEENS0_18inequality_wrapperIN6hipcub16HIPCUB_304000_NS8EqualityEEEPlJS6_EEE10hipError_tPvRmT3_T4_T5_T6_T7_T9_mT8_P12ihipStream_tbDpT10_ENKUlT_T0_E_clISt17integral_constantIbLb1EES16_IbLb0EEEEDaS12_S13_EUlS12_E_NS1_11comp_targetILNS1_3genE10ELNS1_11target_archE1200ELNS1_3gpuE4ELNS1_3repE0EEENS1_30default_config_static_selectorELNS0_4arch9wavefront6targetE0EEEvT1_
; %bb.0:
	.section	.rodata,"a",@progbits
	.p2align	6, 0x0
	.amdhsa_kernel _ZN7rocprim17ROCPRIM_400000_NS6detail17trampoline_kernelINS0_14default_configENS1_25partition_config_selectorILNS1_17partition_subalgoE8EhNS0_10empty_typeEbEEZZNS1_14partition_implILS5_8ELb0ES3_jPKhPS6_PKS6_NS0_5tupleIJPhS6_EEENSE_IJSB_SB_EEENS0_18inequality_wrapperIN6hipcub16HIPCUB_304000_NS8EqualityEEEPlJS6_EEE10hipError_tPvRmT3_T4_T5_T6_T7_T9_mT8_P12ihipStream_tbDpT10_ENKUlT_T0_E_clISt17integral_constantIbLb1EES16_IbLb0EEEEDaS12_S13_EUlS12_E_NS1_11comp_targetILNS1_3genE10ELNS1_11target_archE1200ELNS1_3gpuE4ELNS1_3repE0EEENS1_30default_config_static_selectorELNS0_4arch9wavefront6targetE0EEEvT1_
		.amdhsa_group_segment_fixed_size 0
		.amdhsa_private_segment_fixed_size 0
		.amdhsa_kernarg_size 112
		.amdhsa_user_sgpr_count 2
		.amdhsa_user_sgpr_dispatch_ptr 0
		.amdhsa_user_sgpr_queue_ptr 0
		.amdhsa_user_sgpr_kernarg_segment_ptr 1
		.amdhsa_user_sgpr_dispatch_id 0
		.amdhsa_user_sgpr_kernarg_preload_length 0
		.amdhsa_user_sgpr_kernarg_preload_offset 0
		.amdhsa_user_sgpr_private_segment_size 0
		.amdhsa_wavefront_size32 1
		.amdhsa_uses_dynamic_stack 0
		.amdhsa_enable_private_segment 0
		.amdhsa_system_sgpr_workgroup_id_x 1
		.amdhsa_system_sgpr_workgroup_id_y 0
		.amdhsa_system_sgpr_workgroup_id_z 0
		.amdhsa_system_sgpr_workgroup_info 0
		.amdhsa_system_vgpr_workitem_id 0
		.amdhsa_next_free_vgpr 1
		.amdhsa_next_free_sgpr 1
		.amdhsa_named_barrier_count 0
		.amdhsa_reserve_vcc 0
		.amdhsa_float_round_mode_32 0
		.amdhsa_float_round_mode_16_64 0
		.amdhsa_float_denorm_mode_32 3
		.amdhsa_float_denorm_mode_16_64 3
		.amdhsa_fp16_overflow 0
		.amdhsa_memory_ordered 1
		.amdhsa_forward_progress 1
		.amdhsa_inst_pref_size 0
		.amdhsa_round_robin_scheduling 0
		.amdhsa_exception_fp_ieee_invalid_op 0
		.amdhsa_exception_fp_denorm_src 0
		.amdhsa_exception_fp_ieee_div_zero 0
		.amdhsa_exception_fp_ieee_overflow 0
		.amdhsa_exception_fp_ieee_underflow 0
		.amdhsa_exception_fp_ieee_inexact 0
		.amdhsa_exception_int_div_zero 0
	.end_amdhsa_kernel
	.section	.text._ZN7rocprim17ROCPRIM_400000_NS6detail17trampoline_kernelINS0_14default_configENS1_25partition_config_selectorILNS1_17partition_subalgoE8EhNS0_10empty_typeEbEEZZNS1_14partition_implILS5_8ELb0ES3_jPKhPS6_PKS6_NS0_5tupleIJPhS6_EEENSE_IJSB_SB_EEENS0_18inequality_wrapperIN6hipcub16HIPCUB_304000_NS8EqualityEEEPlJS6_EEE10hipError_tPvRmT3_T4_T5_T6_T7_T9_mT8_P12ihipStream_tbDpT10_ENKUlT_T0_E_clISt17integral_constantIbLb1EES16_IbLb0EEEEDaS12_S13_EUlS12_E_NS1_11comp_targetILNS1_3genE10ELNS1_11target_archE1200ELNS1_3gpuE4ELNS1_3repE0EEENS1_30default_config_static_selectorELNS0_4arch9wavefront6targetE0EEEvT1_,"axG",@progbits,_ZN7rocprim17ROCPRIM_400000_NS6detail17trampoline_kernelINS0_14default_configENS1_25partition_config_selectorILNS1_17partition_subalgoE8EhNS0_10empty_typeEbEEZZNS1_14partition_implILS5_8ELb0ES3_jPKhPS6_PKS6_NS0_5tupleIJPhS6_EEENSE_IJSB_SB_EEENS0_18inequality_wrapperIN6hipcub16HIPCUB_304000_NS8EqualityEEEPlJS6_EEE10hipError_tPvRmT3_T4_T5_T6_T7_T9_mT8_P12ihipStream_tbDpT10_ENKUlT_T0_E_clISt17integral_constantIbLb1EES16_IbLb0EEEEDaS12_S13_EUlS12_E_NS1_11comp_targetILNS1_3genE10ELNS1_11target_archE1200ELNS1_3gpuE4ELNS1_3repE0EEENS1_30default_config_static_selectorELNS0_4arch9wavefront6targetE0EEEvT1_,comdat
.Lfunc_end155:
	.size	_ZN7rocprim17ROCPRIM_400000_NS6detail17trampoline_kernelINS0_14default_configENS1_25partition_config_selectorILNS1_17partition_subalgoE8EhNS0_10empty_typeEbEEZZNS1_14partition_implILS5_8ELb0ES3_jPKhPS6_PKS6_NS0_5tupleIJPhS6_EEENSE_IJSB_SB_EEENS0_18inequality_wrapperIN6hipcub16HIPCUB_304000_NS8EqualityEEEPlJS6_EEE10hipError_tPvRmT3_T4_T5_T6_T7_T9_mT8_P12ihipStream_tbDpT10_ENKUlT_T0_E_clISt17integral_constantIbLb1EES16_IbLb0EEEEDaS12_S13_EUlS12_E_NS1_11comp_targetILNS1_3genE10ELNS1_11target_archE1200ELNS1_3gpuE4ELNS1_3repE0EEENS1_30default_config_static_selectorELNS0_4arch9wavefront6targetE0EEEvT1_, .Lfunc_end155-_ZN7rocprim17ROCPRIM_400000_NS6detail17trampoline_kernelINS0_14default_configENS1_25partition_config_selectorILNS1_17partition_subalgoE8EhNS0_10empty_typeEbEEZZNS1_14partition_implILS5_8ELb0ES3_jPKhPS6_PKS6_NS0_5tupleIJPhS6_EEENSE_IJSB_SB_EEENS0_18inequality_wrapperIN6hipcub16HIPCUB_304000_NS8EqualityEEEPlJS6_EEE10hipError_tPvRmT3_T4_T5_T6_T7_T9_mT8_P12ihipStream_tbDpT10_ENKUlT_T0_E_clISt17integral_constantIbLb1EES16_IbLb0EEEEDaS12_S13_EUlS12_E_NS1_11comp_targetILNS1_3genE10ELNS1_11target_archE1200ELNS1_3gpuE4ELNS1_3repE0EEENS1_30default_config_static_selectorELNS0_4arch9wavefront6targetE0EEEvT1_
                                        ; -- End function
	.set _ZN7rocprim17ROCPRIM_400000_NS6detail17trampoline_kernelINS0_14default_configENS1_25partition_config_selectorILNS1_17partition_subalgoE8EhNS0_10empty_typeEbEEZZNS1_14partition_implILS5_8ELb0ES3_jPKhPS6_PKS6_NS0_5tupleIJPhS6_EEENSE_IJSB_SB_EEENS0_18inequality_wrapperIN6hipcub16HIPCUB_304000_NS8EqualityEEEPlJS6_EEE10hipError_tPvRmT3_T4_T5_T6_T7_T9_mT8_P12ihipStream_tbDpT10_ENKUlT_T0_E_clISt17integral_constantIbLb1EES16_IbLb0EEEEDaS12_S13_EUlS12_E_NS1_11comp_targetILNS1_3genE10ELNS1_11target_archE1200ELNS1_3gpuE4ELNS1_3repE0EEENS1_30default_config_static_selectorELNS0_4arch9wavefront6targetE0EEEvT1_.num_vgpr, 0
	.set _ZN7rocprim17ROCPRIM_400000_NS6detail17trampoline_kernelINS0_14default_configENS1_25partition_config_selectorILNS1_17partition_subalgoE8EhNS0_10empty_typeEbEEZZNS1_14partition_implILS5_8ELb0ES3_jPKhPS6_PKS6_NS0_5tupleIJPhS6_EEENSE_IJSB_SB_EEENS0_18inequality_wrapperIN6hipcub16HIPCUB_304000_NS8EqualityEEEPlJS6_EEE10hipError_tPvRmT3_T4_T5_T6_T7_T9_mT8_P12ihipStream_tbDpT10_ENKUlT_T0_E_clISt17integral_constantIbLb1EES16_IbLb0EEEEDaS12_S13_EUlS12_E_NS1_11comp_targetILNS1_3genE10ELNS1_11target_archE1200ELNS1_3gpuE4ELNS1_3repE0EEENS1_30default_config_static_selectorELNS0_4arch9wavefront6targetE0EEEvT1_.num_agpr, 0
	.set _ZN7rocprim17ROCPRIM_400000_NS6detail17trampoline_kernelINS0_14default_configENS1_25partition_config_selectorILNS1_17partition_subalgoE8EhNS0_10empty_typeEbEEZZNS1_14partition_implILS5_8ELb0ES3_jPKhPS6_PKS6_NS0_5tupleIJPhS6_EEENSE_IJSB_SB_EEENS0_18inequality_wrapperIN6hipcub16HIPCUB_304000_NS8EqualityEEEPlJS6_EEE10hipError_tPvRmT3_T4_T5_T6_T7_T9_mT8_P12ihipStream_tbDpT10_ENKUlT_T0_E_clISt17integral_constantIbLb1EES16_IbLb0EEEEDaS12_S13_EUlS12_E_NS1_11comp_targetILNS1_3genE10ELNS1_11target_archE1200ELNS1_3gpuE4ELNS1_3repE0EEENS1_30default_config_static_selectorELNS0_4arch9wavefront6targetE0EEEvT1_.numbered_sgpr, 0
	.set _ZN7rocprim17ROCPRIM_400000_NS6detail17trampoline_kernelINS0_14default_configENS1_25partition_config_selectorILNS1_17partition_subalgoE8EhNS0_10empty_typeEbEEZZNS1_14partition_implILS5_8ELb0ES3_jPKhPS6_PKS6_NS0_5tupleIJPhS6_EEENSE_IJSB_SB_EEENS0_18inequality_wrapperIN6hipcub16HIPCUB_304000_NS8EqualityEEEPlJS6_EEE10hipError_tPvRmT3_T4_T5_T6_T7_T9_mT8_P12ihipStream_tbDpT10_ENKUlT_T0_E_clISt17integral_constantIbLb1EES16_IbLb0EEEEDaS12_S13_EUlS12_E_NS1_11comp_targetILNS1_3genE10ELNS1_11target_archE1200ELNS1_3gpuE4ELNS1_3repE0EEENS1_30default_config_static_selectorELNS0_4arch9wavefront6targetE0EEEvT1_.num_named_barrier, 0
	.set _ZN7rocprim17ROCPRIM_400000_NS6detail17trampoline_kernelINS0_14default_configENS1_25partition_config_selectorILNS1_17partition_subalgoE8EhNS0_10empty_typeEbEEZZNS1_14partition_implILS5_8ELb0ES3_jPKhPS6_PKS6_NS0_5tupleIJPhS6_EEENSE_IJSB_SB_EEENS0_18inequality_wrapperIN6hipcub16HIPCUB_304000_NS8EqualityEEEPlJS6_EEE10hipError_tPvRmT3_T4_T5_T6_T7_T9_mT8_P12ihipStream_tbDpT10_ENKUlT_T0_E_clISt17integral_constantIbLb1EES16_IbLb0EEEEDaS12_S13_EUlS12_E_NS1_11comp_targetILNS1_3genE10ELNS1_11target_archE1200ELNS1_3gpuE4ELNS1_3repE0EEENS1_30default_config_static_selectorELNS0_4arch9wavefront6targetE0EEEvT1_.private_seg_size, 0
	.set _ZN7rocprim17ROCPRIM_400000_NS6detail17trampoline_kernelINS0_14default_configENS1_25partition_config_selectorILNS1_17partition_subalgoE8EhNS0_10empty_typeEbEEZZNS1_14partition_implILS5_8ELb0ES3_jPKhPS6_PKS6_NS0_5tupleIJPhS6_EEENSE_IJSB_SB_EEENS0_18inequality_wrapperIN6hipcub16HIPCUB_304000_NS8EqualityEEEPlJS6_EEE10hipError_tPvRmT3_T4_T5_T6_T7_T9_mT8_P12ihipStream_tbDpT10_ENKUlT_T0_E_clISt17integral_constantIbLb1EES16_IbLb0EEEEDaS12_S13_EUlS12_E_NS1_11comp_targetILNS1_3genE10ELNS1_11target_archE1200ELNS1_3gpuE4ELNS1_3repE0EEENS1_30default_config_static_selectorELNS0_4arch9wavefront6targetE0EEEvT1_.uses_vcc, 0
	.set _ZN7rocprim17ROCPRIM_400000_NS6detail17trampoline_kernelINS0_14default_configENS1_25partition_config_selectorILNS1_17partition_subalgoE8EhNS0_10empty_typeEbEEZZNS1_14partition_implILS5_8ELb0ES3_jPKhPS6_PKS6_NS0_5tupleIJPhS6_EEENSE_IJSB_SB_EEENS0_18inequality_wrapperIN6hipcub16HIPCUB_304000_NS8EqualityEEEPlJS6_EEE10hipError_tPvRmT3_T4_T5_T6_T7_T9_mT8_P12ihipStream_tbDpT10_ENKUlT_T0_E_clISt17integral_constantIbLb1EES16_IbLb0EEEEDaS12_S13_EUlS12_E_NS1_11comp_targetILNS1_3genE10ELNS1_11target_archE1200ELNS1_3gpuE4ELNS1_3repE0EEENS1_30default_config_static_selectorELNS0_4arch9wavefront6targetE0EEEvT1_.uses_flat_scratch, 0
	.set _ZN7rocprim17ROCPRIM_400000_NS6detail17trampoline_kernelINS0_14default_configENS1_25partition_config_selectorILNS1_17partition_subalgoE8EhNS0_10empty_typeEbEEZZNS1_14partition_implILS5_8ELb0ES3_jPKhPS6_PKS6_NS0_5tupleIJPhS6_EEENSE_IJSB_SB_EEENS0_18inequality_wrapperIN6hipcub16HIPCUB_304000_NS8EqualityEEEPlJS6_EEE10hipError_tPvRmT3_T4_T5_T6_T7_T9_mT8_P12ihipStream_tbDpT10_ENKUlT_T0_E_clISt17integral_constantIbLb1EES16_IbLb0EEEEDaS12_S13_EUlS12_E_NS1_11comp_targetILNS1_3genE10ELNS1_11target_archE1200ELNS1_3gpuE4ELNS1_3repE0EEENS1_30default_config_static_selectorELNS0_4arch9wavefront6targetE0EEEvT1_.has_dyn_sized_stack, 0
	.set _ZN7rocprim17ROCPRIM_400000_NS6detail17trampoline_kernelINS0_14default_configENS1_25partition_config_selectorILNS1_17partition_subalgoE8EhNS0_10empty_typeEbEEZZNS1_14partition_implILS5_8ELb0ES3_jPKhPS6_PKS6_NS0_5tupleIJPhS6_EEENSE_IJSB_SB_EEENS0_18inequality_wrapperIN6hipcub16HIPCUB_304000_NS8EqualityEEEPlJS6_EEE10hipError_tPvRmT3_T4_T5_T6_T7_T9_mT8_P12ihipStream_tbDpT10_ENKUlT_T0_E_clISt17integral_constantIbLb1EES16_IbLb0EEEEDaS12_S13_EUlS12_E_NS1_11comp_targetILNS1_3genE10ELNS1_11target_archE1200ELNS1_3gpuE4ELNS1_3repE0EEENS1_30default_config_static_selectorELNS0_4arch9wavefront6targetE0EEEvT1_.has_recursion, 0
	.set _ZN7rocprim17ROCPRIM_400000_NS6detail17trampoline_kernelINS0_14default_configENS1_25partition_config_selectorILNS1_17partition_subalgoE8EhNS0_10empty_typeEbEEZZNS1_14partition_implILS5_8ELb0ES3_jPKhPS6_PKS6_NS0_5tupleIJPhS6_EEENSE_IJSB_SB_EEENS0_18inequality_wrapperIN6hipcub16HIPCUB_304000_NS8EqualityEEEPlJS6_EEE10hipError_tPvRmT3_T4_T5_T6_T7_T9_mT8_P12ihipStream_tbDpT10_ENKUlT_T0_E_clISt17integral_constantIbLb1EES16_IbLb0EEEEDaS12_S13_EUlS12_E_NS1_11comp_targetILNS1_3genE10ELNS1_11target_archE1200ELNS1_3gpuE4ELNS1_3repE0EEENS1_30default_config_static_selectorELNS0_4arch9wavefront6targetE0EEEvT1_.has_indirect_call, 0
	.section	.AMDGPU.csdata,"",@progbits
; Kernel info:
; codeLenInByte = 0
; TotalNumSgprs: 0
; NumVgprs: 0
; ScratchSize: 0
; MemoryBound: 0
; FloatMode: 240
; IeeeMode: 1
; LDSByteSize: 0 bytes/workgroup (compile time only)
; SGPRBlocks: 0
; VGPRBlocks: 0
; NumSGPRsForWavesPerEU: 1
; NumVGPRsForWavesPerEU: 1
; NamedBarCnt: 0
; Occupancy: 16
; WaveLimiterHint : 0
; COMPUTE_PGM_RSRC2:SCRATCH_EN: 0
; COMPUTE_PGM_RSRC2:USER_SGPR: 2
; COMPUTE_PGM_RSRC2:TRAP_HANDLER: 0
; COMPUTE_PGM_RSRC2:TGID_X_EN: 1
; COMPUTE_PGM_RSRC2:TGID_Y_EN: 0
; COMPUTE_PGM_RSRC2:TGID_Z_EN: 0
; COMPUTE_PGM_RSRC2:TIDIG_COMP_CNT: 0
	.section	.text._ZN7rocprim17ROCPRIM_400000_NS6detail17trampoline_kernelINS0_14default_configENS1_25partition_config_selectorILNS1_17partition_subalgoE8EhNS0_10empty_typeEbEEZZNS1_14partition_implILS5_8ELb0ES3_jPKhPS6_PKS6_NS0_5tupleIJPhS6_EEENSE_IJSB_SB_EEENS0_18inequality_wrapperIN6hipcub16HIPCUB_304000_NS8EqualityEEEPlJS6_EEE10hipError_tPvRmT3_T4_T5_T6_T7_T9_mT8_P12ihipStream_tbDpT10_ENKUlT_T0_E_clISt17integral_constantIbLb1EES16_IbLb0EEEEDaS12_S13_EUlS12_E_NS1_11comp_targetILNS1_3genE9ELNS1_11target_archE1100ELNS1_3gpuE3ELNS1_3repE0EEENS1_30default_config_static_selectorELNS0_4arch9wavefront6targetE0EEEvT1_,"axG",@progbits,_ZN7rocprim17ROCPRIM_400000_NS6detail17trampoline_kernelINS0_14default_configENS1_25partition_config_selectorILNS1_17partition_subalgoE8EhNS0_10empty_typeEbEEZZNS1_14partition_implILS5_8ELb0ES3_jPKhPS6_PKS6_NS0_5tupleIJPhS6_EEENSE_IJSB_SB_EEENS0_18inequality_wrapperIN6hipcub16HIPCUB_304000_NS8EqualityEEEPlJS6_EEE10hipError_tPvRmT3_T4_T5_T6_T7_T9_mT8_P12ihipStream_tbDpT10_ENKUlT_T0_E_clISt17integral_constantIbLb1EES16_IbLb0EEEEDaS12_S13_EUlS12_E_NS1_11comp_targetILNS1_3genE9ELNS1_11target_archE1100ELNS1_3gpuE3ELNS1_3repE0EEENS1_30default_config_static_selectorELNS0_4arch9wavefront6targetE0EEEvT1_,comdat
	.protected	_ZN7rocprim17ROCPRIM_400000_NS6detail17trampoline_kernelINS0_14default_configENS1_25partition_config_selectorILNS1_17partition_subalgoE8EhNS0_10empty_typeEbEEZZNS1_14partition_implILS5_8ELb0ES3_jPKhPS6_PKS6_NS0_5tupleIJPhS6_EEENSE_IJSB_SB_EEENS0_18inequality_wrapperIN6hipcub16HIPCUB_304000_NS8EqualityEEEPlJS6_EEE10hipError_tPvRmT3_T4_T5_T6_T7_T9_mT8_P12ihipStream_tbDpT10_ENKUlT_T0_E_clISt17integral_constantIbLb1EES16_IbLb0EEEEDaS12_S13_EUlS12_E_NS1_11comp_targetILNS1_3genE9ELNS1_11target_archE1100ELNS1_3gpuE3ELNS1_3repE0EEENS1_30default_config_static_selectorELNS0_4arch9wavefront6targetE0EEEvT1_ ; -- Begin function _ZN7rocprim17ROCPRIM_400000_NS6detail17trampoline_kernelINS0_14default_configENS1_25partition_config_selectorILNS1_17partition_subalgoE8EhNS0_10empty_typeEbEEZZNS1_14partition_implILS5_8ELb0ES3_jPKhPS6_PKS6_NS0_5tupleIJPhS6_EEENSE_IJSB_SB_EEENS0_18inequality_wrapperIN6hipcub16HIPCUB_304000_NS8EqualityEEEPlJS6_EEE10hipError_tPvRmT3_T4_T5_T6_T7_T9_mT8_P12ihipStream_tbDpT10_ENKUlT_T0_E_clISt17integral_constantIbLb1EES16_IbLb0EEEEDaS12_S13_EUlS12_E_NS1_11comp_targetILNS1_3genE9ELNS1_11target_archE1100ELNS1_3gpuE3ELNS1_3repE0EEENS1_30default_config_static_selectorELNS0_4arch9wavefront6targetE0EEEvT1_
	.globl	_ZN7rocprim17ROCPRIM_400000_NS6detail17trampoline_kernelINS0_14default_configENS1_25partition_config_selectorILNS1_17partition_subalgoE8EhNS0_10empty_typeEbEEZZNS1_14partition_implILS5_8ELb0ES3_jPKhPS6_PKS6_NS0_5tupleIJPhS6_EEENSE_IJSB_SB_EEENS0_18inequality_wrapperIN6hipcub16HIPCUB_304000_NS8EqualityEEEPlJS6_EEE10hipError_tPvRmT3_T4_T5_T6_T7_T9_mT8_P12ihipStream_tbDpT10_ENKUlT_T0_E_clISt17integral_constantIbLb1EES16_IbLb0EEEEDaS12_S13_EUlS12_E_NS1_11comp_targetILNS1_3genE9ELNS1_11target_archE1100ELNS1_3gpuE3ELNS1_3repE0EEENS1_30default_config_static_selectorELNS0_4arch9wavefront6targetE0EEEvT1_
	.p2align	8
	.type	_ZN7rocprim17ROCPRIM_400000_NS6detail17trampoline_kernelINS0_14default_configENS1_25partition_config_selectorILNS1_17partition_subalgoE8EhNS0_10empty_typeEbEEZZNS1_14partition_implILS5_8ELb0ES3_jPKhPS6_PKS6_NS0_5tupleIJPhS6_EEENSE_IJSB_SB_EEENS0_18inequality_wrapperIN6hipcub16HIPCUB_304000_NS8EqualityEEEPlJS6_EEE10hipError_tPvRmT3_T4_T5_T6_T7_T9_mT8_P12ihipStream_tbDpT10_ENKUlT_T0_E_clISt17integral_constantIbLb1EES16_IbLb0EEEEDaS12_S13_EUlS12_E_NS1_11comp_targetILNS1_3genE9ELNS1_11target_archE1100ELNS1_3gpuE3ELNS1_3repE0EEENS1_30default_config_static_selectorELNS0_4arch9wavefront6targetE0EEEvT1_,@function
_ZN7rocprim17ROCPRIM_400000_NS6detail17trampoline_kernelINS0_14default_configENS1_25partition_config_selectorILNS1_17partition_subalgoE8EhNS0_10empty_typeEbEEZZNS1_14partition_implILS5_8ELb0ES3_jPKhPS6_PKS6_NS0_5tupleIJPhS6_EEENSE_IJSB_SB_EEENS0_18inequality_wrapperIN6hipcub16HIPCUB_304000_NS8EqualityEEEPlJS6_EEE10hipError_tPvRmT3_T4_T5_T6_T7_T9_mT8_P12ihipStream_tbDpT10_ENKUlT_T0_E_clISt17integral_constantIbLb1EES16_IbLb0EEEEDaS12_S13_EUlS12_E_NS1_11comp_targetILNS1_3genE9ELNS1_11target_archE1100ELNS1_3gpuE3ELNS1_3repE0EEENS1_30default_config_static_selectorELNS0_4arch9wavefront6targetE0EEEvT1_: ; @_ZN7rocprim17ROCPRIM_400000_NS6detail17trampoline_kernelINS0_14default_configENS1_25partition_config_selectorILNS1_17partition_subalgoE8EhNS0_10empty_typeEbEEZZNS1_14partition_implILS5_8ELb0ES3_jPKhPS6_PKS6_NS0_5tupleIJPhS6_EEENSE_IJSB_SB_EEENS0_18inequality_wrapperIN6hipcub16HIPCUB_304000_NS8EqualityEEEPlJS6_EEE10hipError_tPvRmT3_T4_T5_T6_T7_T9_mT8_P12ihipStream_tbDpT10_ENKUlT_T0_E_clISt17integral_constantIbLb1EES16_IbLb0EEEEDaS12_S13_EUlS12_E_NS1_11comp_targetILNS1_3genE9ELNS1_11target_archE1100ELNS1_3gpuE3ELNS1_3repE0EEENS1_30default_config_static_selectorELNS0_4arch9wavefront6targetE0EEEvT1_
; %bb.0:
	.section	.rodata,"a",@progbits
	.p2align	6, 0x0
	.amdhsa_kernel _ZN7rocprim17ROCPRIM_400000_NS6detail17trampoline_kernelINS0_14default_configENS1_25partition_config_selectorILNS1_17partition_subalgoE8EhNS0_10empty_typeEbEEZZNS1_14partition_implILS5_8ELb0ES3_jPKhPS6_PKS6_NS0_5tupleIJPhS6_EEENSE_IJSB_SB_EEENS0_18inequality_wrapperIN6hipcub16HIPCUB_304000_NS8EqualityEEEPlJS6_EEE10hipError_tPvRmT3_T4_T5_T6_T7_T9_mT8_P12ihipStream_tbDpT10_ENKUlT_T0_E_clISt17integral_constantIbLb1EES16_IbLb0EEEEDaS12_S13_EUlS12_E_NS1_11comp_targetILNS1_3genE9ELNS1_11target_archE1100ELNS1_3gpuE3ELNS1_3repE0EEENS1_30default_config_static_selectorELNS0_4arch9wavefront6targetE0EEEvT1_
		.amdhsa_group_segment_fixed_size 0
		.amdhsa_private_segment_fixed_size 0
		.amdhsa_kernarg_size 112
		.amdhsa_user_sgpr_count 2
		.amdhsa_user_sgpr_dispatch_ptr 0
		.amdhsa_user_sgpr_queue_ptr 0
		.amdhsa_user_sgpr_kernarg_segment_ptr 1
		.amdhsa_user_sgpr_dispatch_id 0
		.amdhsa_user_sgpr_kernarg_preload_length 0
		.amdhsa_user_sgpr_kernarg_preload_offset 0
		.amdhsa_user_sgpr_private_segment_size 0
		.amdhsa_wavefront_size32 1
		.amdhsa_uses_dynamic_stack 0
		.amdhsa_enable_private_segment 0
		.amdhsa_system_sgpr_workgroup_id_x 1
		.amdhsa_system_sgpr_workgroup_id_y 0
		.amdhsa_system_sgpr_workgroup_id_z 0
		.amdhsa_system_sgpr_workgroup_info 0
		.amdhsa_system_vgpr_workitem_id 0
		.amdhsa_next_free_vgpr 1
		.amdhsa_next_free_sgpr 1
		.amdhsa_named_barrier_count 0
		.amdhsa_reserve_vcc 0
		.amdhsa_float_round_mode_32 0
		.amdhsa_float_round_mode_16_64 0
		.amdhsa_float_denorm_mode_32 3
		.amdhsa_float_denorm_mode_16_64 3
		.amdhsa_fp16_overflow 0
		.amdhsa_memory_ordered 1
		.amdhsa_forward_progress 1
		.amdhsa_inst_pref_size 0
		.amdhsa_round_robin_scheduling 0
		.amdhsa_exception_fp_ieee_invalid_op 0
		.amdhsa_exception_fp_denorm_src 0
		.amdhsa_exception_fp_ieee_div_zero 0
		.amdhsa_exception_fp_ieee_overflow 0
		.amdhsa_exception_fp_ieee_underflow 0
		.amdhsa_exception_fp_ieee_inexact 0
		.amdhsa_exception_int_div_zero 0
	.end_amdhsa_kernel
	.section	.text._ZN7rocprim17ROCPRIM_400000_NS6detail17trampoline_kernelINS0_14default_configENS1_25partition_config_selectorILNS1_17partition_subalgoE8EhNS0_10empty_typeEbEEZZNS1_14partition_implILS5_8ELb0ES3_jPKhPS6_PKS6_NS0_5tupleIJPhS6_EEENSE_IJSB_SB_EEENS0_18inequality_wrapperIN6hipcub16HIPCUB_304000_NS8EqualityEEEPlJS6_EEE10hipError_tPvRmT3_T4_T5_T6_T7_T9_mT8_P12ihipStream_tbDpT10_ENKUlT_T0_E_clISt17integral_constantIbLb1EES16_IbLb0EEEEDaS12_S13_EUlS12_E_NS1_11comp_targetILNS1_3genE9ELNS1_11target_archE1100ELNS1_3gpuE3ELNS1_3repE0EEENS1_30default_config_static_selectorELNS0_4arch9wavefront6targetE0EEEvT1_,"axG",@progbits,_ZN7rocprim17ROCPRIM_400000_NS6detail17trampoline_kernelINS0_14default_configENS1_25partition_config_selectorILNS1_17partition_subalgoE8EhNS0_10empty_typeEbEEZZNS1_14partition_implILS5_8ELb0ES3_jPKhPS6_PKS6_NS0_5tupleIJPhS6_EEENSE_IJSB_SB_EEENS0_18inequality_wrapperIN6hipcub16HIPCUB_304000_NS8EqualityEEEPlJS6_EEE10hipError_tPvRmT3_T4_T5_T6_T7_T9_mT8_P12ihipStream_tbDpT10_ENKUlT_T0_E_clISt17integral_constantIbLb1EES16_IbLb0EEEEDaS12_S13_EUlS12_E_NS1_11comp_targetILNS1_3genE9ELNS1_11target_archE1100ELNS1_3gpuE3ELNS1_3repE0EEENS1_30default_config_static_selectorELNS0_4arch9wavefront6targetE0EEEvT1_,comdat
.Lfunc_end156:
	.size	_ZN7rocprim17ROCPRIM_400000_NS6detail17trampoline_kernelINS0_14default_configENS1_25partition_config_selectorILNS1_17partition_subalgoE8EhNS0_10empty_typeEbEEZZNS1_14partition_implILS5_8ELb0ES3_jPKhPS6_PKS6_NS0_5tupleIJPhS6_EEENSE_IJSB_SB_EEENS0_18inequality_wrapperIN6hipcub16HIPCUB_304000_NS8EqualityEEEPlJS6_EEE10hipError_tPvRmT3_T4_T5_T6_T7_T9_mT8_P12ihipStream_tbDpT10_ENKUlT_T0_E_clISt17integral_constantIbLb1EES16_IbLb0EEEEDaS12_S13_EUlS12_E_NS1_11comp_targetILNS1_3genE9ELNS1_11target_archE1100ELNS1_3gpuE3ELNS1_3repE0EEENS1_30default_config_static_selectorELNS0_4arch9wavefront6targetE0EEEvT1_, .Lfunc_end156-_ZN7rocprim17ROCPRIM_400000_NS6detail17trampoline_kernelINS0_14default_configENS1_25partition_config_selectorILNS1_17partition_subalgoE8EhNS0_10empty_typeEbEEZZNS1_14partition_implILS5_8ELb0ES3_jPKhPS6_PKS6_NS0_5tupleIJPhS6_EEENSE_IJSB_SB_EEENS0_18inequality_wrapperIN6hipcub16HIPCUB_304000_NS8EqualityEEEPlJS6_EEE10hipError_tPvRmT3_T4_T5_T6_T7_T9_mT8_P12ihipStream_tbDpT10_ENKUlT_T0_E_clISt17integral_constantIbLb1EES16_IbLb0EEEEDaS12_S13_EUlS12_E_NS1_11comp_targetILNS1_3genE9ELNS1_11target_archE1100ELNS1_3gpuE3ELNS1_3repE0EEENS1_30default_config_static_selectorELNS0_4arch9wavefront6targetE0EEEvT1_
                                        ; -- End function
	.set _ZN7rocprim17ROCPRIM_400000_NS6detail17trampoline_kernelINS0_14default_configENS1_25partition_config_selectorILNS1_17partition_subalgoE8EhNS0_10empty_typeEbEEZZNS1_14partition_implILS5_8ELb0ES3_jPKhPS6_PKS6_NS0_5tupleIJPhS6_EEENSE_IJSB_SB_EEENS0_18inequality_wrapperIN6hipcub16HIPCUB_304000_NS8EqualityEEEPlJS6_EEE10hipError_tPvRmT3_T4_T5_T6_T7_T9_mT8_P12ihipStream_tbDpT10_ENKUlT_T0_E_clISt17integral_constantIbLb1EES16_IbLb0EEEEDaS12_S13_EUlS12_E_NS1_11comp_targetILNS1_3genE9ELNS1_11target_archE1100ELNS1_3gpuE3ELNS1_3repE0EEENS1_30default_config_static_selectorELNS0_4arch9wavefront6targetE0EEEvT1_.num_vgpr, 0
	.set _ZN7rocprim17ROCPRIM_400000_NS6detail17trampoline_kernelINS0_14default_configENS1_25partition_config_selectorILNS1_17partition_subalgoE8EhNS0_10empty_typeEbEEZZNS1_14partition_implILS5_8ELb0ES3_jPKhPS6_PKS6_NS0_5tupleIJPhS6_EEENSE_IJSB_SB_EEENS0_18inequality_wrapperIN6hipcub16HIPCUB_304000_NS8EqualityEEEPlJS6_EEE10hipError_tPvRmT3_T4_T5_T6_T7_T9_mT8_P12ihipStream_tbDpT10_ENKUlT_T0_E_clISt17integral_constantIbLb1EES16_IbLb0EEEEDaS12_S13_EUlS12_E_NS1_11comp_targetILNS1_3genE9ELNS1_11target_archE1100ELNS1_3gpuE3ELNS1_3repE0EEENS1_30default_config_static_selectorELNS0_4arch9wavefront6targetE0EEEvT1_.num_agpr, 0
	.set _ZN7rocprim17ROCPRIM_400000_NS6detail17trampoline_kernelINS0_14default_configENS1_25partition_config_selectorILNS1_17partition_subalgoE8EhNS0_10empty_typeEbEEZZNS1_14partition_implILS5_8ELb0ES3_jPKhPS6_PKS6_NS0_5tupleIJPhS6_EEENSE_IJSB_SB_EEENS0_18inequality_wrapperIN6hipcub16HIPCUB_304000_NS8EqualityEEEPlJS6_EEE10hipError_tPvRmT3_T4_T5_T6_T7_T9_mT8_P12ihipStream_tbDpT10_ENKUlT_T0_E_clISt17integral_constantIbLb1EES16_IbLb0EEEEDaS12_S13_EUlS12_E_NS1_11comp_targetILNS1_3genE9ELNS1_11target_archE1100ELNS1_3gpuE3ELNS1_3repE0EEENS1_30default_config_static_selectorELNS0_4arch9wavefront6targetE0EEEvT1_.numbered_sgpr, 0
	.set _ZN7rocprim17ROCPRIM_400000_NS6detail17trampoline_kernelINS0_14default_configENS1_25partition_config_selectorILNS1_17partition_subalgoE8EhNS0_10empty_typeEbEEZZNS1_14partition_implILS5_8ELb0ES3_jPKhPS6_PKS6_NS0_5tupleIJPhS6_EEENSE_IJSB_SB_EEENS0_18inequality_wrapperIN6hipcub16HIPCUB_304000_NS8EqualityEEEPlJS6_EEE10hipError_tPvRmT3_T4_T5_T6_T7_T9_mT8_P12ihipStream_tbDpT10_ENKUlT_T0_E_clISt17integral_constantIbLb1EES16_IbLb0EEEEDaS12_S13_EUlS12_E_NS1_11comp_targetILNS1_3genE9ELNS1_11target_archE1100ELNS1_3gpuE3ELNS1_3repE0EEENS1_30default_config_static_selectorELNS0_4arch9wavefront6targetE0EEEvT1_.num_named_barrier, 0
	.set _ZN7rocprim17ROCPRIM_400000_NS6detail17trampoline_kernelINS0_14default_configENS1_25partition_config_selectorILNS1_17partition_subalgoE8EhNS0_10empty_typeEbEEZZNS1_14partition_implILS5_8ELb0ES3_jPKhPS6_PKS6_NS0_5tupleIJPhS6_EEENSE_IJSB_SB_EEENS0_18inequality_wrapperIN6hipcub16HIPCUB_304000_NS8EqualityEEEPlJS6_EEE10hipError_tPvRmT3_T4_T5_T6_T7_T9_mT8_P12ihipStream_tbDpT10_ENKUlT_T0_E_clISt17integral_constantIbLb1EES16_IbLb0EEEEDaS12_S13_EUlS12_E_NS1_11comp_targetILNS1_3genE9ELNS1_11target_archE1100ELNS1_3gpuE3ELNS1_3repE0EEENS1_30default_config_static_selectorELNS0_4arch9wavefront6targetE0EEEvT1_.private_seg_size, 0
	.set _ZN7rocprim17ROCPRIM_400000_NS6detail17trampoline_kernelINS0_14default_configENS1_25partition_config_selectorILNS1_17partition_subalgoE8EhNS0_10empty_typeEbEEZZNS1_14partition_implILS5_8ELb0ES3_jPKhPS6_PKS6_NS0_5tupleIJPhS6_EEENSE_IJSB_SB_EEENS0_18inequality_wrapperIN6hipcub16HIPCUB_304000_NS8EqualityEEEPlJS6_EEE10hipError_tPvRmT3_T4_T5_T6_T7_T9_mT8_P12ihipStream_tbDpT10_ENKUlT_T0_E_clISt17integral_constantIbLb1EES16_IbLb0EEEEDaS12_S13_EUlS12_E_NS1_11comp_targetILNS1_3genE9ELNS1_11target_archE1100ELNS1_3gpuE3ELNS1_3repE0EEENS1_30default_config_static_selectorELNS0_4arch9wavefront6targetE0EEEvT1_.uses_vcc, 0
	.set _ZN7rocprim17ROCPRIM_400000_NS6detail17trampoline_kernelINS0_14default_configENS1_25partition_config_selectorILNS1_17partition_subalgoE8EhNS0_10empty_typeEbEEZZNS1_14partition_implILS5_8ELb0ES3_jPKhPS6_PKS6_NS0_5tupleIJPhS6_EEENSE_IJSB_SB_EEENS0_18inequality_wrapperIN6hipcub16HIPCUB_304000_NS8EqualityEEEPlJS6_EEE10hipError_tPvRmT3_T4_T5_T6_T7_T9_mT8_P12ihipStream_tbDpT10_ENKUlT_T0_E_clISt17integral_constantIbLb1EES16_IbLb0EEEEDaS12_S13_EUlS12_E_NS1_11comp_targetILNS1_3genE9ELNS1_11target_archE1100ELNS1_3gpuE3ELNS1_3repE0EEENS1_30default_config_static_selectorELNS0_4arch9wavefront6targetE0EEEvT1_.uses_flat_scratch, 0
	.set _ZN7rocprim17ROCPRIM_400000_NS6detail17trampoline_kernelINS0_14default_configENS1_25partition_config_selectorILNS1_17partition_subalgoE8EhNS0_10empty_typeEbEEZZNS1_14partition_implILS5_8ELb0ES3_jPKhPS6_PKS6_NS0_5tupleIJPhS6_EEENSE_IJSB_SB_EEENS0_18inequality_wrapperIN6hipcub16HIPCUB_304000_NS8EqualityEEEPlJS6_EEE10hipError_tPvRmT3_T4_T5_T6_T7_T9_mT8_P12ihipStream_tbDpT10_ENKUlT_T0_E_clISt17integral_constantIbLb1EES16_IbLb0EEEEDaS12_S13_EUlS12_E_NS1_11comp_targetILNS1_3genE9ELNS1_11target_archE1100ELNS1_3gpuE3ELNS1_3repE0EEENS1_30default_config_static_selectorELNS0_4arch9wavefront6targetE0EEEvT1_.has_dyn_sized_stack, 0
	.set _ZN7rocprim17ROCPRIM_400000_NS6detail17trampoline_kernelINS0_14default_configENS1_25partition_config_selectorILNS1_17partition_subalgoE8EhNS0_10empty_typeEbEEZZNS1_14partition_implILS5_8ELb0ES3_jPKhPS6_PKS6_NS0_5tupleIJPhS6_EEENSE_IJSB_SB_EEENS0_18inequality_wrapperIN6hipcub16HIPCUB_304000_NS8EqualityEEEPlJS6_EEE10hipError_tPvRmT3_T4_T5_T6_T7_T9_mT8_P12ihipStream_tbDpT10_ENKUlT_T0_E_clISt17integral_constantIbLb1EES16_IbLb0EEEEDaS12_S13_EUlS12_E_NS1_11comp_targetILNS1_3genE9ELNS1_11target_archE1100ELNS1_3gpuE3ELNS1_3repE0EEENS1_30default_config_static_selectorELNS0_4arch9wavefront6targetE0EEEvT1_.has_recursion, 0
	.set _ZN7rocprim17ROCPRIM_400000_NS6detail17trampoline_kernelINS0_14default_configENS1_25partition_config_selectorILNS1_17partition_subalgoE8EhNS0_10empty_typeEbEEZZNS1_14partition_implILS5_8ELb0ES3_jPKhPS6_PKS6_NS0_5tupleIJPhS6_EEENSE_IJSB_SB_EEENS0_18inequality_wrapperIN6hipcub16HIPCUB_304000_NS8EqualityEEEPlJS6_EEE10hipError_tPvRmT3_T4_T5_T6_T7_T9_mT8_P12ihipStream_tbDpT10_ENKUlT_T0_E_clISt17integral_constantIbLb1EES16_IbLb0EEEEDaS12_S13_EUlS12_E_NS1_11comp_targetILNS1_3genE9ELNS1_11target_archE1100ELNS1_3gpuE3ELNS1_3repE0EEENS1_30default_config_static_selectorELNS0_4arch9wavefront6targetE0EEEvT1_.has_indirect_call, 0
	.section	.AMDGPU.csdata,"",@progbits
; Kernel info:
; codeLenInByte = 0
; TotalNumSgprs: 0
; NumVgprs: 0
; ScratchSize: 0
; MemoryBound: 0
; FloatMode: 240
; IeeeMode: 1
; LDSByteSize: 0 bytes/workgroup (compile time only)
; SGPRBlocks: 0
; VGPRBlocks: 0
; NumSGPRsForWavesPerEU: 1
; NumVGPRsForWavesPerEU: 1
; NamedBarCnt: 0
; Occupancy: 16
; WaveLimiterHint : 0
; COMPUTE_PGM_RSRC2:SCRATCH_EN: 0
; COMPUTE_PGM_RSRC2:USER_SGPR: 2
; COMPUTE_PGM_RSRC2:TRAP_HANDLER: 0
; COMPUTE_PGM_RSRC2:TGID_X_EN: 1
; COMPUTE_PGM_RSRC2:TGID_Y_EN: 0
; COMPUTE_PGM_RSRC2:TGID_Z_EN: 0
; COMPUTE_PGM_RSRC2:TIDIG_COMP_CNT: 0
	.section	.text._ZN7rocprim17ROCPRIM_400000_NS6detail17trampoline_kernelINS0_14default_configENS1_25partition_config_selectorILNS1_17partition_subalgoE8EhNS0_10empty_typeEbEEZZNS1_14partition_implILS5_8ELb0ES3_jPKhPS6_PKS6_NS0_5tupleIJPhS6_EEENSE_IJSB_SB_EEENS0_18inequality_wrapperIN6hipcub16HIPCUB_304000_NS8EqualityEEEPlJS6_EEE10hipError_tPvRmT3_T4_T5_T6_T7_T9_mT8_P12ihipStream_tbDpT10_ENKUlT_T0_E_clISt17integral_constantIbLb1EES16_IbLb0EEEEDaS12_S13_EUlS12_E_NS1_11comp_targetILNS1_3genE8ELNS1_11target_archE1030ELNS1_3gpuE2ELNS1_3repE0EEENS1_30default_config_static_selectorELNS0_4arch9wavefront6targetE0EEEvT1_,"axG",@progbits,_ZN7rocprim17ROCPRIM_400000_NS6detail17trampoline_kernelINS0_14default_configENS1_25partition_config_selectorILNS1_17partition_subalgoE8EhNS0_10empty_typeEbEEZZNS1_14partition_implILS5_8ELb0ES3_jPKhPS6_PKS6_NS0_5tupleIJPhS6_EEENSE_IJSB_SB_EEENS0_18inequality_wrapperIN6hipcub16HIPCUB_304000_NS8EqualityEEEPlJS6_EEE10hipError_tPvRmT3_T4_T5_T6_T7_T9_mT8_P12ihipStream_tbDpT10_ENKUlT_T0_E_clISt17integral_constantIbLb1EES16_IbLb0EEEEDaS12_S13_EUlS12_E_NS1_11comp_targetILNS1_3genE8ELNS1_11target_archE1030ELNS1_3gpuE2ELNS1_3repE0EEENS1_30default_config_static_selectorELNS0_4arch9wavefront6targetE0EEEvT1_,comdat
	.protected	_ZN7rocprim17ROCPRIM_400000_NS6detail17trampoline_kernelINS0_14default_configENS1_25partition_config_selectorILNS1_17partition_subalgoE8EhNS0_10empty_typeEbEEZZNS1_14partition_implILS5_8ELb0ES3_jPKhPS6_PKS6_NS0_5tupleIJPhS6_EEENSE_IJSB_SB_EEENS0_18inequality_wrapperIN6hipcub16HIPCUB_304000_NS8EqualityEEEPlJS6_EEE10hipError_tPvRmT3_T4_T5_T6_T7_T9_mT8_P12ihipStream_tbDpT10_ENKUlT_T0_E_clISt17integral_constantIbLb1EES16_IbLb0EEEEDaS12_S13_EUlS12_E_NS1_11comp_targetILNS1_3genE8ELNS1_11target_archE1030ELNS1_3gpuE2ELNS1_3repE0EEENS1_30default_config_static_selectorELNS0_4arch9wavefront6targetE0EEEvT1_ ; -- Begin function _ZN7rocprim17ROCPRIM_400000_NS6detail17trampoline_kernelINS0_14default_configENS1_25partition_config_selectorILNS1_17partition_subalgoE8EhNS0_10empty_typeEbEEZZNS1_14partition_implILS5_8ELb0ES3_jPKhPS6_PKS6_NS0_5tupleIJPhS6_EEENSE_IJSB_SB_EEENS0_18inequality_wrapperIN6hipcub16HIPCUB_304000_NS8EqualityEEEPlJS6_EEE10hipError_tPvRmT3_T4_T5_T6_T7_T9_mT8_P12ihipStream_tbDpT10_ENKUlT_T0_E_clISt17integral_constantIbLb1EES16_IbLb0EEEEDaS12_S13_EUlS12_E_NS1_11comp_targetILNS1_3genE8ELNS1_11target_archE1030ELNS1_3gpuE2ELNS1_3repE0EEENS1_30default_config_static_selectorELNS0_4arch9wavefront6targetE0EEEvT1_
	.globl	_ZN7rocprim17ROCPRIM_400000_NS6detail17trampoline_kernelINS0_14default_configENS1_25partition_config_selectorILNS1_17partition_subalgoE8EhNS0_10empty_typeEbEEZZNS1_14partition_implILS5_8ELb0ES3_jPKhPS6_PKS6_NS0_5tupleIJPhS6_EEENSE_IJSB_SB_EEENS0_18inequality_wrapperIN6hipcub16HIPCUB_304000_NS8EqualityEEEPlJS6_EEE10hipError_tPvRmT3_T4_T5_T6_T7_T9_mT8_P12ihipStream_tbDpT10_ENKUlT_T0_E_clISt17integral_constantIbLb1EES16_IbLb0EEEEDaS12_S13_EUlS12_E_NS1_11comp_targetILNS1_3genE8ELNS1_11target_archE1030ELNS1_3gpuE2ELNS1_3repE0EEENS1_30default_config_static_selectorELNS0_4arch9wavefront6targetE0EEEvT1_
	.p2align	8
	.type	_ZN7rocprim17ROCPRIM_400000_NS6detail17trampoline_kernelINS0_14default_configENS1_25partition_config_selectorILNS1_17partition_subalgoE8EhNS0_10empty_typeEbEEZZNS1_14partition_implILS5_8ELb0ES3_jPKhPS6_PKS6_NS0_5tupleIJPhS6_EEENSE_IJSB_SB_EEENS0_18inequality_wrapperIN6hipcub16HIPCUB_304000_NS8EqualityEEEPlJS6_EEE10hipError_tPvRmT3_T4_T5_T6_T7_T9_mT8_P12ihipStream_tbDpT10_ENKUlT_T0_E_clISt17integral_constantIbLb1EES16_IbLb0EEEEDaS12_S13_EUlS12_E_NS1_11comp_targetILNS1_3genE8ELNS1_11target_archE1030ELNS1_3gpuE2ELNS1_3repE0EEENS1_30default_config_static_selectorELNS0_4arch9wavefront6targetE0EEEvT1_,@function
_ZN7rocprim17ROCPRIM_400000_NS6detail17trampoline_kernelINS0_14default_configENS1_25partition_config_selectorILNS1_17partition_subalgoE8EhNS0_10empty_typeEbEEZZNS1_14partition_implILS5_8ELb0ES3_jPKhPS6_PKS6_NS0_5tupleIJPhS6_EEENSE_IJSB_SB_EEENS0_18inequality_wrapperIN6hipcub16HIPCUB_304000_NS8EqualityEEEPlJS6_EEE10hipError_tPvRmT3_T4_T5_T6_T7_T9_mT8_P12ihipStream_tbDpT10_ENKUlT_T0_E_clISt17integral_constantIbLb1EES16_IbLb0EEEEDaS12_S13_EUlS12_E_NS1_11comp_targetILNS1_3genE8ELNS1_11target_archE1030ELNS1_3gpuE2ELNS1_3repE0EEENS1_30default_config_static_selectorELNS0_4arch9wavefront6targetE0EEEvT1_: ; @_ZN7rocprim17ROCPRIM_400000_NS6detail17trampoline_kernelINS0_14default_configENS1_25partition_config_selectorILNS1_17partition_subalgoE8EhNS0_10empty_typeEbEEZZNS1_14partition_implILS5_8ELb0ES3_jPKhPS6_PKS6_NS0_5tupleIJPhS6_EEENSE_IJSB_SB_EEENS0_18inequality_wrapperIN6hipcub16HIPCUB_304000_NS8EqualityEEEPlJS6_EEE10hipError_tPvRmT3_T4_T5_T6_T7_T9_mT8_P12ihipStream_tbDpT10_ENKUlT_T0_E_clISt17integral_constantIbLb1EES16_IbLb0EEEEDaS12_S13_EUlS12_E_NS1_11comp_targetILNS1_3genE8ELNS1_11target_archE1030ELNS1_3gpuE2ELNS1_3repE0EEENS1_30default_config_static_selectorELNS0_4arch9wavefront6targetE0EEEvT1_
; %bb.0:
	.section	.rodata,"a",@progbits
	.p2align	6, 0x0
	.amdhsa_kernel _ZN7rocprim17ROCPRIM_400000_NS6detail17trampoline_kernelINS0_14default_configENS1_25partition_config_selectorILNS1_17partition_subalgoE8EhNS0_10empty_typeEbEEZZNS1_14partition_implILS5_8ELb0ES3_jPKhPS6_PKS6_NS0_5tupleIJPhS6_EEENSE_IJSB_SB_EEENS0_18inequality_wrapperIN6hipcub16HIPCUB_304000_NS8EqualityEEEPlJS6_EEE10hipError_tPvRmT3_T4_T5_T6_T7_T9_mT8_P12ihipStream_tbDpT10_ENKUlT_T0_E_clISt17integral_constantIbLb1EES16_IbLb0EEEEDaS12_S13_EUlS12_E_NS1_11comp_targetILNS1_3genE8ELNS1_11target_archE1030ELNS1_3gpuE2ELNS1_3repE0EEENS1_30default_config_static_selectorELNS0_4arch9wavefront6targetE0EEEvT1_
		.amdhsa_group_segment_fixed_size 0
		.amdhsa_private_segment_fixed_size 0
		.amdhsa_kernarg_size 112
		.amdhsa_user_sgpr_count 2
		.amdhsa_user_sgpr_dispatch_ptr 0
		.amdhsa_user_sgpr_queue_ptr 0
		.amdhsa_user_sgpr_kernarg_segment_ptr 1
		.amdhsa_user_sgpr_dispatch_id 0
		.amdhsa_user_sgpr_kernarg_preload_length 0
		.amdhsa_user_sgpr_kernarg_preload_offset 0
		.amdhsa_user_sgpr_private_segment_size 0
		.amdhsa_wavefront_size32 1
		.amdhsa_uses_dynamic_stack 0
		.amdhsa_enable_private_segment 0
		.amdhsa_system_sgpr_workgroup_id_x 1
		.amdhsa_system_sgpr_workgroup_id_y 0
		.amdhsa_system_sgpr_workgroup_id_z 0
		.amdhsa_system_sgpr_workgroup_info 0
		.amdhsa_system_vgpr_workitem_id 0
		.amdhsa_next_free_vgpr 1
		.amdhsa_next_free_sgpr 1
		.amdhsa_named_barrier_count 0
		.amdhsa_reserve_vcc 0
		.amdhsa_float_round_mode_32 0
		.amdhsa_float_round_mode_16_64 0
		.amdhsa_float_denorm_mode_32 3
		.amdhsa_float_denorm_mode_16_64 3
		.amdhsa_fp16_overflow 0
		.amdhsa_memory_ordered 1
		.amdhsa_forward_progress 1
		.amdhsa_inst_pref_size 0
		.amdhsa_round_robin_scheduling 0
		.amdhsa_exception_fp_ieee_invalid_op 0
		.amdhsa_exception_fp_denorm_src 0
		.amdhsa_exception_fp_ieee_div_zero 0
		.amdhsa_exception_fp_ieee_overflow 0
		.amdhsa_exception_fp_ieee_underflow 0
		.amdhsa_exception_fp_ieee_inexact 0
		.amdhsa_exception_int_div_zero 0
	.end_amdhsa_kernel
	.section	.text._ZN7rocprim17ROCPRIM_400000_NS6detail17trampoline_kernelINS0_14default_configENS1_25partition_config_selectorILNS1_17partition_subalgoE8EhNS0_10empty_typeEbEEZZNS1_14partition_implILS5_8ELb0ES3_jPKhPS6_PKS6_NS0_5tupleIJPhS6_EEENSE_IJSB_SB_EEENS0_18inequality_wrapperIN6hipcub16HIPCUB_304000_NS8EqualityEEEPlJS6_EEE10hipError_tPvRmT3_T4_T5_T6_T7_T9_mT8_P12ihipStream_tbDpT10_ENKUlT_T0_E_clISt17integral_constantIbLb1EES16_IbLb0EEEEDaS12_S13_EUlS12_E_NS1_11comp_targetILNS1_3genE8ELNS1_11target_archE1030ELNS1_3gpuE2ELNS1_3repE0EEENS1_30default_config_static_selectorELNS0_4arch9wavefront6targetE0EEEvT1_,"axG",@progbits,_ZN7rocprim17ROCPRIM_400000_NS6detail17trampoline_kernelINS0_14default_configENS1_25partition_config_selectorILNS1_17partition_subalgoE8EhNS0_10empty_typeEbEEZZNS1_14partition_implILS5_8ELb0ES3_jPKhPS6_PKS6_NS0_5tupleIJPhS6_EEENSE_IJSB_SB_EEENS0_18inequality_wrapperIN6hipcub16HIPCUB_304000_NS8EqualityEEEPlJS6_EEE10hipError_tPvRmT3_T4_T5_T6_T7_T9_mT8_P12ihipStream_tbDpT10_ENKUlT_T0_E_clISt17integral_constantIbLb1EES16_IbLb0EEEEDaS12_S13_EUlS12_E_NS1_11comp_targetILNS1_3genE8ELNS1_11target_archE1030ELNS1_3gpuE2ELNS1_3repE0EEENS1_30default_config_static_selectorELNS0_4arch9wavefront6targetE0EEEvT1_,comdat
.Lfunc_end157:
	.size	_ZN7rocprim17ROCPRIM_400000_NS6detail17trampoline_kernelINS0_14default_configENS1_25partition_config_selectorILNS1_17partition_subalgoE8EhNS0_10empty_typeEbEEZZNS1_14partition_implILS5_8ELb0ES3_jPKhPS6_PKS6_NS0_5tupleIJPhS6_EEENSE_IJSB_SB_EEENS0_18inequality_wrapperIN6hipcub16HIPCUB_304000_NS8EqualityEEEPlJS6_EEE10hipError_tPvRmT3_T4_T5_T6_T7_T9_mT8_P12ihipStream_tbDpT10_ENKUlT_T0_E_clISt17integral_constantIbLb1EES16_IbLb0EEEEDaS12_S13_EUlS12_E_NS1_11comp_targetILNS1_3genE8ELNS1_11target_archE1030ELNS1_3gpuE2ELNS1_3repE0EEENS1_30default_config_static_selectorELNS0_4arch9wavefront6targetE0EEEvT1_, .Lfunc_end157-_ZN7rocprim17ROCPRIM_400000_NS6detail17trampoline_kernelINS0_14default_configENS1_25partition_config_selectorILNS1_17partition_subalgoE8EhNS0_10empty_typeEbEEZZNS1_14partition_implILS5_8ELb0ES3_jPKhPS6_PKS6_NS0_5tupleIJPhS6_EEENSE_IJSB_SB_EEENS0_18inequality_wrapperIN6hipcub16HIPCUB_304000_NS8EqualityEEEPlJS6_EEE10hipError_tPvRmT3_T4_T5_T6_T7_T9_mT8_P12ihipStream_tbDpT10_ENKUlT_T0_E_clISt17integral_constantIbLb1EES16_IbLb0EEEEDaS12_S13_EUlS12_E_NS1_11comp_targetILNS1_3genE8ELNS1_11target_archE1030ELNS1_3gpuE2ELNS1_3repE0EEENS1_30default_config_static_selectorELNS0_4arch9wavefront6targetE0EEEvT1_
                                        ; -- End function
	.set _ZN7rocprim17ROCPRIM_400000_NS6detail17trampoline_kernelINS0_14default_configENS1_25partition_config_selectorILNS1_17partition_subalgoE8EhNS0_10empty_typeEbEEZZNS1_14partition_implILS5_8ELb0ES3_jPKhPS6_PKS6_NS0_5tupleIJPhS6_EEENSE_IJSB_SB_EEENS0_18inequality_wrapperIN6hipcub16HIPCUB_304000_NS8EqualityEEEPlJS6_EEE10hipError_tPvRmT3_T4_T5_T6_T7_T9_mT8_P12ihipStream_tbDpT10_ENKUlT_T0_E_clISt17integral_constantIbLb1EES16_IbLb0EEEEDaS12_S13_EUlS12_E_NS1_11comp_targetILNS1_3genE8ELNS1_11target_archE1030ELNS1_3gpuE2ELNS1_3repE0EEENS1_30default_config_static_selectorELNS0_4arch9wavefront6targetE0EEEvT1_.num_vgpr, 0
	.set _ZN7rocprim17ROCPRIM_400000_NS6detail17trampoline_kernelINS0_14default_configENS1_25partition_config_selectorILNS1_17partition_subalgoE8EhNS0_10empty_typeEbEEZZNS1_14partition_implILS5_8ELb0ES3_jPKhPS6_PKS6_NS0_5tupleIJPhS6_EEENSE_IJSB_SB_EEENS0_18inequality_wrapperIN6hipcub16HIPCUB_304000_NS8EqualityEEEPlJS6_EEE10hipError_tPvRmT3_T4_T5_T6_T7_T9_mT8_P12ihipStream_tbDpT10_ENKUlT_T0_E_clISt17integral_constantIbLb1EES16_IbLb0EEEEDaS12_S13_EUlS12_E_NS1_11comp_targetILNS1_3genE8ELNS1_11target_archE1030ELNS1_3gpuE2ELNS1_3repE0EEENS1_30default_config_static_selectorELNS0_4arch9wavefront6targetE0EEEvT1_.num_agpr, 0
	.set _ZN7rocprim17ROCPRIM_400000_NS6detail17trampoline_kernelINS0_14default_configENS1_25partition_config_selectorILNS1_17partition_subalgoE8EhNS0_10empty_typeEbEEZZNS1_14partition_implILS5_8ELb0ES3_jPKhPS6_PKS6_NS0_5tupleIJPhS6_EEENSE_IJSB_SB_EEENS0_18inequality_wrapperIN6hipcub16HIPCUB_304000_NS8EqualityEEEPlJS6_EEE10hipError_tPvRmT3_T4_T5_T6_T7_T9_mT8_P12ihipStream_tbDpT10_ENKUlT_T0_E_clISt17integral_constantIbLb1EES16_IbLb0EEEEDaS12_S13_EUlS12_E_NS1_11comp_targetILNS1_3genE8ELNS1_11target_archE1030ELNS1_3gpuE2ELNS1_3repE0EEENS1_30default_config_static_selectorELNS0_4arch9wavefront6targetE0EEEvT1_.numbered_sgpr, 0
	.set _ZN7rocprim17ROCPRIM_400000_NS6detail17trampoline_kernelINS0_14default_configENS1_25partition_config_selectorILNS1_17partition_subalgoE8EhNS0_10empty_typeEbEEZZNS1_14partition_implILS5_8ELb0ES3_jPKhPS6_PKS6_NS0_5tupleIJPhS6_EEENSE_IJSB_SB_EEENS0_18inequality_wrapperIN6hipcub16HIPCUB_304000_NS8EqualityEEEPlJS6_EEE10hipError_tPvRmT3_T4_T5_T6_T7_T9_mT8_P12ihipStream_tbDpT10_ENKUlT_T0_E_clISt17integral_constantIbLb1EES16_IbLb0EEEEDaS12_S13_EUlS12_E_NS1_11comp_targetILNS1_3genE8ELNS1_11target_archE1030ELNS1_3gpuE2ELNS1_3repE0EEENS1_30default_config_static_selectorELNS0_4arch9wavefront6targetE0EEEvT1_.num_named_barrier, 0
	.set _ZN7rocprim17ROCPRIM_400000_NS6detail17trampoline_kernelINS0_14default_configENS1_25partition_config_selectorILNS1_17partition_subalgoE8EhNS0_10empty_typeEbEEZZNS1_14partition_implILS5_8ELb0ES3_jPKhPS6_PKS6_NS0_5tupleIJPhS6_EEENSE_IJSB_SB_EEENS0_18inequality_wrapperIN6hipcub16HIPCUB_304000_NS8EqualityEEEPlJS6_EEE10hipError_tPvRmT3_T4_T5_T6_T7_T9_mT8_P12ihipStream_tbDpT10_ENKUlT_T0_E_clISt17integral_constantIbLb1EES16_IbLb0EEEEDaS12_S13_EUlS12_E_NS1_11comp_targetILNS1_3genE8ELNS1_11target_archE1030ELNS1_3gpuE2ELNS1_3repE0EEENS1_30default_config_static_selectorELNS0_4arch9wavefront6targetE0EEEvT1_.private_seg_size, 0
	.set _ZN7rocprim17ROCPRIM_400000_NS6detail17trampoline_kernelINS0_14default_configENS1_25partition_config_selectorILNS1_17partition_subalgoE8EhNS0_10empty_typeEbEEZZNS1_14partition_implILS5_8ELb0ES3_jPKhPS6_PKS6_NS0_5tupleIJPhS6_EEENSE_IJSB_SB_EEENS0_18inequality_wrapperIN6hipcub16HIPCUB_304000_NS8EqualityEEEPlJS6_EEE10hipError_tPvRmT3_T4_T5_T6_T7_T9_mT8_P12ihipStream_tbDpT10_ENKUlT_T0_E_clISt17integral_constantIbLb1EES16_IbLb0EEEEDaS12_S13_EUlS12_E_NS1_11comp_targetILNS1_3genE8ELNS1_11target_archE1030ELNS1_3gpuE2ELNS1_3repE0EEENS1_30default_config_static_selectorELNS0_4arch9wavefront6targetE0EEEvT1_.uses_vcc, 0
	.set _ZN7rocprim17ROCPRIM_400000_NS6detail17trampoline_kernelINS0_14default_configENS1_25partition_config_selectorILNS1_17partition_subalgoE8EhNS0_10empty_typeEbEEZZNS1_14partition_implILS5_8ELb0ES3_jPKhPS6_PKS6_NS0_5tupleIJPhS6_EEENSE_IJSB_SB_EEENS0_18inequality_wrapperIN6hipcub16HIPCUB_304000_NS8EqualityEEEPlJS6_EEE10hipError_tPvRmT3_T4_T5_T6_T7_T9_mT8_P12ihipStream_tbDpT10_ENKUlT_T0_E_clISt17integral_constantIbLb1EES16_IbLb0EEEEDaS12_S13_EUlS12_E_NS1_11comp_targetILNS1_3genE8ELNS1_11target_archE1030ELNS1_3gpuE2ELNS1_3repE0EEENS1_30default_config_static_selectorELNS0_4arch9wavefront6targetE0EEEvT1_.uses_flat_scratch, 0
	.set _ZN7rocprim17ROCPRIM_400000_NS6detail17trampoline_kernelINS0_14default_configENS1_25partition_config_selectorILNS1_17partition_subalgoE8EhNS0_10empty_typeEbEEZZNS1_14partition_implILS5_8ELb0ES3_jPKhPS6_PKS6_NS0_5tupleIJPhS6_EEENSE_IJSB_SB_EEENS0_18inequality_wrapperIN6hipcub16HIPCUB_304000_NS8EqualityEEEPlJS6_EEE10hipError_tPvRmT3_T4_T5_T6_T7_T9_mT8_P12ihipStream_tbDpT10_ENKUlT_T0_E_clISt17integral_constantIbLb1EES16_IbLb0EEEEDaS12_S13_EUlS12_E_NS1_11comp_targetILNS1_3genE8ELNS1_11target_archE1030ELNS1_3gpuE2ELNS1_3repE0EEENS1_30default_config_static_selectorELNS0_4arch9wavefront6targetE0EEEvT1_.has_dyn_sized_stack, 0
	.set _ZN7rocprim17ROCPRIM_400000_NS6detail17trampoline_kernelINS0_14default_configENS1_25partition_config_selectorILNS1_17partition_subalgoE8EhNS0_10empty_typeEbEEZZNS1_14partition_implILS5_8ELb0ES3_jPKhPS6_PKS6_NS0_5tupleIJPhS6_EEENSE_IJSB_SB_EEENS0_18inequality_wrapperIN6hipcub16HIPCUB_304000_NS8EqualityEEEPlJS6_EEE10hipError_tPvRmT3_T4_T5_T6_T7_T9_mT8_P12ihipStream_tbDpT10_ENKUlT_T0_E_clISt17integral_constantIbLb1EES16_IbLb0EEEEDaS12_S13_EUlS12_E_NS1_11comp_targetILNS1_3genE8ELNS1_11target_archE1030ELNS1_3gpuE2ELNS1_3repE0EEENS1_30default_config_static_selectorELNS0_4arch9wavefront6targetE0EEEvT1_.has_recursion, 0
	.set _ZN7rocprim17ROCPRIM_400000_NS6detail17trampoline_kernelINS0_14default_configENS1_25partition_config_selectorILNS1_17partition_subalgoE8EhNS0_10empty_typeEbEEZZNS1_14partition_implILS5_8ELb0ES3_jPKhPS6_PKS6_NS0_5tupleIJPhS6_EEENSE_IJSB_SB_EEENS0_18inequality_wrapperIN6hipcub16HIPCUB_304000_NS8EqualityEEEPlJS6_EEE10hipError_tPvRmT3_T4_T5_T6_T7_T9_mT8_P12ihipStream_tbDpT10_ENKUlT_T0_E_clISt17integral_constantIbLb1EES16_IbLb0EEEEDaS12_S13_EUlS12_E_NS1_11comp_targetILNS1_3genE8ELNS1_11target_archE1030ELNS1_3gpuE2ELNS1_3repE0EEENS1_30default_config_static_selectorELNS0_4arch9wavefront6targetE0EEEvT1_.has_indirect_call, 0
	.section	.AMDGPU.csdata,"",@progbits
; Kernel info:
; codeLenInByte = 0
; TotalNumSgprs: 0
; NumVgprs: 0
; ScratchSize: 0
; MemoryBound: 0
; FloatMode: 240
; IeeeMode: 1
; LDSByteSize: 0 bytes/workgroup (compile time only)
; SGPRBlocks: 0
; VGPRBlocks: 0
; NumSGPRsForWavesPerEU: 1
; NumVGPRsForWavesPerEU: 1
; NamedBarCnt: 0
; Occupancy: 16
; WaveLimiterHint : 0
; COMPUTE_PGM_RSRC2:SCRATCH_EN: 0
; COMPUTE_PGM_RSRC2:USER_SGPR: 2
; COMPUTE_PGM_RSRC2:TRAP_HANDLER: 0
; COMPUTE_PGM_RSRC2:TGID_X_EN: 1
; COMPUTE_PGM_RSRC2:TGID_Y_EN: 0
; COMPUTE_PGM_RSRC2:TGID_Z_EN: 0
; COMPUTE_PGM_RSRC2:TIDIG_COMP_CNT: 0
	.section	.text._ZN7rocprim17ROCPRIM_400000_NS6detail17trampoline_kernelINS0_14default_configENS1_25partition_config_selectorILNS1_17partition_subalgoE8EhNS0_10empty_typeEbEEZZNS1_14partition_implILS5_8ELb0ES3_jPKhPS6_PKS6_NS0_5tupleIJPhS6_EEENSE_IJSB_SB_EEENS0_18inequality_wrapperIN6hipcub16HIPCUB_304000_NS8EqualityEEEPlJS6_EEE10hipError_tPvRmT3_T4_T5_T6_T7_T9_mT8_P12ihipStream_tbDpT10_ENKUlT_T0_E_clISt17integral_constantIbLb0EES16_IbLb1EEEEDaS12_S13_EUlS12_E_NS1_11comp_targetILNS1_3genE0ELNS1_11target_archE4294967295ELNS1_3gpuE0ELNS1_3repE0EEENS1_30default_config_static_selectorELNS0_4arch9wavefront6targetE0EEEvT1_,"axG",@progbits,_ZN7rocprim17ROCPRIM_400000_NS6detail17trampoline_kernelINS0_14default_configENS1_25partition_config_selectorILNS1_17partition_subalgoE8EhNS0_10empty_typeEbEEZZNS1_14partition_implILS5_8ELb0ES3_jPKhPS6_PKS6_NS0_5tupleIJPhS6_EEENSE_IJSB_SB_EEENS0_18inequality_wrapperIN6hipcub16HIPCUB_304000_NS8EqualityEEEPlJS6_EEE10hipError_tPvRmT3_T4_T5_T6_T7_T9_mT8_P12ihipStream_tbDpT10_ENKUlT_T0_E_clISt17integral_constantIbLb0EES16_IbLb1EEEEDaS12_S13_EUlS12_E_NS1_11comp_targetILNS1_3genE0ELNS1_11target_archE4294967295ELNS1_3gpuE0ELNS1_3repE0EEENS1_30default_config_static_selectorELNS0_4arch9wavefront6targetE0EEEvT1_,comdat
	.protected	_ZN7rocprim17ROCPRIM_400000_NS6detail17trampoline_kernelINS0_14default_configENS1_25partition_config_selectorILNS1_17partition_subalgoE8EhNS0_10empty_typeEbEEZZNS1_14partition_implILS5_8ELb0ES3_jPKhPS6_PKS6_NS0_5tupleIJPhS6_EEENSE_IJSB_SB_EEENS0_18inequality_wrapperIN6hipcub16HIPCUB_304000_NS8EqualityEEEPlJS6_EEE10hipError_tPvRmT3_T4_T5_T6_T7_T9_mT8_P12ihipStream_tbDpT10_ENKUlT_T0_E_clISt17integral_constantIbLb0EES16_IbLb1EEEEDaS12_S13_EUlS12_E_NS1_11comp_targetILNS1_3genE0ELNS1_11target_archE4294967295ELNS1_3gpuE0ELNS1_3repE0EEENS1_30default_config_static_selectorELNS0_4arch9wavefront6targetE0EEEvT1_ ; -- Begin function _ZN7rocprim17ROCPRIM_400000_NS6detail17trampoline_kernelINS0_14default_configENS1_25partition_config_selectorILNS1_17partition_subalgoE8EhNS0_10empty_typeEbEEZZNS1_14partition_implILS5_8ELb0ES3_jPKhPS6_PKS6_NS0_5tupleIJPhS6_EEENSE_IJSB_SB_EEENS0_18inequality_wrapperIN6hipcub16HIPCUB_304000_NS8EqualityEEEPlJS6_EEE10hipError_tPvRmT3_T4_T5_T6_T7_T9_mT8_P12ihipStream_tbDpT10_ENKUlT_T0_E_clISt17integral_constantIbLb0EES16_IbLb1EEEEDaS12_S13_EUlS12_E_NS1_11comp_targetILNS1_3genE0ELNS1_11target_archE4294967295ELNS1_3gpuE0ELNS1_3repE0EEENS1_30default_config_static_selectorELNS0_4arch9wavefront6targetE0EEEvT1_
	.globl	_ZN7rocprim17ROCPRIM_400000_NS6detail17trampoline_kernelINS0_14default_configENS1_25partition_config_selectorILNS1_17partition_subalgoE8EhNS0_10empty_typeEbEEZZNS1_14partition_implILS5_8ELb0ES3_jPKhPS6_PKS6_NS0_5tupleIJPhS6_EEENSE_IJSB_SB_EEENS0_18inequality_wrapperIN6hipcub16HIPCUB_304000_NS8EqualityEEEPlJS6_EEE10hipError_tPvRmT3_T4_T5_T6_T7_T9_mT8_P12ihipStream_tbDpT10_ENKUlT_T0_E_clISt17integral_constantIbLb0EES16_IbLb1EEEEDaS12_S13_EUlS12_E_NS1_11comp_targetILNS1_3genE0ELNS1_11target_archE4294967295ELNS1_3gpuE0ELNS1_3repE0EEENS1_30default_config_static_selectorELNS0_4arch9wavefront6targetE0EEEvT1_
	.p2align	8
	.type	_ZN7rocprim17ROCPRIM_400000_NS6detail17trampoline_kernelINS0_14default_configENS1_25partition_config_selectorILNS1_17partition_subalgoE8EhNS0_10empty_typeEbEEZZNS1_14partition_implILS5_8ELb0ES3_jPKhPS6_PKS6_NS0_5tupleIJPhS6_EEENSE_IJSB_SB_EEENS0_18inequality_wrapperIN6hipcub16HIPCUB_304000_NS8EqualityEEEPlJS6_EEE10hipError_tPvRmT3_T4_T5_T6_T7_T9_mT8_P12ihipStream_tbDpT10_ENKUlT_T0_E_clISt17integral_constantIbLb0EES16_IbLb1EEEEDaS12_S13_EUlS12_E_NS1_11comp_targetILNS1_3genE0ELNS1_11target_archE4294967295ELNS1_3gpuE0ELNS1_3repE0EEENS1_30default_config_static_selectorELNS0_4arch9wavefront6targetE0EEEvT1_,@function
_ZN7rocprim17ROCPRIM_400000_NS6detail17trampoline_kernelINS0_14default_configENS1_25partition_config_selectorILNS1_17partition_subalgoE8EhNS0_10empty_typeEbEEZZNS1_14partition_implILS5_8ELb0ES3_jPKhPS6_PKS6_NS0_5tupleIJPhS6_EEENSE_IJSB_SB_EEENS0_18inequality_wrapperIN6hipcub16HIPCUB_304000_NS8EqualityEEEPlJS6_EEE10hipError_tPvRmT3_T4_T5_T6_T7_T9_mT8_P12ihipStream_tbDpT10_ENKUlT_T0_E_clISt17integral_constantIbLb0EES16_IbLb1EEEEDaS12_S13_EUlS12_E_NS1_11comp_targetILNS1_3genE0ELNS1_11target_archE4294967295ELNS1_3gpuE0ELNS1_3repE0EEENS1_30default_config_static_selectorELNS0_4arch9wavefront6targetE0EEEvT1_: ; @_ZN7rocprim17ROCPRIM_400000_NS6detail17trampoline_kernelINS0_14default_configENS1_25partition_config_selectorILNS1_17partition_subalgoE8EhNS0_10empty_typeEbEEZZNS1_14partition_implILS5_8ELb0ES3_jPKhPS6_PKS6_NS0_5tupleIJPhS6_EEENSE_IJSB_SB_EEENS0_18inequality_wrapperIN6hipcub16HIPCUB_304000_NS8EqualityEEEPlJS6_EEE10hipError_tPvRmT3_T4_T5_T6_T7_T9_mT8_P12ihipStream_tbDpT10_ENKUlT_T0_E_clISt17integral_constantIbLb0EES16_IbLb1EEEEDaS12_S13_EUlS12_E_NS1_11comp_targetILNS1_3genE0ELNS1_11target_archE4294967295ELNS1_3gpuE0ELNS1_3repE0EEENS1_30default_config_static_selectorELNS0_4arch9wavefront6targetE0EEEvT1_
; %bb.0:
	s_clause 0x2
	s_load_b128 s[28:31], s[0:1], 0x40
	s_load_b64 s[8:9], s[0:1], 0x50
	s_load_b64 s[36:37], s[0:1], 0x60
	v_cmp_ne_u32_e64 s3, 0, v0
	v_cmp_eq_u32_e64 s2, 0, v0
	s_and_saveexec_b32 s4, s2
	s_cbranch_execz .LBB158_4
; %bb.1:
	s_mov_b32 s6, exec_lo
	s_mov_b32 s5, exec_lo
	v_mbcnt_lo_u32_b32 v1, s6, 0
                                        ; implicit-def: $vgpr2
	s_delay_alu instid0(VALU_DEP_1)
	v_cmpx_eq_u32_e32 0, v1
	s_cbranch_execz .LBB158_3
; %bb.2:
	s_load_b64 s[10:11], s[0:1], 0x70
	s_bcnt1_i32_b32 s6, s6
	s_delay_alu instid0(SALU_CYCLE_1)
	v_dual_mov_b32 v2, 0 :: v_dual_mov_b32 v3, s6
	s_wait_xcnt 0x0
	s_wait_kmcnt 0x0
	global_atomic_add_u32 v2, v2, v3, s[10:11] th:TH_ATOMIC_RETURN scope:SCOPE_DEV
.LBB158_3:
	s_wait_xcnt 0x0
	s_or_b32 exec_lo, exec_lo, s5
	s_wait_loadcnt 0x0
	v_readfirstlane_b32 s5, v2
	s_delay_alu instid0(VALU_DEP_1)
	v_dual_mov_b32 v2, 0 :: v_dual_add_nc_u32 v1, s5, v1
	ds_store_b32 v2, v1
.LBB158_4:
	s_or_b32 exec_lo, exec_lo, s4
	v_mov_b32_e32 v3, 0
	s_clause 0x2
	s_load_b128 s[4:7], s[0:1], 0x8
	s_load_b64 s[34:35], s[0:1], 0x28
	s_load_b32 s10, s[0:1], 0x68
	s_wait_dscnt 0x0
	s_barrier_signal -1
	s_barrier_wait -1
	ds_load_b32 v1, v3
	s_wait_dscnt 0x0
	s_barrier_signal -1
	s_barrier_wait -1
	s_wait_kmcnt 0x0
	global_load_b64 v[16:17], v3, s[30:31]
	s_mov_b32 s1, 0
	s_mul_i32 s0, s10, 0x1c00
	s_add_co_i32 s10, s10, -1
	s_add_nc_u64 s[12:13], s[6:7], s[0:1]
	s_add_co_i32 s0, s0, s6
	v_cmp_le_u64_e64 s1, s[8:9], s[12:13]
	v_readfirstlane_b32 s33, v1
	v_mul_lo_u32 v2, 0x1c00, v1
	s_sub_co_i32 s38, s8, s0
	s_cmp_eq_u32 s33, s10
	s_wait_xcnt 0x0
	s_cselect_b32 s30, -1, 0
	s_delay_alu instid0(SALU_CYCLE_1) | instskip(SKIP_2) | instid1(VALU_DEP_1)
	s_and_b32 s39, s1, s30
	s_add_nc_u64 s[0:1], s[4:5], s[6:7]
	s_xor_b32 s31, s39, -1
	v_add_nc_u64_e32 v[10:11], s[0:1], v[2:3]
	s_and_b32 vcc_lo, exec_lo, s31
	s_mov_b32 s0, -1
	s_cbranch_vccz .LBB158_6
; %bb.5:
	s_delay_alu instid0(VALU_DEP_1) | instskip(NEXT) | instid1(VALU_DEP_2)
	v_readfirstlane_b32 s0, v10
	v_readfirstlane_b32 s1, v11
	s_clause 0x1b
	global_load_u8 v1, v0, s[0:1]
	global_load_u8 v2, v0, s[0:1] offset:256
	global_load_u8 v3, v0, s[0:1] offset:512
	;; [unrolled: 1-line block ×27, first 2 shown]
	s_wait_xcnt 0x0
	s_mov_b32 s0, 0
	s_wait_loadcnt 0x1b
	ds_store_b8 v0, v1
	s_wait_loadcnt 0x1a
	ds_store_b8 v0, v2 offset:256
	s_wait_loadcnt 0x19
	ds_store_b8 v0, v3 offset:512
	;; [unrolled: 2-line block ×27, first 2 shown]
	s_wait_dscnt 0x0
	s_barrier_signal -1
	s_barrier_wait -1
.LBB158_6:
	s_and_not1_b32 vcc_lo, exec_lo, s0
	s_addk_co_i32 s38, 0x1c00
	s_cbranch_vccnz .LBB158_64
; %bb.7:
	v_mov_b32_e32 v2, 0
	s_mov_b32 s0, exec_lo
	s_delay_alu instid0(VALU_DEP_1)
	v_dual_mov_b32 v3, v2 :: v_dual_mov_b32 v4, v2
	v_dual_mov_b32 v5, v2 :: v_dual_mov_b32 v6, v2
	;; [unrolled: 1-line block ×3, first 2 shown]
	v_cmpx_gt_u32_e64 s38, v0
	s_cbranch_execz .LBB158_9
; %bb.8:
	v_readfirstlane_b32 s4, v10
	v_readfirstlane_b32 s5, v11
	v_dual_mov_b32 v19, v2 :: v_dual_mov_b32 v20, v2
	v_dual_mov_b32 v21, v2 :: v_dual_mov_b32 v22, v2
	global_load_u8 v18, v0, s[4:5]
	v_dual_mov_b32 v23, v2 :: v_dual_mov_b32 v24, v2
	s_wait_loadcnt 0x0
	v_dual_mov_b32 v2, v18 :: v_dual_mov_b32 v3, v19
	v_dual_mov_b32 v4, v20 :: v_dual_mov_b32 v5, v21
	s_delay_alu instid0(VALU_DEP_3)
	v_dual_mov_b32 v6, v22 :: v_dual_mov_b32 v7, v23
	v_mov_b32_e32 v8, v24
.LBB158_9:
	s_or_b32 exec_lo, exec_lo, s0
	v_or_b32_e32 v1, 0x100, v0
	s_mov_b32 s0, exec_lo
	s_delay_alu instid0(VALU_DEP_1)
	v_cmpx_gt_u32_e64 s38, v1
	s_cbranch_execz .LBB158_11
; %bb.10:
	v_readfirstlane_b32 s4, v10
	v_readfirstlane_b32 s5, v11
	global_load_u8 v1, v0, s[4:5] offset:256
	s_wait_loadcnt 0x0
	v_perm_b32 v2, v2, v1, 0x7060004
.LBB158_11:
	s_or_b32 exec_lo, exec_lo, s0
	v_or_b32_e32 v1, 0x200, v0
	s_mov_b32 s0, exec_lo
	s_delay_alu instid0(VALU_DEP_1)
	v_cmpx_gt_u32_e64 s38, v1
	s_cbranch_execz .LBB158_13
; %bb.12:
	v_readfirstlane_b32 s4, v10
	v_readfirstlane_b32 s5, v11
	global_load_u8 v1, v0, s[4:5] offset:512
	s_wait_loadcnt 0x0
	v_perm_b32 v2, v2, v1, 0x7000504
.LBB158_13:
	;; [unrolled: 13-line block ×27, first 2 shown]
	s_or_b32 exec_lo, exec_lo, s0
	v_dual_lshrrev_b32 v1, 8, v2 :: v_dual_lshrrev_b32 v9, 24, v2
	v_dual_lshrrev_b32 v12, 8, v3 :: v_dual_lshrrev_b32 v13, 24, v3
	ds_store_b8 v0, v2
	ds_store_b8 v0, v1 offset:256
	ds_store_b8_d16_hi v0, v2 offset:512
	ds_store_b8 v0, v9 offset:768
	ds_store_b8 v0, v3 offset:1024
	;; [unrolled: 1-line block ×3, first 2 shown]
	ds_store_b8_d16_hi v0, v3 offset:1536
	ds_store_b8 v0, v13 offset:1792
	v_dual_lshrrev_b32 v1, 8, v4 :: v_dual_lshrrev_b32 v2, 24, v4
	v_dual_lshrrev_b32 v3, 8, v5 :: v_dual_lshrrev_b32 v9, 24, v5
	ds_store_b8 v0, v4 offset:2048
	ds_store_b8 v0, v1 offset:2304
	ds_store_b8_d16_hi v0, v4 offset:2560
	ds_store_b8 v0, v2 offset:2816
	ds_store_b8 v0, v5 offset:3072
	;; [unrolled: 1-line block ×3, first 2 shown]
	ds_store_b8_d16_hi v0, v5 offset:3584
	ds_store_b8 v0, v9 offset:3840
	v_dual_lshrrev_b32 v1, 8, v6 :: v_dual_lshrrev_b32 v2, 24, v6
	v_dual_lshrrev_b32 v3, 8, v7 :: v_dual_lshrrev_b32 v4, 24, v7
	v_dual_lshrrev_b32 v5, 8, v8 :: v_dual_lshrrev_b32 v9, 24, v8
	ds_store_b8 v0, v6 offset:4096
	ds_store_b8 v0, v1 offset:4352
	ds_store_b8_d16_hi v0, v6 offset:4608
	ds_store_b8 v0, v2 offset:4864
	ds_store_b8 v0, v7 offset:5120
	ds_store_b8 v0, v3 offset:5376
	ds_store_b8_d16_hi v0, v7 offset:5632
	ds_store_b8 v0, v4 offset:5888
	;; [unrolled: 4-line block ×3, first 2 shown]
	s_wait_loadcnt_dscnt 0x0
	s_barrier_signal -1
	s_barrier_wait -1
.LBB158_64:
	v_mul_u32_u24_e32 v8, 28, v0
	s_wait_loadcnt 0x0
	s_cmp_lg_u32 s33, 0
	s_mov_b32 s41, 0
	s_cselect_b32 s40, -1, 0
	ds_load_2addr_b32 v[6:7], v8 offset1:1
	ds_load_2addr_b32 v[4:5], v8 offset0:2 offset1:3
	ds_load_2addr_b32 v[2:3], v8 offset0:4 offset1:5
	ds_load_b32 v22, v8 offset:24
	s_cmp_lg_u64 s[6:7], 0
	s_wait_dscnt 0x0
	s_cselect_b32 s0, -1, 0
	s_barrier_signal -1
	s_or_b32 s0, s0, s40
	s_barrier_wait -1
	s_and_b32 vcc_lo, exec_lo, s0
	v_dual_lshrrev_b32 v41, 8, v6 :: v_dual_lshrrev_b32 v40, 16, v6
	v_dual_lshrrev_b32 v39, 24, v6 :: v_dual_lshrrev_b32 v38, 8, v7
	;; [unrolled: 1-line block ×10, first 2 shown]
	v_lshrrev_b32_e32 v1, 24, v22
	s_cbranch_vccz .LBB158_69
; %bb.65:
	global_load_u8 v9, v[10:11], off offset:-1
	s_and_b32 vcc_lo, exec_lo, s31
	ds_store_b8 v0, v1
	s_cbranch_vccz .LBB158_70
; %bb.66:
	s_wait_loadcnt 0x0
	v_mov_b32_e32 v10, v9
	s_wait_dscnt 0x0
	s_barrier_signal -1
	s_barrier_wait -1
	s_and_saveexec_b32 s0, s3
; %bb.67:
	v_add_nc_u32_e32 v10, -1, v0
	ds_load_u8 v10, v10
; %bb.68:
	s_or_b32 exec_lo, exec_lo, s0
	v_and_b32_e32 v11, 0xff, v21
	v_and_b32_e32 v12, 0xff, v23
	;; [unrolled: 1-line block ×3, first 2 shown]
	s_wait_dscnt 0x0
	v_and_b32_e32 v10, 0xff, v10
	v_cmp_ne_u16_e32 vcc_lo, v11, v1
	v_cndmask_b32_e64 v42, 0, 1, vcc_lo
	v_cmp_ne_u16_e32 vcc_lo, v12, v11
	v_and_b32_e32 v11, 0xff, v25
	v_cndmask_b32_e64 v43, 0, 1, vcc_lo
	v_cmp_ne_u16_e32 vcc_lo, v13, v12
	v_and_b32_e32 v12, 0xff, v26
	v_cndmask_b32_e64 v44, 0, 1, vcc_lo
	v_cmp_ne_u16_e32 vcc_lo, v24, v13
	v_and_b32_e32 v13, 0xff, v3
	v_cndmask_b32_e64 v45, 0, 1, vcc_lo
	v_cmp_ne_u16_e32 vcc_lo, v11, v24
	v_cndmask_b32_e64 v46, 0, 1, vcc_lo
	v_cmp_ne_u16_e32 vcc_lo, v12, v11
	v_and_b32_e32 v11, 0xff, v28
	v_cndmask_b32_e64 v47, 0, 1, vcc_lo
	v_cmp_ne_u16_e32 vcc_lo, v13, v12
	v_and_b32_e32 v12, 0xff, v29
	v_cndmask_b32_e64 v48, 0, 1, vcc_lo
	v_cmp_ne_u16_e32 vcc_lo, v27, v13
	v_and_b32_e32 v13, 0xff, v2
	v_cndmask_b32_e64 v49, 0, 1, vcc_lo
	;; [unrolled: 11-line block ×6, first 2 shown]
	v_cmp_ne_u16_e32 vcc_lo, v11, v39
	s_delay_alu instid0(VALU_DEP_3)
	v_cmp_ne_u16_e64 s42, v10, v13
	v_cndmask_b32_e64 v66, 0, 1, vcc_lo
	v_cmp_ne_u16_e32 vcc_lo, v12, v11
	v_cndmask_b32_e64 v67, 0, 1, vcc_lo
	v_cmp_ne_u16_e32 vcc_lo, v13, v12
	v_cndmask_b32_e64 v68, 0, 1, vcc_lo
	s_branch .LBB158_74
.LBB158_69:
                                        ; implicit-def: $sgpr42
                                        ; implicit-def: $vgpr42
                                        ; implicit-def: $vgpr43
                                        ; implicit-def: $vgpr44
                                        ; implicit-def: $vgpr45
                                        ; implicit-def: $vgpr46
                                        ; implicit-def: $vgpr47
                                        ; implicit-def: $vgpr48
                                        ; implicit-def: $vgpr49
                                        ; implicit-def: $vgpr68
                                        ; implicit-def: $vgpr67
                                        ; implicit-def: $vgpr66
                                        ; implicit-def: $vgpr65
                                        ; implicit-def: $vgpr64
                                        ; implicit-def: $vgpr63
                                        ; implicit-def: $vgpr62
                                        ; implicit-def: $vgpr61
                                        ; implicit-def: $vgpr60
                                        ; implicit-def: $vgpr59
                                        ; implicit-def: $vgpr58
                                        ; implicit-def: $vgpr57
                                        ; implicit-def: $vgpr56
                                        ; implicit-def: $vgpr55
                                        ; implicit-def: $vgpr54
                                        ; implicit-def: $vgpr53
                                        ; implicit-def: $vgpr52
                                        ; implicit-def: $vgpr51
                                        ; implicit-def: $vgpr50
	s_branch .LBB158_75
.LBB158_70:
                                        ; implicit-def: $sgpr42
                                        ; implicit-def: $vgpr42
                                        ; implicit-def: $vgpr43
                                        ; implicit-def: $vgpr44
                                        ; implicit-def: $vgpr45
                                        ; implicit-def: $vgpr46
                                        ; implicit-def: $vgpr47
                                        ; implicit-def: $vgpr48
                                        ; implicit-def: $vgpr49
                                        ; implicit-def: $vgpr68
                                        ; implicit-def: $vgpr67
                                        ; implicit-def: $vgpr66
                                        ; implicit-def: $vgpr65
                                        ; implicit-def: $vgpr64
                                        ; implicit-def: $vgpr63
                                        ; implicit-def: $vgpr62
                                        ; implicit-def: $vgpr61
                                        ; implicit-def: $vgpr60
                                        ; implicit-def: $vgpr59
                                        ; implicit-def: $vgpr58
                                        ; implicit-def: $vgpr57
                                        ; implicit-def: $vgpr56
                                        ; implicit-def: $vgpr55
                                        ; implicit-def: $vgpr54
                                        ; implicit-def: $vgpr53
                                        ; implicit-def: $vgpr52
                                        ; implicit-def: $vgpr51
                                        ; implicit-def: $vgpr50
	s_cbranch_execz .LBB158_74
; %bb.71:
	s_wait_loadcnt_dscnt 0x0
	s_barrier_signal -1
	s_barrier_wait -1
	s_and_saveexec_b32 s0, s3
; %bb.72:
	v_add_nc_u32_e32 v9, -1, v0
	ds_load_u8 v9, v9
; %bb.73:
	s_or_b32 exec_lo, exec_lo, s0
	v_dual_add_nc_u32 v10, 27, v8 :: v_dual_add_nc_u32 v13, 26, v8
	v_and_b32_e32 v11, 0xff, v21
	v_and_b32_e32 v12, 0xff, v1
	;; [unrolled: 1-line block ×3, first 2 shown]
	s_delay_alu instid0(VALU_DEP_4)
	v_cmp_gt_u32_e32 vcc_lo, s38, v10
	v_add_nc_u32_e32 v10, 25, v8
	v_cmp_gt_u32_e64 s1, s38, v13
	v_cmp_ne_u16_e64 s0, v11, v12
	v_and_b32_e32 v12, 0xff, v22
	v_add_nc_u32_e32 v13, 23, v8
	v_cmp_ne_u16_e64 s4, v14, v11
	v_and_b32_e32 v11, 0xff, v24
	s_and_b32 s0, vcc_lo, s0
	v_cmp_gt_u32_e32 vcc_lo, s38, v10
	v_cndmask_b32_e64 v42, 0, 1, s0
	v_cmp_ne_u16_e64 s0, v12, v14
	v_add_nc_u32_e32 v10, 24, v8
	s_and_b32 s1, s1, s4
	v_and_b32_e32 v14, 0xff, v41
	v_cndmask_b32_e64 v43, 0, 1, s1
	s_and_b32 s0, vcc_lo, s0
	v_cmp_gt_u32_e64 s1, s38, v13
	v_cndmask_b32_e64 v44, 0, 1, s0
	v_cmp_ne_u16_e64 s0, v11, v12
	v_add_nc_u32_e32 v12, 22, v8
	v_cmp_gt_u32_e32 vcc_lo, s38, v10
	v_and_b32_e32 v10, 0xff, v25
	v_and_b32_e32 v13, 0xff, v26
	s_wait_dscnt 0x0
	v_and_b32_e32 v9, 0xff, v9
	s_and_b32 s0, vcc_lo, s0
	v_cmp_gt_u32_e32 vcc_lo, s38, v12
	v_cndmask_b32_e64 v45, 0, 1, s0
	v_cmp_ne_u16_e64 s0, v13, v10
	v_cmp_ne_u16_e64 s4, v10, v11
	v_dual_add_nc_u32 v10, 21, v8 :: v_dual_add_nc_u32 v12, 20, v8
	v_and_b32_e32 v11, 0xff, v3
	s_and_b32 s0, vcc_lo, s0
	s_and_b32 s1, s1, s4
	v_cndmask_b32_e64 v47, 0, 1, s0
	v_cmp_gt_u32_e32 vcc_lo, s38, v10
	v_cmp_ne_u16_e64 s0, v11, v13
	v_cndmask_b32_e64 v46, 0, 1, s1
	v_and_b32_e32 v10, 0xff, v27
	v_cmp_gt_u32_e64 s1, s38, v12
	v_add_nc_u32_e32 v12, 19, v8
	v_and_b32_e32 v13, 0xff, v28
	s_and_b32 s0, vcc_lo, s0
	v_cmp_ne_u16_e64 s4, v10, v11
	v_cndmask_b32_e64 v48, 0, 1, s0
	v_and_b32_e32 v11, 0xff, v29
	v_cmp_ne_u16_e64 s0, v13, v10
	v_add_nc_u32_e32 v10, 18, v8
	v_cmp_gt_u32_e32 vcc_lo, s38, v12
	v_add_nc_u32_e32 v12, 17, v8
	s_and_b32 s1, s1, s4
	s_delay_alu instid0(SALU_CYCLE_1)
	v_cndmask_b32_e64 v49, 0, 1, s1
	s_and_b32 s0, vcc_lo, s0
	v_cmp_gt_u32_e32 vcc_lo, s38, v10
	v_cndmask_b32_e64 v50, 0, 1, s0
	v_cmp_ne_u16_e64 s0, v11, v13
	v_and_b32_e32 v10, 0xff, v2
	v_and_b32_e32 v13, 0xff, v30
	s_and_b32 s0, vcc_lo, s0
	s_delay_alu instid0(VALU_DEP_2) | instskip(SKIP_1) | instid1(VALU_DEP_3)
	v_cmp_ne_u16_e64 s4, v10, v11
	v_cndmask_b32_e64 v51, 0, 1, s0
	v_cmp_ne_u16_e64 s0, v13, v10
	v_add_nc_u32_e32 v10, 15, v8
	v_cmp_gt_u32_e64 s1, s38, v12
	v_add_nc_u32_e32 v12, 16, v8
	v_and_b32_e32 v11, 0xff, v31
	s_and_b32 s1, s1, s4
	s_delay_alu instid0(VALU_DEP_2)
	v_cmp_gt_u32_e32 vcc_lo, s38, v12
	v_add_nc_u32_e32 v12, 14, v8
	v_cndmask_b32_e64 v52, 0, 1, s1
	s_and_b32 s0, vcc_lo, s0
	v_cmp_gt_u32_e32 vcc_lo, s38, v10
	v_cndmask_b32_e64 v53, 0, 1, s0
	v_cmp_ne_u16_e64 s0, v11, v13
	v_and_b32_e32 v10, 0xff, v32
	v_cmp_gt_u32_e64 s1, s38, v12
	v_add_nc_u32_e32 v12, 13, v8
	v_and_b32_e32 v13, 0xff, v5
	s_and_b32 s0, vcc_lo, s0
	v_cmp_ne_u16_e64 s4, v10, v11
	v_cndmask_b32_e64 v54, 0, 1, s0
	v_cmp_gt_u32_e32 vcc_lo, s38, v12
	v_cmp_ne_u16_e64 s0, v13, v10
	v_add_nc_u32_e32 v10, 12, v8
	v_and_b32_e32 v11, 0xff, v33
	v_add_nc_u32_e32 v12, 11, v8
	s_and_b32 s1, s1, s4
	s_and_b32 s0, vcc_lo, s0
	v_cmp_gt_u32_e32 vcc_lo, s38, v10
	v_cndmask_b32_e64 v56, 0, 1, s0
	v_cmp_ne_u16_e64 s0, v11, v13
	v_cndmask_b32_e64 v55, 0, 1, s1
	v_and_b32_e32 v10, 0xff, v34
	v_cmp_gt_u32_e64 s1, s38, v12
	v_add_nc_u32_e32 v12, 10, v8
	v_and_b32_e32 v13, 0xff, v35
	s_and_b32 s0, vcc_lo, s0
	v_cmp_ne_u16_e64 s4, v10, v11
	v_cndmask_b32_e64 v57, 0, 1, s0
	v_cmp_gt_u32_e32 vcc_lo, s38, v12
	v_cmp_ne_u16_e64 s0, v13, v10
	v_add_nc_u32_e32 v10, 9, v8
	v_and_b32_e32 v11, 0xff, v4
	v_add_nc_u32_e32 v12, 8, v8
	s_and_b32 s1, s1, s4
	s_and_b32 s0, vcc_lo, s0
	v_cmp_gt_u32_e32 vcc_lo, s38, v10
	v_cndmask_b32_e64 v59, 0, 1, s0
	v_cmp_ne_u16_e64 s0, v11, v13
	v_cndmask_b32_e64 v58, 0, 1, s1
	;; [unrolled: 18-line block ×3, first 2 shown]
	v_and_b32_e32 v10, 0xff, v7
	v_cmp_gt_u32_e64 s1, s38, v12
	v_add_nc_u32_e32 v12, 4, v8
	v_and_b32_e32 v13, 0xff, v39
	s_and_b32 s0, vcc_lo, s0
	v_cmp_ne_u16_e64 s4, v10, v11
	v_cndmask_b32_e64 v63, 0, 1, s0
	v_cmp_gt_u32_e32 vcc_lo, s38, v12
	v_cmp_ne_u16_e64 s0, v13, v10
	v_or_b32_e32 v10, 3, v8
	v_and_b32_e32 v11, 0xff, v40
	v_or_b32_e32 v12, 2, v8
	s_and_b32 s1, s1, s4
	s_and_b32 s0, vcc_lo, s0
	v_cmp_gt_u32_e32 vcc_lo, s38, v10
	v_cndmask_b32_e64 v65, 0, 1, s0
	v_cmp_ne_u16_e64 s0, v11, v13
	v_or_b32_e32 v10, 1, v8
	v_cmp_ne_u16_e64 s4, v14, v11
	v_and_b32_e32 v11, 0xff, v6
	v_cndmask_b32_e64 v64, 0, 1, s1
	v_cmp_gt_u32_e64 s1, s38, v12
	s_and_b32 s0, vcc_lo, s0
	v_cmp_gt_u32_e32 vcc_lo, s38, v10
	v_cndmask_b32_e64 v66, 0, 1, s0
	v_cmp_ne_u16_e64 s0, v11, v14
	s_and_b32 s1, s1, s4
	v_cmp_ne_u16_e64 s4, v9, v11
	v_cndmask_b32_e64 v67, 0, 1, s1
	v_cmp_gt_u32_e64 s1, s38, v8
	s_and_b32 s0, vcc_lo, s0
	s_delay_alu instid0(SALU_CYCLE_1)
	v_cndmask_b32_e64 v68, 0, 1, s0
	s_and_b32 s42, s1, s4
.LBB158_74:
	s_mov_b32 s41, -1
	s_cbranch_execnz .LBB158_83
.LBB158_75:
	s_delay_alu instid0(VALU_DEP_2)
	v_and_b32_e32 v79, 0xff, v21
	v_and_b32_e32 v78, 0xff, v23
	;; [unrolled: 1-line block ×18, first 2 shown]
	s_wait_xcnt 0x0
	v_and_b32_e32 v11, 0xff, v40
	v_and_b32_e32 v10, 0xff, v41
	s_wait_loadcnt 0x0
	v_and_b32_e32 v9, 0xff, v6
	s_and_b32 vcc_lo, exec_lo, s31
	ds_store_b8 v0, v1
	s_cbranch_vccz .LBB158_79
; %bb.76:
	v_cmp_ne_u16_e64 s0, v78, v79
	v_cmp_ne_u16_e64 s1, v77, v78
	;; [unrolled: 1-line block ×26, first 2 shown]
	v_cmp_ne_u16_e32 vcc_lo, v79, v1
	s_wait_dscnt 0x0
	s_barrier_signal -1
	s_barrier_wait -1
                                        ; implicit-def: $sgpr42
	s_and_saveexec_b32 s43, s3
	s_delay_alu instid0(SALU_CYCLE_1)
	s_xor_b32 s43, exec_lo, s43
	s_cbranch_execz .LBB158_78
; %bb.77:
	v_add_nc_u32_e32 v42, -1, v0
	s_or_b32 s41, s41, exec_lo
	ds_load_u8 v42, v42
	s_wait_dscnt 0x0
	v_cmp_ne_u16_e64 s42, v42, v9
.LBB158_78:
	s_or_b32 exec_lo, exec_lo, s43
	v_cndmask_b32_e64 v42, 0, 1, vcc_lo
	v_cndmask_b32_e64 v43, 0, 1, s0
	v_cndmask_b32_e64 v44, 0, 1, s1
	;; [unrolled: 1-line block ×26, first 2 shown]
	s_branch .LBB158_83
.LBB158_79:
                                        ; implicit-def: $sgpr42
                                        ; implicit-def: $vgpr42
                                        ; implicit-def: $vgpr43
                                        ; implicit-def: $vgpr44
                                        ; implicit-def: $vgpr45
                                        ; implicit-def: $vgpr46
                                        ; implicit-def: $vgpr47
                                        ; implicit-def: $vgpr48
                                        ; implicit-def: $vgpr49
                                        ; implicit-def: $vgpr68
                                        ; implicit-def: $vgpr67
                                        ; implicit-def: $vgpr66
                                        ; implicit-def: $vgpr65
                                        ; implicit-def: $vgpr64
                                        ; implicit-def: $vgpr63
                                        ; implicit-def: $vgpr62
                                        ; implicit-def: $vgpr61
                                        ; implicit-def: $vgpr60
                                        ; implicit-def: $vgpr59
                                        ; implicit-def: $vgpr58
                                        ; implicit-def: $vgpr57
                                        ; implicit-def: $vgpr56
                                        ; implicit-def: $vgpr55
                                        ; implicit-def: $vgpr54
                                        ; implicit-def: $vgpr53
                                        ; implicit-def: $vgpr52
                                        ; implicit-def: $vgpr51
                                        ; implicit-def: $vgpr50
	s_cbranch_execz .LBB158_83
; %bb.80:
	v_dual_add_nc_u32 v42, 27, v8 :: v_dual_add_nc_u32 v44, 26, v8
	v_and_b32_e32 v43, 0xff, v1
	v_add_nc_u32_e32 v45, 25, v8
	v_cmp_ne_u16_e64 s1, v78, v79
	s_delay_alu instid0(VALU_DEP_4)
	v_cmp_gt_u32_e32 vcc_lo, s38, v42
	v_add_nc_u32_e32 v42, 24, v8
	v_cmp_ne_u16_e64 s0, v79, v43
	v_cmp_gt_u32_e64 s4, s38, v44
	v_cmp_gt_u32_e64 s5, s38, v45
	v_and_b32_e32 v43, 0xff, v24
	v_dual_add_nc_u32 v44, 23, v8 :: v_dual_add_nc_u32 v45, 22, v8
	s_and_b32 s11, vcc_lo, s0
	v_cmp_ne_u16_e32 vcc_lo, v77, v78
	v_cmp_gt_u32_e64 s0, s38, v42
	v_add_nc_u32_e32 v42, 21, v8
	s_and_b32 s12, s4, s1
	v_cmp_ne_u16_e64 s1, v43, v77
	v_cmp_gt_u32_e64 s4, s38, v44
	s_and_b32 s13, s5, vcc_lo
	v_add_nc_u32_e32 v44, 19, v8
	v_cmp_gt_u32_e32 vcc_lo, s38, v42
	v_add_nc_u32_e32 v42, 20, v8
	v_cmp_ne_u16_e64 s6, v76, v43
	v_cmp_gt_u32_e64 s7, s38, v45
	s_and_b32 s14, s0, s1
	v_and_b32_e32 v43, 0xff, v27
	v_cmp_ne_u16_e64 s0, v74, v75
	v_add_nc_u32_e32 v45, 18, v8
	v_cmp_gt_u32_e64 s1, s38, v42
	v_add_nc_u32_e32 v42, 17, v8
	v_cmp_ne_u16_e64 s8, v75, v76
	s_and_b32 s15, s4, s6
	v_cmp_ne_u16_e64 s4, v43, v74
	v_cmp_gt_u32_e64 s5, s38, v44
	s_and_b32 s17, vcc_lo, s0
	v_add_nc_u32_e32 v44, 15, v8
	v_cmp_gt_u32_e32 vcc_lo, s38, v42
	v_add_nc_u32_e32 v42, 16, v8
	s_and_b32 s16, s7, s8
	v_cmp_ne_u16_e64 s6, v73, v43
	v_cmp_gt_u32_e64 s7, s38, v45
	v_cmp_ne_u16_e64 s8, v72, v73
	s_and_b32 s18, s1, s4
	v_and_b32_e32 v43, 0xff, v30
	v_cmp_ne_u16_e64 s0, v71, v72
	v_add_nc_u32_e32 v45, 14, v8
	v_cmp_gt_u32_e64 s1, s38, v42
	v_add_nc_u32_e32 v42, 13, v8
	s_and_b32 s19, s5, s6
	s_and_b32 s20, s7, s8
	v_cmp_ne_u16_e64 s4, v43, v71
	v_cmp_gt_u32_e64 s5, s38, v44
	v_cmp_ne_u16_e64 s6, v70, v43
	v_cmp_gt_u32_e64 s7, s38, v45
	v_cmp_ne_u16_e64 s8, v69, v70
	s_and_b32 s21, vcc_lo, s0
	v_and_b32_e32 v43, 0xff, v33
	v_add_nc_u32_e32 v44, 11, v8
	v_cmp_gt_u32_e32 vcc_lo, s38, v42
	v_dual_add_nc_u32 v42, 12, v8 :: v_dual_add_nc_u32 v45, 10, v8
	s_and_b32 s22, s1, s4
	s_and_b32 s23, s5, s6
	;; [unrolled: 1-line block ×3, first 2 shown]
	v_cmp_ne_u16_e64 s0, v20, v69
	v_cmp_ne_u16_e64 s4, v43, v20
	v_cmp_gt_u32_e64 s5, s38, v44
	v_cmp_ne_u16_e64 s6, v19, v43
	v_cmp_gt_u32_e64 s7, s38, v45
	v_cmp_ne_u16_e64 s8, v18, v19
	v_add_nc_u32_e32 v19, 9, v8
	v_and_b32_e32 v20, 0xff, v36
	v_cmp_gt_u32_e64 s1, s38, v42
	s_and_b32 s25, vcc_lo, s0
	s_and_b32 s27, s5, s6
	s_and_b32 s43, s7, s8
	v_add_nc_u32_e32 v42, 7, v8
	v_cmp_gt_u32_e32 vcc_lo, s38, v19
	v_add_nc_u32_e32 v19, 8, v8
	v_cmp_ne_u16_e64 s0, v15, v18
	v_cmp_ne_u16_e64 s6, v14, v20
	;; [unrolled: 1-line block ×3, first 2 shown]
	v_add_nc_u32_e32 v14, 5, v8
	s_and_b32 s26, s1, s4
	v_add_nc_u32_e32 v18, 6, v8
	v_cmp_gt_u32_e64 s1, s38, v19
	v_cmp_ne_u16_e64 s4, v20, v15
	s_and_b32 s44, vcc_lo, s0
	v_add_nc_u32_e32 v15, 4, v8
	v_cmp_gt_u32_e32 vcc_lo, s38, v14
	v_and_b32_e32 v14, 0xff, v39
	v_cmp_gt_u32_e64 s5, s38, v42
	v_cmp_gt_u32_e64 s7, s38, v18
	s_and_b32 s45, s1, s4
	v_cmp_ne_u16_e64 s0, v12, v13
	v_or_b32_e32 v13, 3, v8
	v_cmp_gt_u32_e64 s1, s38, v15
	v_or_b32_e32 v15, 2, v8
	v_cmp_ne_u16_e64 s4, v14, v12
	v_or_b32_e32 v12, 1, v8
	s_and_b32 s46, s5, s6
	s_and_b32 s47, s7, s8
	v_cmp_gt_u32_e64 s5, s38, v13
	v_cmp_ne_u16_e64 s6, v11, v14
	v_cmp_gt_u32_e64 s7, s38, v15
	v_cmp_ne_u16_e64 s8, v10, v11
	;; [unrolled: 2-line block ×3, first 2 shown]
	s_and_b32 s48, vcc_lo, s0
	s_and_b32 s1, s1, s4
	s_and_b32 s4, s5, s6
	;; [unrolled: 1-line block ×4, first 2 shown]
	s_wait_dscnt 0x0
	s_barrier_signal -1
	s_barrier_wait -1
                                        ; implicit-def: $sgpr42
	s_and_saveexec_b32 s7, s3
	s_cbranch_execz .LBB158_82
; %bb.81:
	v_add_nc_u32_e32 v10, -1, v0
	v_cmp_gt_u32_e32 vcc_lo, s38, v8
	s_or_b32 s41, s41, exec_lo
	ds_load_u8 v10, v10
	s_wait_dscnt 0x0
	v_and_b32_e32 v10, 0xff, v10
	s_delay_alu instid0(VALU_DEP_1)
	v_cmp_ne_u16_e64 s0, v10, v9
	s_and_b32 s42, vcc_lo, s0
.LBB158_82:
	s_or_b32 exec_lo, exec_lo, s7
	v_cndmask_b32_e64 v42, 0, 1, s11
	v_cndmask_b32_e64 v43, 0, 1, s12
	;; [unrolled: 1-line block ×27, first 2 shown]
.LBB158_83:
	v_mov_b32_e32 v69, 1
	s_wait_xcnt 0x0
	s_and_saveexec_b32 s0, s41
; %bb.84:
	v_cndmask_b32_e64 v69, 0, 1, s42
; %bb.85:
	s_or_b32 exec_lo, exec_lo, s0
	s_delay_alu instid0(SALU_CYCLE_1)
	s_and_not1_b32 vcc_lo, exec_lo, s39
	s_cbranch_vccnz .LBB158_87
; %bb.86:
	v_cmp_gt_u32_e32 vcc_lo, s38, v8
	s_wait_loadcnt 0x0
	v_or_b32_e32 v9, 1, v8
	v_or_b32_e32 v10, 2, v8
	v_dual_cndmask_b32 v69, 0, v69, vcc_lo :: v_dual_bitop2_b32 v11, 3, v8 bitop3:0x54
	s_delay_alu instid0(VALU_DEP_3)
	v_cmp_gt_u32_e32 vcc_lo, s38, v9
	v_add_nc_u32_e32 v9, 4, v8
	v_cndmask_b32_e32 v68, 0, v68, vcc_lo
	v_cmp_gt_u32_e32 vcc_lo, s38, v10
	v_dual_cndmask_b32 v67, 0, v67 :: v_dual_add_nc_u32 v10, 5, v8
	v_cmp_gt_u32_e32 vcc_lo, s38, v11
	v_dual_cndmask_b32 v66, 0, v66 :: v_dual_add_nc_u32 v11, 6, v8
	v_cmp_gt_u32_e32 vcc_lo, s38, v9
	v_dual_add_nc_u32 v9, 7, v8 :: v_dual_cndmask_b32 v65, 0, v65, vcc_lo
	v_cmp_gt_u32_e32 vcc_lo, s38, v10
	v_cndmask_b32_e32 v64, 0, v64, vcc_lo
	v_cmp_gt_u32_e32 vcc_lo, s38, v11
	v_dual_add_nc_u32 v11, 10, v8 :: v_dual_cndmask_b32 v63, 0, v63, vcc_lo
	v_cmp_gt_u32_e32 vcc_lo, s38, v9
	v_dual_add_nc_u32 v10, 8, v8 :: v_dual_add_nc_u32 v9, 9, v8
	v_cndmask_b32_e32 v62, 0, v62, vcc_lo
	s_delay_alu instid0(VALU_DEP_2) | instskip(SKIP_1) | instid1(VALU_DEP_4)
	v_cmp_gt_u32_e32 vcc_lo, s38, v10
	v_dual_cndmask_b32 v61, 0, v61 :: v_dual_add_nc_u32 v10, 11, v8
	v_cmp_gt_u32_e32 vcc_lo, s38, v9
	v_cndmask_b32_e32 v60, 0, v60, vcc_lo
	v_cmp_gt_u32_e32 vcc_lo, s38, v11
	v_dual_add_nc_u32 v11, 14, v8 :: v_dual_cndmask_b32 v59, 0, v59, vcc_lo
	v_cmp_gt_u32_e32 vcc_lo, s38, v10
	v_dual_add_nc_u32 v9, 12, v8 :: v_dual_add_nc_u32 v10, 13, v8
	v_cndmask_b32_e32 v58, 0, v58, vcc_lo
	s_delay_alu instid0(VALU_DEP_2) | instskip(SKIP_1) | instid1(VALU_DEP_4)
	v_cmp_gt_u32_e32 vcc_lo, s38, v9
	v_dual_add_nc_u32 v9, 15, v8 :: v_dual_cndmask_b32 v57, 0, v57, vcc_lo
	v_cmp_gt_u32_e32 vcc_lo, s38, v10
	v_cndmask_b32_e32 v56, 0, v56, vcc_lo
	v_cmp_gt_u32_e32 vcc_lo, s38, v11
	v_dual_add_nc_u32 v11, 18, v8 :: v_dual_cndmask_b32 v55, 0, v55, vcc_lo
	v_cmp_gt_u32_e32 vcc_lo, s38, v9
	v_dual_add_nc_u32 v10, 16, v8 :: v_dual_add_nc_u32 v9, 17, v8
	v_cndmask_b32_e32 v54, 0, v54, vcc_lo
	s_delay_alu instid0(VALU_DEP_2) | instskip(SKIP_1) | instid1(VALU_DEP_4)
	v_cmp_gt_u32_e32 vcc_lo, s38, v10
	v_dual_cndmask_b32 v53, 0, v53 :: v_dual_add_nc_u32 v10, 19, v8
	v_cmp_gt_u32_e32 vcc_lo, s38, v9
	v_cndmask_b32_e32 v52, 0, v52, vcc_lo
	v_cmp_gt_u32_e32 vcc_lo, s38, v11
	v_dual_add_nc_u32 v11, 22, v8 :: v_dual_cndmask_b32 v51, 0, v51, vcc_lo
	v_cmp_gt_u32_e32 vcc_lo, s38, v10
	v_dual_add_nc_u32 v9, 20, v8 :: v_dual_add_nc_u32 v10, 21, v8
	v_cndmask_b32_e32 v50, 0, v50, vcc_lo
	s_delay_alu instid0(VALU_DEP_2) | instskip(SKIP_1) | instid1(VALU_DEP_4)
	v_cmp_gt_u32_e32 vcc_lo, s38, v9
	v_dual_add_nc_u32 v9, 23, v8 :: v_dual_cndmask_b32 v49, 0, v49, vcc_lo
	v_cmp_gt_u32_e32 vcc_lo, s38, v10
	v_cndmask_b32_e32 v48, 0, v48, vcc_lo
	v_cmp_gt_u32_e32 vcc_lo, s38, v11
	v_dual_add_nc_u32 v11, 26, v8 :: v_dual_cndmask_b32 v47, 0, v47, vcc_lo
	v_cmp_gt_u32_e32 vcc_lo, s38, v9
	v_dual_add_nc_u32 v10, 24, v8 :: v_dual_add_nc_u32 v9, 25, v8
	v_dual_add_nc_u32 v8, 27, v8 :: v_dual_cndmask_b32 v46, 0, v46, vcc_lo
	s_delay_alu instid0(VALU_DEP_2) | instskip(SKIP_1) | instid1(VALU_DEP_4)
	v_cmp_gt_u32_e32 vcc_lo, s38, v10
	v_cndmask_b32_e32 v45, 0, v45, vcc_lo
	v_cmp_gt_u32_e32 vcc_lo, s38, v9
	v_cndmask_b32_e32 v44, 0, v44, vcc_lo
	;; [unrolled: 2-line block ×4, first 2 shown]
.LBB158_87:
	v_and_b32_e32 v70, 0xff, v51
	v_and_b32_e32 v90, 0xff, v50
	;; [unrolled: 1-line block ×6, first 2 shown]
	v_dual_add_nc_u32 v8, v70, v90 :: v_dual_bitop2_b32 v10, 31, v0 bitop3:0x54
	v_and_b32_e32 v75, 0xff, v57
	v_and_b32_e32 v76, 0xff, v56
	;; [unrolled: 1-line block ×3, first 2 shown]
	s_delay_alu instid0(VALU_DEP_4)
	v_add3_u32 v8, v8, v72, v71
	v_and_b32_e32 v78, 0xff, v58
	v_and_b32_e32 v79, 0xff, v61
	v_and_b32_e32 v80, 0xff, v60
	v_and_b32_e32 v81, 0xff, v63
	v_add3_u32 v8, v8, v74, v73
	v_and_b32_e32 v82, 0xff, v62
	v_and_b32_e32 v83, 0xff, v65
	v_and_b32_e32 v84, 0xff, v64
	v_and_b32_e32 v85, 0xff, v67
	;; [unrolled: 5-line block ×4, first 2 shown]
	v_add3_u32 v8, v8, v80, v79
	v_and_b32_e32 v97, 0xff, v44
	v_mbcnt_lo_u32_b32 v91, -1, 0
	v_and_b32_e32 v98, 0xff, v43
	s_wait_loadcnt 0x0
	v_and_b32_e32 v9, 0xff, v42
	v_add3_u32 v8, v8, v82, v81
	v_dual_lshrrev_b32 v99, 5, v0 :: v_dual_bitop2_b32 v11, 15, v91 bitop3:0x40
	v_and_b32_e32 v12, 16, v91
	v_cmp_eq_u32_e64 s0, v0, v10
	s_delay_alu instid0(VALU_DEP_4)
	v_add3_u32 v8, v8, v84, v83
	s_and_b32 vcc_lo, exec_lo, s40
	v_cmp_eq_u32_e64 s6, 0, v11
	v_cmp_lt_u32_e64 s5, 1, v11
	v_cmp_lt_u32_e64 s4, 3, v11
	v_add3_u32 v8, v8, v86, v85
	v_cmp_lt_u32_e64 s3, 7, v11
	v_cmp_eq_u32_e64 s1, 0, v12
	s_mov_b32 s7, -1
	s_wait_dscnt 0x0
	v_add3_u32 v8, v8, v89, v88
	s_barrier_signal -1
	s_barrier_wait -1
	s_delay_alu instid0(VALU_DEP_1) | instskip(NEXT) | instid1(VALU_DEP_1)
	v_add3_u32 v8, v8, v92, v93
	v_add3_u32 v8, v8, v94, v95
	s_delay_alu instid0(VALU_DEP_1) | instskip(NEXT) | instid1(VALU_DEP_1)
	v_add3_u32 v8, v8, v96, v97
	v_add3_u32 v100, v8, v98, v9
	s_cbranch_vccz .LBB158_109
; %bb.88:
	s_delay_alu instid0(VALU_DEP_1) | instskip(NEXT) | instid1(VALU_DEP_1)
	v_mov_b32_dpp v8, v100 row_shr:1 row_mask:0xf bank_mask:0xf
	v_cndmask_b32_e64 v8, v8, 0, s6
	s_delay_alu instid0(VALU_DEP_1) | instskip(NEXT) | instid1(VALU_DEP_1)
	v_add_nc_u32_e32 v8, v8, v100
	v_mov_b32_dpp v9, v8 row_shr:2 row_mask:0xf bank_mask:0xf
	s_delay_alu instid0(VALU_DEP_1) | instskip(NEXT) | instid1(VALU_DEP_1)
	v_cndmask_b32_e64 v9, 0, v9, s5
	v_add_nc_u32_e32 v8, v8, v9
	s_delay_alu instid0(VALU_DEP_1) | instskip(NEXT) | instid1(VALU_DEP_1)
	v_mov_b32_dpp v9, v8 row_shr:4 row_mask:0xf bank_mask:0xf
	v_cndmask_b32_e64 v9, 0, v9, s4
	s_delay_alu instid0(VALU_DEP_1) | instskip(NEXT) | instid1(VALU_DEP_1)
	v_add_nc_u32_e32 v8, v8, v9
	v_mov_b32_dpp v9, v8 row_shr:8 row_mask:0xf bank_mask:0xf
	s_delay_alu instid0(VALU_DEP_1) | instskip(NEXT) | instid1(VALU_DEP_1)
	v_cndmask_b32_e64 v9, 0, v9, s3
	v_add_nc_u32_e32 v8, v8, v9
	ds_swizzle_b32 v9, v8 offset:swizzle(BROADCAST,32,15)
	s_wait_dscnt 0x0
	v_cndmask_b32_e64 v9, v9, 0, s1
	s_delay_alu instid0(VALU_DEP_1)
	v_add_nc_u32_e32 v8, v8, v9
	s_and_saveexec_b32 s7, s0
; %bb.89:
	v_lshlrev_b32_e32 v9, 2, v99
	ds_store_b32 v9, v8
; %bb.90:
	s_or_b32 exec_lo, exec_lo, s7
	s_delay_alu instid0(SALU_CYCLE_1)
	s_mov_b32 s7, exec_lo
	s_wait_dscnt 0x0
	s_barrier_signal -1
	s_barrier_wait -1
	v_cmpx_gt_u32_e32 8, v0
	s_cbranch_execz .LBB158_92
; %bb.91:
	v_dual_lshlrev_b32 v9, 2, v0 :: v_dual_bitop2_b32 v11, 7, v91 bitop3:0x40
	ds_load_b32 v10, v9
	v_cmp_ne_u32_e32 vcc_lo, 0, v11
	s_wait_dscnt 0x0
	v_mov_b32_dpp v12, v10 row_shr:1 row_mask:0xf bank_mask:0xf
	s_delay_alu instid0(VALU_DEP_1) | instskip(SKIP_1) | instid1(VALU_DEP_2)
	v_cndmask_b32_e32 v12, 0, v12, vcc_lo
	v_cmp_lt_u32_e32 vcc_lo, 1, v11
	v_add_nc_u32_e32 v10, v12, v10
	s_delay_alu instid0(VALU_DEP_1) | instskip(NEXT) | instid1(VALU_DEP_1)
	v_mov_b32_dpp v12, v10 row_shr:2 row_mask:0xf bank_mask:0xf
	v_cndmask_b32_e32 v12, 0, v12, vcc_lo
	v_cmp_lt_u32_e32 vcc_lo, 3, v11
	s_delay_alu instid0(VALU_DEP_2) | instskip(NEXT) | instid1(VALU_DEP_1)
	v_add_nc_u32_e32 v10, v10, v12
	v_mov_b32_dpp v12, v10 row_shr:4 row_mask:0xf bank_mask:0xf
	s_delay_alu instid0(VALU_DEP_1) | instskip(NEXT) | instid1(VALU_DEP_1)
	v_cndmask_b32_e32 v11, 0, v12, vcc_lo
	v_add_nc_u32_e32 v10, v10, v11
	ds_store_b32 v9, v10
.LBB158_92:
	s_or_b32 exec_lo, exec_lo, s7
	s_delay_alu instid0(SALU_CYCLE_1)
	s_mov_b32 s8, exec_lo
	v_cmp_gt_u32_e32 vcc_lo, 32, v0
	s_wait_dscnt 0x0
	s_barrier_signal -1
	s_barrier_wait -1
                                        ; implicit-def: $vgpr20
	v_cmpx_lt_u32_e32 31, v0
	s_cbranch_execz .LBB158_94
; %bb.93:
	v_lshl_add_u32 v9, v99, 2, -4
	ds_load_b32 v20, v9
	s_wait_dscnt 0x0
	v_add_nc_u32_e32 v8, v20, v8
.LBB158_94:
	s_or_b32 exec_lo, exec_lo, s8
	v_sub_co_u32 v9, s7, v91, 1
	s_delay_alu instid0(VALU_DEP_1) | instskip(NEXT) | instid1(VALU_DEP_1)
	v_cmp_gt_i32_e64 s8, 0, v9
	v_cndmask_b32_e64 v9, v9, v91, s8
	s_delay_alu instid0(VALU_DEP_1)
	v_lshlrev_b32_e32 v9, 2, v9
	ds_bpermute_b32 v87, v9, v8
	s_and_saveexec_b32 s8, vcc_lo
	s_cbranch_execz .LBB158_114
; %bb.95:
	v_mov_b32_e32 v15, 0
	ds_load_b32 v8, v15 offset:28
	s_and_saveexec_b32 s9, s7
	s_cbranch_execz .LBB158_97
; %bb.96:
	s_add_co_i32 s10, s33, 32
	s_delay_alu instid0(SALU_CYCLE_1)
	v_dual_mov_b32 v9, 1 :: v_dual_mov_b32 v10, s10
	s_wait_dscnt 0x0
	global_store_b64 v10, v[8:9], s[36:37] scale_offset scope:SCOPE_DEV
.LBB158_97:
	s_wait_xcnt 0x0
	s_or_b32 exec_lo, exec_lo, s9
	v_xad_u32 v10, v91, -1, s33
	s_mov_b32 s10, 0
	s_mov_b32 s9, exec_lo
	s_delay_alu instid0(VALU_DEP_1) | instskip(SKIP_4) | instid1(VALU_DEP_1)
	v_add_nc_u32_e32 v14, 32, v10
	global_load_b64 v[12:13], v14, s[36:37] scale_offset scope:SCOPE_DEV
	s_wait_loadcnt 0x0
	v_and_b32_e32 v9, 0xff, v13
	s_wait_xcnt 0x0
	v_cmpx_eq_u16_e32 0, v9
	s_cbranch_execz .LBB158_101
; %bb.98:
	v_lshl_add_u64 v[14:15], v[14:15], 3, s[36:37]
.LBB158_99:                             ; =>This Inner Loop Header: Depth=1
	global_load_b64 v[12:13], v[14:15], off scope:SCOPE_DEV
	s_wait_loadcnt 0x0
	v_and_b32_e32 v9, 0xff, v13
	s_delay_alu instid0(VALU_DEP_1)
	v_cmp_ne_u16_e32 vcc_lo, 0, v9
	s_or_b32 s10, vcc_lo, s10
	s_wait_xcnt 0x0
	s_and_not1_b32 exec_lo, exec_lo, s10
	s_cbranch_execnz .LBB158_99
; %bb.100:
	s_or_b32 exec_lo, exec_lo, s10
.LBB158_101:
	s_delay_alu instid0(SALU_CYCLE_1)
	s_or_b32 exec_lo, exec_lo, s9
	v_cmp_ne_u32_e32 vcc_lo, 31, v91
	v_lshlrev_b32_e64 v19, v91, -1
	v_lshl_or_b32 v107, v91, 2, 64
	v_dual_add_nc_u32 v102, 2, v91 :: v_dual_add_nc_u32 v104, 4, v91
	v_add_co_ci_u32_e64 v9, null, 0, v91, vcc_lo
	v_dual_add_nc_u32 v106, 8, v91 :: v_dual_add_nc_u32 v108, 16, v91
	s_delay_alu instid0(VALU_DEP_2)
	v_lshlrev_b32_e32 v18, 2, v9
	v_and_b32_e32 v9, 0xff, v13
	ds_bpermute_b32 v11, v18, v12
	v_cmp_eq_u16_e32 vcc_lo, 2, v9
	v_and_or_b32 v9, vcc_lo, v19, 0x80000000
	v_cmp_gt_u32_e32 vcc_lo, 30, v91
	s_delay_alu instid0(VALU_DEP_2) | instskip(SKIP_1) | instid1(VALU_DEP_2)
	v_ctz_i32_b32_e32 v9, v9
	v_cndmask_b32_e64 v14, 0, 2, vcc_lo
	v_cmp_lt_u32_e32 vcc_lo, v91, v9
	s_delay_alu instid0(VALU_DEP_2) | instskip(SKIP_3) | instid1(VALU_DEP_2)
	v_add_lshl_u32 v101, v14, v91, 2
	s_wait_dscnt 0x0
	v_cndmask_b32_e32 v11, 0, v11, vcc_lo
	v_cmp_gt_u32_e32 vcc_lo, 28, v91
	v_add_nc_u32_e32 v11, v11, v12
	v_cndmask_b32_e64 v14, 0, 4, vcc_lo
	v_cmp_le_u32_e32 vcc_lo, v102, v9
	ds_bpermute_b32 v12, v101, v11
	v_add_lshl_u32 v103, v14, v91, 2
	s_wait_dscnt 0x0
	v_cndmask_b32_e32 v12, 0, v12, vcc_lo
	v_cmp_gt_u32_e32 vcc_lo, 24, v91
	v_cndmask_b32_e64 v14, 0, 8, vcc_lo
	v_cmp_le_u32_e32 vcc_lo, v104, v9
	s_delay_alu instid0(VALU_DEP_4) | instskip(NEXT) | instid1(VALU_DEP_3)
	v_add_nc_u32_e32 v11, v11, v12
	v_add_lshl_u32 v105, v14, v91, 2
	ds_bpermute_b32 v12, v103, v11
	s_wait_dscnt 0x0
	v_cndmask_b32_e32 v12, 0, v12, vcc_lo
	v_cmp_le_u32_e32 vcc_lo, v106, v9
	s_delay_alu instid0(VALU_DEP_2) | instskip(SKIP_4) | instid1(VALU_DEP_2)
	v_add_nc_u32_e32 v11, v11, v12
	ds_bpermute_b32 v12, v105, v11
	s_wait_dscnt 0x0
	v_cndmask_b32_e32 v12, 0, v12, vcc_lo
	v_cmp_le_u32_e32 vcc_lo, v108, v9
	v_add_nc_u32_e32 v11, v11, v12
	ds_bpermute_b32 v12, v107, v11
	s_wait_dscnt 0x0
	v_cndmask_b32_e32 v9, 0, v12, vcc_lo
	s_delay_alu instid0(VALU_DEP_1)
	v_dual_mov_b32 v11, 0 :: v_dual_add_nc_u32 v12, v11, v9
	s_branch .LBB158_104
.LBB158_102:                            ;   in Loop: Header=BB158_104 Depth=1
	s_or_b32 exec_lo, exec_lo, s9
	v_and_b32_e32 v14, 0xff, v13
	ds_bpermute_b32 v15, v18, v12
	v_subrev_nc_u32_e32 v10, 32, v10
	s_mov_b32 s9, 0
	v_cmp_eq_u16_e32 vcc_lo, 2, v14
	v_and_or_b32 v14, vcc_lo, v19, 0x80000000
	s_delay_alu instid0(VALU_DEP_1) | instskip(NEXT) | instid1(VALU_DEP_1)
	v_ctz_i32_b32_e32 v14, v14
	v_cmp_lt_u32_e32 vcc_lo, v91, v14
	s_wait_dscnt 0x0
	v_cndmask_b32_e32 v15, 0, v15, vcc_lo
	v_cmp_le_u32_e32 vcc_lo, v102, v14
	s_delay_alu instid0(VALU_DEP_2) | instskip(SKIP_4) | instid1(VALU_DEP_2)
	v_add_nc_u32_e32 v12, v15, v12
	ds_bpermute_b32 v15, v101, v12
	s_wait_dscnt 0x0
	v_cndmask_b32_e32 v15, 0, v15, vcc_lo
	v_cmp_le_u32_e32 vcc_lo, v104, v14
	v_add_nc_u32_e32 v12, v12, v15
	ds_bpermute_b32 v15, v103, v12
	s_wait_dscnt 0x0
	v_cndmask_b32_e32 v15, 0, v15, vcc_lo
	v_cmp_le_u32_e32 vcc_lo, v106, v14
	s_delay_alu instid0(VALU_DEP_2) | instskip(SKIP_4) | instid1(VALU_DEP_2)
	v_add_nc_u32_e32 v12, v12, v15
	ds_bpermute_b32 v15, v105, v12
	s_wait_dscnt 0x0
	v_cndmask_b32_e32 v15, 0, v15, vcc_lo
	v_cmp_le_u32_e32 vcc_lo, v108, v14
	v_add_nc_u32_e32 v12, v12, v15
	ds_bpermute_b32 v15, v107, v12
	s_wait_dscnt 0x0
	v_cndmask_b32_e32 v14, 0, v15, vcc_lo
	s_delay_alu instid0(VALU_DEP_1)
	v_add3_u32 v12, v14, v9, v12
.LBB158_103:                            ;   in Loop: Header=BB158_104 Depth=1
	s_and_b32 vcc_lo, exec_lo, s9
	s_cbranch_vccnz .LBB158_110
.LBB158_104:                            ; =>This Loop Header: Depth=1
                                        ;     Child Loop BB158_107 Depth 2
	v_and_b32_e32 v9, 0xff, v13
	s_mov_b32 s9, -1
                                        ; implicit-def: $vgpr13
	s_delay_alu instid0(VALU_DEP_1)
	v_cmp_ne_u16_e32 vcc_lo, 2, v9
	v_mov_b32_e32 v9, v12
                                        ; implicit-def: $vgpr12
	s_cmp_lg_u32 vcc_lo, exec_lo
	s_cbranch_scc1 .LBB158_103
; %bb.105:                              ;   in Loop: Header=BB158_104 Depth=1
	global_load_b64 v[12:13], v10, s[36:37] scale_offset scope:SCOPE_DEV
	s_mov_b32 s9, exec_lo
	s_wait_loadcnt 0x0
	v_and_b32_e32 v14, 0xff, v13
	s_wait_xcnt 0x0
	s_delay_alu instid0(VALU_DEP_1)
	v_cmpx_eq_u16_e32 0, v14
	s_cbranch_execz .LBB158_102
; %bb.106:                              ;   in Loop: Header=BB158_104 Depth=1
	v_lshl_add_u64 v[14:15], v[10:11], 3, s[36:37]
	s_mov_b32 s10, 0
.LBB158_107:                            ;   Parent Loop BB158_104 Depth=1
                                        ; =>  This Inner Loop Header: Depth=2
	global_load_b64 v[12:13], v[14:15], off scope:SCOPE_DEV
	s_wait_loadcnt 0x0
	v_and_b32_e32 v109, 0xff, v13
	s_delay_alu instid0(VALU_DEP_1)
	v_cmp_ne_u16_e32 vcc_lo, 0, v109
	s_or_b32 s10, vcc_lo, s10
	s_wait_xcnt 0x0
	s_and_not1_b32 exec_lo, exec_lo, s10
	s_cbranch_execnz .LBB158_107
; %bb.108:                              ;   in Loop: Header=BB158_104 Depth=1
	s_or_b32 exec_lo, exec_lo, s10
	s_branch .LBB158_102
.LBB158_109:
                                        ; implicit-def: $vgpr20
                                        ; implicit-def: $vgpr18
                                        ; implicit-def: $vgpr87
	s_and_b32 vcc_lo, exec_lo, s7
	s_cbranch_vccnz .LBB158_115
	s_branch .LBB158_124
.LBB158_110:
	s_and_saveexec_b32 s9, s7
	s_cbranch_execz .LBB158_112
; %bb.111:
	s_add_co_i32 s10, s33, 32
	v_dual_mov_b32 v11, 2 :: v_dual_add_nc_u32 v10, v9, v8
	v_dual_mov_b32 v12, s10 :: v_dual_mov_b32 v13, 0
	global_store_b64 v12, v[10:11], s[36:37] scale_offset scope:SCOPE_DEV
	ds_store_b64 v13, v[8:9] offset:7168
.LBB158_112:
	s_wait_xcnt 0x0
	s_or_b32 exec_lo, exec_lo, s9
	s_delay_alu instid0(SALU_CYCLE_1)
	s_and_b32 exec_lo, exec_lo, s2
; %bb.113:
	v_mov_b32_e32 v8, 0
	ds_store_b32 v8, v9 offset:28
.LBB158_114:
	s_or_b32 exec_lo, exec_lo, s8
	v_mov_b32_e32 v8, 0
	s_wait_storecnt_dscnt 0x0
	s_barrier_signal -1
	s_barrier_wait -1
	ds_load_b32 v9, v8 offset:28
	s_wait_dscnt 0x0
	s_barrier_signal -1
	s_barrier_wait -1
	ds_load_b64 v[18:19], v8 offset:7168
	v_cndmask_b32_e64 v8, v87, v20, s7
	s_delay_alu instid0(VALU_DEP_1) | instskip(SKIP_1) | instid1(VALU_DEP_1)
	v_cndmask_b32_e64 v8, v8, 0, s2
	s_wait_dscnt 0x0
	v_dual_mov_b32 v20, v19 :: v_dual_add_nc_u32 v87, v9, v8
	s_branch .LBB158_124
.LBB158_115:
	v_mov_b32_dpp v8, v100 row_shr:1 row_mask:0xf bank_mask:0xf
	s_delay_alu instid0(VALU_DEP_1) | instskip(NEXT) | instid1(VALU_DEP_1)
	v_cndmask_b32_e64 v8, v8, 0, s6
	v_add_nc_u32_e32 v8, v8, v100
	s_delay_alu instid0(VALU_DEP_1) | instskip(NEXT) | instid1(VALU_DEP_1)
	v_mov_b32_dpp v9, v8 row_shr:2 row_mask:0xf bank_mask:0xf
	v_cndmask_b32_e64 v9, 0, v9, s5
	s_delay_alu instid0(VALU_DEP_1) | instskip(NEXT) | instid1(VALU_DEP_1)
	v_add_nc_u32_e32 v8, v8, v9
	v_mov_b32_dpp v9, v8 row_shr:4 row_mask:0xf bank_mask:0xf
	s_delay_alu instid0(VALU_DEP_1) | instskip(NEXT) | instid1(VALU_DEP_1)
	v_cndmask_b32_e64 v9, 0, v9, s4
	v_add_nc_u32_e32 v8, v8, v9
	s_delay_alu instid0(VALU_DEP_1) | instskip(NEXT) | instid1(VALU_DEP_1)
	v_mov_b32_dpp v9, v8 row_shr:8 row_mask:0xf bank_mask:0xf
	v_cndmask_b32_e64 v9, 0, v9, s3
	s_delay_alu instid0(VALU_DEP_1) | instskip(SKIP_3) | instid1(VALU_DEP_1)
	v_add_nc_u32_e32 v8, v8, v9
	ds_swizzle_b32 v9, v8 offset:swizzle(BROADCAST,32,15)
	s_wait_dscnt 0x0
	v_cndmask_b32_e64 v9, v9, 0, s1
	v_add_nc_u32_e32 v8, v8, v9
	s_and_saveexec_b32 s1, s0
; %bb.116:
	v_lshlrev_b32_e32 v9, 2, v99
	ds_store_b32 v9, v8
; %bb.117:
	s_or_b32 exec_lo, exec_lo, s1
	s_delay_alu instid0(SALU_CYCLE_1)
	s_mov_b32 s0, exec_lo
	s_wait_dscnt 0x0
	s_barrier_signal -1
	s_barrier_wait -1
	v_cmpx_gt_u32_e32 8, v0
	s_cbranch_execz .LBB158_119
; %bb.118:
	v_dual_lshlrev_b32 v9, 2, v0 :: v_dual_bitop2_b32 v11, 7, v91 bitop3:0x40
	ds_load_b32 v10, v9
	v_cmp_ne_u32_e32 vcc_lo, 0, v11
	s_wait_dscnt 0x0
	v_mov_b32_dpp v12, v10 row_shr:1 row_mask:0xf bank_mask:0xf
	s_delay_alu instid0(VALU_DEP_1) | instskip(SKIP_1) | instid1(VALU_DEP_2)
	v_cndmask_b32_e32 v12, 0, v12, vcc_lo
	v_cmp_lt_u32_e32 vcc_lo, 1, v11
	v_add_nc_u32_e32 v10, v12, v10
	s_delay_alu instid0(VALU_DEP_1) | instskip(NEXT) | instid1(VALU_DEP_1)
	v_mov_b32_dpp v12, v10 row_shr:2 row_mask:0xf bank_mask:0xf
	v_cndmask_b32_e32 v12, 0, v12, vcc_lo
	v_cmp_lt_u32_e32 vcc_lo, 3, v11
	s_delay_alu instid0(VALU_DEP_2) | instskip(NEXT) | instid1(VALU_DEP_1)
	v_add_nc_u32_e32 v10, v10, v12
	v_mov_b32_dpp v12, v10 row_shr:4 row_mask:0xf bank_mask:0xf
	s_delay_alu instid0(VALU_DEP_1) | instskip(NEXT) | instid1(VALU_DEP_1)
	v_cndmask_b32_e32 v11, 0, v12, vcc_lo
	v_add_nc_u32_e32 v10, v10, v11
	ds_store_b32 v9, v10
.LBB158_119:
	s_or_b32 exec_lo, exec_lo, s0
	v_dual_mov_b32 v10, 0 :: v_dual_mov_b32 v9, 0
	s_mov_b32 s0, exec_lo
	s_wait_dscnt 0x0
	s_barrier_signal -1
	s_barrier_wait -1
	v_cmpx_lt_u32_e32 31, v0
; %bb.120:
	v_lshl_add_u32 v9, v99, 2, -4
	ds_load_b32 v9, v9
; %bb.121:
	s_or_b32 exec_lo, exec_lo, s0
	v_sub_co_u32 v11, vcc_lo, v91, 1
	ds_load_b32 v18, v10 offset:28
	s_wait_dscnt 0x1
	v_add_nc_u32_e32 v8, v9, v8
	v_cmp_gt_i32_e64 s0, 0, v11
	s_delay_alu instid0(VALU_DEP_1) | instskip(NEXT) | instid1(VALU_DEP_1)
	v_cndmask_b32_e64 v11, v11, v91, s0
	v_lshlrev_b32_e32 v11, 2, v11
	ds_bpermute_b32 v8, v11, v8
	s_and_saveexec_b32 s0, s2
	s_cbranch_execz .LBB158_123
; %bb.122:
	v_dual_mov_b32 v10, 0 :: v_dual_mov_b32 v19, 2
	s_wait_dscnt 0x1
	global_store_b64 v10, v[18:19], s[36:37] offset:256 scope:SCOPE_DEV
.LBB158_123:
	s_wait_xcnt 0x0
	s_or_b32 exec_lo, exec_lo, s0
	s_wait_dscnt 0x0
	v_dual_cndmask_b32 v8, v8, v9, vcc_lo :: v_dual_mov_b32 v20, 0
	s_wait_storecnt 0x0
	s_barrier_signal -1
	s_barrier_wait -1
	s_delay_alu instid0(VALU_DEP_1)
	v_cndmask_b32_e64 v87, v8, 0, s2
.LBB158_124:
	s_delay_alu instid0(VALU_DEP_1)
	v_add_nc_u32_e32 v91, v87, v88
	v_cmp_gt_u32_e32 vcc_lo, 0x101, v18
	v_add_nc_u64_e32 v[8:9], s[34:35], v[16:17]
	v_and_b32_e32 v69, 1, v69
	s_mov_b32 s0, -1
	v_add_nc_u32_e32 v89, v91, v89
	s_and_b32 vcc_lo, exec_lo, vcc_lo
	s_delay_alu instid0(VALU_DEP_1) | instskip(NEXT) | instid1(VALU_DEP_1)
	v_add_nc_u32_e32 v88, v89, v85
	v_add_nc_u32_e32 v86, v88, v86
	s_delay_alu instid0(VALU_DEP_1) | instskip(NEXT) | instid1(VALU_DEP_1)
	v_add_nc_u32_e32 v85, v86, v83
	v_add_nc_u32_e32 v84, v85, v84
	;; [unrolled: 3-line block ×12, first 2 shown]
	s_delay_alu instid0(VALU_DEP_1)
	v_add_nc_u32_e32 v10, v11, v98
	s_cbranch_vccnz .LBB158_128
; %bb.125:
	s_and_b32 vcc_lo, exec_lo, s0
	s_cbranch_vccnz .LBB158_185
.LBB158_126:
	s_and_b32 s0, s2, s30
	s_delay_alu instid0(SALU_CYCLE_1)
	s_and_saveexec_b32 s1, s0
	s_cbranch_execnz .LBB158_255
.LBB158_127:
	s_sendmsg sendmsg(MSG_DEALLOC_VGPRS)
	s_endpgm
.LBB158_128:
	v_add_nc_u32_e32 v90, v20, v18
	v_cmp_eq_u32_e64 s0, 1, v69
	s_delay_alu instid0(VALU_DEP_2) | instskip(SKIP_1) | instid1(SALU_CYCLE_1)
	v_cmp_lt_u32_e32 vcc_lo, v87, v90
	s_or_b32 s1, s31, vcc_lo
	s_and_b32 s1, s1, s0
	s_delay_alu instid0(SALU_CYCLE_1)
	s_and_saveexec_b32 s0, s1
	s_cbranch_execz .LBB158_130
; %bb.129:
	v_readfirstlane_b32 s4, v8
	v_readfirstlane_b32 s5, v9
	global_store_b8 v87, v6, s[4:5]
.LBB158_130:
	s_wait_xcnt 0x0
	s_or_b32 exec_lo, exec_lo, s0
	v_and_b32_e32 v92, 1, v68
	v_cmp_lt_u32_e32 vcc_lo, v91, v90
	s_delay_alu instid0(VALU_DEP_2) | instskip(SKIP_1) | instid1(SALU_CYCLE_1)
	v_cmp_eq_u32_e64 s0, 1, v92
	s_or_b32 s1, s31, vcc_lo
	s_and_b32 s1, s1, s0
	s_delay_alu instid0(SALU_CYCLE_1)
	s_and_saveexec_b32 s0, s1
	s_cbranch_execz .LBB158_132
; %bb.131:
	v_readfirstlane_b32 s4, v8
	v_readfirstlane_b32 s5, v9
	global_store_b8 v91, v41, s[4:5]
.LBB158_132:
	s_wait_xcnt 0x0
	s_or_b32 exec_lo, exec_lo, s0
	v_and_b32_e32 v92, 1, v67
	v_cmp_lt_u32_e32 vcc_lo, v89, v90
	s_delay_alu instid0(VALU_DEP_2) | instskip(SKIP_1) | instid1(SALU_CYCLE_1)
	v_cmp_eq_u32_e64 s0, 1, v92
	s_or_b32 s1, s31, vcc_lo
	s_and_b32 s1, s1, s0
	s_delay_alu instid0(SALU_CYCLE_1)
	s_and_saveexec_b32 s0, s1
	s_cbranch_execz .LBB158_134
; %bb.133:
	v_readfirstlane_b32 s4, v8
	v_readfirstlane_b32 s5, v9
	global_store_b8 v89, v40, s[4:5]
.LBB158_134:
	s_wait_xcnt 0x0
	s_or_b32 exec_lo, exec_lo, s0
	v_and_b32_e32 v92, 1, v66
	v_cmp_lt_u32_e32 vcc_lo, v88, v90
	s_delay_alu instid0(VALU_DEP_2) | instskip(SKIP_1) | instid1(SALU_CYCLE_1)
	v_cmp_eq_u32_e64 s0, 1, v92
	s_or_b32 s1, s31, vcc_lo
	s_and_b32 s1, s1, s0
	s_delay_alu instid0(SALU_CYCLE_1)
	s_and_saveexec_b32 s0, s1
	s_cbranch_execz .LBB158_136
; %bb.135:
	v_readfirstlane_b32 s4, v8
	v_readfirstlane_b32 s5, v9
	global_store_b8 v88, v39, s[4:5]
.LBB158_136:
	s_wait_xcnt 0x0
	s_or_b32 exec_lo, exec_lo, s0
	v_and_b32_e32 v92, 1, v65
	v_cmp_lt_u32_e32 vcc_lo, v86, v90
	s_delay_alu instid0(VALU_DEP_2) | instskip(SKIP_1) | instid1(SALU_CYCLE_1)
	v_cmp_eq_u32_e64 s0, 1, v92
	s_or_b32 s1, s31, vcc_lo
	s_and_b32 s1, s1, s0
	s_delay_alu instid0(SALU_CYCLE_1)
	s_and_saveexec_b32 s0, s1
	s_cbranch_execz .LBB158_138
; %bb.137:
	v_readfirstlane_b32 s4, v8
	v_readfirstlane_b32 s5, v9
	global_store_b8 v86, v7, s[4:5]
.LBB158_138:
	s_wait_xcnt 0x0
	s_or_b32 exec_lo, exec_lo, s0
	v_and_b32_e32 v92, 1, v64
	v_cmp_lt_u32_e32 vcc_lo, v85, v90
	s_delay_alu instid0(VALU_DEP_2) | instskip(SKIP_1) | instid1(SALU_CYCLE_1)
	v_cmp_eq_u32_e64 s0, 1, v92
	s_or_b32 s1, s31, vcc_lo
	s_and_b32 s1, s1, s0
	s_delay_alu instid0(SALU_CYCLE_1)
	s_and_saveexec_b32 s0, s1
	s_cbranch_execz .LBB158_140
; %bb.139:
	v_readfirstlane_b32 s4, v8
	v_readfirstlane_b32 s5, v9
	global_store_b8 v85, v38, s[4:5]
.LBB158_140:
	s_wait_xcnt 0x0
	s_or_b32 exec_lo, exec_lo, s0
	v_and_b32_e32 v92, 1, v63
	v_cmp_lt_u32_e32 vcc_lo, v84, v90
	s_delay_alu instid0(VALU_DEP_2) | instskip(SKIP_1) | instid1(SALU_CYCLE_1)
	v_cmp_eq_u32_e64 s0, 1, v92
	s_or_b32 s1, s31, vcc_lo
	s_and_b32 s1, s1, s0
	s_delay_alu instid0(SALU_CYCLE_1)
	s_and_saveexec_b32 s0, s1
	s_cbranch_execz .LBB158_142
; %bb.141:
	v_readfirstlane_b32 s4, v8
	v_readfirstlane_b32 s5, v9
	global_store_b8 v84, v37, s[4:5]
.LBB158_142:
	s_wait_xcnt 0x0
	s_or_b32 exec_lo, exec_lo, s0
	v_and_b32_e32 v92, 1, v62
	v_cmp_lt_u32_e32 vcc_lo, v83, v90
	s_delay_alu instid0(VALU_DEP_2) | instskip(SKIP_1) | instid1(SALU_CYCLE_1)
	v_cmp_eq_u32_e64 s0, 1, v92
	s_or_b32 s1, s31, vcc_lo
	s_and_b32 s1, s1, s0
	s_delay_alu instid0(SALU_CYCLE_1)
	s_and_saveexec_b32 s0, s1
	s_cbranch_execz .LBB158_144
; %bb.143:
	v_readfirstlane_b32 s4, v8
	v_readfirstlane_b32 s5, v9
	global_store_b8 v83, v36, s[4:5]
.LBB158_144:
	s_wait_xcnt 0x0
	s_or_b32 exec_lo, exec_lo, s0
	v_and_b32_e32 v92, 1, v61
	v_cmp_lt_u32_e32 vcc_lo, v82, v90
	s_delay_alu instid0(VALU_DEP_2) | instskip(SKIP_1) | instid1(SALU_CYCLE_1)
	v_cmp_eq_u32_e64 s0, 1, v92
	s_or_b32 s1, s31, vcc_lo
	s_and_b32 s1, s1, s0
	s_delay_alu instid0(SALU_CYCLE_1)
	s_and_saveexec_b32 s0, s1
	s_cbranch_execz .LBB158_146
; %bb.145:
	v_readfirstlane_b32 s4, v8
	v_readfirstlane_b32 s5, v9
	global_store_b8 v82, v4, s[4:5]
.LBB158_146:
	s_wait_xcnt 0x0
	s_or_b32 exec_lo, exec_lo, s0
	v_and_b32_e32 v92, 1, v60
	v_cmp_lt_u32_e32 vcc_lo, v81, v90
	s_delay_alu instid0(VALU_DEP_2) | instskip(SKIP_1) | instid1(SALU_CYCLE_1)
	v_cmp_eq_u32_e64 s0, 1, v92
	s_or_b32 s1, s31, vcc_lo
	s_and_b32 s1, s1, s0
	s_delay_alu instid0(SALU_CYCLE_1)
	s_and_saveexec_b32 s0, s1
	s_cbranch_execz .LBB158_148
; %bb.147:
	v_readfirstlane_b32 s4, v8
	v_readfirstlane_b32 s5, v9
	global_store_b8 v81, v35, s[4:5]
.LBB158_148:
	s_wait_xcnt 0x0
	s_or_b32 exec_lo, exec_lo, s0
	v_and_b32_e32 v92, 1, v59
	v_cmp_lt_u32_e32 vcc_lo, v80, v90
	s_delay_alu instid0(VALU_DEP_2) | instskip(SKIP_1) | instid1(SALU_CYCLE_1)
	v_cmp_eq_u32_e64 s0, 1, v92
	s_or_b32 s1, s31, vcc_lo
	s_and_b32 s1, s1, s0
	s_delay_alu instid0(SALU_CYCLE_1)
	s_and_saveexec_b32 s0, s1
	s_cbranch_execz .LBB158_150
; %bb.149:
	v_readfirstlane_b32 s4, v8
	v_readfirstlane_b32 s5, v9
	global_store_b8 v80, v34, s[4:5]
.LBB158_150:
	s_wait_xcnt 0x0
	s_or_b32 exec_lo, exec_lo, s0
	v_and_b32_e32 v92, 1, v58
	v_cmp_lt_u32_e32 vcc_lo, v79, v90
	s_delay_alu instid0(VALU_DEP_2) | instskip(SKIP_1) | instid1(SALU_CYCLE_1)
	v_cmp_eq_u32_e64 s0, 1, v92
	s_or_b32 s1, s31, vcc_lo
	s_and_b32 s1, s1, s0
	s_delay_alu instid0(SALU_CYCLE_1)
	s_and_saveexec_b32 s0, s1
	s_cbranch_execz .LBB158_152
; %bb.151:
	v_readfirstlane_b32 s4, v8
	v_readfirstlane_b32 s5, v9
	global_store_b8 v79, v33, s[4:5]
.LBB158_152:
	s_wait_xcnt 0x0
	s_or_b32 exec_lo, exec_lo, s0
	v_and_b32_e32 v92, 1, v57
	v_cmp_lt_u32_e32 vcc_lo, v78, v90
	s_delay_alu instid0(VALU_DEP_2) | instskip(SKIP_1) | instid1(SALU_CYCLE_1)
	v_cmp_eq_u32_e64 s0, 1, v92
	s_or_b32 s1, s31, vcc_lo
	s_and_b32 s1, s1, s0
	s_delay_alu instid0(SALU_CYCLE_1)
	s_and_saveexec_b32 s0, s1
	s_cbranch_execz .LBB158_154
; %bb.153:
	v_readfirstlane_b32 s4, v8
	v_readfirstlane_b32 s5, v9
	global_store_b8 v78, v5, s[4:5]
.LBB158_154:
	s_wait_xcnt 0x0
	s_or_b32 exec_lo, exec_lo, s0
	v_and_b32_e32 v92, 1, v56
	v_cmp_lt_u32_e32 vcc_lo, v77, v90
	s_delay_alu instid0(VALU_DEP_2) | instskip(SKIP_1) | instid1(SALU_CYCLE_1)
	v_cmp_eq_u32_e64 s0, 1, v92
	s_or_b32 s1, s31, vcc_lo
	s_and_b32 s1, s1, s0
	s_delay_alu instid0(SALU_CYCLE_1)
	s_and_saveexec_b32 s0, s1
	s_cbranch_execz .LBB158_156
; %bb.155:
	v_readfirstlane_b32 s4, v8
	v_readfirstlane_b32 s5, v9
	global_store_b8 v77, v32, s[4:5]
.LBB158_156:
	s_wait_xcnt 0x0
	s_or_b32 exec_lo, exec_lo, s0
	v_and_b32_e32 v92, 1, v55
	v_cmp_lt_u32_e32 vcc_lo, v76, v90
	s_delay_alu instid0(VALU_DEP_2) | instskip(SKIP_1) | instid1(SALU_CYCLE_1)
	v_cmp_eq_u32_e64 s0, 1, v92
	s_or_b32 s1, s31, vcc_lo
	s_and_b32 s1, s1, s0
	s_delay_alu instid0(SALU_CYCLE_1)
	s_and_saveexec_b32 s0, s1
	s_cbranch_execz .LBB158_158
; %bb.157:
	v_readfirstlane_b32 s4, v8
	v_readfirstlane_b32 s5, v9
	global_store_b8 v76, v31, s[4:5]
.LBB158_158:
	s_wait_xcnt 0x0
	s_or_b32 exec_lo, exec_lo, s0
	v_and_b32_e32 v92, 1, v54
	v_cmp_lt_u32_e32 vcc_lo, v75, v90
	s_delay_alu instid0(VALU_DEP_2) | instskip(SKIP_1) | instid1(SALU_CYCLE_1)
	v_cmp_eq_u32_e64 s0, 1, v92
	s_or_b32 s1, s31, vcc_lo
	s_and_b32 s1, s1, s0
	s_delay_alu instid0(SALU_CYCLE_1)
	s_and_saveexec_b32 s0, s1
	s_cbranch_execz .LBB158_160
; %bb.159:
	v_readfirstlane_b32 s4, v8
	v_readfirstlane_b32 s5, v9
	global_store_b8 v75, v30, s[4:5]
.LBB158_160:
	s_wait_xcnt 0x0
	s_or_b32 exec_lo, exec_lo, s0
	v_and_b32_e32 v92, 1, v53
	v_cmp_lt_u32_e32 vcc_lo, v74, v90
	s_delay_alu instid0(VALU_DEP_2) | instskip(SKIP_1) | instid1(SALU_CYCLE_1)
	v_cmp_eq_u32_e64 s0, 1, v92
	s_or_b32 s1, s31, vcc_lo
	s_and_b32 s1, s1, s0
	s_delay_alu instid0(SALU_CYCLE_1)
	s_and_saveexec_b32 s0, s1
	s_cbranch_execz .LBB158_162
; %bb.161:
	v_readfirstlane_b32 s4, v8
	v_readfirstlane_b32 s5, v9
	global_store_b8 v74, v2, s[4:5]
.LBB158_162:
	s_wait_xcnt 0x0
	s_or_b32 exec_lo, exec_lo, s0
	v_and_b32_e32 v92, 1, v52
	v_cmp_lt_u32_e32 vcc_lo, v73, v90
	s_delay_alu instid0(VALU_DEP_2) | instskip(SKIP_1) | instid1(SALU_CYCLE_1)
	v_cmp_eq_u32_e64 s0, 1, v92
	s_or_b32 s1, s31, vcc_lo
	s_and_b32 s1, s1, s0
	s_delay_alu instid0(SALU_CYCLE_1)
	s_and_saveexec_b32 s0, s1
	s_cbranch_execz .LBB158_164
; %bb.163:
	v_readfirstlane_b32 s4, v8
	v_readfirstlane_b32 s5, v9
	global_store_b8 v73, v29, s[4:5]
.LBB158_164:
	s_wait_xcnt 0x0
	s_or_b32 exec_lo, exec_lo, s0
	v_and_b32_e32 v92, 1, v51
	v_cmp_lt_u32_e32 vcc_lo, v72, v90
	s_delay_alu instid0(VALU_DEP_2) | instskip(SKIP_1) | instid1(SALU_CYCLE_1)
	v_cmp_eq_u32_e64 s0, 1, v92
	s_or_b32 s1, s31, vcc_lo
	s_and_b32 s1, s1, s0
	s_delay_alu instid0(SALU_CYCLE_1)
	s_and_saveexec_b32 s0, s1
	s_cbranch_execz .LBB158_166
; %bb.165:
	v_readfirstlane_b32 s4, v8
	v_readfirstlane_b32 s5, v9
	global_store_b8 v72, v28, s[4:5]
.LBB158_166:
	s_wait_xcnt 0x0
	s_or_b32 exec_lo, exec_lo, s0
	v_and_b32_e32 v92, 1, v50
	v_cmp_lt_u32_e32 vcc_lo, v71, v90
	s_delay_alu instid0(VALU_DEP_2) | instskip(SKIP_1) | instid1(SALU_CYCLE_1)
	v_cmp_eq_u32_e64 s0, 1, v92
	s_or_b32 s1, s31, vcc_lo
	s_and_b32 s1, s1, s0
	s_delay_alu instid0(SALU_CYCLE_1)
	s_and_saveexec_b32 s0, s1
	s_cbranch_execz .LBB158_168
; %bb.167:
	v_readfirstlane_b32 s4, v8
	v_readfirstlane_b32 s5, v9
	global_store_b8 v71, v27, s[4:5]
.LBB158_168:
	s_wait_xcnt 0x0
	s_or_b32 exec_lo, exec_lo, s0
	v_and_b32_e32 v92, 1, v49
	v_cmp_lt_u32_e32 vcc_lo, v70, v90
	s_delay_alu instid0(VALU_DEP_2) | instskip(SKIP_1) | instid1(SALU_CYCLE_1)
	v_cmp_eq_u32_e64 s0, 1, v92
	s_or_b32 s1, s31, vcc_lo
	s_and_b32 s1, s1, s0
	s_delay_alu instid0(SALU_CYCLE_1)
	s_and_saveexec_b32 s0, s1
	s_cbranch_execz .LBB158_170
; %bb.169:
	v_readfirstlane_b32 s4, v8
	v_readfirstlane_b32 s5, v9
	global_store_b8 v70, v3, s[4:5]
.LBB158_170:
	s_wait_xcnt 0x0
	s_or_b32 exec_lo, exec_lo, s0
	v_and_b32_e32 v92, 1, v48
	v_cmp_lt_u32_e32 vcc_lo, v19, v90
	s_delay_alu instid0(VALU_DEP_2) | instskip(SKIP_1) | instid1(SALU_CYCLE_1)
	v_cmp_eq_u32_e64 s0, 1, v92
	s_or_b32 s1, s31, vcc_lo
	s_and_b32 s1, s1, s0
	s_delay_alu instid0(SALU_CYCLE_1)
	s_and_saveexec_b32 s0, s1
	s_cbranch_execz .LBB158_172
; %bb.171:
	v_readfirstlane_b32 s4, v8
	v_readfirstlane_b32 s5, v9
	global_store_b8 v19, v26, s[4:5]
.LBB158_172:
	s_wait_xcnt 0x0
	s_or_b32 exec_lo, exec_lo, s0
	v_and_b32_e32 v92, 1, v47
	v_cmp_lt_u32_e32 vcc_lo, v15, v90
	s_delay_alu instid0(VALU_DEP_2) | instskip(SKIP_1) | instid1(SALU_CYCLE_1)
	v_cmp_eq_u32_e64 s0, 1, v92
	s_or_b32 s1, s31, vcc_lo
	s_and_b32 s1, s1, s0
	s_delay_alu instid0(SALU_CYCLE_1)
	s_and_saveexec_b32 s0, s1
	s_cbranch_execz .LBB158_174
; %bb.173:
	v_readfirstlane_b32 s4, v8
	v_readfirstlane_b32 s5, v9
	global_store_b8 v15, v25, s[4:5]
.LBB158_174:
	s_wait_xcnt 0x0
	s_or_b32 exec_lo, exec_lo, s0
	v_and_b32_e32 v92, 1, v46
	v_cmp_lt_u32_e32 vcc_lo, v14, v90
	s_delay_alu instid0(VALU_DEP_2) | instskip(SKIP_1) | instid1(SALU_CYCLE_1)
	v_cmp_eq_u32_e64 s0, 1, v92
	s_or_b32 s1, s31, vcc_lo
	s_and_b32 s1, s1, s0
	s_delay_alu instid0(SALU_CYCLE_1)
	s_and_saveexec_b32 s0, s1
	s_cbranch_execz .LBB158_176
; %bb.175:
	v_readfirstlane_b32 s4, v8
	v_readfirstlane_b32 s5, v9
	global_store_b8 v14, v24, s[4:5]
.LBB158_176:
	s_wait_xcnt 0x0
	s_or_b32 exec_lo, exec_lo, s0
	v_and_b32_e32 v92, 1, v45
	v_cmp_lt_u32_e32 vcc_lo, v13, v90
	s_delay_alu instid0(VALU_DEP_2) | instskip(SKIP_1) | instid1(SALU_CYCLE_1)
	v_cmp_eq_u32_e64 s0, 1, v92
	s_or_b32 s1, s31, vcc_lo
	s_and_b32 s1, s1, s0
	s_delay_alu instid0(SALU_CYCLE_1)
	s_and_saveexec_b32 s0, s1
	s_cbranch_execz .LBB158_178
; %bb.177:
	v_readfirstlane_b32 s4, v8
	v_readfirstlane_b32 s5, v9
	global_store_b8 v13, v22, s[4:5]
.LBB158_178:
	s_wait_xcnt 0x0
	s_or_b32 exec_lo, exec_lo, s0
	v_and_b32_e32 v92, 1, v44
	v_cmp_lt_u32_e32 vcc_lo, v12, v90
	s_delay_alu instid0(VALU_DEP_2) | instskip(SKIP_1) | instid1(SALU_CYCLE_1)
	v_cmp_eq_u32_e64 s0, 1, v92
	s_or_b32 s1, s31, vcc_lo
	s_and_b32 s1, s1, s0
	s_delay_alu instid0(SALU_CYCLE_1)
	s_and_saveexec_b32 s0, s1
	s_cbranch_execz .LBB158_180
; %bb.179:
	v_readfirstlane_b32 s4, v8
	v_readfirstlane_b32 s5, v9
	global_store_b8 v12, v23, s[4:5]
.LBB158_180:
	s_wait_xcnt 0x0
	s_or_b32 exec_lo, exec_lo, s0
	v_and_b32_e32 v92, 1, v43
	v_cmp_lt_u32_e32 vcc_lo, v11, v90
	s_delay_alu instid0(VALU_DEP_2) | instskip(SKIP_1) | instid1(SALU_CYCLE_1)
	v_cmp_eq_u32_e64 s0, 1, v92
	s_or_b32 s1, s31, vcc_lo
	s_and_b32 s1, s1, s0
	s_delay_alu instid0(SALU_CYCLE_1)
	s_and_saveexec_b32 s0, s1
	s_cbranch_execz .LBB158_182
; %bb.181:
	v_readfirstlane_b32 s4, v8
	v_readfirstlane_b32 s5, v9
	global_store_b8 v11, v21, s[4:5]
.LBB158_182:
	s_wait_xcnt 0x0
	s_or_b32 exec_lo, exec_lo, s0
	v_and_b32_e32 v92, 1, v42
	v_cmp_lt_u32_e32 vcc_lo, v10, v90
	s_delay_alu instid0(VALU_DEP_2) | instskip(SKIP_1) | instid1(SALU_CYCLE_1)
	v_cmp_eq_u32_e64 s0, 1, v92
	s_or_b32 s1, s31, vcc_lo
	s_and_b32 s1, s1, s0
	s_delay_alu instid0(SALU_CYCLE_1)
	s_and_saveexec_b32 s0, s1
	s_cbranch_execz .LBB158_184
; %bb.183:
	v_readfirstlane_b32 s4, v8
	v_readfirstlane_b32 s5, v9
	global_store_b8 v10, v1, s[4:5]
.LBB158_184:
	s_wait_xcnt 0x0
	s_or_b32 exec_lo, exec_lo, s0
	s_branch .LBB158_126
.LBB158_185:
	s_mov_b32 s0, exec_lo
	v_cmpx_eq_u32_e32 1, v69
; %bb.186:
	v_sub_nc_u32_e32 v69, v87, v20
	ds_store_b8 v69, v6
; %bb.187:
	s_or_b32 exec_lo, exec_lo, s0
	v_and_b32_e32 v6, 1, v68
	s_mov_b32 s0, exec_lo
	s_delay_alu instid0(VALU_DEP_1)
	v_cmpx_eq_u32_e32 1, v6
; %bb.188:
	v_sub_nc_u32_e32 v6, v91, v20
	ds_store_b8 v6, v41
; %bb.189:
	s_or_b32 exec_lo, exec_lo, s0
	v_and_b32_e32 v6, 1, v67
	s_mov_b32 s0, exec_lo
	s_delay_alu instid0(VALU_DEP_1)
	;; [unrolled: 9-line block ×27, first 2 shown]
	v_cmpx_eq_u32_e32 1, v2
; %bb.240:
	v_sub_nc_u32_e32 v2, v10, v20
	ds_store_b8 v2, v1
; %bb.241:
	s_or_b32 exec_lo, exec_lo, s0
	v_or_b32_e32 v1, 0x100, v0
	v_mov_b32_e32 v21, 0
	s_mov_b32 s4, -1
	s_mov_b32 s1, exec_lo
	s_wait_storecnt_dscnt 0x0
	v_max_u32_e32 v3, v18, v1
	v_add_nc_u64_e32 v[22:23], v[8:9], v[20:21]
	s_barrier_signal -1
	s_barrier_wait -1
	s_delay_alu instid0(VALU_DEP_2) | instskip(NEXT) | instid1(VALU_DEP_1)
	v_xad_u32 v2, v0, -1, v3
	v_cmp_gt_u32_e64 s0, 0x1f00, v2
	v_cmpx_lt_u32_e32 0x1eff, v2
	s_cbranch_execz .LBB158_251
; %bb.242:
	v_sub_nc_u32_e32 v3, v0, v3
	s_mov_b32 s3, exec_lo
	s_delay_alu instid0(VALU_DEP_1) | instskip(NEXT) | instid1(VALU_DEP_1)
	v_or_b32_e32 v3, 0xff, v3
	v_cmpx_ge_u32_e64 v3, v0
	s_cbranch_execz .LBB158_250
; %bb.243:
	v_or_b32_e32 v7, 0x700, v0
	v_or_b32_e32 v6, 0x600, v0
	v_dual_mov_b32 v24, 0 :: v_dual_lshrrev_b32 v19, 8, v2
	v_or_b32_e32 v5, 0x500, v0
	v_or_b32_e32 v4, 0x400, v0
	;; [unrolled: 1-line block ×4, first 2 shown]
	v_mov_b64_e32 v[14:15], v[6:7]
	v_mov_b64_e32 v[8:9], v[0:1]
	;; [unrolled: 1-line block ×3, first 2 shown]
	v_add_nc_u32_e32 v21, -7, v19
	v_mov_b64_e32 v[10:11], v[2:3]
	s_mov_b32 s4, exec_lo
	s_delay_alu instid0(VALU_DEP_2)
	v_cmpx_lt_u32_e32 7, v21
	s_cbranch_execz .LBB158_247
; %bb.244:
	v_dual_mov_b32 v25, 0 :: v_dual_lshrrev_b32 v8, 3, v21
	s_mov_b32 s5, 0
	s_mov_b32 s6, 0
	s_delay_alu instid0(VALU_DEP_1) | instskip(NEXT) | instid1(VALU_DEP_1)
	v_dual_mov_b32 v26, v0 :: v_dual_add_nc_u32 v8, 1, v8
	v_and_b32_e32 v27, 0x3ffffffe, v8
	v_mov_b64_e32 v[14:15], v[6:7]
	v_mov_b64_e32 v[12:13], v[4:5]
	;; [unrolled: 1-line block ×4, first 2 shown]
.LBB158_245:                            ; =>This Inner Loop Header: Depth=1
	s_delay_alu instid0(VALU_DEP_1)
	v_dual_mov_b32 v24, v8 :: v_dual_mov_b32 v35, v25
	v_add_nc_u32_e32 v27, -2, v27
	s_add_co_i32 s6, s6, 16
	s_delay_alu instid0(VALU_DEP_3) | instid1(SALU_CYCLE_1)
	v_dual_mov_b32 v1, s6 :: v_dual_add_nc_u32 v34, 0x800, v9
	s_delay_alu instid0(VALU_DEP_3)
	v_add_nc_u64_e32 v[36:37], v[22:23], v[24:25]
	v_dual_mov_b32 v24, v9 :: v_dual_add_nc_u32 v9, 0x1000, v9
	ds_load_u8 v44, v26
	ds_load_u8 v45, v26 offset:256
	ds_load_u8 v46, v26 offset:512
	;; [unrolled: 1-line block ×7, first 2 shown]
	v_dual_mov_b32 v5, v25 :: v_dual_add_nc_u32 v30, 0x800, v11
	v_add_nc_u64_e32 v[38:39], v[22:23], v[24:25]
	v_mov_b32_e32 v24, v10
	ds_load_u8 v52, v26 offset:2048
	ds_load_u8 v53, v26 offset:2304
	ds_load_u8 v54, v26 offset:2560
	ds_load_u8 v55, v26 offset:2816
	ds_load_u8 v56, v26 offset:3072
	ds_load_u8 v57, v26 offset:3328
	ds_load_u8 v58, v26 offset:3584
	ds_load_u8 v59, v26 offset:3840
	v_dual_mov_b32 v33, v25 :: v_dual_add_nc_u32 v2, 0x800, v15
	s_wait_dscnt 0xf
	global_store_b8 v[36:37], v44, off
	s_wait_dscnt 0xe
	global_store_b8 v[38:39], v45, off
	v_add_nc_u64_e32 v[40:41], v[22:23], v[24:25]
	v_dual_mov_b32 v24, v11 :: v_dual_add_nc_u32 v11, 0x1000, v11
	v_dual_mov_b32 v3, v25 :: v_dual_add_nc_u32 v32, 0x800, v10
	v_dual_mov_b32 v31, v25 :: v_dual_add_nc_u32 v4, 0x800, v14
	s_delay_alu instid0(VALU_DEP_3)
	v_add_nc_u64_e32 v[42:43], v[22:23], v[24:25]
	v_mov_b32_e32 v24, v12
	s_wait_dscnt 0xd
	global_store_b8 v[40:41], v46, off
	v_dual_mov_b32 v29, v25 :: v_dual_add_nc_u32 v6, 0x800, v13
	v_dual_mov_b32 v7, v25 :: v_dual_add_nc_u32 v28, 0x800, v12
	s_wait_xcnt 0x2
	v_add_nc_u64_e32 v[36:37], v[22:23], v[24:25]
	v_mov_b32_e32 v24, v13
	s_wait_dscnt 0xc
	global_store_b8 v[42:43], v47, off
	v_cmp_eq_u32_e32 vcc_lo, 0, v27
	v_add_nc_u32_e32 v26, 0x1000, v26
	v_add_nc_u64_e32 v[34:35], v[22:23], v[34:35]
	s_wait_xcnt 0x2
	v_add_nc_u64_e32 v[38:39], v[22:23], v[24:25]
	v_mov_b32_e32 v24, v14
	s_wait_dscnt 0xb
	global_store_b8 v[36:37], v48, off
	v_add_nc_u32_e32 v10, 0x1000, v10
	v_add_nc_u32_e32 v12, 0x1000, v12
	;; [unrolled: 1-line block ×3, first 2 shown]
	s_wait_xcnt 0x0
	v_add_nc_u64_e32 v[36:37], v[22:23], v[24:25]
	v_mov_b32_e32 v24, v15
	s_wait_dscnt 0xa
	global_store_b8 v[38:39], v49, off
	v_add_nc_u32_e32 v14, 0x1000, v14
	v_add_nc_u32_e32 v15, 0x1000, v15
	v_add_nc_u64_e32 v[32:33], v[22:23], v[32:33]
	s_wait_xcnt 0x0
	v_add_nc_u64_e32 v[38:39], v[22:23], v[24:25]
	v_add_nc_u32_e32 v24, 0x800, v8
	s_wait_dscnt 0x9
	global_store_b8 v[36:37], v50, off
	v_add_nc_u32_e32 v8, 0x1000, v8
	v_add_nc_u64_e32 v[30:31], v[22:23], v[30:31]
	v_add_nc_u64_e32 v[28:29], v[22:23], v[28:29]
	s_wait_xcnt 0x0
	v_add_nc_u64_e32 v[36:37], v[22:23], v[24:25]
	s_or_b32 s5, vcc_lo, s5
	v_add_nc_u64_e32 v[6:7], v[22:23], v[6:7]
	v_add_nc_u64_e32 v[4:5], v[22:23], v[4:5]
	;; [unrolled: 1-line block ×3, first 2 shown]
	s_wait_dscnt 0x8
	global_store_b8 v[38:39], v51, off
	s_wait_dscnt 0x7
	global_store_b8 v[36:37], v52, off
	;; [unrolled: 2-line block ×9, first 2 shown]
	s_wait_xcnt 0x0
	s_and_not1_b32 exec_lo, exec_lo, s5
	s_cbranch_execnz .LBB158_245
; %bb.246:
	s_or_b32 exec_lo, exec_lo, s5
	v_lshlrev_b32_e32 v24, 8, v1
.LBB158_247:
	s_or_b32 exec_lo, exec_lo, s4
	v_and_b32_e32 v1, 8, v21
	s_mov_b32 s4, exec_lo
	s_delay_alu instid0(VALU_DEP_1)
	v_cmpx_eq_u32_e32 0, v1
	s_cbranch_execz .LBB158_249
; %bb.248:
	v_dual_mov_b32 v3, 0 :: v_dual_mov_b32 v2, v8
	v_or_b32_e32 v1, v0, v24
	ds_load_u8 v21, v1
	ds_load_u8 v28, v1 offset:256
	ds_load_u8 v29, v1 offset:512
	;; [unrolled: 1-line block ×7, first 2 shown]
	v_add_nc_u64_e32 v[4:5], v[22:23], v[2:3]
	v_mov_b32_e32 v2, v9
	s_delay_alu instid0(VALU_DEP_1) | instskip(SKIP_1) | instid1(VALU_DEP_1)
	v_add_nc_u64_e32 v[6:7], v[22:23], v[2:3]
	v_mov_b32_e32 v2, v10
	v_add_nc_u64_e32 v[8:9], v[22:23], v[2:3]
	v_mov_b32_e32 v2, v11
	s_delay_alu instid0(VALU_DEP_1) | instskip(SKIP_1) | instid1(VALU_DEP_1)
	v_add_nc_u64_e32 v[10:11], v[22:23], v[2:3]
	v_mov_b32_e32 v2, v12
	;; [unrolled: 5-line block ×3, first 2 shown]
	v_add_nc_u64_e32 v[26:27], v[22:23], v[2:3]
	v_mov_b32_e32 v2, v15
	s_delay_alu instid0(VALU_DEP_1)
	v_add_nc_u64_e32 v[2:3], v[22:23], v[2:3]
	s_wait_dscnt 0x7
	global_store_b8 v[4:5], v21, off
	s_wait_dscnt 0x6
	global_store_b8 v[6:7], v28, off
	;; [unrolled: 2-line block ×8, first 2 shown]
.LBB158_249:
	s_wait_xcnt 0x0
	s_or_b32 exec_lo, exec_lo, s4
	v_add_nc_u32_e32 v1, 1, v19
	s_delay_alu instid0(VALU_DEP_1) | instskip(NEXT) | instid1(VALU_DEP_1)
	v_and_b32_e32 v2, 0x1fffff8, v1
	v_cmp_ne_u32_e32 vcc_lo, v1, v2
	v_lshl_or_b32 v0, v2, 8, v0
	s_or_not1_b32 s4, vcc_lo, exec_lo
.LBB158_250:
	s_or_b32 exec_lo, exec_lo, s3
	s_delay_alu instid0(SALU_CYCLE_1) | instskip(SKIP_1) | instid1(SALU_CYCLE_1)
	s_and_not1_b32 s0, s0, exec_lo
	s_and_b32 s3, s4, exec_lo
	s_or_b32 s0, s0, s3
.LBB158_251:
	s_or_b32 exec_lo, exec_lo, s1
	s_and_saveexec_b32 s1, s0
	s_cbranch_execz .LBB158_254
; %bb.252:
	s_mov_b32 s0, 0
.LBB158_253:                            ; =>This Inner Loop Header: Depth=1
	ds_load_u8 v1, v0
	v_readfirstlane_b32 s4, v22
	v_readfirstlane_b32 s5, v23
	s_wait_dscnt 0x0
	global_store_b8 v0, v1, s[4:5]
	s_wait_xcnt 0x0
	v_add_nc_u32_e32 v0, 0x100, v0
	s_delay_alu instid0(VALU_DEP_1) | instskip(SKIP_1) | instid1(SALU_CYCLE_1)
	v_cmp_ge_u32_e32 vcc_lo, v0, v18
	s_or_b32 s0, vcc_lo, s0
	s_and_not1_b32 exec_lo, exec_lo, s0
	s_cbranch_execnz .LBB158_253
.LBB158_254:
	s_or_b32 exec_lo, exec_lo, s1
	s_and_b32 s0, s2, s30
	s_delay_alu instid0(SALU_CYCLE_1)
	s_and_saveexec_b32 s1, s0
	s_cbranch_execz .LBB158_127
.LBB158_255:
	v_mov_b32_e32 v19, 0
	s_delay_alu instid0(VALU_DEP_1) | instskip(SKIP_1) | instid1(VALU_DEP_1)
	v_add_nc_u64_e32 v[0:1], v[16:17], v[18:19]
	v_mov_b32_e32 v21, v19
	v_add_nc_u64_e32 v[0:1], v[0:1], v[20:21]
	global_store_b64 v19, v[0:1], s[28:29]
	s_sendmsg sendmsg(MSG_DEALLOC_VGPRS)
	s_endpgm
	.section	.rodata,"a",@progbits
	.p2align	6, 0x0
	.amdhsa_kernel _ZN7rocprim17ROCPRIM_400000_NS6detail17trampoline_kernelINS0_14default_configENS1_25partition_config_selectorILNS1_17partition_subalgoE8EhNS0_10empty_typeEbEEZZNS1_14partition_implILS5_8ELb0ES3_jPKhPS6_PKS6_NS0_5tupleIJPhS6_EEENSE_IJSB_SB_EEENS0_18inequality_wrapperIN6hipcub16HIPCUB_304000_NS8EqualityEEEPlJS6_EEE10hipError_tPvRmT3_T4_T5_T6_T7_T9_mT8_P12ihipStream_tbDpT10_ENKUlT_T0_E_clISt17integral_constantIbLb0EES16_IbLb1EEEEDaS12_S13_EUlS12_E_NS1_11comp_targetILNS1_3genE0ELNS1_11target_archE4294967295ELNS1_3gpuE0ELNS1_3repE0EEENS1_30default_config_static_selectorELNS0_4arch9wavefront6targetE0EEEvT1_
		.amdhsa_group_segment_fixed_size 7176
		.amdhsa_private_segment_fixed_size 0
		.amdhsa_kernarg_size 128
		.amdhsa_user_sgpr_count 2
		.amdhsa_user_sgpr_dispatch_ptr 0
		.amdhsa_user_sgpr_queue_ptr 0
		.amdhsa_user_sgpr_kernarg_segment_ptr 1
		.amdhsa_user_sgpr_dispatch_id 0
		.amdhsa_user_sgpr_kernarg_preload_length 0
		.amdhsa_user_sgpr_kernarg_preload_offset 0
		.amdhsa_user_sgpr_private_segment_size 0
		.amdhsa_wavefront_size32 1
		.amdhsa_uses_dynamic_stack 0
		.amdhsa_enable_private_segment 0
		.amdhsa_system_sgpr_workgroup_id_x 1
		.amdhsa_system_sgpr_workgroup_id_y 0
		.amdhsa_system_sgpr_workgroup_id_z 0
		.amdhsa_system_sgpr_workgroup_info 0
		.amdhsa_system_vgpr_workitem_id 0
		.amdhsa_next_free_vgpr 110
		.amdhsa_next_free_sgpr 49
		.amdhsa_named_barrier_count 0
		.amdhsa_reserve_vcc 1
		.amdhsa_float_round_mode_32 0
		.amdhsa_float_round_mode_16_64 0
		.amdhsa_float_denorm_mode_32 3
		.amdhsa_float_denorm_mode_16_64 3
		.amdhsa_fp16_overflow 0
		.amdhsa_memory_ordered 1
		.amdhsa_forward_progress 1
		.amdhsa_inst_pref_size 112
		.amdhsa_round_robin_scheduling 0
		.amdhsa_exception_fp_ieee_invalid_op 0
		.amdhsa_exception_fp_denorm_src 0
		.amdhsa_exception_fp_ieee_div_zero 0
		.amdhsa_exception_fp_ieee_overflow 0
		.amdhsa_exception_fp_ieee_underflow 0
		.amdhsa_exception_fp_ieee_inexact 0
		.amdhsa_exception_int_div_zero 0
	.end_amdhsa_kernel
	.section	.text._ZN7rocprim17ROCPRIM_400000_NS6detail17trampoline_kernelINS0_14default_configENS1_25partition_config_selectorILNS1_17partition_subalgoE8EhNS0_10empty_typeEbEEZZNS1_14partition_implILS5_8ELb0ES3_jPKhPS6_PKS6_NS0_5tupleIJPhS6_EEENSE_IJSB_SB_EEENS0_18inequality_wrapperIN6hipcub16HIPCUB_304000_NS8EqualityEEEPlJS6_EEE10hipError_tPvRmT3_T4_T5_T6_T7_T9_mT8_P12ihipStream_tbDpT10_ENKUlT_T0_E_clISt17integral_constantIbLb0EES16_IbLb1EEEEDaS12_S13_EUlS12_E_NS1_11comp_targetILNS1_3genE0ELNS1_11target_archE4294967295ELNS1_3gpuE0ELNS1_3repE0EEENS1_30default_config_static_selectorELNS0_4arch9wavefront6targetE0EEEvT1_,"axG",@progbits,_ZN7rocprim17ROCPRIM_400000_NS6detail17trampoline_kernelINS0_14default_configENS1_25partition_config_selectorILNS1_17partition_subalgoE8EhNS0_10empty_typeEbEEZZNS1_14partition_implILS5_8ELb0ES3_jPKhPS6_PKS6_NS0_5tupleIJPhS6_EEENSE_IJSB_SB_EEENS0_18inequality_wrapperIN6hipcub16HIPCUB_304000_NS8EqualityEEEPlJS6_EEE10hipError_tPvRmT3_T4_T5_T6_T7_T9_mT8_P12ihipStream_tbDpT10_ENKUlT_T0_E_clISt17integral_constantIbLb0EES16_IbLb1EEEEDaS12_S13_EUlS12_E_NS1_11comp_targetILNS1_3genE0ELNS1_11target_archE4294967295ELNS1_3gpuE0ELNS1_3repE0EEENS1_30default_config_static_selectorELNS0_4arch9wavefront6targetE0EEEvT1_,comdat
.Lfunc_end158:
	.size	_ZN7rocprim17ROCPRIM_400000_NS6detail17trampoline_kernelINS0_14default_configENS1_25partition_config_selectorILNS1_17partition_subalgoE8EhNS0_10empty_typeEbEEZZNS1_14partition_implILS5_8ELb0ES3_jPKhPS6_PKS6_NS0_5tupleIJPhS6_EEENSE_IJSB_SB_EEENS0_18inequality_wrapperIN6hipcub16HIPCUB_304000_NS8EqualityEEEPlJS6_EEE10hipError_tPvRmT3_T4_T5_T6_T7_T9_mT8_P12ihipStream_tbDpT10_ENKUlT_T0_E_clISt17integral_constantIbLb0EES16_IbLb1EEEEDaS12_S13_EUlS12_E_NS1_11comp_targetILNS1_3genE0ELNS1_11target_archE4294967295ELNS1_3gpuE0ELNS1_3repE0EEENS1_30default_config_static_selectorELNS0_4arch9wavefront6targetE0EEEvT1_, .Lfunc_end158-_ZN7rocprim17ROCPRIM_400000_NS6detail17trampoline_kernelINS0_14default_configENS1_25partition_config_selectorILNS1_17partition_subalgoE8EhNS0_10empty_typeEbEEZZNS1_14partition_implILS5_8ELb0ES3_jPKhPS6_PKS6_NS0_5tupleIJPhS6_EEENSE_IJSB_SB_EEENS0_18inequality_wrapperIN6hipcub16HIPCUB_304000_NS8EqualityEEEPlJS6_EEE10hipError_tPvRmT3_T4_T5_T6_T7_T9_mT8_P12ihipStream_tbDpT10_ENKUlT_T0_E_clISt17integral_constantIbLb0EES16_IbLb1EEEEDaS12_S13_EUlS12_E_NS1_11comp_targetILNS1_3genE0ELNS1_11target_archE4294967295ELNS1_3gpuE0ELNS1_3repE0EEENS1_30default_config_static_selectorELNS0_4arch9wavefront6targetE0EEEvT1_
                                        ; -- End function
	.set _ZN7rocprim17ROCPRIM_400000_NS6detail17trampoline_kernelINS0_14default_configENS1_25partition_config_selectorILNS1_17partition_subalgoE8EhNS0_10empty_typeEbEEZZNS1_14partition_implILS5_8ELb0ES3_jPKhPS6_PKS6_NS0_5tupleIJPhS6_EEENSE_IJSB_SB_EEENS0_18inequality_wrapperIN6hipcub16HIPCUB_304000_NS8EqualityEEEPlJS6_EEE10hipError_tPvRmT3_T4_T5_T6_T7_T9_mT8_P12ihipStream_tbDpT10_ENKUlT_T0_E_clISt17integral_constantIbLb0EES16_IbLb1EEEEDaS12_S13_EUlS12_E_NS1_11comp_targetILNS1_3genE0ELNS1_11target_archE4294967295ELNS1_3gpuE0ELNS1_3repE0EEENS1_30default_config_static_selectorELNS0_4arch9wavefront6targetE0EEEvT1_.num_vgpr, 110
	.set _ZN7rocprim17ROCPRIM_400000_NS6detail17trampoline_kernelINS0_14default_configENS1_25partition_config_selectorILNS1_17partition_subalgoE8EhNS0_10empty_typeEbEEZZNS1_14partition_implILS5_8ELb0ES3_jPKhPS6_PKS6_NS0_5tupleIJPhS6_EEENSE_IJSB_SB_EEENS0_18inequality_wrapperIN6hipcub16HIPCUB_304000_NS8EqualityEEEPlJS6_EEE10hipError_tPvRmT3_T4_T5_T6_T7_T9_mT8_P12ihipStream_tbDpT10_ENKUlT_T0_E_clISt17integral_constantIbLb0EES16_IbLb1EEEEDaS12_S13_EUlS12_E_NS1_11comp_targetILNS1_3genE0ELNS1_11target_archE4294967295ELNS1_3gpuE0ELNS1_3repE0EEENS1_30default_config_static_selectorELNS0_4arch9wavefront6targetE0EEEvT1_.num_agpr, 0
	.set _ZN7rocprim17ROCPRIM_400000_NS6detail17trampoline_kernelINS0_14default_configENS1_25partition_config_selectorILNS1_17partition_subalgoE8EhNS0_10empty_typeEbEEZZNS1_14partition_implILS5_8ELb0ES3_jPKhPS6_PKS6_NS0_5tupleIJPhS6_EEENSE_IJSB_SB_EEENS0_18inequality_wrapperIN6hipcub16HIPCUB_304000_NS8EqualityEEEPlJS6_EEE10hipError_tPvRmT3_T4_T5_T6_T7_T9_mT8_P12ihipStream_tbDpT10_ENKUlT_T0_E_clISt17integral_constantIbLb0EES16_IbLb1EEEEDaS12_S13_EUlS12_E_NS1_11comp_targetILNS1_3genE0ELNS1_11target_archE4294967295ELNS1_3gpuE0ELNS1_3repE0EEENS1_30default_config_static_selectorELNS0_4arch9wavefront6targetE0EEEvT1_.numbered_sgpr, 49
	.set _ZN7rocprim17ROCPRIM_400000_NS6detail17trampoline_kernelINS0_14default_configENS1_25partition_config_selectorILNS1_17partition_subalgoE8EhNS0_10empty_typeEbEEZZNS1_14partition_implILS5_8ELb0ES3_jPKhPS6_PKS6_NS0_5tupleIJPhS6_EEENSE_IJSB_SB_EEENS0_18inequality_wrapperIN6hipcub16HIPCUB_304000_NS8EqualityEEEPlJS6_EEE10hipError_tPvRmT3_T4_T5_T6_T7_T9_mT8_P12ihipStream_tbDpT10_ENKUlT_T0_E_clISt17integral_constantIbLb0EES16_IbLb1EEEEDaS12_S13_EUlS12_E_NS1_11comp_targetILNS1_3genE0ELNS1_11target_archE4294967295ELNS1_3gpuE0ELNS1_3repE0EEENS1_30default_config_static_selectorELNS0_4arch9wavefront6targetE0EEEvT1_.num_named_barrier, 0
	.set _ZN7rocprim17ROCPRIM_400000_NS6detail17trampoline_kernelINS0_14default_configENS1_25partition_config_selectorILNS1_17partition_subalgoE8EhNS0_10empty_typeEbEEZZNS1_14partition_implILS5_8ELb0ES3_jPKhPS6_PKS6_NS0_5tupleIJPhS6_EEENSE_IJSB_SB_EEENS0_18inequality_wrapperIN6hipcub16HIPCUB_304000_NS8EqualityEEEPlJS6_EEE10hipError_tPvRmT3_T4_T5_T6_T7_T9_mT8_P12ihipStream_tbDpT10_ENKUlT_T0_E_clISt17integral_constantIbLb0EES16_IbLb1EEEEDaS12_S13_EUlS12_E_NS1_11comp_targetILNS1_3genE0ELNS1_11target_archE4294967295ELNS1_3gpuE0ELNS1_3repE0EEENS1_30default_config_static_selectorELNS0_4arch9wavefront6targetE0EEEvT1_.private_seg_size, 0
	.set _ZN7rocprim17ROCPRIM_400000_NS6detail17trampoline_kernelINS0_14default_configENS1_25partition_config_selectorILNS1_17partition_subalgoE8EhNS0_10empty_typeEbEEZZNS1_14partition_implILS5_8ELb0ES3_jPKhPS6_PKS6_NS0_5tupleIJPhS6_EEENSE_IJSB_SB_EEENS0_18inequality_wrapperIN6hipcub16HIPCUB_304000_NS8EqualityEEEPlJS6_EEE10hipError_tPvRmT3_T4_T5_T6_T7_T9_mT8_P12ihipStream_tbDpT10_ENKUlT_T0_E_clISt17integral_constantIbLb0EES16_IbLb1EEEEDaS12_S13_EUlS12_E_NS1_11comp_targetILNS1_3genE0ELNS1_11target_archE4294967295ELNS1_3gpuE0ELNS1_3repE0EEENS1_30default_config_static_selectorELNS0_4arch9wavefront6targetE0EEEvT1_.uses_vcc, 1
	.set _ZN7rocprim17ROCPRIM_400000_NS6detail17trampoline_kernelINS0_14default_configENS1_25partition_config_selectorILNS1_17partition_subalgoE8EhNS0_10empty_typeEbEEZZNS1_14partition_implILS5_8ELb0ES3_jPKhPS6_PKS6_NS0_5tupleIJPhS6_EEENSE_IJSB_SB_EEENS0_18inequality_wrapperIN6hipcub16HIPCUB_304000_NS8EqualityEEEPlJS6_EEE10hipError_tPvRmT3_T4_T5_T6_T7_T9_mT8_P12ihipStream_tbDpT10_ENKUlT_T0_E_clISt17integral_constantIbLb0EES16_IbLb1EEEEDaS12_S13_EUlS12_E_NS1_11comp_targetILNS1_3genE0ELNS1_11target_archE4294967295ELNS1_3gpuE0ELNS1_3repE0EEENS1_30default_config_static_selectorELNS0_4arch9wavefront6targetE0EEEvT1_.uses_flat_scratch, 0
	.set _ZN7rocprim17ROCPRIM_400000_NS6detail17trampoline_kernelINS0_14default_configENS1_25partition_config_selectorILNS1_17partition_subalgoE8EhNS0_10empty_typeEbEEZZNS1_14partition_implILS5_8ELb0ES3_jPKhPS6_PKS6_NS0_5tupleIJPhS6_EEENSE_IJSB_SB_EEENS0_18inequality_wrapperIN6hipcub16HIPCUB_304000_NS8EqualityEEEPlJS6_EEE10hipError_tPvRmT3_T4_T5_T6_T7_T9_mT8_P12ihipStream_tbDpT10_ENKUlT_T0_E_clISt17integral_constantIbLb0EES16_IbLb1EEEEDaS12_S13_EUlS12_E_NS1_11comp_targetILNS1_3genE0ELNS1_11target_archE4294967295ELNS1_3gpuE0ELNS1_3repE0EEENS1_30default_config_static_selectorELNS0_4arch9wavefront6targetE0EEEvT1_.has_dyn_sized_stack, 0
	.set _ZN7rocprim17ROCPRIM_400000_NS6detail17trampoline_kernelINS0_14default_configENS1_25partition_config_selectorILNS1_17partition_subalgoE8EhNS0_10empty_typeEbEEZZNS1_14partition_implILS5_8ELb0ES3_jPKhPS6_PKS6_NS0_5tupleIJPhS6_EEENSE_IJSB_SB_EEENS0_18inequality_wrapperIN6hipcub16HIPCUB_304000_NS8EqualityEEEPlJS6_EEE10hipError_tPvRmT3_T4_T5_T6_T7_T9_mT8_P12ihipStream_tbDpT10_ENKUlT_T0_E_clISt17integral_constantIbLb0EES16_IbLb1EEEEDaS12_S13_EUlS12_E_NS1_11comp_targetILNS1_3genE0ELNS1_11target_archE4294967295ELNS1_3gpuE0ELNS1_3repE0EEENS1_30default_config_static_selectorELNS0_4arch9wavefront6targetE0EEEvT1_.has_recursion, 0
	.set _ZN7rocprim17ROCPRIM_400000_NS6detail17trampoline_kernelINS0_14default_configENS1_25partition_config_selectorILNS1_17partition_subalgoE8EhNS0_10empty_typeEbEEZZNS1_14partition_implILS5_8ELb0ES3_jPKhPS6_PKS6_NS0_5tupleIJPhS6_EEENSE_IJSB_SB_EEENS0_18inequality_wrapperIN6hipcub16HIPCUB_304000_NS8EqualityEEEPlJS6_EEE10hipError_tPvRmT3_T4_T5_T6_T7_T9_mT8_P12ihipStream_tbDpT10_ENKUlT_T0_E_clISt17integral_constantIbLb0EES16_IbLb1EEEEDaS12_S13_EUlS12_E_NS1_11comp_targetILNS1_3genE0ELNS1_11target_archE4294967295ELNS1_3gpuE0ELNS1_3repE0EEENS1_30default_config_static_selectorELNS0_4arch9wavefront6targetE0EEEvT1_.has_indirect_call, 0
	.section	.AMDGPU.csdata,"",@progbits
; Kernel info:
; codeLenInByte = 14216
; TotalNumSgprs: 51
; NumVgprs: 110
; ScratchSize: 0
; MemoryBound: 0
; FloatMode: 240
; IeeeMode: 1
; LDSByteSize: 7176 bytes/workgroup (compile time only)
; SGPRBlocks: 0
; VGPRBlocks: 6
; NumSGPRsForWavesPerEU: 51
; NumVGPRsForWavesPerEU: 110
; NamedBarCnt: 0
; Occupancy: 9
; WaveLimiterHint : 1
; COMPUTE_PGM_RSRC2:SCRATCH_EN: 0
; COMPUTE_PGM_RSRC2:USER_SGPR: 2
; COMPUTE_PGM_RSRC2:TRAP_HANDLER: 0
; COMPUTE_PGM_RSRC2:TGID_X_EN: 1
; COMPUTE_PGM_RSRC2:TGID_Y_EN: 0
; COMPUTE_PGM_RSRC2:TGID_Z_EN: 0
; COMPUTE_PGM_RSRC2:TIDIG_COMP_CNT: 0
	.section	.text._ZN7rocprim17ROCPRIM_400000_NS6detail17trampoline_kernelINS0_14default_configENS1_25partition_config_selectorILNS1_17partition_subalgoE8EhNS0_10empty_typeEbEEZZNS1_14partition_implILS5_8ELb0ES3_jPKhPS6_PKS6_NS0_5tupleIJPhS6_EEENSE_IJSB_SB_EEENS0_18inequality_wrapperIN6hipcub16HIPCUB_304000_NS8EqualityEEEPlJS6_EEE10hipError_tPvRmT3_T4_T5_T6_T7_T9_mT8_P12ihipStream_tbDpT10_ENKUlT_T0_E_clISt17integral_constantIbLb0EES16_IbLb1EEEEDaS12_S13_EUlS12_E_NS1_11comp_targetILNS1_3genE5ELNS1_11target_archE942ELNS1_3gpuE9ELNS1_3repE0EEENS1_30default_config_static_selectorELNS0_4arch9wavefront6targetE0EEEvT1_,"axG",@progbits,_ZN7rocprim17ROCPRIM_400000_NS6detail17trampoline_kernelINS0_14default_configENS1_25partition_config_selectorILNS1_17partition_subalgoE8EhNS0_10empty_typeEbEEZZNS1_14partition_implILS5_8ELb0ES3_jPKhPS6_PKS6_NS0_5tupleIJPhS6_EEENSE_IJSB_SB_EEENS0_18inequality_wrapperIN6hipcub16HIPCUB_304000_NS8EqualityEEEPlJS6_EEE10hipError_tPvRmT3_T4_T5_T6_T7_T9_mT8_P12ihipStream_tbDpT10_ENKUlT_T0_E_clISt17integral_constantIbLb0EES16_IbLb1EEEEDaS12_S13_EUlS12_E_NS1_11comp_targetILNS1_3genE5ELNS1_11target_archE942ELNS1_3gpuE9ELNS1_3repE0EEENS1_30default_config_static_selectorELNS0_4arch9wavefront6targetE0EEEvT1_,comdat
	.protected	_ZN7rocprim17ROCPRIM_400000_NS6detail17trampoline_kernelINS0_14default_configENS1_25partition_config_selectorILNS1_17partition_subalgoE8EhNS0_10empty_typeEbEEZZNS1_14partition_implILS5_8ELb0ES3_jPKhPS6_PKS6_NS0_5tupleIJPhS6_EEENSE_IJSB_SB_EEENS0_18inequality_wrapperIN6hipcub16HIPCUB_304000_NS8EqualityEEEPlJS6_EEE10hipError_tPvRmT3_T4_T5_T6_T7_T9_mT8_P12ihipStream_tbDpT10_ENKUlT_T0_E_clISt17integral_constantIbLb0EES16_IbLb1EEEEDaS12_S13_EUlS12_E_NS1_11comp_targetILNS1_3genE5ELNS1_11target_archE942ELNS1_3gpuE9ELNS1_3repE0EEENS1_30default_config_static_selectorELNS0_4arch9wavefront6targetE0EEEvT1_ ; -- Begin function _ZN7rocprim17ROCPRIM_400000_NS6detail17trampoline_kernelINS0_14default_configENS1_25partition_config_selectorILNS1_17partition_subalgoE8EhNS0_10empty_typeEbEEZZNS1_14partition_implILS5_8ELb0ES3_jPKhPS6_PKS6_NS0_5tupleIJPhS6_EEENSE_IJSB_SB_EEENS0_18inequality_wrapperIN6hipcub16HIPCUB_304000_NS8EqualityEEEPlJS6_EEE10hipError_tPvRmT3_T4_T5_T6_T7_T9_mT8_P12ihipStream_tbDpT10_ENKUlT_T0_E_clISt17integral_constantIbLb0EES16_IbLb1EEEEDaS12_S13_EUlS12_E_NS1_11comp_targetILNS1_3genE5ELNS1_11target_archE942ELNS1_3gpuE9ELNS1_3repE0EEENS1_30default_config_static_selectorELNS0_4arch9wavefront6targetE0EEEvT1_
	.globl	_ZN7rocprim17ROCPRIM_400000_NS6detail17trampoline_kernelINS0_14default_configENS1_25partition_config_selectorILNS1_17partition_subalgoE8EhNS0_10empty_typeEbEEZZNS1_14partition_implILS5_8ELb0ES3_jPKhPS6_PKS6_NS0_5tupleIJPhS6_EEENSE_IJSB_SB_EEENS0_18inequality_wrapperIN6hipcub16HIPCUB_304000_NS8EqualityEEEPlJS6_EEE10hipError_tPvRmT3_T4_T5_T6_T7_T9_mT8_P12ihipStream_tbDpT10_ENKUlT_T0_E_clISt17integral_constantIbLb0EES16_IbLb1EEEEDaS12_S13_EUlS12_E_NS1_11comp_targetILNS1_3genE5ELNS1_11target_archE942ELNS1_3gpuE9ELNS1_3repE0EEENS1_30default_config_static_selectorELNS0_4arch9wavefront6targetE0EEEvT1_
	.p2align	8
	.type	_ZN7rocprim17ROCPRIM_400000_NS6detail17trampoline_kernelINS0_14default_configENS1_25partition_config_selectorILNS1_17partition_subalgoE8EhNS0_10empty_typeEbEEZZNS1_14partition_implILS5_8ELb0ES3_jPKhPS6_PKS6_NS0_5tupleIJPhS6_EEENSE_IJSB_SB_EEENS0_18inequality_wrapperIN6hipcub16HIPCUB_304000_NS8EqualityEEEPlJS6_EEE10hipError_tPvRmT3_T4_T5_T6_T7_T9_mT8_P12ihipStream_tbDpT10_ENKUlT_T0_E_clISt17integral_constantIbLb0EES16_IbLb1EEEEDaS12_S13_EUlS12_E_NS1_11comp_targetILNS1_3genE5ELNS1_11target_archE942ELNS1_3gpuE9ELNS1_3repE0EEENS1_30default_config_static_selectorELNS0_4arch9wavefront6targetE0EEEvT1_,@function
_ZN7rocprim17ROCPRIM_400000_NS6detail17trampoline_kernelINS0_14default_configENS1_25partition_config_selectorILNS1_17partition_subalgoE8EhNS0_10empty_typeEbEEZZNS1_14partition_implILS5_8ELb0ES3_jPKhPS6_PKS6_NS0_5tupleIJPhS6_EEENSE_IJSB_SB_EEENS0_18inequality_wrapperIN6hipcub16HIPCUB_304000_NS8EqualityEEEPlJS6_EEE10hipError_tPvRmT3_T4_T5_T6_T7_T9_mT8_P12ihipStream_tbDpT10_ENKUlT_T0_E_clISt17integral_constantIbLb0EES16_IbLb1EEEEDaS12_S13_EUlS12_E_NS1_11comp_targetILNS1_3genE5ELNS1_11target_archE942ELNS1_3gpuE9ELNS1_3repE0EEENS1_30default_config_static_selectorELNS0_4arch9wavefront6targetE0EEEvT1_: ; @_ZN7rocprim17ROCPRIM_400000_NS6detail17trampoline_kernelINS0_14default_configENS1_25partition_config_selectorILNS1_17partition_subalgoE8EhNS0_10empty_typeEbEEZZNS1_14partition_implILS5_8ELb0ES3_jPKhPS6_PKS6_NS0_5tupleIJPhS6_EEENSE_IJSB_SB_EEENS0_18inequality_wrapperIN6hipcub16HIPCUB_304000_NS8EqualityEEEPlJS6_EEE10hipError_tPvRmT3_T4_T5_T6_T7_T9_mT8_P12ihipStream_tbDpT10_ENKUlT_T0_E_clISt17integral_constantIbLb0EES16_IbLb1EEEEDaS12_S13_EUlS12_E_NS1_11comp_targetILNS1_3genE5ELNS1_11target_archE942ELNS1_3gpuE9ELNS1_3repE0EEENS1_30default_config_static_selectorELNS0_4arch9wavefront6targetE0EEEvT1_
; %bb.0:
	.section	.rodata,"a",@progbits
	.p2align	6, 0x0
	.amdhsa_kernel _ZN7rocprim17ROCPRIM_400000_NS6detail17trampoline_kernelINS0_14default_configENS1_25partition_config_selectorILNS1_17partition_subalgoE8EhNS0_10empty_typeEbEEZZNS1_14partition_implILS5_8ELb0ES3_jPKhPS6_PKS6_NS0_5tupleIJPhS6_EEENSE_IJSB_SB_EEENS0_18inequality_wrapperIN6hipcub16HIPCUB_304000_NS8EqualityEEEPlJS6_EEE10hipError_tPvRmT3_T4_T5_T6_T7_T9_mT8_P12ihipStream_tbDpT10_ENKUlT_T0_E_clISt17integral_constantIbLb0EES16_IbLb1EEEEDaS12_S13_EUlS12_E_NS1_11comp_targetILNS1_3genE5ELNS1_11target_archE942ELNS1_3gpuE9ELNS1_3repE0EEENS1_30default_config_static_selectorELNS0_4arch9wavefront6targetE0EEEvT1_
		.amdhsa_group_segment_fixed_size 0
		.amdhsa_private_segment_fixed_size 0
		.amdhsa_kernarg_size 128
		.amdhsa_user_sgpr_count 2
		.amdhsa_user_sgpr_dispatch_ptr 0
		.amdhsa_user_sgpr_queue_ptr 0
		.amdhsa_user_sgpr_kernarg_segment_ptr 1
		.amdhsa_user_sgpr_dispatch_id 0
		.amdhsa_user_sgpr_kernarg_preload_length 0
		.amdhsa_user_sgpr_kernarg_preload_offset 0
		.amdhsa_user_sgpr_private_segment_size 0
		.amdhsa_wavefront_size32 1
		.amdhsa_uses_dynamic_stack 0
		.amdhsa_enable_private_segment 0
		.amdhsa_system_sgpr_workgroup_id_x 1
		.amdhsa_system_sgpr_workgroup_id_y 0
		.amdhsa_system_sgpr_workgroup_id_z 0
		.amdhsa_system_sgpr_workgroup_info 0
		.amdhsa_system_vgpr_workitem_id 0
		.amdhsa_next_free_vgpr 1
		.amdhsa_next_free_sgpr 1
		.amdhsa_named_barrier_count 0
		.amdhsa_reserve_vcc 0
		.amdhsa_float_round_mode_32 0
		.amdhsa_float_round_mode_16_64 0
		.amdhsa_float_denorm_mode_32 3
		.amdhsa_float_denorm_mode_16_64 3
		.amdhsa_fp16_overflow 0
		.amdhsa_memory_ordered 1
		.amdhsa_forward_progress 1
		.amdhsa_inst_pref_size 0
		.amdhsa_round_robin_scheduling 0
		.amdhsa_exception_fp_ieee_invalid_op 0
		.amdhsa_exception_fp_denorm_src 0
		.amdhsa_exception_fp_ieee_div_zero 0
		.amdhsa_exception_fp_ieee_overflow 0
		.amdhsa_exception_fp_ieee_underflow 0
		.amdhsa_exception_fp_ieee_inexact 0
		.amdhsa_exception_int_div_zero 0
	.end_amdhsa_kernel
	.section	.text._ZN7rocprim17ROCPRIM_400000_NS6detail17trampoline_kernelINS0_14default_configENS1_25partition_config_selectorILNS1_17partition_subalgoE8EhNS0_10empty_typeEbEEZZNS1_14partition_implILS5_8ELb0ES3_jPKhPS6_PKS6_NS0_5tupleIJPhS6_EEENSE_IJSB_SB_EEENS0_18inequality_wrapperIN6hipcub16HIPCUB_304000_NS8EqualityEEEPlJS6_EEE10hipError_tPvRmT3_T4_T5_T6_T7_T9_mT8_P12ihipStream_tbDpT10_ENKUlT_T0_E_clISt17integral_constantIbLb0EES16_IbLb1EEEEDaS12_S13_EUlS12_E_NS1_11comp_targetILNS1_3genE5ELNS1_11target_archE942ELNS1_3gpuE9ELNS1_3repE0EEENS1_30default_config_static_selectorELNS0_4arch9wavefront6targetE0EEEvT1_,"axG",@progbits,_ZN7rocprim17ROCPRIM_400000_NS6detail17trampoline_kernelINS0_14default_configENS1_25partition_config_selectorILNS1_17partition_subalgoE8EhNS0_10empty_typeEbEEZZNS1_14partition_implILS5_8ELb0ES3_jPKhPS6_PKS6_NS0_5tupleIJPhS6_EEENSE_IJSB_SB_EEENS0_18inequality_wrapperIN6hipcub16HIPCUB_304000_NS8EqualityEEEPlJS6_EEE10hipError_tPvRmT3_T4_T5_T6_T7_T9_mT8_P12ihipStream_tbDpT10_ENKUlT_T0_E_clISt17integral_constantIbLb0EES16_IbLb1EEEEDaS12_S13_EUlS12_E_NS1_11comp_targetILNS1_3genE5ELNS1_11target_archE942ELNS1_3gpuE9ELNS1_3repE0EEENS1_30default_config_static_selectorELNS0_4arch9wavefront6targetE0EEEvT1_,comdat
.Lfunc_end159:
	.size	_ZN7rocprim17ROCPRIM_400000_NS6detail17trampoline_kernelINS0_14default_configENS1_25partition_config_selectorILNS1_17partition_subalgoE8EhNS0_10empty_typeEbEEZZNS1_14partition_implILS5_8ELb0ES3_jPKhPS6_PKS6_NS0_5tupleIJPhS6_EEENSE_IJSB_SB_EEENS0_18inequality_wrapperIN6hipcub16HIPCUB_304000_NS8EqualityEEEPlJS6_EEE10hipError_tPvRmT3_T4_T5_T6_T7_T9_mT8_P12ihipStream_tbDpT10_ENKUlT_T0_E_clISt17integral_constantIbLb0EES16_IbLb1EEEEDaS12_S13_EUlS12_E_NS1_11comp_targetILNS1_3genE5ELNS1_11target_archE942ELNS1_3gpuE9ELNS1_3repE0EEENS1_30default_config_static_selectorELNS0_4arch9wavefront6targetE0EEEvT1_, .Lfunc_end159-_ZN7rocprim17ROCPRIM_400000_NS6detail17trampoline_kernelINS0_14default_configENS1_25partition_config_selectorILNS1_17partition_subalgoE8EhNS0_10empty_typeEbEEZZNS1_14partition_implILS5_8ELb0ES3_jPKhPS6_PKS6_NS0_5tupleIJPhS6_EEENSE_IJSB_SB_EEENS0_18inequality_wrapperIN6hipcub16HIPCUB_304000_NS8EqualityEEEPlJS6_EEE10hipError_tPvRmT3_T4_T5_T6_T7_T9_mT8_P12ihipStream_tbDpT10_ENKUlT_T0_E_clISt17integral_constantIbLb0EES16_IbLb1EEEEDaS12_S13_EUlS12_E_NS1_11comp_targetILNS1_3genE5ELNS1_11target_archE942ELNS1_3gpuE9ELNS1_3repE0EEENS1_30default_config_static_selectorELNS0_4arch9wavefront6targetE0EEEvT1_
                                        ; -- End function
	.set _ZN7rocprim17ROCPRIM_400000_NS6detail17trampoline_kernelINS0_14default_configENS1_25partition_config_selectorILNS1_17partition_subalgoE8EhNS0_10empty_typeEbEEZZNS1_14partition_implILS5_8ELb0ES3_jPKhPS6_PKS6_NS0_5tupleIJPhS6_EEENSE_IJSB_SB_EEENS0_18inequality_wrapperIN6hipcub16HIPCUB_304000_NS8EqualityEEEPlJS6_EEE10hipError_tPvRmT3_T4_T5_T6_T7_T9_mT8_P12ihipStream_tbDpT10_ENKUlT_T0_E_clISt17integral_constantIbLb0EES16_IbLb1EEEEDaS12_S13_EUlS12_E_NS1_11comp_targetILNS1_3genE5ELNS1_11target_archE942ELNS1_3gpuE9ELNS1_3repE0EEENS1_30default_config_static_selectorELNS0_4arch9wavefront6targetE0EEEvT1_.num_vgpr, 0
	.set _ZN7rocprim17ROCPRIM_400000_NS6detail17trampoline_kernelINS0_14default_configENS1_25partition_config_selectorILNS1_17partition_subalgoE8EhNS0_10empty_typeEbEEZZNS1_14partition_implILS5_8ELb0ES3_jPKhPS6_PKS6_NS0_5tupleIJPhS6_EEENSE_IJSB_SB_EEENS0_18inequality_wrapperIN6hipcub16HIPCUB_304000_NS8EqualityEEEPlJS6_EEE10hipError_tPvRmT3_T4_T5_T6_T7_T9_mT8_P12ihipStream_tbDpT10_ENKUlT_T0_E_clISt17integral_constantIbLb0EES16_IbLb1EEEEDaS12_S13_EUlS12_E_NS1_11comp_targetILNS1_3genE5ELNS1_11target_archE942ELNS1_3gpuE9ELNS1_3repE0EEENS1_30default_config_static_selectorELNS0_4arch9wavefront6targetE0EEEvT1_.num_agpr, 0
	.set _ZN7rocprim17ROCPRIM_400000_NS6detail17trampoline_kernelINS0_14default_configENS1_25partition_config_selectorILNS1_17partition_subalgoE8EhNS0_10empty_typeEbEEZZNS1_14partition_implILS5_8ELb0ES3_jPKhPS6_PKS6_NS0_5tupleIJPhS6_EEENSE_IJSB_SB_EEENS0_18inequality_wrapperIN6hipcub16HIPCUB_304000_NS8EqualityEEEPlJS6_EEE10hipError_tPvRmT3_T4_T5_T6_T7_T9_mT8_P12ihipStream_tbDpT10_ENKUlT_T0_E_clISt17integral_constantIbLb0EES16_IbLb1EEEEDaS12_S13_EUlS12_E_NS1_11comp_targetILNS1_3genE5ELNS1_11target_archE942ELNS1_3gpuE9ELNS1_3repE0EEENS1_30default_config_static_selectorELNS0_4arch9wavefront6targetE0EEEvT1_.numbered_sgpr, 0
	.set _ZN7rocprim17ROCPRIM_400000_NS6detail17trampoline_kernelINS0_14default_configENS1_25partition_config_selectorILNS1_17partition_subalgoE8EhNS0_10empty_typeEbEEZZNS1_14partition_implILS5_8ELb0ES3_jPKhPS6_PKS6_NS0_5tupleIJPhS6_EEENSE_IJSB_SB_EEENS0_18inequality_wrapperIN6hipcub16HIPCUB_304000_NS8EqualityEEEPlJS6_EEE10hipError_tPvRmT3_T4_T5_T6_T7_T9_mT8_P12ihipStream_tbDpT10_ENKUlT_T0_E_clISt17integral_constantIbLb0EES16_IbLb1EEEEDaS12_S13_EUlS12_E_NS1_11comp_targetILNS1_3genE5ELNS1_11target_archE942ELNS1_3gpuE9ELNS1_3repE0EEENS1_30default_config_static_selectorELNS0_4arch9wavefront6targetE0EEEvT1_.num_named_barrier, 0
	.set _ZN7rocprim17ROCPRIM_400000_NS6detail17trampoline_kernelINS0_14default_configENS1_25partition_config_selectorILNS1_17partition_subalgoE8EhNS0_10empty_typeEbEEZZNS1_14partition_implILS5_8ELb0ES3_jPKhPS6_PKS6_NS0_5tupleIJPhS6_EEENSE_IJSB_SB_EEENS0_18inequality_wrapperIN6hipcub16HIPCUB_304000_NS8EqualityEEEPlJS6_EEE10hipError_tPvRmT3_T4_T5_T6_T7_T9_mT8_P12ihipStream_tbDpT10_ENKUlT_T0_E_clISt17integral_constantIbLb0EES16_IbLb1EEEEDaS12_S13_EUlS12_E_NS1_11comp_targetILNS1_3genE5ELNS1_11target_archE942ELNS1_3gpuE9ELNS1_3repE0EEENS1_30default_config_static_selectorELNS0_4arch9wavefront6targetE0EEEvT1_.private_seg_size, 0
	.set _ZN7rocprim17ROCPRIM_400000_NS6detail17trampoline_kernelINS0_14default_configENS1_25partition_config_selectorILNS1_17partition_subalgoE8EhNS0_10empty_typeEbEEZZNS1_14partition_implILS5_8ELb0ES3_jPKhPS6_PKS6_NS0_5tupleIJPhS6_EEENSE_IJSB_SB_EEENS0_18inequality_wrapperIN6hipcub16HIPCUB_304000_NS8EqualityEEEPlJS6_EEE10hipError_tPvRmT3_T4_T5_T6_T7_T9_mT8_P12ihipStream_tbDpT10_ENKUlT_T0_E_clISt17integral_constantIbLb0EES16_IbLb1EEEEDaS12_S13_EUlS12_E_NS1_11comp_targetILNS1_3genE5ELNS1_11target_archE942ELNS1_3gpuE9ELNS1_3repE0EEENS1_30default_config_static_selectorELNS0_4arch9wavefront6targetE0EEEvT1_.uses_vcc, 0
	.set _ZN7rocprim17ROCPRIM_400000_NS6detail17trampoline_kernelINS0_14default_configENS1_25partition_config_selectorILNS1_17partition_subalgoE8EhNS0_10empty_typeEbEEZZNS1_14partition_implILS5_8ELb0ES3_jPKhPS6_PKS6_NS0_5tupleIJPhS6_EEENSE_IJSB_SB_EEENS0_18inequality_wrapperIN6hipcub16HIPCUB_304000_NS8EqualityEEEPlJS6_EEE10hipError_tPvRmT3_T4_T5_T6_T7_T9_mT8_P12ihipStream_tbDpT10_ENKUlT_T0_E_clISt17integral_constantIbLb0EES16_IbLb1EEEEDaS12_S13_EUlS12_E_NS1_11comp_targetILNS1_3genE5ELNS1_11target_archE942ELNS1_3gpuE9ELNS1_3repE0EEENS1_30default_config_static_selectorELNS0_4arch9wavefront6targetE0EEEvT1_.uses_flat_scratch, 0
	.set _ZN7rocprim17ROCPRIM_400000_NS6detail17trampoline_kernelINS0_14default_configENS1_25partition_config_selectorILNS1_17partition_subalgoE8EhNS0_10empty_typeEbEEZZNS1_14partition_implILS5_8ELb0ES3_jPKhPS6_PKS6_NS0_5tupleIJPhS6_EEENSE_IJSB_SB_EEENS0_18inequality_wrapperIN6hipcub16HIPCUB_304000_NS8EqualityEEEPlJS6_EEE10hipError_tPvRmT3_T4_T5_T6_T7_T9_mT8_P12ihipStream_tbDpT10_ENKUlT_T0_E_clISt17integral_constantIbLb0EES16_IbLb1EEEEDaS12_S13_EUlS12_E_NS1_11comp_targetILNS1_3genE5ELNS1_11target_archE942ELNS1_3gpuE9ELNS1_3repE0EEENS1_30default_config_static_selectorELNS0_4arch9wavefront6targetE0EEEvT1_.has_dyn_sized_stack, 0
	.set _ZN7rocprim17ROCPRIM_400000_NS6detail17trampoline_kernelINS0_14default_configENS1_25partition_config_selectorILNS1_17partition_subalgoE8EhNS0_10empty_typeEbEEZZNS1_14partition_implILS5_8ELb0ES3_jPKhPS6_PKS6_NS0_5tupleIJPhS6_EEENSE_IJSB_SB_EEENS0_18inequality_wrapperIN6hipcub16HIPCUB_304000_NS8EqualityEEEPlJS6_EEE10hipError_tPvRmT3_T4_T5_T6_T7_T9_mT8_P12ihipStream_tbDpT10_ENKUlT_T0_E_clISt17integral_constantIbLb0EES16_IbLb1EEEEDaS12_S13_EUlS12_E_NS1_11comp_targetILNS1_3genE5ELNS1_11target_archE942ELNS1_3gpuE9ELNS1_3repE0EEENS1_30default_config_static_selectorELNS0_4arch9wavefront6targetE0EEEvT1_.has_recursion, 0
	.set _ZN7rocprim17ROCPRIM_400000_NS6detail17trampoline_kernelINS0_14default_configENS1_25partition_config_selectorILNS1_17partition_subalgoE8EhNS0_10empty_typeEbEEZZNS1_14partition_implILS5_8ELb0ES3_jPKhPS6_PKS6_NS0_5tupleIJPhS6_EEENSE_IJSB_SB_EEENS0_18inequality_wrapperIN6hipcub16HIPCUB_304000_NS8EqualityEEEPlJS6_EEE10hipError_tPvRmT3_T4_T5_T6_T7_T9_mT8_P12ihipStream_tbDpT10_ENKUlT_T0_E_clISt17integral_constantIbLb0EES16_IbLb1EEEEDaS12_S13_EUlS12_E_NS1_11comp_targetILNS1_3genE5ELNS1_11target_archE942ELNS1_3gpuE9ELNS1_3repE0EEENS1_30default_config_static_selectorELNS0_4arch9wavefront6targetE0EEEvT1_.has_indirect_call, 0
	.section	.AMDGPU.csdata,"",@progbits
; Kernel info:
; codeLenInByte = 0
; TotalNumSgprs: 0
; NumVgprs: 0
; ScratchSize: 0
; MemoryBound: 0
; FloatMode: 240
; IeeeMode: 1
; LDSByteSize: 0 bytes/workgroup (compile time only)
; SGPRBlocks: 0
; VGPRBlocks: 0
; NumSGPRsForWavesPerEU: 1
; NumVGPRsForWavesPerEU: 1
; NamedBarCnt: 0
; Occupancy: 16
; WaveLimiterHint : 0
; COMPUTE_PGM_RSRC2:SCRATCH_EN: 0
; COMPUTE_PGM_RSRC2:USER_SGPR: 2
; COMPUTE_PGM_RSRC2:TRAP_HANDLER: 0
; COMPUTE_PGM_RSRC2:TGID_X_EN: 1
; COMPUTE_PGM_RSRC2:TGID_Y_EN: 0
; COMPUTE_PGM_RSRC2:TGID_Z_EN: 0
; COMPUTE_PGM_RSRC2:TIDIG_COMP_CNT: 0
	.section	.text._ZN7rocprim17ROCPRIM_400000_NS6detail17trampoline_kernelINS0_14default_configENS1_25partition_config_selectorILNS1_17partition_subalgoE8EhNS0_10empty_typeEbEEZZNS1_14partition_implILS5_8ELb0ES3_jPKhPS6_PKS6_NS0_5tupleIJPhS6_EEENSE_IJSB_SB_EEENS0_18inequality_wrapperIN6hipcub16HIPCUB_304000_NS8EqualityEEEPlJS6_EEE10hipError_tPvRmT3_T4_T5_T6_T7_T9_mT8_P12ihipStream_tbDpT10_ENKUlT_T0_E_clISt17integral_constantIbLb0EES16_IbLb1EEEEDaS12_S13_EUlS12_E_NS1_11comp_targetILNS1_3genE4ELNS1_11target_archE910ELNS1_3gpuE8ELNS1_3repE0EEENS1_30default_config_static_selectorELNS0_4arch9wavefront6targetE0EEEvT1_,"axG",@progbits,_ZN7rocprim17ROCPRIM_400000_NS6detail17trampoline_kernelINS0_14default_configENS1_25partition_config_selectorILNS1_17partition_subalgoE8EhNS0_10empty_typeEbEEZZNS1_14partition_implILS5_8ELb0ES3_jPKhPS6_PKS6_NS0_5tupleIJPhS6_EEENSE_IJSB_SB_EEENS0_18inequality_wrapperIN6hipcub16HIPCUB_304000_NS8EqualityEEEPlJS6_EEE10hipError_tPvRmT3_T4_T5_T6_T7_T9_mT8_P12ihipStream_tbDpT10_ENKUlT_T0_E_clISt17integral_constantIbLb0EES16_IbLb1EEEEDaS12_S13_EUlS12_E_NS1_11comp_targetILNS1_3genE4ELNS1_11target_archE910ELNS1_3gpuE8ELNS1_3repE0EEENS1_30default_config_static_selectorELNS0_4arch9wavefront6targetE0EEEvT1_,comdat
	.protected	_ZN7rocprim17ROCPRIM_400000_NS6detail17trampoline_kernelINS0_14default_configENS1_25partition_config_selectorILNS1_17partition_subalgoE8EhNS0_10empty_typeEbEEZZNS1_14partition_implILS5_8ELb0ES3_jPKhPS6_PKS6_NS0_5tupleIJPhS6_EEENSE_IJSB_SB_EEENS0_18inequality_wrapperIN6hipcub16HIPCUB_304000_NS8EqualityEEEPlJS6_EEE10hipError_tPvRmT3_T4_T5_T6_T7_T9_mT8_P12ihipStream_tbDpT10_ENKUlT_T0_E_clISt17integral_constantIbLb0EES16_IbLb1EEEEDaS12_S13_EUlS12_E_NS1_11comp_targetILNS1_3genE4ELNS1_11target_archE910ELNS1_3gpuE8ELNS1_3repE0EEENS1_30default_config_static_selectorELNS0_4arch9wavefront6targetE0EEEvT1_ ; -- Begin function _ZN7rocprim17ROCPRIM_400000_NS6detail17trampoline_kernelINS0_14default_configENS1_25partition_config_selectorILNS1_17partition_subalgoE8EhNS0_10empty_typeEbEEZZNS1_14partition_implILS5_8ELb0ES3_jPKhPS6_PKS6_NS0_5tupleIJPhS6_EEENSE_IJSB_SB_EEENS0_18inequality_wrapperIN6hipcub16HIPCUB_304000_NS8EqualityEEEPlJS6_EEE10hipError_tPvRmT3_T4_T5_T6_T7_T9_mT8_P12ihipStream_tbDpT10_ENKUlT_T0_E_clISt17integral_constantIbLb0EES16_IbLb1EEEEDaS12_S13_EUlS12_E_NS1_11comp_targetILNS1_3genE4ELNS1_11target_archE910ELNS1_3gpuE8ELNS1_3repE0EEENS1_30default_config_static_selectorELNS0_4arch9wavefront6targetE0EEEvT1_
	.globl	_ZN7rocprim17ROCPRIM_400000_NS6detail17trampoline_kernelINS0_14default_configENS1_25partition_config_selectorILNS1_17partition_subalgoE8EhNS0_10empty_typeEbEEZZNS1_14partition_implILS5_8ELb0ES3_jPKhPS6_PKS6_NS0_5tupleIJPhS6_EEENSE_IJSB_SB_EEENS0_18inequality_wrapperIN6hipcub16HIPCUB_304000_NS8EqualityEEEPlJS6_EEE10hipError_tPvRmT3_T4_T5_T6_T7_T9_mT8_P12ihipStream_tbDpT10_ENKUlT_T0_E_clISt17integral_constantIbLb0EES16_IbLb1EEEEDaS12_S13_EUlS12_E_NS1_11comp_targetILNS1_3genE4ELNS1_11target_archE910ELNS1_3gpuE8ELNS1_3repE0EEENS1_30default_config_static_selectorELNS0_4arch9wavefront6targetE0EEEvT1_
	.p2align	8
	.type	_ZN7rocprim17ROCPRIM_400000_NS6detail17trampoline_kernelINS0_14default_configENS1_25partition_config_selectorILNS1_17partition_subalgoE8EhNS0_10empty_typeEbEEZZNS1_14partition_implILS5_8ELb0ES3_jPKhPS6_PKS6_NS0_5tupleIJPhS6_EEENSE_IJSB_SB_EEENS0_18inequality_wrapperIN6hipcub16HIPCUB_304000_NS8EqualityEEEPlJS6_EEE10hipError_tPvRmT3_T4_T5_T6_T7_T9_mT8_P12ihipStream_tbDpT10_ENKUlT_T0_E_clISt17integral_constantIbLb0EES16_IbLb1EEEEDaS12_S13_EUlS12_E_NS1_11comp_targetILNS1_3genE4ELNS1_11target_archE910ELNS1_3gpuE8ELNS1_3repE0EEENS1_30default_config_static_selectorELNS0_4arch9wavefront6targetE0EEEvT1_,@function
_ZN7rocprim17ROCPRIM_400000_NS6detail17trampoline_kernelINS0_14default_configENS1_25partition_config_selectorILNS1_17partition_subalgoE8EhNS0_10empty_typeEbEEZZNS1_14partition_implILS5_8ELb0ES3_jPKhPS6_PKS6_NS0_5tupleIJPhS6_EEENSE_IJSB_SB_EEENS0_18inequality_wrapperIN6hipcub16HIPCUB_304000_NS8EqualityEEEPlJS6_EEE10hipError_tPvRmT3_T4_T5_T6_T7_T9_mT8_P12ihipStream_tbDpT10_ENKUlT_T0_E_clISt17integral_constantIbLb0EES16_IbLb1EEEEDaS12_S13_EUlS12_E_NS1_11comp_targetILNS1_3genE4ELNS1_11target_archE910ELNS1_3gpuE8ELNS1_3repE0EEENS1_30default_config_static_selectorELNS0_4arch9wavefront6targetE0EEEvT1_: ; @_ZN7rocprim17ROCPRIM_400000_NS6detail17trampoline_kernelINS0_14default_configENS1_25partition_config_selectorILNS1_17partition_subalgoE8EhNS0_10empty_typeEbEEZZNS1_14partition_implILS5_8ELb0ES3_jPKhPS6_PKS6_NS0_5tupleIJPhS6_EEENSE_IJSB_SB_EEENS0_18inequality_wrapperIN6hipcub16HIPCUB_304000_NS8EqualityEEEPlJS6_EEE10hipError_tPvRmT3_T4_T5_T6_T7_T9_mT8_P12ihipStream_tbDpT10_ENKUlT_T0_E_clISt17integral_constantIbLb0EES16_IbLb1EEEEDaS12_S13_EUlS12_E_NS1_11comp_targetILNS1_3genE4ELNS1_11target_archE910ELNS1_3gpuE8ELNS1_3repE0EEENS1_30default_config_static_selectorELNS0_4arch9wavefront6targetE0EEEvT1_
; %bb.0:
	.section	.rodata,"a",@progbits
	.p2align	6, 0x0
	.amdhsa_kernel _ZN7rocprim17ROCPRIM_400000_NS6detail17trampoline_kernelINS0_14default_configENS1_25partition_config_selectorILNS1_17partition_subalgoE8EhNS0_10empty_typeEbEEZZNS1_14partition_implILS5_8ELb0ES3_jPKhPS6_PKS6_NS0_5tupleIJPhS6_EEENSE_IJSB_SB_EEENS0_18inequality_wrapperIN6hipcub16HIPCUB_304000_NS8EqualityEEEPlJS6_EEE10hipError_tPvRmT3_T4_T5_T6_T7_T9_mT8_P12ihipStream_tbDpT10_ENKUlT_T0_E_clISt17integral_constantIbLb0EES16_IbLb1EEEEDaS12_S13_EUlS12_E_NS1_11comp_targetILNS1_3genE4ELNS1_11target_archE910ELNS1_3gpuE8ELNS1_3repE0EEENS1_30default_config_static_selectorELNS0_4arch9wavefront6targetE0EEEvT1_
		.amdhsa_group_segment_fixed_size 0
		.amdhsa_private_segment_fixed_size 0
		.amdhsa_kernarg_size 128
		.amdhsa_user_sgpr_count 2
		.amdhsa_user_sgpr_dispatch_ptr 0
		.amdhsa_user_sgpr_queue_ptr 0
		.amdhsa_user_sgpr_kernarg_segment_ptr 1
		.amdhsa_user_sgpr_dispatch_id 0
		.amdhsa_user_sgpr_kernarg_preload_length 0
		.amdhsa_user_sgpr_kernarg_preload_offset 0
		.amdhsa_user_sgpr_private_segment_size 0
		.amdhsa_wavefront_size32 1
		.amdhsa_uses_dynamic_stack 0
		.amdhsa_enable_private_segment 0
		.amdhsa_system_sgpr_workgroup_id_x 1
		.amdhsa_system_sgpr_workgroup_id_y 0
		.amdhsa_system_sgpr_workgroup_id_z 0
		.amdhsa_system_sgpr_workgroup_info 0
		.amdhsa_system_vgpr_workitem_id 0
		.amdhsa_next_free_vgpr 1
		.amdhsa_next_free_sgpr 1
		.amdhsa_named_barrier_count 0
		.amdhsa_reserve_vcc 0
		.amdhsa_float_round_mode_32 0
		.amdhsa_float_round_mode_16_64 0
		.amdhsa_float_denorm_mode_32 3
		.amdhsa_float_denorm_mode_16_64 3
		.amdhsa_fp16_overflow 0
		.amdhsa_memory_ordered 1
		.amdhsa_forward_progress 1
		.amdhsa_inst_pref_size 0
		.amdhsa_round_robin_scheduling 0
		.amdhsa_exception_fp_ieee_invalid_op 0
		.amdhsa_exception_fp_denorm_src 0
		.amdhsa_exception_fp_ieee_div_zero 0
		.amdhsa_exception_fp_ieee_overflow 0
		.amdhsa_exception_fp_ieee_underflow 0
		.amdhsa_exception_fp_ieee_inexact 0
		.amdhsa_exception_int_div_zero 0
	.end_amdhsa_kernel
	.section	.text._ZN7rocprim17ROCPRIM_400000_NS6detail17trampoline_kernelINS0_14default_configENS1_25partition_config_selectorILNS1_17partition_subalgoE8EhNS0_10empty_typeEbEEZZNS1_14partition_implILS5_8ELb0ES3_jPKhPS6_PKS6_NS0_5tupleIJPhS6_EEENSE_IJSB_SB_EEENS0_18inequality_wrapperIN6hipcub16HIPCUB_304000_NS8EqualityEEEPlJS6_EEE10hipError_tPvRmT3_T4_T5_T6_T7_T9_mT8_P12ihipStream_tbDpT10_ENKUlT_T0_E_clISt17integral_constantIbLb0EES16_IbLb1EEEEDaS12_S13_EUlS12_E_NS1_11comp_targetILNS1_3genE4ELNS1_11target_archE910ELNS1_3gpuE8ELNS1_3repE0EEENS1_30default_config_static_selectorELNS0_4arch9wavefront6targetE0EEEvT1_,"axG",@progbits,_ZN7rocprim17ROCPRIM_400000_NS6detail17trampoline_kernelINS0_14default_configENS1_25partition_config_selectorILNS1_17partition_subalgoE8EhNS0_10empty_typeEbEEZZNS1_14partition_implILS5_8ELb0ES3_jPKhPS6_PKS6_NS0_5tupleIJPhS6_EEENSE_IJSB_SB_EEENS0_18inequality_wrapperIN6hipcub16HIPCUB_304000_NS8EqualityEEEPlJS6_EEE10hipError_tPvRmT3_T4_T5_T6_T7_T9_mT8_P12ihipStream_tbDpT10_ENKUlT_T0_E_clISt17integral_constantIbLb0EES16_IbLb1EEEEDaS12_S13_EUlS12_E_NS1_11comp_targetILNS1_3genE4ELNS1_11target_archE910ELNS1_3gpuE8ELNS1_3repE0EEENS1_30default_config_static_selectorELNS0_4arch9wavefront6targetE0EEEvT1_,comdat
.Lfunc_end160:
	.size	_ZN7rocprim17ROCPRIM_400000_NS6detail17trampoline_kernelINS0_14default_configENS1_25partition_config_selectorILNS1_17partition_subalgoE8EhNS0_10empty_typeEbEEZZNS1_14partition_implILS5_8ELb0ES3_jPKhPS6_PKS6_NS0_5tupleIJPhS6_EEENSE_IJSB_SB_EEENS0_18inequality_wrapperIN6hipcub16HIPCUB_304000_NS8EqualityEEEPlJS6_EEE10hipError_tPvRmT3_T4_T5_T6_T7_T9_mT8_P12ihipStream_tbDpT10_ENKUlT_T0_E_clISt17integral_constantIbLb0EES16_IbLb1EEEEDaS12_S13_EUlS12_E_NS1_11comp_targetILNS1_3genE4ELNS1_11target_archE910ELNS1_3gpuE8ELNS1_3repE0EEENS1_30default_config_static_selectorELNS0_4arch9wavefront6targetE0EEEvT1_, .Lfunc_end160-_ZN7rocprim17ROCPRIM_400000_NS6detail17trampoline_kernelINS0_14default_configENS1_25partition_config_selectorILNS1_17partition_subalgoE8EhNS0_10empty_typeEbEEZZNS1_14partition_implILS5_8ELb0ES3_jPKhPS6_PKS6_NS0_5tupleIJPhS6_EEENSE_IJSB_SB_EEENS0_18inequality_wrapperIN6hipcub16HIPCUB_304000_NS8EqualityEEEPlJS6_EEE10hipError_tPvRmT3_T4_T5_T6_T7_T9_mT8_P12ihipStream_tbDpT10_ENKUlT_T0_E_clISt17integral_constantIbLb0EES16_IbLb1EEEEDaS12_S13_EUlS12_E_NS1_11comp_targetILNS1_3genE4ELNS1_11target_archE910ELNS1_3gpuE8ELNS1_3repE0EEENS1_30default_config_static_selectorELNS0_4arch9wavefront6targetE0EEEvT1_
                                        ; -- End function
	.set _ZN7rocprim17ROCPRIM_400000_NS6detail17trampoline_kernelINS0_14default_configENS1_25partition_config_selectorILNS1_17partition_subalgoE8EhNS0_10empty_typeEbEEZZNS1_14partition_implILS5_8ELb0ES3_jPKhPS6_PKS6_NS0_5tupleIJPhS6_EEENSE_IJSB_SB_EEENS0_18inequality_wrapperIN6hipcub16HIPCUB_304000_NS8EqualityEEEPlJS6_EEE10hipError_tPvRmT3_T4_T5_T6_T7_T9_mT8_P12ihipStream_tbDpT10_ENKUlT_T0_E_clISt17integral_constantIbLb0EES16_IbLb1EEEEDaS12_S13_EUlS12_E_NS1_11comp_targetILNS1_3genE4ELNS1_11target_archE910ELNS1_3gpuE8ELNS1_3repE0EEENS1_30default_config_static_selectorELNS0_4arch9wavefront6targetE0EEEvT1_.num_vgpr, 0
	.set _ZN7rocprim17ROCPRIM_400000_NS6detail17trampoline_kernelINS0_14default_configENS1_25partition_config_selectorILNS1_17partition_subalgoE8EhNS0_10empty_typeEbEEZZNS1_14partition_implILS5_8ELb0ES3_jPKhPS6_PKS6_NS0_5tupleIJPhS6_EEENSE_IJSB_SB_EEENS0_18inequality_wrapperIN6hipcub16HIPCUB_304000_NS8EqualityEEEPlJS6_EEE10hipError_tPvRmT3_T4_T5_T6_T7_T9_mT8_P12ihipStream_tbDpT10_ENKUlT_T0_E_clISt17integral_constantIbLb0EES16_IbLb1EEEEDaS12_S13_EUlS12_E_NS1_11comp_targetILNS1_3genE4ELNS1_11target_archE910ELNS1_3gpuE8ELNS1_3repE0EEENS1_30default_config_static_selectorELNS0_4arch9wavefront6targetE0EEEvT1_.num_agpr, 0
	.set _ZN7rocprim17ROCPRIM_400000_NS6detail17trampoline_kernelINS0_14default_configENS1_25partition_config_selectorILNS1_17partition_subalgoE8EhNS0_10empty_typeEbEEZZNS1_14partition_implILS5_8ELb0ES3_jPKhPS6_PKS6_NS0_5tupleIJPhS6_EEENSE_IJSB_SB_EEENS0_18inequality_wrapperIN6hipcub16HIPCUB_304000_NS8EqualityEEEPlJS6_EEE10hipError_tPvRmT3_T4_T5_T6_T7_T9_mT8_P12ihipStream_tbDpT10_ENKUlT_T0_E_clISt17integral_constantIbLb0EES16_IbLb1EEEEDaS12_S13_EUlS12_E_NS1_11comp_targetILNS1_3genE4ELNS1_11target_archE910ELNS1_3gpuE8ELNS1_3repE0EEENS1_30default_config_static_selectorELNS0_4arch9wavefront6targetE0EEEvT1_.numbered_sgpr, 0
	.set _ZN7rocprim17ROCPRIM_400000_NS6detail17trampoline_kernelINS0_14default_configENS1_25partition_config_selectorILNS1_17partition_subalgoE8EhNS0_10empty_typeEbEEZZNS1_14partition_implILS5_8ELb0ES3_jPKhPS6_PKS6_NS0_5tupleIJPhS6_EEENSE_IJSB_SB_EEENS0_18inequality_wrapperIN6hipcub16HIPCUB_304000_NS8EqualityEEEPlJS6_EEE10hipError_tPvRmT3_T4_T5_T6_T7_T9_mT8_P12ihipStream_tbDpT10_ENKUlT_T0_E_clISt17integral_constantIbLb0EES16_IbLb1EEEEDaS12_S13_EUlS12_E_NS1_11comp_targetILNS1_3genE4ELNS1_11target_archE910ELNS1_3gpuE8ELNS1_3repE0EEENS1_30default_config_static_selectorELNS0_4arch9wavefront6targetE0EEEvT1_.num_named_barrier, 0
	.set _ZN7rocprim17ROCPRIM_400000_NS6detail17trampoline_kernelINS0_14default_configENS1_25partition_config_selectorILNS1_17partition_subalgoE8EhNS0_10empty_typeEbEEZZNS1_14partition_implILS5_8ELb0ES3_jPKhPS6_PKS6_NS0_5tupleIJPhS6_EEENSE_IJSB_SB_EEENS0_18inequality_wrapperIN6hipcub16HIPCUB_304000_NS8EqualityEEEPlJS6_EEE10hipError_tPvRmT3_T4_T5_T6_T7_T9_mT8_P12ihipStream_tbDpT10_ENKUlT_T0_E_clISt17integral_constantIbLb0EES16_IbLb1EEEEDaS12_S13_EUlS12_E_NS1_11comp_targetILNS1_3genE4ELNS1_11target_archE910ELNS1_3gpuE8ELNS1_3repE0EEENS1_30default_config_static_selectorELNS0_4arch9wavefront6targetE0EEEvT1_.private_seg_size, 0
	.set _ZN7rocprim17ROCPRIM_400000_NS6detail17trampoline_kernelINS0_14default_configENS1_25partition_config_selectorILNS1_17partition_subalgoE8EhNS0_10empty_typeEbEEZZNS1_14partition_implILS5_8ELb0ES3_jPKhPS6_PKS6_NS0_5tupleIJPhS6_EEENSE_IJSB_SB_EEENS0_18inequality_wrapperIN6hipcub16HIPCUB_304000_NS8EqualityEEEPlJS6_EEE10hipError_tPvRmT3_T4_T5_T6_T7_T9_mT8_P12ihipStream_tbDpT10_ENKUlT_T0_E_clISt17integral_constantIbLb0EES16_IbLb1EEEEDaS12_S13_EUlS12_E_NS1_11comp_targetILNS1_3genE4ELNS1_11target_archE910ELNS1_3gpuE8ELNS1_3repE0EEENS1_30default_config_static_selectorELNS0_4arch9wavefront6targetE0EEEvT1_.uses_vcc, 0
	.set _ZN7rocprim17ROCPRIM_400000_NS6detail17trampoline_kernelINS0_14default_configENS1_25partition_config_selectorILNS1_17partition_subalgoE8EhNS0_10empty_typeEbEEZZNS1_14partition_implILS5_8ELb0ES3_jPKhPS6_PKS6_NS0_5tupleIJPhS6_EEENSE_IJSB_SB_EEENS0_18inequality_wrapperIN6hipcub16HIPCUB_304000_NS8EqualityEEEPlJS6_EEE10hipError_tPvRmT3_T4_T5_T6_T7_T9_mT8_P12ihipStream_tbDpT10_ENKUlT_T0_E_clISt17integral_constantIbLb0EES16_IbLb1EEEEDaS12_S13_EUlS12_E_NS1_11comp_targetILNS1_3genE4ELNS1_11target_archE910ELNS1_3gpuE8ELNS1_3repE0EEENS1_30default_config_static_selectorELNS0_4arch9wavefront6targetE0EEEvT1_.uses_flat_scratch, 0
	.set _ZN7rocprim17ROCPRIM_400000_NS6detail17trampoline_kernelINS0_14default_configENS1_25partition_config_selectorILNS1_17partition_subalgoE8EhNS0_10empty_typeEbEEZZNS1_14partition_implILS5_8ELb0ES3_jPKhPS6_PKS6_NS0_5tupleIJPhS6_EEENSE_IJSB_SB_EEENS0_18inequality_wrapperIN6hipcub16HIPCUB_304000_NS8EqualityEEEPlJS6_EEE10hipError_tPvRmT3_T4_T5_T6_T7_T9_mT8_P12ihipStream_tbDpT10_ENKUlT_T0_E_clISt17integral_constantIbLb0EES16_IbLb1EEEEDaS12_S13_EUlS12_E_NS1_11comp_targetILNS1_3genE4ELNS1_11target_archE910ELNS1_3gpuE8ELNS1_3repE0EEENS1_30default_config_static_selectorELNS0_4arch9wavefront6targetE0EEEvT1_.has_dyn_sized_stack, 0
	.set _ZN7rocprim17ROCPRIM_400000_NS6detail17trampoline_kernelINS0_14default_configENS1_25partition_config_selectorILNS1_17partition_subalgoE8EhNS0_10empty_typeEbEEZZNS1_14partition_implILS5_8ELb0ES3_jPKhPS6_PKS6_NS0_5tupleIJPhS6_EEENSE_IJSB_SB_EEENS0_18inequality_wrapperIN6hipcub16HIPCUB_304000_NS8EqualityEEEPlJS6_EEE10hipError_tPvRmT3_T4_T5_T6_T7_T9_mT8_P12ihipStream_tbDpT10_ENKUlT_T0_E_clISt17integral_constantIbLb0EES16_IbLb1EEEEDaS12_S13_EUlS12_E_NS1_11comp_targetILNS1_3genE4ELNS1_11target_archE910ELNS1_3gpuE8ELNS1_3repE0EEENS1_30default_config_static_selectorELNS0_4arch9wavefront6targetE0EEEvT1_.has_recursion, 0
	.set _ZN7rocprim17ROCPRIM_400000_NS6detail17trampoline_kernelINS0_14default_configENS1_25partition_config_selectorILNS1_17partition_subalgoE8EhNS0_10empty_typeEbEEZZNS1_14partition_implILS5_8ELb0ES3_jPKhPS6_PKS6_NS0_5tupleIJPhS6_EEENSE_IJSB_SB_EEENS0_18inequality_wrapperIN6hipcub16HIPCUB_304000_NS8EqualityEEEPlJS6_EEE10hipError_tPvRmT3_T4_T5_T6_T7_T9_mT8_P12ihipStream_tbDpT10_ENKUlT_T0_E_clISt17integral_constantIbLb0EES16_IbLb1EEEEDaS12_S13_EUlS12_E_NS1_11comp_targetILNS1_3genE4ELNS1_11target_archE910ELNS1_3gpuE8ELNS1_3repE0EEENS1_30default_config_static_selectorELNS0_4arch9wavefront6targetE0EEEvT1_.has_indirect_call, 0
	.section	.AMDGPU.csdata,"",@progbits
; Kernel info:
; codeLenInByte = 0
; TotalNumSgprs: 0
; NumVgprs: 0
; ScratchSize: 0
; MemoryBound: 0
; FloatMode: 240
; IeeeMode: 1
; LDSByteSize: 0 bytes/workgroup (compile time only)
; SGPRBlocks: 0
; VGPRBlocks: 0
; NumSGPRsForWavesPerEU: 1
; NumVGPRsForWavesPerEU: 1
; NamedBarCnt: 0
; Occupancy: 16
; WaveLimiterHint : 0
; COMPUTE_PGM_RSRC2:SCRATCH_EN: 0
; COMPUTE_PGM_RSRC2:USER_SGPR: 2
; COMPUTE_PGM_RSRC2:TRAP_HANDLER: 0
; COMPUTE_PGM_RSRC2:TGID_X_EN: 1
; COMPUTE_PGM_RSRC2:TGID_Y_EN: 0
; COMPUTE_PGM_RSRC2:TGID_Z_EN: 0
; COMPUTE_PGM_RSRC2:TIDIG_COMP_CNT: 0
	.section	.text._ZN7rocprim17ROCPRIM_400000_NS6detail17trampoline_kernelINS0_14default_configENS1_25partition_config_selectorILNS1_17partition_subalgoE8EhNS0_10empty_typeEbEEZZNS1_14partition_implILS5_8ELb0ES3_jPKhPS6_PKS6_NS0_5tupleIJPhS6_EEENSE_IJSB_SB_EEENS0_18inequality_wrapperIN6hipcub16HIPCUB_304000_NS8EqualityEEEPlJS6_EEE10hipError_tPvRmT3_T4_T5_T6_T7_T9_mT8_P12ihipStream_tbDpT10_ENKUlT_T0_E_clISt17integral_constantIbLb0EES16_IbLb1EEEEDaS12_S13_EUlS12_E_NS1_11comp_targetILNS1_3genE3ELNS1_11target_archE908ELNS1_3gpuE7ELNS1_3repE0EEENS1_30default_config_static_selectorELNS0_4arch9wavefront6targetE0EEEvT1_,"axG",@progbits,_ZN7rocprim17ROCPRIM_400000_NS6detail17trampoline_kernelINS0_14default_configENS1_25partition_config_selectorILNS1_17partition_subalgoE8EhNS0_10empty_typeEbEEZZNS1_14partition_implILS5_8ELb0ES3_jPKhPS6_PKS6_NS0_5tupleIJPhS6_EEENSE_IJSB_SB_EEENS0_18inequality_wrapperIN6hipcub16HIPCUB_304000_NS8EqualityEEEPlJS6_EEE10hipError_tPvRmT3_T4_T5_T6_T7_T9_mT8_P12ihipStream_tbDpT10_ENKUlT_T0_E_clISt17integral_constantIbLb0EES16_IbLb1EEEEDaS12_S13_EUlS12_E_NS1_11comp_targetILNS1_3genE3ELNS1_11target_archE908ELNS1_3gpuE7ELNS1_3repE0EEENS1_30default_config_static_selectorELNS0_4arch9wavefront6targetE0EEEvT1_,comdat
	.protected	_ZN7rocprim17ROCPRIM_400000_NS6detail17trampoline_kernelINS0_14default_configENS1_25partition_config_selectorILNS1_17partition_subalgoE8EhNS0_10empty_typeEbEEZZNS1_14partition_implILS5_8ELb0ES3_jPKhPS6_PKS6_NS0_5tupleIJPhS6_EEENSE_IJSB_SB_EEENS0_18inequality_wrapperIN6hipcub16HIPCUB_304000_NS8EqualityEEEPlJS6_EEE10hipError_tPvRmT3_T4_T5_T6_T7_T9_mT8_P12ihipStream_tbDpT10_ENKUlT_T0_E_clISt17integral_constantIbLb0EES16_IbLb1EEEEDaS12_S13_EUlS12_E_NS1_11comp_targetILNS1_3genE3ELNS1_11target_archE908ELNS1_3gpuE7ELNS1_3repE0EEENS1_30default_config_static_selectorELNS0_4arch9wavefront6targetE0EEEvT1_ ; -- Begin function _ZN7rocprim17ROCPRIM_400000_NS6detail17trampoline_kernelINS0_14default_configENS1_25partition_config_selectorILNS1_17partition_subalgoE8EhNS0_10empty_typeEbEEZZNS1_14partition_implILS5_8ELb0ES3_jPKhPS6_PKS6_NS0_5tupleIJPhS6_EEENSE_IJSB_SB_EEENS0_18inequality_wrapperIN6hipcub16HIPCUB_304000_NS8EqualityEEEPlJS6_EEE10hipError_tPvRmT3_T4_T5_T6_T7_T9_mT8_P12ihipStream_tbDpT10_ENKUlT_T0_E_clISt17integral_constantIbLb0EES16_IbLb1EEEEDaS12_S13_EUlS12_E_NS1_11comp_targetILNS1_3genE3ELNS1_11target_archE908ELNS1_3gpuE7ELNS1_3repE0EEENS1_30default_config_static_selectorELNS0_4arch9wavefront6targetE0EEEvT1_
	.globl	_ZN7rocprim17ROCPRIM_400000_NS6detail17trampoline_kernelINS0_14default_configENS1_25partition_config_selectorILNS1_17partition_subalgoE8EhNS0_10empty_typeEbEEZZNS1_14partition_implILS5_8ELb0ES3_jPKhPS6_PKS6_NS0_5tupleIJPhS6_EEENSE_IJSB_SB_EEENS0_18inequality_wrapperIN6hipcub16HIPCUB_304000_NS8EqualityEEEPlJS6_EEE10hipError_tPvRmT3_T4_T5_T6_T7_T9_mT8_P12ihipStream_tbDpT10_ENKUlT_T0_E_clISt17integral_constantIbLb0EES16_IbLb1EEEEDaS12_S13_EUlS12_E_NS1_11comp_targetILNS1_3genE3ELNS1_11target_archE908ELNS1_3gpuE7ELNS1_3repE0EEENS1_30default_config_static_selectorELNS0_4arch9wavefront6targetE0EEEvT1_
	.p2align	8
	.type	_ZN7rocprim17ROCPRIM_400000_NS6detail17trampoline_kernelINS0_14default_configENS1_25partition_config_selectorILNS1_17partition_subalgoE8EhNS0_10empty_typeEbEEZZNS1_14partition_implILS5_8ELb0ES3_jPKhPS6_PKS6_NS0_5tupleIJPhS6_EEENSE_IJSB_SB_EEENS0_18inequality_wrapperIN6hipcub16HIPCUB_304000_NS8EqualityEEEPlJS6_EEE10hipError_tPvRmT3_T4_T5_T6_T7_T9_mT8_P12ihipStream_tbDpT10_ENKUlT_T0_E_clISt17integral_constantIbLb0EES16_IbLb1EEEEDaS12_S13_EUlS12_E_NS1_11comp_targetILNS1_3genE3ELNS1_11target_archE908ELNS1_3gpuE7ELNS1_3repE0EEENS1_30default_config_static_selectorELNS0_4arch9wavefront6targetE0EEEvT1_,@function
_ZN7rocprim17ROCPRIM_400000_NS6detail17trampoline_kernelINS0_14default_configENS1_25partition_config_selectorILNS1_17partition_subalgoE8EhNS0_10empty_typeEbEEZZNS1_14partition_implILS5_8ELb0ES3_jPKhPS6_PKS6_NS0_5tupleIJPhS6_EEENSE_IJSB_SB_EEENS0_18inequality_wrapperIN6hipcub16HIPCUB_304000_NS8EqualityEEEPlJS6_EEE10hipError_tPvRmT3_T4_T5_T6_T7_T9_mT8_P12ihipStream_tbDpT10_ENKUlT_T0_E_clISt17integral_constantIbLb0EES16_IbLb1EEEEDaS12_S13_EUlS12_E_NS1_11comp_targetILNS1_3genE3ELNS1_11target_archE908ELNS1_3gpuE7ELNS1_3repE0EEENS1_30default_config_static_selectorELNS0_4arch9wavefront6targetE0EEEvT1_: ; @_ZN7rocprim17ROCPRIM_400000_NS6detail17trampoline_kernelINS0_14default_configENS1_25partition_config_selectorILNS1_17partition_subalgoE8EhNS0_10empty_typeEbEEZZNS1_14partition_implILS5_8ELb0ES3_jPKhPS6_PKS6_NS0_5tupleIJPhS6_EEENSE_IJSB_SB_EEENS0_18inequality_wrapperIN6hipcub16HIPCUB_304000_NS8EqualityEEEPlJS6_EEE10hipError_tPvRmT3_T4_T5_T6_T7_T9_mT8_P12ihipStream_tbDpT10_ENKUlT_T0_E_clISt17integral_constantIbLb0EES16_IbLb1EEEEDaS12_S13_EUlS12_E_NS1_11comp_targetILNS1_3genE3ELNS1_11target_archE908ELNS1_3gpuE7ELNS1_3repE0EEENS1_30default_config_static_selectorELNS0_4arch9wavefront6targetE0EEEvT1_
; %bb.0:
	.section	.rodata,"a",@progbits
	.p2align	6, 0x0
	.amdhsa_kernel _ZN7rocprim17ROCPRIM_400000_NS6detail17trampoline_kernelINS0_14default_configENS1_25partition_config_selectorILNS1_17partition_subalgoE8EhNS0_10empty_typeEbEEZZNS1_14partition_implILS5_8ELb0ES3_jPKhPS6_PKS6_NS0_5tupleIJPhS6_EEENSE_IJSB_SB_EEENS0_18inequality_wrapperIN6hipcub16HIPCUB_304000_NS8EqualityEEEPlJS6_EEE10hipError_tPvRmT3_T4_T5_T6_T7_T9_mT8_P12ihipStream_tbDpT10_ENKUlT_T0_E_clISt17integral_constantIbLb0EES16_IbLb1EEEEDaS12_S13_EUlS12_E_NS1_11comp_targetILNS1_3genE3ELNS1_11target_archE908ELNS1_3gpuE7ELNS1_3repE0EEENS1_30default_config_static_selectorELNS0_4arch9wavefront6targetE0EEEvT1_
		.amdhsa_group_segment_fixed_size 0
		.amdhsa_private_segment_fixed_size 0
		.amdhsa_kernarg_size 128
		.amdhsa_user_sgpr_count 2
		.amdhsa_user_sgpr_dispatch_ptr 0
		.amdhsa_user_sgpr_queue_ptr 0
		.amdhsa_user_sgpr_kernarg_segment_ptr 1
		.amdhsa_user_sgpr_dispatch_id 0
		.amdhsa_user_sgpr_kernarg_preload_length 0
		.amdhsa_user_sgpr_kernarg_preload_offset 0
		.amdhsa_user_sgpr_private_segment_size 0
		.amdhsa_wavefront_size32 1
		.amdhsa_uses_dynamic_stack 0
		.amdhsa_enable_private_segment 0
		.amdhsa_system_sgpr_workgroup_id_x 1
		.amdhsa_system_sgpr_workgroup_id_y 0
		.amdhsa_system_sgpr_workgroup_id_z 0
		.amdhsa_system_sgpr_workgroup_info 0
		.amdhsa_system_vgpr_workitem_id 0
		.amdhsa_next_free_vgpr 1
		.amdhsa_next_free_sgpr 1
		.amdhsa_named_barrier_count 0
		.amdhsa_reserve_vcc 0
		.amdhsa_float_round_mode_32 0
		.amdhsa_float_round_mode_16_64 0
		.amdhsa_float_denorm_mode_32 3
		.amdhsa_float_denorm_mode_16_64 3
		.amdhsa_fp16_overflow 0
		.amdhsa_memory_ordered 1
		.amdhsa_forward_progress 1
		.amdhsa_inst_pref_size 0
		.amdhsa_round_robin_scheduling 0
		.amdhsa_exception_fp_ieee_invalid_op 0
		.amdhsa_exception_fp_denorm_src 0
		.amdhsa_exception_fp_ieee_div_zero 0
		.amdhsa_exception_fp_ieee_overflow 0
		.amdhsa_exception_fp_ieee_underflow 0
		.amdhsa_exception_fp_ieee_inexact 0
		.amdhsa_exception_int_div_zero 0
	.end_amdhsa_kernel
	.section	.text._ZN7rocprim17ROCPRIM_400000_NS6detail17trampoline_kernelINS0_14default_configENS1_25partition_config_selectorILNS1_17partition_subalgoE8EhNS0_10empty_typeEbEEZZNS1_14partition_implILS5_8ELb0ES3_jPKhPS6_PKS6_NS0_5tupleIJPhS6_EEENSE_IJSB_SB_EEENS0_18inequality_wrapperIN6hipcub16HIPCUB_304000_NS8EqualityEEEPlJS6_EEE10hipError_tPvRmT3_T4_T5_T6_T7_T9_mT8_P12ihipStream_tbDpT10_ENKUlT_T0_E_clISt17integral_constantIbLb0EES16_IbLb1EEEEDaS12_S13_EUlS12_E_NS1_11comp_targetILNS1_3genE3ELNS1_11target_archE908ELNS1_3gpuE7ELNS1_3repE0EEENS1_30default_config_static_selectorELNS0_4arch9wavefront6targetE0EEEvT1_,"axG",@progbits,_ZN7rocprim17ROCPRIM_400000_NS6detail17trampoline_kernelINS0_14default_configENS1_25partition_config_selectorILNS1_17partition_subalgoE8EhNS0_10empty_typeEbEEZZNS1_14partition_implILS5_8ELb0ES3_jPKhPS6_PKS6_NS0_5tupleIJPhS6_EEENSE_IJSB_SB_EEENS0_18inequality_wrapperIN6hipcub16HIPCUB_304000_NS8EqualityEEEPlJS6_EEE10hipError_tPvRmT3_T4_T5_T6_T7_T9_mT8_P12ihipStream_tbDpT10_ENKUlT_T0_E_clISt17integral_constantIbLb0EES16_IbLb1EEEEDaS12_S13_EUlS12_E_NS1_11comp_targetILNS1_3genE3ELNS1_11target_archE908ELNS1_3gpuE7ELNS1_3repE0EEENS1_30default_config_static_selectorELNS0_4arch9wavefront6targetE0EEEvT1_,comdat
.Lfunc_end161:
	.size	_ZN7rocprim17ROCPRIM_400000_NS6detail17trampoline_kernelINS0_14default_configENS1_25partition_config_selectorILNS1_17partition_subalgoE8EhNS0_10empty_typeEbEEZZNS1_14partition_implILS5_8ELb0ES3_jPKhPS6_PKS6_NS0_5tupleIJPhS6_EEENSE_IJSB_SB_EEENS0_18inequality_wrapperIN6hipcub16HIPCUB_304000_NS8EqualityEEEPlJS6_EEE10hipError_tPvRmT3_T4_T5_T6_T7_T9_mT8_P12ihipStream_tbDpT10_ENKUlT_T0_E_clISt17integral_constantIbLb0EES16_IbLb1EEEEDaS12_S13_EUlS12_E_NS1_11comp_targetILNS1_3genE3ELNS1_11target_archE908ELNS1_3gpuE7ELNS1_3repE0EEENS1_30default_config_static_selectorELNS0_4arch9wavefront6targetE0EEEvT1_, .Lfunc_end161-_ZN7rocprim17ROCPRIM_400000_NS6detail17trampoline_kernelINS0_14default_configENS1_25partition_config_selectorILNS1_17partition_subalgoE8EhNS0_10empty_typeEbEEZZNS1_14partition_implILS5_8ELb0ES3_jPKhPS6_PKS6_NS0_5tupleIJPhS6_EEENSE_IJSB_SB_EEENS0_18inequality_wrapperIN6hipcub16HIPCUB_304000_NS8EqualityEEEPlJS6_EEE10hipError_tPvRmT3_T4_T5_T6_T7_T9_mT8_P12ihipStream_tbDpT10_ENKUlT_T0_E_clISt17integral_constantIbLb0EES16_IbLb1EEEEDaS12_S13_EUlS12_E_NS1_11comp_targetILNS1_3genE3ELNS1_11target_archE908ELNS1_3gpuE7ELNS1_3repE0EEENS1_30default_config_static_selectorELNS0_4arch9wavefront6targetE0EEEvT1_
                                        ; -- End function
	.set _ZN7rocprim17ROCPRIM_400000_NS6detail17trampoline_kernelINS0_14default_configENS1_25partition_config_selectorILNS1_17partition_subalgoE8EhNS0_10empty_typeEbEEZZNS1_14partition_implILS5_8ELb0ES3_jPKhPS6_PKS6_NS0_5tupleIJPhS6_EEENSE_IJSB_SB_EEENS0_18inequality_wrapperIN6hipcub16HIPCUB_304000_NS8EqualityEEEPlJS6_EEE10hipError_tPvRmT3_T4_T5_T6_T7_T9_mT8_P12ihipStream_tbDpT10_ENKUlT_T0_E_clISt17integral_constantIbLb0EES16_IbLb1EEEEDaS12_S13_EUlS12_E_NS1_11comp_targetILNS1_3genE3ELNS1_11target_archE908ELNS1_3gpuE7ELNS1_3repE0EEENS1_30default_config_static_selectorELNS0_4arch9wavefront6targetE0EEEvT1_.num_vgpr, 0
	.set _ZN7rocprim17ROCPRIM_400000_NS6detail17trampoline_kernelINS0_14default_configENS1_25partition_config_selectorILNS1_17partition_subalgoE8EhNS0_10empty_typeEbEEZZNS1_14partition_implILS5_8ELb0ES3_jPKhPS6_PKS6_NS0_5tupleIJPhS6_EEENSE_IJSB_SB_EEENS0_18inequality_wrapperIN6hipcub16HIPCUB_304000_NS8EqualityEEEPlJS6_EEE10hipError_tPvRmT3_T4_T5_T6_T7_T9_mT8_P12ihipStream_tbDpT10_ENKUlT_T0_E_clISt17integral_constantIbLb0EES16_IbLb1EEEEDaS12_S13_EUlS12_E_NS1_11comp_targetILNS1_3genE3ELNS1_11target_archE908ELNS1_3gpuE7ELNS1_3repE0EEENS1_30default_config_static_selectorELNS0_4arch9wavefront6targetE0EEEvT1_.num_agpr, 0
	.set _ZN7rocprim17ROCPRIM_400000_NS6detail17trampoline_kernelINS0_14default_configENS1_25partition_config_selectorILNS1_17partition_subalgoE8EhNS0_10empty_typeEbEEZZNS1_14partition_implILS5_8ELb0ES3_jPKhPS6_PKS6_NS0_5tupleIJPhS6_EEENSE_IJSB_SB_EEENS0_18inequality_wrapperIN6hipcub16HIPCUB_304000_NS8EqualityEEEPlJS6_EEE10hipError_tPvRmT3_T4_T5_T6_T7_T9_mT8_P12ihipStream_tbDpT10_ENKUlT_T0_E_clISt17integral_constantIbLb0EES16_IbLb1EEEEDaS12_S13_EUlS12_E_NS1_11comp_targetILNS1_3genE3ELNS1_11target_archE908ELNS1_3gpuE7ELNS1_3repE0EEENS1_30default_config_static_selectorELNS0_4arch9wavefront6targetE0EEEvT1_.numbered_sgpr, 0
	.set _ZN7rocprim17ROCPRIM_400000_NS6detail17trampoline_kernelINS0_14default_configENS1_25partition_config_selectorILNS1_17partition_subalgoE8EhNS0_10empty_typeEbEEZZNS1_14partition_implILS5_8ELb0ES3_jPKhPS6_PKS6_NS0_5tupleIJPhS6_EEENSE_IJSB_SB_EEENS0_18inequality_wrapperIN6hipcub16HIPCUB_304000_NS8EqualityEEEPlJS6_EEE10hipError_tPvRmT3_T4_T5_T6_T7_T9_mT8_P12ihipStream_tbDpT10_ENKUlT_T0_E_clISt17integral_constantIbLb0EES16_IbLb1EEEEDaS12_S13_EUlS12_E_NS1_11comp_targetILNS1_3genE3ELNS1_11target_archE908ELNS1_3gpuE7ELNS1_3repE0EEENS1_30default_config_static_selectorELNS0_4arch9wavefront6targetE0EEEvT1_.num_named_barrier, 0
	.set _ZN7rocprim17ROCPRIM_400000_NS6detail17trampoline_kernelINS0_14default_configENS1_25partition_config_selectorILNS1_17partition_subalgoE8EhNS0_10empty_typeEbEEZZNS1_14partition_implILS5_8ELb0ES3_jPKhPS6_PKS6_NS0_5tupleIJPhS6_EEENSE_IJSB_SB_EEENS0_18inequality_wrapperIN6hipcub16HIPCUB_304000_NS8EqualityEEEPlJS6_EEE10hipError_tPvRmT3_T4_T5_T6_T7_T9_mT8_P12ihipStream_tbDpT10_ENKUlT_T0_E_clISt17integral_constantIbLb0EES16_IbLb1EEEEDaS12_S13_EUlS12_E_NS1_11comp_targetILNS1_3genE3ELNS1_11target_archE908ELNS1_3gpuE7ELNS1_3repE0EEENS1_30default_config_static_selectorELNS0_4arch9wavefront6targetE0EEEvT1_.private_seg_size, 0
	.set _ZN7rocprim17ROCPRIM_400000_NS6detail17trampoline_kernelINS0_14default_configENS1_25partition_config_selectorILNS1_17partition_subalgoE8EhNS0_10empty_typeEbEEZZNS1_14partition_implILS5_8ELb0ES3_jPKhPS6_PKS6_NS0_5tupleIJPhS6_EEENSE_IJSB_SB_EEENS0_18inequality_wrapperIN6hipcub16HIPCUB_304000_NS8EqualityEEEPlJS6_EEE10hipError_tPvRmT3_T4_T5_T6_T7_T9_mT8_P12ihipStream_tbDpT10_ENKUlT_T0_E_clISt17integral_constantIbLb0EES16_IbLb1EEEEDaS12_S13_EUlS12_E_NS1_11comp_targetILNS1_3genE3ELNS1_11target_archE908ELNS1_3gpuE7ELNS1_3repE0EEENS1_30default_config_static_selectorELNS0_4arch9wavefront6targetE0EEEvT1_.uses_vcc, 0
	.set _ZN7rocprim17ROCPRIM_400000_NS6detail17trampoline_kernelINS0_14default_configENS1_25partition_config_selectorILNS1_17partition_subalgoE8EhNS0_10empty_typeEbEEZZNS1_14partition_implILS5_8ELb0ES3_jPKhPS6_PKS6_NS0_5tupleIJPhS6_EEENSE_IJSB_SB_EEENS0_18inequality_wrapperIN6hipcub16HIPCUB_304000_NS8EqualityEEEPlJS6_EEE10hipError_tPvRmT3_T4_T5_T6_T7_T9_mT8_P12ihipStream_tbDpT10_ENKUlT_T0_E_clISt17integral_constantIbLb0EES16_IbLb1EEEEDaS12_S13_EUlS12_E_NS1_11comp_targetILNS1_3genE3ELNS1_11target_archE908ELNS1_3gpuE7ELNS1_3repE0EEENS1_30default_config_static_selectorELNS0_4arch9wavefront6targetE0EEEvT1_.uses_flat_scratch, 0
	.set _ZN7rocprim17ROCPRIM_400000_NS6detail17trampoline_kernelINS0_14default_configENS1_25partition_config_selectorILNS1_17partition_subalgoE8EhNS0_10empty_typeEbEEZZNS1_14partition_implILS5_8ELb0ES3_jPKhPS6_PKS6_NS0_5tupleIJPhS6_EEENSE_IJSB_SB_EEENS0_18inequality_wrapperIN6hipcub16HIPCUB_304000_NS8EqualityEEEPlJS6_EEE10hipError_tPvRmT3_T4_T5_T6_T7_T9_mT8_P12ihipStream_tbDpT10_ENKUlT_T0_E_clISt17integral_constantIbLb0EES16_IbLb1EEEEDaS12_S13_EUlS12_E_NS1_11comp_targetILNS1_3genE3ELNS1_11target_archE908ELNS1_3gpuE7ELNS1_3repE0EEENS1_30default_config_static_selectorELNS0_4arch9wavefront6targetE0EEEvT1_.has_dyn_sized_stack, 0
	.set _ZN7rocprim17ROCPRIM_400000_NS6detail17trampoline_kernelINS0_14default_configENS1_25partition_config_selectorILNS1_17partition_subalgoE8EhNS0_10empty_typeEbEEZZNS1_14partition_implILS5_8ELb0ES3_jPKhPS6_PKS6_NS0_5tupleIJPhS6_EEENSE_IJSB_SB_EEENS0_18inequality_wrapperIN6hipcub16HIPCUB_304000_NS8EqualityEEEPlJS6_EEE10hipError_tPvRmT3_T4_T5_T6_T7_T9_mT8_P12ihipStream_tbDpT10_ENKUlT_T0_E_clISt17integral_constantIbLb0EES16_IbLb1EEEEDaS12_S13_EUlS12_E_NS1_11comp_targetILNS1_3genE3ELNS1_11target_archE908ELNS1_3gpuE7ELNS1_3repE0EEENS1_30default_config_static_selectorELNS0_4arch9wavefront6targetE0EEEvT1_.has_recursion, 0
	.set _ZN7rocprim17ROCPRIM_400000_NS6detail17trampoline_kernelINS0_14default_configENS1_25partition_config_selectorILNS1_17partition_subalgoE8EhNS0_10empty_typeEbEEZZNS1_14partition_implILS5_8ELb0ES3_jPKhPS6_PKS6_NS0_5tupleIJPhS6_EEENSE_IJSB_SB_EEENS0_18inequality_wrapperIN6hipcub16HIPCUB_304000_NS8EqualityEEEPlJS6_EEE10hipError_tPvRmT3_T4_T5_T6_T7_T9_mT8_P12ihipStream_tbDpT10_ENKUlT_T0_E_clISt17integral_constantIbLb0EES16_IbLb1EEEEDaS12_S13_EUlS12_E_NS1_11comp_targetILNS1_3genE3ELNS1_11target_archE908ELNS1_3gpuE7ELNS1_3repE0EEENS1_30default_config_static_selectorELNS0_4arch9wavefront6targetE0EEEvT1_.has_indirect_call, 0
	.section	.AMDGPU.csdata,"",@progbits
; Kernel info:
; codeLenInByte = 0
; TotalNumSgprs: 0
; NumVgprs: 0
; ScratchSize: 0
; MemoryBound: 0
; FloatMode: 240
; IeeeMode: 1
; LDSByteSize: 0 bytes/workgroup (compile time only)
; SGPRBlocks: 0
; VGPRBlocks: 0
; NumSGPRsForWavesPerEU: 1
; NumVGPRsForWavesPerEU: 1
; NamedBarCnt: 0
; Occupancy: 16
; WaveLimiterHint : 0
; COMPUTE_PGM_RSRC2:SCRATCH_EN: 0
; COMPUTE_PGM_RSRC2:USER_SGPR: 2
; COMPUTE_PGM_RSRC2:TRAP_HANDLER: 0
; COMPUTE_PGM_RSRC2:TGID_X_EN: 1
; COMPUTE_PGM_RSRC2:TGID_Y_EN: 0
; COMPUTE_PGM_RSRC2:TGID_Z_EN: 0
; COMPUTE_PGM_RSRC2:TIDIG_COMP_CNT: 0
	.section	.text._ZN7rocprim17ROCPRIM_400000_NS6detail17trampoline_kernelINS0_14default_configENS1_25partition_config_selectorILNS1_17partition_subalgoE8EhNS0_10empty_typeEbEEZZNS1_14partition_implILS5_8ELb0ES3_jPKhPS6_PKS6_NS0_5tupleIJPhS6_EEENSE_IJSB_SB_EEENS0_18inequality_wrapperIN6hipcub16HIPCUB_304000_NS8EqualityEEEPlJS6_EEE10hipError_tPvRmT3_T4_T5_T6_T7_T9_mT8_P12ihipStream_tbDpT10_ENKUlT_T0_E_clISt17integral_constantIbLb0EES16_IbLb1EEEEDaS12_S13_EUlS12_E_NS1_11comp_targetILNS1_3genE2ELNS1_11target_archE906ELNS1_3gpuE6ELNS1_3repE0EEENS1_30default_config_static_selectorELNS0_4arch9wavefront6targetE0EEEvT1_,"axG",@progbits,_ZN7rocprim17ROCPRIM_400000_NS6detail17trampoline_kernelINS0_14default_configENS1_25partition_config_selectorILNS1_17partition_subalgoE8EhNS0_10empty_typeEbEEZZNS1_14partition_implILS5_8ELb0ES3_jPKhPS6_PKS6_NS0_5tupleIJPhS6_EEENSE_IJSB_SB_EEENS0_18inequality_wrapperIN6hipcub16HIPCUB_304000_NS8EqualityEEEPlJS6_EEE10hipError_tPvRmT3_T4_T5_T6_T7_T9_mT8_P12ihipStream_tbDpT10_ENKUlT_T0_E_clISt17integral_constantIbLb0EES16_IbLb1EEEEDaS12_S13_EUlS12_E_NS1_11comp_targetILNS1_3genE2ELNS1_11target_archE906ELNS1_3gpuE6ELNS1_3repE0EEENS1_30default_config_static_selectorELNS0_4arch9wavefront6targetE0EEEvT1_,comdat
	.protected	_ZN7rocprim17ROCPRIM_400000_NS6detail17trampoline_kernelINS0_14default_configENS1_25partition_config_selectorILNS1_17partition_subalgoE8EhNS0_10empty_typeEbEEZZNS1_14partition_implILS5_8ELb0ES3_jPKhPS6_PKS6_NS0_5tupleIJPhS6_EEENSE_IJSB_SB_EEENS0_18inequality_wrapperIN6hipcub16HIPCUB_304000_NS8EqualityEEEPlJS6_EEE10hipError_tPvRmT3_T4_T5_T6_T7_T9_mT8_P12ihipStream_tbDpT10_ENKUlT_T0_E_clISt17integral_constantIbLb0EES16_IbLb1EEEEDaS12_S13_EUlS12_E_NS1_11comp_targetILNS1_3genE2ELNS1_11target_archE906ELNS1_3gpuE6ELNS1_3repE0EEENS1_30default_config_static_selectorELNS0_4arch9wavefront6targetE0EEEvT1_ ; -- Begin function _ZN7rocprim17ROCPRIM_400000_NS6detail17trampoline_kernelINS0_14default_configENS1_25partition_config_selectorILNS1_17partition_subalgoE8EhNS0_10empty_typeEbEEZZNS1_14partition_implILS5_8ELb0ES3_jPKhPS6_PKS6_NS0_5tupleIJPhS6_EEENSE_IJSB_SB_EEENS0_18inequality_wrapperIN6hipcub16HIPCUB_304000_NS8EqualityEEEPlJS6_EEE10hipError_tPvRmT3_T4_T5_T6_T7_T9_mT8_P12ihipStream_tbDpT10_ENKUlT_T0_E_clISt17integral_constantIbLb0EES16_IbLb1EEEEDaS12_S13_EUlS12_E_NS1_11comp_targetILNS1_3genE2ELNS1_11target_archE906ELNS1_3gpuE6ELNS1_3repE0EEENS1_30default_config_static_selectorELNS0_4arch9wavefront6targetE0EEEvT1_
	.globl	_ZN7rocprim17ROCPRIM_400000_NS6detail17trampoline_kernelINS0_14default_configENS1_25partition_config_selectorILNS1_17partition_subalgoE8EhNS0_10empty_typeEbEEZZNS1_14partition_implILS5_8ELb0ES3_jPKhPS6_PKS6_NS0_5tupleIJPhS6_EEENSE_IJSB_SB_EEENS0_18inequality_wrapperIN6hipcub16HIPCUB_304000_NS8EqualityEEEPlJS6_EEE10hipError_tPvRmT3_T4_T5_T6_T7_T9_mT8_P12ihipStream_tbDpT10_ENKUlT_T0_E_clISt17integral_constantIbLb0EES16_IbLb1EEEEDaS12_S13_EUlS12_E_NS1_11comp_targetILNS1_3genE2ELNS1_11target_archE906ELNS1_3gpuE6ELNS1_3repE0EEENS1_30default_config_static_selectorELNS0_4arch9wavefront6targetE0EEEvT1_
	.p2align	8
	.type	_ZN7rocprim17ROCPRIM_400000_NS6detail17trampoline_kernelINS0_14default_configENS1_25partition_config_selectorILNS1_17partition_subalgoE8EhNS0_10empty_typeEbEEZZNS1_14partition_implILS5_8ELb0ES3_jPKhPS6_PKS6_NS0_5tupleIJPhS6_EEENSE_IJSB_SB_EEENS0_18inequality_wrapperIN6hipcub16HIPCUB_304000_NS8EqualityEEEPlJS6_EEE10hipError_tPvRmT3_T4_T5_T6_T7_T9_mT8_P12ihipStream_tbDpT10_ENKUlT_T0_E_clISt17integral_constantIbLb0EES16_IbLb1EEEEDaS12_S13_EUlS12_E_NS1_11comp_targetILNS1_3genE2ELNS1_11target_archE906ELNS1_3gpuE6ELNS1_3repE0EEENS1_30default_config_static_selectorELNS0_4arch9wavefront6targetE0EEEvT1_,@function
_ZN7rocprim17ROCPRIM_400000_NS6detail17trampoline_kernelINS0_14default_configENS1_25partition_config_selectorILNS1_17partition_subalgoE8EhNS0_10empty_typeEbEEZZNS1_14partition_implILS5_8ELb0ES3_jPKhPS6_PKS6_NS0_5tupleIJPhS6_EEENSE_IJSB_SB_EEENS0_18inequality_wrapperIN6hipcub16HIPCUB_304000_NS8EqualityEEEPlJS6_EEE10hipError_tPvRmT3_T4_T5_T6_T7_T9_mT8_P12ihipStream_tbDpT10_ENKUlT_T0_E_clISt17integral_constantIbLb0EES16_IbLb1EEEEDaS12_S13_EUlS12_E_NS1_11comp_targetILNS1_3genE2ELNS1_11target_archE906ELNS1_3gpuE6ELNS1_3repE0EEENS1_30default_config_static_selectorELNS0_4arch9wavefront6targetE0EEEvT1_: ; @_ZN7rocprim17ROCPRIM_400000_NS6detail17trampoline_kernelINS0_14default_configENS1_25partition_config_selectorILNS1_17partition_subalgoE8EhNS0_10empty_typeEbEEZZNS1_14partition_implILS5_8ELb0ES3_jPKhPS6_PKS6_NS0_5tupleIJPhS6_EEENSE_IJSB_SB_EEENS0_18inequality_wrapperIN6hipcub16HIPCUB_304000_NS8EqualityEEEPlJS6_EEE10hipError_tPvRmT3_T4_T5_T6_T7_T9_mT8_P12ihipStream_tbDpT10_ENKUlT_T0_E_clISt17integral_constantIbLb0EES16_IbLb1EEEEDaS12_S13_EUlS12_E_NS1_11comp_targetILNS1_3genE2ELNS1_11target_archE906ELNS1_3gpuE6ELNS1_3repE0EEENS1_30default_config_static_selectorELNS0_4arch9wavefront6targetE0EEEvT1_
; %bb.0:
	.section	.rodata,"a",@progbits
	.p2align	6, 0x0
	.amdhsa_kernel _ZN7rocprim17ROCPRIM_400000_NS6detail17trampoline_kernelINS0_14default_configENS1_25partition_config_selectorILNS1_17partition_subalgoE8EhNS0_10empty_typeEbEEZZNS1_14partition_implILS5_8ELb0ES3_jPKhPS6_PKS6_NS0_5tupleIJPhS6_EEENSE_IJSB_SB_EEENS0_18inequality_wrapperIN6hipcub16HIPCUB_304000_NS8EqualityEEEPlJS6_EEE10hipError_tPvRmT3_T4_T5_T6_T7_T9_mT8_P12ihipStream_tbDpT10_ENKUlT_T0_E_clISt17integral_constantIbLb0EES16_IbLb1EEEEDaS12_S13_EUlS12_E_NS1_11comp_targetILNS1_3genE2ELNS1_11target_archE906ELNS1_3gpuE6ELNS1_3repE0EEENS1_30default_config_static_selectorELNS0_4arch9wavefront6targetE0EEEvT1_
		.amdhsa_group_segment_fixed_size 0
		.amdhsa_private_segment_fixed_size 0
		.amdhsa_kernarg_size 128
		.amdhsa_user_sgpr_count 2
		.amdhsa_user_sgpr_dispatch_ptr 0
		.amdhsa_user_sgpr_queue_ptr 0
		.amdhsa_user_sgpr_kernarg_segment_ptr 1
		.amdhsa_user_sgpr_dispatch_id 0
		.amdhsa_user_sgpr_kernarg_preload_length 0
		.amdhsa_user_sgpr_kernarg_preload_offset 0
		.amdhsa_user_sgpr_private_segment_size 0
		.amdhsa_wavefront_size32 1
		.amdhsa_uses_dynamic_stack 0
		.amdhsa_enable_private_segment 0
		.amdhsa_system_sgpr_workgroup_id_x 1
		.amdhsa_system_sgpr_workgroup_id_y 0
		.amdhsa_system_sgpr_workgroup_id_z 0
		.amdhsa_system_sgpr_workgroup_info 0
		.amdhsa_system_vgpr_workitem_id 0
		.amdhsa_next_free_vgpr 1
		.amdhsa_next_free_sgpr 1
		.amdhsa_named_barrier_count 0
		.amdhsa_reserve_vcc 0
		.amdhsa_float_round_mode_32 0
		.amdhsa_float_round_mode_16_64 0
		.amdhsa_float_denorm_mode_32 3
		.amdhsa_float_denorm_mode_16_64 3
		.amdhsa_fp16_overflow 0
		.amdhsa_memory_ordered 1
		.amdhsa_forward_progress 1
		.amdhsa_inst_pref_size 0
		.amdhsa_round_robin_scheduling 0
		.amdhsa_exception_fp_ieee_invalid_op 0
		.amdhsa_exception_fp_denorm_src 0
		.amdhsa_exception_fp_ieee_div_zero 0
		.amdhsa_exception_fp_ieee_overflow 0
		.amdhsa_exception_fp_ieee_underflow 0
		.amdhsa_exception_fp_ieee_inexact 0
		.amdhsa_exception_int_div_zero 0
	.end_amdhsa_kernel
	.section	.text._ZN7rocprim17ROCPRIM_400000_NS6detail17trampoline_kernelINS0_14default_configENS1_25partition_config_selectorILNS1_17partition_subalgoE8EhNS0_10empty_typeEbEEZZNS1_14partition_implILS5_8ELb0ES3_jPKhPS6_PKS6_NS0_5tupleIJPhS6_EEENSE_IJSB_SB_EEENS0_18inequality_wrapperIN6hipcub16HIPCUB_304000_NS8EqualityEEEPlJS6_EEE10hipError_tPvRmT3_T4_T5_T6_T7_T9_mT8_P12ihipStream_tbDpT10_ENKUlT_T0_E_clISt17integral_constantIbLb0EES16_IbLb1EEEEDaS12_S13_EUlS12_E_NS1_11comp_targetILNS1_3genE2ELNS1_11target_archE906ELNS1_3gpuE6ELNS1_3repE0EEENS1_30default_config_static_selectorELNS0_4arch9wavefront6targetE0EEEvT1_,"axG",@progbits,_ZN7rocprim17ROCPRIM_400000_NS6detail17trampoline_kernelINS0_14default_configENS1_25partition_config_selectorILNS1_17partition_subalgoE8EhNS0_10empty_typeEbEEZZNS1_14partition_implILS5_8ELb0ES3_jPKhPS6_PKS6_NS0_5tupleIJPhS6_EEENSE_IJSB_SB_EEENS0_18inequality_wrapperIN6hipcub16HIPCUB_304000_NS8EqualityEEEPlJS6_EEE10hipError_tPvRmT3_T4_T5_T6_T7_T9_mT8_P12ihipStream_tbDpT10_ENKUlT_T0_E_clISt17integral_constantIbLb0EES16_IbLb1EEEEDaS12_S13_EUlS12_E_NS1_11comp_targetILNS1_3genE2ELNS1_11target_archE906ELNS1_3gpuE6ELNS1_3repE0EEENS1_30default_config_static_selectorELNS0_4arch9wavefront6targetE0EEEvT1_,comdat
.Lfunc_end162:
	.size	_ZN7rocprim17ROCPRIM_400000_NS6detail17trampoline_kernelINS0_14default_configENS1_25partition_config_selectorILNS1_17partition_subalgoE8EhNS0_10empty_typeEbEEZZNS1_14partition_implILS5_8ELb0ES3_jPKhPS6_PKS6_NS0_5tupleIJPhS6_EEENSE_IJSB_SB_EEENS0_18inequality_wrapperIN6hipcub16HIPCUB_304000_NS8EqualityEEEPlJS6_EEE10hipError_tPvRmT3_T4_T5_T6_T7_T9_mT8_P12ihipStream_tbDpT10_ENKUlT_T0_E_clISt17integral_constantIbLb0EES16_IbLb1EEEEDaS12_S13_EUlS12_E_NS1_11comp_targetILNS1_3genE2ELNS1_11target_archE906ELNS1_3gpuE6ELNS1_3repE0EEENS1_30default_config_static_selectorELNS0_4arch9wavefront6targetE0EEEvT1_, .Lfunc_end162-_ZN7rocprim17ROCPRIM_400000_NS6detail17trampoline_kernelINS0_14default_configENS1_25partition_config_selectorILNS1_17partition_subalgoE8EhNS0_10empty_typeEbEEZZNS1_14partition_implILS5_8ELb0ES3_jPKhPS6_PKS6_NS0_5tupleIJPhS6_EEENSE_IJSB_SB_EEENS0_18inequality_wrapperIN6hipcub16HIPCUB_304000_NS8EqualityEEEPlJS6_EEE10hipError_tPvRmT3_T4_T5_T6_T7_T9_mT8_P12ihipStream_tbDpT10_ENKUlT_T0_E_clISt17integral_constantIbLb0EES16_IbLb1EEEEDaS12_S13_EUlS12_E_NS1_11comp_targetILNS1_3genE2ELNS1_11target_archE906ELNS1_3gpuE6ELNS1_3repE0EEENS1_30default_config_static_selectorELNS0_4arch9wavefront6targetE0EEEvT1_
                                        ; -- End function
	.set _ZN7rocprim17ROCPRIM_400000_NS6detail17trampoline_kernelINS0_14default_configENS1_25partition_config_selectorILNS1_17partition_subalgoE8EhNS0_10empty_typeEbEEZZNS1_14partition_implILS5_8ELb0ES3_jPKhPS6_PKS6_NS0_5tupleIJPhS6_EEENSE_IJSB_SB_EEENS0_18inequality_wrapperIN6hipcub16HIPCUB_304000_NS8EqualityEEEPlJS6_EEE10hipError_tPvRmT3_T4_T5_T6_T7_T9_mT8_P12ihipStream_tbDpT10_ENKUlT_T0_E_clISt17integral_constantIbLb0EES16_IbLb1EEEEDaS12_S13_EUlS12_E_NS1_11comp_targetILNS1_3genE2ELNS1_11target_archE906ELNS1_3gpuE6ELNS1_3repE0EEENS1_30default_config_static_selectorELNS0_4arch9wavefront6targetE0EEEvT1_.num_vgpr, 0
	.set _ZN7rocprim17ROCPRIM_400000_NS6detail17trampoline_kernelINS0_14default_configENS1_25partition_config_selectorILNS1_17partition_subalgoE8EhNS0_10empty_typeEbEEZZNS1_14partition_implILS5_8ELb0ES3_jPKhPS6_PKS6_NS0_5tupleIJPhS6_EEENSE_IJSB_SB_EEENS0_18inequality_wrapperIN6hipcub16HIPCUB_304000_NS8EqualityEEEPlJS6_EEE10hipError_tPvRmT3_T4_T5_T6_T7_T9_mT8_P12ihipStream_tbDpT10_ENKUlT_T0_E_clISt17integral_constantIbLb0EES16_IbLb1EEEEDaS12_S13_EUlS12_E_NS1_11comp_targetILNS1_3genE2ELNS1_11target_archE906ELNS1_3gpuE6ELNS1_3repE0EEENS1_30default_config_static_selectorELNS0_4arch9wavefront6targetE0EEEvT1_.num_agpr, 0
	.set _ZN7rocprim17ROCPRIM_400000_NS6detail17trampoline_kernelINS0_14default_configENS1_25partition_config_selectorILNS1_17partition_subalgoE8EhNS0_10empty_typeEbEEZZNS1_14partition_implILS5_8ELb0ES3_jPKhPS6_PKS6_NS0_5tupleIJPhS6_EEENSE_IJSB_SB_EEENS0_18inequality_wrapperIN6hipcub16HIPCUB_304000_NS8EqualityEEEPlJS6_EEE10hipError_tPvRmT3_T4_T5_T6_T7_T9_mT8_P12ihipStream_tbDpT10_ENKUlT_T0_E_clISt17integral_constantIbLb0EES16_IbLb1EEEEDaS12_S13_EUlS12_E_NS1_11comp_targetILNS1_3genE2ELNS1_11target_archE906ELNS1_3gpuE6ELNS1_3repE0EEENS1_30default_config_static_selectorELNS0_4arch9wavefront6targetE0EEEvT1_.numbered_sgpr, 0
	.set _ZN7rocprim17ROCPRIM_400000_NS6detail17trampoline_kernelINS0_14default_configENS1_25partition_config_selectorILNS1_17partition_subalgoE8EhNS0_10empty_typeEbEEZZNS1_14partition_implILS5_8ELb0ES3_jPKhPS6_PKS6_NS0_5tupleIJPhS6_EEENSE_IJSB_SB_EEENS0_18inequality_wrapperIN6hipcub16HIPCUB_304000_NS8EqualityEEEPlJS6_EEE10hipError_tPvRmT3_T4_T5_T6_T7_T9_mT8_P12ihipStream_tbDpT10_ENKUlT_T0_E_clISt17integral_constantIbLb0EES16_IbLb1EEEEDaS12_S13_EUlS12_E_NS1_11comp_targetILNS1_3genE2ELNS1_11target_archE906ELNS1_3gpuE6ELNS1_3repE0EEENS1_30default_config_static_selectorELNS0_4arch9wavefront6targetE0EEEvT1_.num_named_barrier, 0
	.set _ZN7rocprim17ROCPRIM_400000_NS6detail17trampoline_kernelINS0_14default_configENS1_25partition_config_selectorILNS1_17partition_subalgoE8EhNS0_10empty_typeEbEEZZNS1_14partition_implILS5_8ELb0ES3_jPKhPS6_PKS6_NS0_5tupleIJPhS6_EEENSE_IJSB_SB_EEENS0_18inequality_wrapperIN6hipcub16HIPCUB_304000_NS8EqualityEEEPlJS6_EEE10hipError_tPvRmT3_T4_T5_T6_T7_T9_mT8_P12ihipStream_tbDpT10_ENKUlT_T0_E_clISt17integral_constantIbLb0EES16_IbLb1EEEEDaS12_S13_EUlS12_E_NS1_11comp_targetILNS1_3genE2ELNS1_11target_archE906ELNS1_3gpuE6ELNS1_3repE0EEENS1_30default_config_static_selectorELNS0_4arch9wavefront6targetE0EEEvT1_.private_seg_size, 0
	.set _ZN7rocprim17ROCPRIM_400000_NS6detail17trampoline_kernelINS0_14default_configENS1_25partition_config_selectorILNS1_17partition_subalgoE8EhNS0_10empty_typeEbEEZZNS1_14partition_implILS5_8ELb0ES3_jPKhPS6_PKS6_NS0_5tupleIJPhS6_EEENSE_IJSB_SB_EEENS0_18inequality_wrapperIN6hipcub16HIPCUB_304000_NS8EqualityEEEPlJS6_EEE10hipError_tPvRmT3_T4_T5_T6_T7_T9_mT8_P12ihipStream_tbDpT10_ENKUlT_T0_E_clISt17integral_constantIbLb0EES16_IbLb1EEEEDaS12_S13_EUlS12_E_NS1_11comp_targetILNS1_3genE2ELNS1_11target_archE906ELNS1_3gpuE6ELNS1_3repE0EEENS1_30default_config_static_selectorELNS0_4arch9wavefront6targetE0EEEvT1_.uses_vcc, 0
	.set _ZN7rocprim17ROCPRIM_400000_NS6detail17trampoline_kernelINS0_14default_configENS1_25partition_config_selectorILNS1_17partition_subalgoE8EhNS0_10empty_typeEbEEZZNS1_14partition_implILS5_8ELb0ES3_jPKhPS6_PKS6_NS0_5tupleIJPhS6_EEENSE_IJSB_SB_EEENS0_18inequality_wrapperIN6hipcub16HIPCUB_304000_NS8EqualityEEEPlJS6_EEE10hipError_tPvRmT3_T4_T5_T6_T7_T9_mT8_P12ihipStream_tbDpT10_ENKUlT_T0_E_clISt17integral_constantIbLb0EES16_IbLb1EEEEDaS12_S13_EUlS12_E_NS1_11comp_targetILNS1_3genE2ELNS1_11target_archE906ELNS1_3gpuE6ELNS1_3repE0EEENS1_30default_config_static_selectorELNS0_4arch9wavefront6targetE0EEEvT1_.uses_flat_scratch, 0
	.set _ZN7rocprim17ROCPRIM_400000_NS6detail17trampoline_kernelINS0_14default_configENS1_25partition_config_selectorILNS1_17partition_subalgoE8EhNS0_10empty_typeEbEEZZNS1_14partition_implILS5_8ELb0ES3_jPKhPS6_PKS6_NS0_5tupleIJPhS6_EEENSE_IJSB_SB_EEENS0_18inequality_wrapperIN6hipcub16HIPCUB_304000_NS8EqualityEEEPlJS6_EEE10hipError_tPvRmT3_T4_T5_T6_T7_T9_mT8_P12ihipStream_tbDpT10_ENKUlT_T0_E_clISt17integral_constantIbLb0EES16_IbLb1EEEEDaS12_S13_EUlS12_E_NS1_11comp_targetILNS1_3genE2ELNS1_11target_archE906ELNS1_3gpuE6ELNS1_3repE0EEENS1_30default_config_static_selectorELNS0_4arch9wavefront6targetE0EEEvT1_.has_dyn_sized_stack, 0
	.set _ZN7rocprim17ROCPRIM_400000_NS6detail17trampoline_kernelINS0_14default_configENS1_25partition_config_selectorILNS1_17partition_subalgoE8EhNS0_10empty_typeEbEEZZNS1_14partition_implILS5_8ELb0ES3_jPKhPS6_PKS6_NS0_5tupleIJPhS6_EEENSE_IJSB_SB_EEENS0_18inequality_wrapperIN6hipcub16HIPCUB_304000_NS8EqualityEEEPlJS6_EEE10hipError_tPvRmT3_T4_T5_T6_T7_T9_mT8_P12ihipStream_tbDpT10_ENKUlT_T0_E_clISt17integral_constantIbLb0EES16_IbLb1EEEEDaS12_S13_EUlS12_E_NS1_11comp_targetILNS1_3genE2ELNS1_11target_archE906ELNS1_3gpuE6ELNS1_3repE0EEENS1_30default_config_static_selectorELNS0_4arch9wavefront6targetE0EEEvT1_.has_recursion, 0
	.set _ZN7rocprim17ROCPRIM_400000_NS6detail17trampoline_kernelINS0_14default_configENS1_25partition_config_selectorILNS1_17partition_subalgoE8EhNS0_10empty_typeEbEEZZNS1_14partition_implILS5_8ELb0ES3_jPKhPS6_PKS6_NS0_5tupleIJPhS6_EEENSE_IJSB_SB_EEENS0_18inequality_wrapperIN6hipcub16HIPCUB_304000_NS8EqualityEEEPlJS6_EEE10hipError_tPvRmT3_T4_T5_T6_T7_T9_mT8_P12ihipStream_tbDpT10_ENKUlT_T0_E_clISt17integral_constantIbLb0EES16_IbLb1EEEEDaS12_S13_EUlS12_E_NS1_11comp_targetILNS1_3genE2ELNS1_11target_archE906ELNS1_3gpuE6ELNS1_3repE0EEENS1_30default_config_static_selectorELNS0_4arch9wavefront6targetE0EEEvT1_.has_indirect_call, 0
	.section	.AMDGPU.csdata,"",@progbits
; Kernel info:
; codeLenInByte = 0
; TotalNumSgprs: 0
; NumVgprs: 0
; ScratchSize: 0
; MemoryBound: 0
; FloatMode: 240
; IeeeMode: 1
; LDSByteSize: 0 bytes/workgroup (compile time only)
; SGPRBlocks: 0
; VGPRBlocks: 0
; NumSGPRsForWavesPerEU: 1
; NumVGPRsForWavesPerEU: 1
; NamedBarCnt: 0
; Occupancy: 16
; WaveLimiterHint : 0
; COMPUTE_PGM_RSRC2:SCRATCH_EN: 0
; COMPUTE_PGM_RSRC2:USER_SGPR: 2
; COMPUTE_PGM_RSRC2:TRAP_HANDLER: 0
; COMPUTE_PGM_RSRC2:TGID_X_EN: 1
; COMPUTE_PGM_RSRC2:TGID_Y_EN: 0
; COMPUTE_PGM_RSRC2:TGID_Z_EN: 0
; COMPUTE_PGM_RSRC2:TIDIG_COMP_CNT: 0
	.section	.text._ZN7rocprim17ROCPRIM_400000_NS6detail17trampoline_kernelINS0_14default_configENS1_25partition_config_selectorILNS1_17partition_subalgoE8EhNS0_10empty_typeEbEEZZNS1_14partition_implILS5_8ELb0ES3_jPKhPS6_PKS6_NS0_5tupleIJPhS6_EEENSE_IJSB_SB_EEENS0_18inequality_wrapperIN6hipcub16HIPCUB_304000_NS8EqualityEEEPlJS6_EEE10hipError_tPvRmT3_T4_T5_T6_T7_T9_mT8_P12ihipStream_tbDpT10_ENKUlT_T0_E_clISt17integral_constantIbLb0EES16_IbLb1EEEEDaS12_S13_EUlS12_E_NS1_11comp_targetILNS1_3genE10ELNS1_11target_archE1200ELNS1_3gpuE4ELNS1_3repE0EEENS1_30default_config_static_selectorELNS0_4arch9wavefront6targetE0EEEvT1_,"axG",@progbits,_ZN7rocprim17ROCPRIM_400000_NS6detail17trampoline_kernelINS0_14default_configENS1_25partition_config_selectorILNS1_17partition_subalgoE8EhNS0_10empty_typeEbEEZZNS1_14partition_implILS5_8ELb0ES3_jPKhPS6_PKS6_NS0_5tupleIJPhS6_EEENSE_IJSB_SB_EEENS0_18inequality_wrapperIN6hipcub16HIPCUB_304000_NS8EqualityEEEPlJS6_EEE10hipError_tPvRmT3_T4_T5_T6_T7_T9_mT8_P12ihipStream_tbDpT10_ENKUlT_T0_E_clISt17integral_constantIbLb0EES16_IbLb1EEEEDaS12_S13_EUlS12_E_NS1_11comp_targetILNS1_3genE10ELNS1_11target_archE1200ELNS1_3gpuE4ELNS1_3repE0EEENS1_30default_config_static_selectorELNS0_4arch9wavefront6targetE0EEEvT1_,comdat
	.protected	_ZN7rocprim17ROCPRIM_400000_NS6detail17trampoline_kernelINS0_14default_configENS1_25partition_config_selectorILNS1_17partition_subalgoE8EhNS0_10empty_typeEbEEZZNS1_14partition_implILS5_8ELb0ES3_jPKhPS6_PKS6_NS0_5tupleIJPhS6_EEENSE_IJSB_SB_EEENS0_18inequality_wrapperIN6hipcub16HIPCUB_304000_NS8EqualityEEEPlJS6_EEE10hipError_tPvRmT3_T4_T5_T6_T7_T9_mT8_P12ihipStream_tbDpT10_ENKUlT_T0_E_clISt17integral_constantIbLb0EES16_IbLb1EEEEDaS12_S13_EUlS12_E_NS1_11comp_targetILNS1_3genE10ELNS1_11target_archE1200ELNS1_3gpuE4ELNS1_3repE0EEENS1_30default_config_static_selectorELNS0_4arch9wavefront6targetE0EEEvT1_ ; -- Begin function _ZN7rocprim17ROCPRIM_400000_NS6detail17trampoline_kernelINS0_14default_configENS1_25partition_config_selectorILNS1_17partition_subalgoE8EhNS0_10empty_typeEbEEZZNS1_14partition_implILS5_8ELb0ES3_jPKhPS6_PKS6_NS0_5tupleIJPhS6_EEENSE_IJSB_SB_EEENS0_18inequality_wrapperIN6hipcub16HIPCUB_304000_NS8EqualityEEEPlJS6_EEE10hipError_tPvRmT3_T4_T5_T6_T7_T9_mT8_P12ihipStream_tbDpT10_ENKUlT_T0_E_clISt17integral_constantIbLb0EES16_IbLb1EEEEDaS12_S13_EUlS12_E_NS1_11comp_targetILNS1_3genE10ELNS1_11target_archE1200ELNS1_3gpuE4ELNS1_3repE0EEENS1_30default_config_static_selectorELNS0_4arch9wavefront6targetE0EEEvT1_
	.globl	_ZN7rocprim17ROCPRIM_400000_NS6detail17trampoline_kernelINS0_14default_configENS1_25partition_config_selectorILNS1_17partition_subalgoE8EhNS0_10empty_typeEbEEZZNS1_14partition_implILS5_8ELb0ES3_jPKhPS6_PKS6_NS0_5tupleIJPhS6_EEENSE_IJSB_SB_EEENS0_18inequality_wrapperIN6hipcub16HIPCUB_304000_NS8EqualityEEEPlJS6_EEE10hipError_tPvRmT3_T4_T5_T6_T7_T9_mT8_P12ihipStream_tbDpT10_ENKUlT_T0_E_clISt17integral_constantIbLb0EES16_IbLb1EEEEDaS12_S13_EUlS12_E_NS1_11comp_targetILNS1_3genE10ELNS1_11target_archE1200ELNS1_3gpuE4ELNS1_3repE0EEENS1_30default_config_static_selectorELNS0_4arch9wavefront6targetE0EEEvT1_
	.p2align	8
	.type	_ZN7rocprim17ROCPRIM_400000_NS6detail17trampoline_kernelINS0_14default_configENS1_25partition_config_selectorILNS1_17partition_subalgoE8EhNS0_10empty_typeEbEEZZNS1_14partition_implILS5_8ELb0ES3_jPKhPS6_PKS6_NS0_5tupleIJPhS6_EEENSE_IJSB_SB_EEENS0_18inequality_wrapperIN6hipcub16HIPCUB_304000_NS8EqualityEEEPlJS6_EEE10hipError_tPvRmT3_T4_T5_T6_T7_T9_mT8_P12ihipStream_tbDpT10_ENKUlT_T0_E_clISt17integral_constantIbLb0EES16_IbLb1EEEEDaS12_S13_EUlS12_E_NS1_11comp_targetILNS1_3genE10ELNS1_11target_archE1200ELNS1_3gpuE4ELNS1_3repE0EEENS1_30default_config_static_selectorELNS0_4arch9wavefront6targetE0EEEvT1_,@function
_ZN7rocprim17ROCPRIM_400000_NS6detail17trampoline_kernelINS0_14default_configENS1_25partition_config_selectorILNS1_17partition_subalgoE8EhNS0_10empty_typeEbEEZZNS1_14partition_implILS5_8ELb0ES3_jPKhPS6_PKS6_NS0_5tupleIJPhS6_EEENSE_IJSB_SB_EEENS0_18inequality_wrapperIN6hipcub16HIPCUB_304000_NS8EqualityEEEPlJS6_EEE10hipError_tPvRmT3_T4_T5_T6_T7_T9_mT8_P12ihipStream_tbDpT10_ENKUlT_T0_E_clISt17integral_constantIbLb0EES16_IbLb1EEEEDaS12_S13_EUlS12_E_NS1_11comp_targetILNS1_3genE10ELNS1_11target_archE1200ELNS1_3gpuE4ELNS1_3repE0EEENS1_30default_config_static_selectorELNS0_4arch9wavefront6targetE0EEEvT1_: ; @_ZN7rocprim17ROCPRIM_400000_NS6detail17trampoline_kernelINS0_14default_configENS1_25partition_config_selectorILNS1_17partition_subalgoE8EhNS0_10empty_typeEbEEZZNS1_14partition_implILS5_8ELb0ES3_jPKhPS6_PKS6_NS0_5tupleIJPhS6_EEENSE_IJSB_SB_EEENS0_18inequality_wrapperIN6hipcub16HIPCUB_304000_NS8EqualityEEEPlJS6_EEE10hipError_tPvRmT3_T4_T5_T6_T7_T9_mT8_P12ihipStream_tbDpT10_ENKUlT_T0_E_clISt17integral_constantIbLb0EES16_IbLb1EEEEDaS12_S13_EUlS12_E_NS1_11comp_targetILNS1_3genE10ELNS1_11target_archE1200ELNS1_3gpuE4ELNS1_3repE0EEENS1_30default_config_static_selectorELNS0_4arch9wavefront6targetE0EEEvT1_
; %bb.0:
	.section	.rodata,"a",@progbits
	.p2align	6, 0x0
	.amdhsa_kernel _ZN7rocprim17ROCPRIM_400000_NS6detail17trampoline_kernelINS0_14default_configENS1_25partition_config_selectorILNS1_17partition_subalgoE8EhNS0_10empty_typeEbEEZZNS1_14partition_implILS5_8ELb0ES3_jPKhPS6_PKS6_NS0_5tupleIJPhS6_EEENSE_IJSB_SB_EEENS0_18inequality_wrapperIN6hipcub16HIPCUB_304000_NS8EqualityEEEPlJS6_EEE10hipError_tPvRmT3_T4_T5_T6_T7_T9_mT8_P12ihipStream_tbDpT10_ENKUlT_T0_E_clISt17integral_constantIbLb0EES16_IbLb1EEEEDaS12_S13_EUlS12_E_NS1_11comp_targetILNS1_3genE10ELNS1_11target_archE1200ELNS1_3gpuE4ELNS1_3repE0EEENS1_30default_config_static_selectorELNS0_4arch9wavefront6targetE0EEEvT1_
		.amdhsa_group_segment_fixed_size 0
		.amdhsa_private_segment_fixed_size 0
		.amdhsa_kernarg_size 128
		.amdhsa_user_sgpr_count 2
		.amdhsa_user_sgpr_dispatch_ptr 0
		.amdhsa_user_sgpr_queue_ptr 0
		.amdhsa_user_sgpr_kernarg_segment_ptr 1
		.amdhsa_user_sgpr_dispatch_id 0
		.amdhsa_user_sgpr_kernarg_preload_length 0
		.amdhsa_user_sgpr_kernarg_preload_offset 0
		.amdhsa_user_sgpr_private_segment_size 0
		.amdhsa_wavefront_size32 1
		.amdhsa_uses_dynamic_stack 0
		.amdhsa_enable_private_segment 0
		.amdhsa_system_sgpr_workgroup_id_x 1
		.amdhsa_system_sgpr_workgroup_id_y 0
		.amdhsa_system_sgpr_workgroup_id_z 0
		.amdhsa_system_sgpr_workgroup_info 0
		.amdhsa_system_vgpr_workitem_id 0
		.amdhsa_next_free_vgpr 1
		.amdhsa_next_free_sgpr 1
		.amdhsa_named_barrier_count 0
		.amdhsa_reserve_vcc 0
		.amdhsa_float_round_mode_32 0
		.amdhsa_float_round_mode_16_64 0
		.amdhsa_float_denorm_mode_32 3
		.amdhsa_float_denorm_mode_16_64 3
		.amdhsa_fp16_overflow 0
		.amdhsa_memory_ordered 1
		.amdhsa_forward_progress 1
		.amdhsa_inst_pref_size 0
		.amdhsa_round_robin_scheduling 0
		.amdhsa_exception_fp_ieee_invalid_op 0
		.amdhsa_exception_fp_denorm_src 0
		.amdhsa_exception_fp_ieee_div_zero 0
		.amdhsa_exception_fp_ieee_overflow 0
		.amdhsa_exception_fp_ieee_underflow 0
		.amdhsa_exception_fp_ieee_inexact 0
		.amdhsa_exception_int_div_zero 0
	.end_amdhsa_kernel
	.section	.text._ZN7rocprim17ROCPRIM_400000_NS6detail17trampoline_kernelINS0_14default_configENS1_25partition_config_selectorILNS1_17partition_subalgoE8EhNS0_10empty_typeEbEEZZNS1_14partition_implILS5_8ELb0ES3_jPKhPS6_PKS6_NS0_5tupleIJPhS6_EEENSE_IJSB_SB_EEENS0_18inequality_wrapperIN6hipcub16HIPCUB_304000_NS8EqualityEEEPlJS6_EEE10hipError_tPvRmT3_T4_T5_T6_T7_T9_mT8_P12ihipStream_tbDpT10_ENKUlT_T0_E_clISt17integral_constantIbLb0EES16_IbLb1EEEEDaS12_S13_EUlS12_E_NS1_11comp_targetILNS1_3genE10ELNS1_11target_archE1200ELNS1_3gpuE4ELNS1_3repE0EEENS1_30default_config_static_selectorELNS0_4arch9wavefront6targetE0EEEvT1_,"axG",@progbits,_ZN7rocprim17ROCPRIM_400000_NS6detail17trampoline_kernelINS0_14default_configENS1_25partition_config_selectorILNS1_17partition_subalgoE8EhNS0_10empty_typeEbEEZZNS1_14partition_implILS5_8ELb0ES3_jPKhPS6_PKS6_NS0_5tupleIJPhS6_EEENSE_IJSB_SB_EEENS0_18inequality_wrapperIN6hipcub16HIPCUB_304000_NS8EqualityEEEPlJS6_EEE10hipError_tPvRmT3_T4_T5_T6_T7_T9_mT8_P12ihipStream_tbDpT10_ENKUlT_T0_E_clISt17integral_constantIbLb0EES16_IbLb1EEEEDaS12_S13_EUlS12_E_NS1_11comp_targetILNS1_3genE10ELNS1_11target_archE1200ELNS1_3gpuE4ELNS1_3repE0EEENS1_30default_config_static_selectorELNS0_4arch9wavefront6targetE0EEEvT1_,comdat
.Lfunc_end163:
	.size	_ZN7rocprim17ROCPRIM_400000_NS6detail17trampoline_kernelINS0_14default_configENS1_25partition_config_selectorILNS1_17partition_subalgoE8EhNS0_10empty_typeEbEEZZNS1_14partition_implILS5_8ELb0ES3_jPKhPS6_PKS6_NS0_5tupleIJPhS6_EEENSE_IJSB_SB_EEENS0_18inequality_wrapperIN6hipcub16HIPCUB_304000_NS8EqualityEEEPlJS6_EEE10hipError_tPvRmT3_T4_T5_T6_T7_T9_mT8_P12ihipStream_tbDpT10_ENKUlT_T0_E_clISt17integral_constantIbLb0EES16_IbLb1EEEEDaS12_S13_EUlS12_E_NS1_11comp_targetILNS1_3genE10ELNS1_11target_archE1200ELNS1_3gpuE4ELNS1_3repE0EEENS1_30default_config_static_selectorELNS0_4arch9wavefront6targetE0EEEvT1_, .Lfunc_end163-_ZN7rocprim17ROCPRIM_400000_NS6detail17trampoline_kernelINS0_14default_configENS1_25partition_config_selectorILNS1_17partition_subalgoE8EhNS0_10empty_typeEbEEZZNS1_14partition_implILS5_8ELb0ES3_jPKhPS6_PKS6_NS0_5tupleIJPhS6_EEENSE_IJSB_SB_EEENS0_18inequality_wrapperIN6hipcub16HIPCUB_304000_NS8EqualityEEEPlJS6_EEE10hipError_tPvRmT3_T4_T5_T6_T7_T9_mT8_P12ihipStream_tbDpT10_ENKUlT_T0_E_clISt17integral_constantIbLb0EES16_IbLb1EEEEDaS12_S13_EUlS12_E_NS1_11comp_targetILNS1_3genE10ELNS1_11target_archE1200ELNS1_3gpuE4ELNS1_3repE0EEENS1_30default_config_static_selectorELNS0_4arch9wavefront6targetE0EEEvT1_
                                        ; -- End function
	.set _ZN7rocprim17ROCPRIM_400000_NS6detail17trampoline_kernelINS0_14default_configENS1_25partition_config_selectorILNS1_17partition_subalgoE8EhNS0_10empty_typeEbEEZZNS1_14partition_implILS5_8ELb0ES3_jPKhPS6_PKS6_NS0_5tupleIJPhS6_EEENSE_IJSB_SB_EEENS0_18inequality_wrapperIN6hipcub16HIPCUB_304000_NS8EqualityEEEPlJS6_EEE10hipError_tPvRmT3_T4_T5_T6_T7_T9_mT8_P12ihipStream_tbDpT10_ENKUlT_T0_E_clISt17integral_constantIbLb0EES16_IbLb1EEEEDaS12_S13_EUlS12_E_NS1_11comp_targetILNS1_3genE10ELNS1_11target_archE1200ELNS1_3gpuE4ELNS1_3repE0EEENS1_30default_config_static_selectorELNS0_4arch9wavefront6targetE0EEEvT1_.num_vgpr, 0
	.set _ZN7rocprim17ROCPRIM_400000_NS6detail17trampoline_kernelINS0_14default_configENS1_25partition_config_selectorILNS1_17partition_subalgoE8EhNS0_10empty_typeEbEEZZNS1_14partition_implILS5_8ELb0ES3_jPKhPS6_PKS6_NS0_5tupleIJPhS6_EEENSE_IJSB_SB_EEENS0_18inequality_wrapperIN6hipcub16HIPCUB_304000_NS8EqualityEEEPlJS6_EEE10hipError_tPvRmT3_T4_T5_T6_T7_T9_mT8_P12ihipStream_tbDpT10_ENKUlT_T0_E_clISt17integral_constantIbLb0EES16_IbLb1EEEEDaS12_S13_EUlS12_E_NS1_11comp_targetILNS1_3genE10ELNS1_11target_archE1200ELNS1_3gpuE4ELNS1_3repE0EEENS1_30default_config_static_selectorELNS0_4arch9wavefront6targetE0EEEvT1_.num_agpr, 0
	.set _ZN7rocprim17ROCPRIM_400000_NS6detail17trampoline_kernelINS0_14default_configENS1_25partition_config_selectorILNS1_17partition_subalgoE8EhNS0_10empty_typeEbEEZZNS1_14partition_implILS5_8ELb0ES3_jPKhPS6_PKS6_NS0_5tupleIJPhS6_EEENSE_IJSB_SB_EEENS0_18inequality_wrapperIN6hipcub16HIPCUB_304000_NS8EqualityEEEPlJS6_EEE10hipError_tPvRmT3_T4_T5_T6_T7_T9_mT8_P12ihipStream_tbDpT10_ENKUlT_T0_E_clISt17integral_constantIbLb0EES16_IbLb1EEEEDaS12_S13_EUlS12_E_NS1_11comp_targetILNS1_3genE10ELNS1_11target_archE1200ELNS1_3gpuE4ELNS1_3repE0EEENS1_30default_config_static_selectorELNS0_4arch9wavefront6targetE0EEEvT1_.numbered_sgpr, 0
	.set _ZN7rocprim17ROCPRIM_400000_NS6detail17trampoline_kernelINS0_14default_configENS1_25partition_config_selectorILNS1_17partition_subalgoE8EhNS0_10empty_typeEbEEZZNS1_14partition_implILS5_8ELb0ES3_jPKhPS6_PKS6_NS0_5tupleIJPhS6_EEENSE_IJSB_SB_EEENS0_18inequality_wrapperIN6hipcub16HIPCUB_304000_NS8EqualityEEEPlJS6_EEE10hipError_tPvRmT3_T4_T5_T6_T7_T9_mT8_P12ihipStream_tbDpT10_ENKUlT_T0_E_clISt17integral_constantIbLb0EES16_IbLb1EEEEDaS12_S13_EUlS12_E_NS1_11comp_targetILNS1_3genE10ELNS1_11target_archE1200ELNS1_3gpuE4ELNS1_3repE0EEENS1_30default_config_static_selectorELNS0_4arch9wavefront6targetE0EEEvT1_.num_named_barrier, 0
	.set _ZN7rocprim17ROCPRIM_400000_NS6detail17trampoline_kernelINS0_14default_configENS1_25partition_config_selectorILNS1_17partition_subalgoE8EhNS0_10empty_typeEbEEZZNS1_14partition_implILS5_8ELb0ES3_jPKhPS6_PKS6_NS0_5tupleIJPhS6_EEENSE_IJSB_SB_EEENS0_18inequality_wrapperIN6hipcub16HIPCUB_304000_NS8EqualityEEEPlJS6_EEE10hipError_tPvRmT3_T4_T5_T6_T7_T9_mT8_P12ihipStream_tbDpT10_ENKUlT_T0_E_clISt17integral_constantIbLb0EES16_IbLb1EEEEDaS12_S13_EUlS12_E_NS1_11comp_targetILNS1_3genE10ELNS1_11target_archE1200ELNS1_3gpuE4ELNS1_3repE0EEENS1_30default_config_static_selectorELNS0_4arch9wavefront6targetE0EEEvT1_.private_seg_size, 0
	.set _ZN7rocprim17ROCPRIM_400000_NS6detail17trampoline_kernelINS0_14default_configENS1_25partition_config_selectorILNS1_17partition_subalgoE8EhNS0_10empty_typeEbEEZZNS1_14partition_implILS5_8ELb0ES3_jPKhPS6_PKS6_NS0_5tupleIJPhS6_EEENSE_IJSB_SB_EEENS0_18inequality_wrapperIN6hipcub16HIPCUB_304000_NS8EqualityEEEPlJS6_EEE10hipError_tPvRmT3_T4_T5_T6_T7_T9_mT8_P12ihipStream_tbDpT10_ENKUlT_T0_E_clISt17integral_constantIbLb0EES16_IbLb1EEEEDaS12_S13_EUlS12_E_NS1_11comp_targetILNS1_3genE10ELNS1_11target_archE1200ELNS1_3gpuE4ELNS1_3repE0EEENS1_30default_config_static_selectorELNS0_4arch9wavefront6targetE0EEEvT1_.uses_vcc, 0
	.set _ZN7rocprim17ROCPRIM_400000_NS6detail17trampoline_kernelINS0_14default_configENS1_25partition_config_selectorILNS1_17partition_subalgoE8EhNS0_10empty_typeEbEEZZNS1_14partition_implILS5_8ELb0ES3_jPKhPS6_PKS6_NS0_5tupleIJPhS6_EEENSE_IJSB_SB_EEENS0_18inequality_wrapperIN6hipcub16HIPCUB_304000_NS8EqualityEEEPlJS6_EEE10hipError_tPvRmT3_T4_T5_T6_T7_T9_mT8_P12ihipStream_tbDpT10_ENKUlT_T0_E_clISt17integral_constantIbLb0EES16_IbLb1EEEEDaS12_S13_EUlS12_E_NS1_11comp_targetILNS1_3genE10ELNS1_11target_archE1200ELNS1_3gpuE4ELNS1_3repE0EEENS1_30default_config_static_selectorELNS0_4arch9wavefront6targetE0EEEvT1_.uses_flat_scratch, 0
	.set _ZN7rocprim17ROCPRIM_400000_NS6detail17trampoline_kernelINS0_14default_configENS1_25partition_config_selectorILNS1_17partition_subalgoE8EhNS0_10empty_typeEbEEZZNS1_14partition_implILS5_8ELb0ES3_jPKhPS6_PKS6_NS0_5tupleIJPhS6_EEENSE_IJSB_SB_EEENS0_18inequality_wrapperIN6hipcub16HIPCUB_304000_NS8EqualityEEEPlJS6_EEE10hipError_tPvRmT3_T4_T5_T6_T7_T9_mT8_P12ihipStream_tbDpT10_ENKUlT_T0_E_clISt17integral_constantIbLb0EES16_IbLb1EEEEDaS12_S13_EUlS12_E_NS1_11comp_targetILNS1_3genE10ELNS1_11target_archE1200ELNS1_3gpuE4ELNS1_3repE0EEENS1_30default_config_static_selectorELNS0_4arch9wavefront6targetE0EEEvT1_.has_dyn_sized_stack, 0
	.set _ZN7rocprim17ROCPRIM_400000_NS6detail17trampoline_kernelINS0_14default_configENS1_25partition_config_selectorILNS1_17partition_subalgoE8EhNS0_10empty_typeEbEEZZNS1_14partition_implILS5_8ELb0ES3_jPKhPS6_PKS6_NS0_5tupleIJPhS6_EEENSE_IJSB_SB_EEENS0_18inequality_wrapperIN6hipcub16HIPCUB_304000_NS8EqualityEEEPlJS6_EEE10hipError_tPvRmT3_T4_T5_T6_T7_T9_mT8_P12ihipStream_tbDpT10_ENKUlT_T0_E_clISt17integral_constantIbLb0EES16_IbLb1EEEEDaS12_S13_EUlS12_E_NS1_11comp_targetILNS1_3genE10ELNS1_11target_archE1200ELNS1_3gpuE4ELNS1_3repE0EEENS1_30default_config_static_selectorELNS0_4arch9wavefront6targetE0EEEvT1_.has_recursion, 0
	.set _ZN7rocprim17ROCPRIM_400000_NS6detail17trampoline_kernelINS0_14default_configENS1_25partition_config_selectorILNS1_17partition_subalgoE8EhNS0_10empty_typeEbEEZZNS1_14partition_implILS5_8ELb0ES3_jPKhPS6_PKS6_NS0_5tupleIJPhS6_EEENSE_IJSB_SB_EEENS0_18inequality_wrapperIN6hipcub16HIPCUB_304000_NS8EqualityEEEPlJS6_EEE10hipError_tPvRmT3_T4_T5_T6_T7_T9_mT8_P12ihipStream_tbDpT10_ENKUlT_T0_E_clISt17integral_constantIbLb0EES16_IbLb1EEEEDaS12_S13_EUlS12_E_NS1_11comp_targetILNS1_3genE10ELNS1_11target_archE1200ELNS1_3gpuE4ELNS1_3repE0EEENS1_30default_config_static_selectorELNS0_4arch9wavefront6targetE0EEEvT1_.has_indirect_call, 0
	.section	.AMDGPU.csdata,"",@progbits
; Kernel info:
; codeLenInByte = 0
; TotalNumSgprs: 0
; NumVgprs: 0
; ScratchSize: 0
; MemoryBound: 0
; FloatMode: 240
; IeeeMode: 1
; LDSByteSize: 0 bytes/workgroup (compile time only)
; SGPRBlocks: 0
; VGPRBlocks: 0
; NumSGPRsForWavesPerEU: 1
; NumVGPRsForWavesPerEU: 1
; NamedBarCnt: 0
; Occupancy: 16
; WaveLimiterHint : 0
; COMPUTE_PGM_RSRC2:SCRATCH_EN: 0
; COMPUTE_PGM_RSRC2:USER_SGPR: 2
; COMPUTE_PGM_RSRC2:TRAP_HANDLER: 0
; COMPUTE_PGM_RSRC2:TGID_X_EN: 1
; COMPUTE_PGM_RSRC2:TGID_Y_EN: 0
; COMPUTE_PGM_RSRC2:TGID_Z_EN: 0
; COMPUTE_PGM_RSRC2:TIDIG_COMP_CNT: 0
	.section	.text._ZN7rocprim17ROCPRIM_400000_NS6detail17trampoline_kernelINS0_14default_configENS1_25partition_config_selectorILNS1_17partition_subalgoE8EhNS0_10empty_typeEbEEZZNS1_14partition_implILS5_8ELb0ES3_jPKhPS6_PKS6_NS0_5tupleIJPhS6_EEENSE_IJSB_SB_EEENS0_18inequality_wrapperIN6hipcub16HIPCUB_304000_NS8EqualityEEEPlJS6_EEE10hipError_tPvRmT3_T4_T5_T6_T7_T9_mT8_P12ihipStream_tbDpT10_ENKUlT_T0_E_clISt17integral_constantIbLb0EES16_IbLb1EEEEDaS12_S13_EUlS12_E_NS1_11comp_targetILNS1_3genE9ELNS1_11target_archE1100ELNS1_3gpuE3ELNS1_3repE0EEENS1_30default_config_static_selectorELNS0_4arch9wavefront6targetE0EEEvT1_,"axG",@progbits,_ZN7rocprim17ROCPRIM_400000_NS6detail17trampoline_kernelINS0_14default_configENS1_25partition_config_selectorILNS1_17partition_subalgoE8EhNS0_10empty_typeEbEEZZNS1_14partition_implILS5_8ELb0ES3_jPKhPS6_PKS6_NS0_5tupleIJPhS6_EEENSE_IJSB_SB_EEENS0_18inequality_wrapperIN6hipcub16HIPCUB_304000_NS8EqualityEEEPlJS6_EEE10hipError_tPvRmT3_T4_T5_T6_T7_T9_mT8_P12ihipStream_tbDpT10_ENKUlT_T0_E_clISt17integral_constantIbLb0EES16_IbLb1EEEEDaS12_S13_EUlS12_E_NS1_11comp_targetILNS1_3genE9ELNS1_11target_archE1100ELNS1_3gpuE3ELNS1_3repE0EEENS1_30default_config_static_selectorELNS0_4arch9wavefront6targetE0EEEvT1_,comdat
	.protected	_ZN7rocprim17ROCPRIM_400000_NS6detail17trampoline_kernelINS0_14default_configENS1_25partition_config_selectorILNS1_17partition_subalgoE8EhNS0_10empty_typeEbEEZZNS1_14partition_implILS5_8ELb0ES3_jPKhPS6_PKS6_NS0_5tupleIJPhS6_EEENSE_IJSB_SB_EEENS0_18inequality_wrapperIN6hipcub16HIPCUB_304000_NS8EqualityEEEPlJS6_EEE10hipError_tPvRmT3_T4_T5_T6_T7_T9_mT8_P12ihipStream_tbDpT10_ENKUlT_T0_E_clISt17integral_constantIbLb0EES16_IbLb1EEEEDaS12_S13_EUlS12_E_NS1_11comp_targetILNS1_3genE9ELNS1_11target_archE1100ELNS1_3gpuE3ELNS1_3repE0EEENS1_30default_config_static_selectorELNS0_4arch9wavefront6targetE0EEEvT1_ ; -- Begin function _ZN7rocprim17ROCPRIM_400000_NS6detail17trampoline_kernelINS0_14default_configENS1_25partition_config_selectorILNS1_17partition_subalgoE8EhNS0_10empty_typeEbEEZZNS1_14partition_implILS5_8ELb0ES3_jPKhPS6_PKS6_NS0_5tupleIJPhS6_EEENSE_IJSB_SB_EEENS0_18inequality_wrapperIN6hipcub16HIPCUB_304000_NS8EqualityEEEPlJS6_EEE10hipError_tPvRmT3_T4_T5_T6_T7_T9_mT8_P12ihipStream_tbDpT10_ENKUlT_T0_E_clISt17integral_constantIbLb0EES16_IbLb1EEEEDaS12_S13_EUlS12_E_NS1_11comp_targetILNS1_3genE9ELNS1_11target_archE1100ELNS1_3gpuE3ELNS1_3repE0EEENS1_30default_config_static_selectorELNS0_4arch9wavefront6targetE0EEEvT1_
	.globl	_ZN7rocprim17ROCPRIM_400000_NS6detail17trampoline_kernelINS0_14default_configENS1_25partition_config_selectorILNS1_17partition_subalgoE8EhNS0_10empty_typeEbEEZZNS1_14partition_implILS5_8ELb0ES3_jPKhPS6_PKS6_NS0_5tupleIJPhS6_EEENSE_IJSB_SB_EEENS0_18inequality_wrapperIN6hipcub16HIPCUB_304000_NS8EqualityEEEPlJS6_EEE10hipError_tPvRmT3_T4_T5_T6_T7_T9_mT8_P12ihipStream_tbDpT10_ENKUlT_T0_E_clISt17integral_constantIbLb0EES16_IbLb1EEEEDaS12_S13_EUlS12_E_NS1_11comp_targetILNS1_3genE9ELNS1_11target_archE1100ELNS1_3gpuE3ELNS1_3repE0EEENS1_30default_config_static_selectorELNS0_4arch9wavefront6targetE0EEEvT1_
	.p2align	8
	.type	_ZN7rocprim17ROCPRIM_400000_NS6detail17trampoline_kernelINS0_14default_configENS1_25partition_config_selectorILNS1_17partition_subalgoE8EhNS0_10empty_typeEbEEZZNS1_14partition_implILS5_8ELb0ES3_jPKhPS6_PKS6_NS0_5tupleIJPhS6_EEENSE_IJSB_SB_EEENS0_18inequality_wrapperIN6hipcub16HIPCUB_304000_NS8EqualityEEEPlJS6_EEE10hipError_tPvRmT3_T4_T5_T6_T7_T9_mT8_P12ihipStream_tbDpT10_ENKUlT_T0_E_clISt17integral_constantIbLb0EES16_IbLb1EEEEDaS12_S13_EUlS12_E_NS1_11comp_targetILNS1_3genE9ELNS1_11target_archE1100ELNS1_3gpuE3ELNS1_3repE0EEENS1_30default_config_static_selectorELNS0_4arch9wavefront6targetE0EEEvT1_,@function
_ZN7rocprim17ROCPRIM_400000_NS6detail17trampoline_kernelINS0_14default_configENS1_25partition_config_selectorILNS1_17partition_subalgoE8EhNS0_10empty_typeEbEEZZNS1_14partition_implILS5_8ELb0ES3_jPKhPS6_PKS6_NS0_5tupleIJPhS6_EEENSE_IJSB_SB_EEENS0_18inequality_wrapperIN6hipcub16HIPCUB_304000_NS8EqualityEEEPlJS6_EEE10hipError_tPvRmT3_T4_T5_T6_T7_T9_mT8_P12ihipStream_tbDpT10_ENKUlT_T0_E_clISt17integral_constantIbLb0EES16_IbLb1EEEEDaS12_S13_EUlS12_E_NS1_11comp_targetILNS1_3genE9ELNS1_11target_archE1100ELNS1_3gpuE3ELNS1_3repE0EEENS1_30default_config_static_selectorELNS0_4arch9wavefront6targetE0EEEvT1_: ; @_ZN7rocprim17ROCPRIM_400000_NS6detail17trampoline_kernelINS0_14default_configENS1_25partition_config_selectorILNS1_17partition_subalgoE8EhNS0_10empty_typeEbEEZZNS1_14partition_implILS5_8ELb0ES3_jPKhPS6_PKS6_NS0_5tupleIJPhS6_EEENSE_IJSB_SB_EEENS0_18inequality_wrapperIN6hipcub16HIPCUB_304000_NS8EqualityEEEPlJS6_EEE10hipError_tPvRmT3_T4_T5_T6_T7_T9_mT8_P12ihipStream_tbDpT10_ENKUlT_T0_E_clISt17integral_constantIbLb0EES16_IbLb1EEEEDaS12_S13_EUlS12_E_NS1_11comp_targetILNS1_3genE9ELNS1_11target_archE1100ELNS1_3gpuE3ELNS1_3repE0EEENS1_30default_config_static_selectorELNS0_4arch9wavefront6targetE0EEEvT1_
; %bb.0:
	.section	.rodata,"a",@progbits
	.p2align	6, 0x0
	.amdhsa_kernel _ZN7rocprim17ROCPRIM_400000_NS6detail17trampoline_kernelINS0_14default_configENS1_25partition_config_selectorILNS1_17partition_subalgoE8EhNS0_10empty_typeEbEEZZNS1_14partition_implILS5_8ELb0ES3_jPKhPS6_PKS6_NS0_5tupleIJPhS6_EEENSE_IJSB_SB_EEENS0_18inequality_wrapperIN6hipcub16HIPCUB_304000_NS8EqualityEEEPlJS6_EEE10hipError_tPvRmT3_T4_T5_T6_T7_T9_mT8_P12ihipStream_tbDpT10_ENKUlT_T0_E_clISt17integral_constantIbLb0EES16_IbLb1EEEEDaS12_S13_EUlS12_E_NS1_11comp_targetILNS1_3genE9ELNS1_11target_archE1100ELNS1_3gpuE3ELNS1_3repE0EEENS1_30default_config_static_selectorELNS0_4arch9wavefront6targetE0EEEvT1_
		.amdhsa_group_segment_fixed_size 0
		.amdhsa_private_segment_fixed_size 0
		.amdhsa_kernarg_size 128
		.amdhsa_user_sgpr_count 2
		.amdhsa_user_sgpr_dispatch_ptr 0
		.amdhsa_user_sgpr_queue_ptr 0
		.amdhsa_user_sgpr_kernarg_segment_ptr 1
		.amdhsa_user_sgpr_dispatch_id 0
		.amdhsa_user_sgpr_kernarg_preload_length 0
		.amdhsa_user_sgpr_kernarg_preload_offset 0
		.amdhsa_user_sgpr_private_segment_size 0
		.amdhsa_wavefront_size32 1
		.amdhsa_uses_dynamic_stack 0
		.amdhsa_enable_private_segment 0
		.amdhsa_system_sgpr_workgroup_id_x 1
		.amdhsa_system_sgpr_workgroup_id_y 0
		.amdhsa_system_sgpr_workgroup_id_z 0
		.amdhsa_system_sgpr_workgroup_info 0
		.amdhsa_system_vgpr_workitem_id 0
		.amdhsa_next_free_vgpr 1
		.amdhsa_next_free_sgpr 1
		.amdhsa_named_barrier_count 0
		.amdhsa_reserve_vcc 0
		.amdhsa_float_round_mode_32 0
		.amdhsa_float_round_mode_16_64 0
		.amdhsa_float_denorm_mode_32 3
		.amdhsa_float_denorm_mode_16_64 3
		.amdhsa_fp16_overflow 0
		.amdhsa_memory_ordered 1
		.amdhsa_forward_progress 1
		.amdhsa_inst_pref_size 0
		.amdhsa_round_robin_scheduling 0
		.amdhsa_exception_fp_ieee_invalid_op 0
		.amdhsa_exception_fp_denorm_src 0
		.amdhsa_exception_fp_ieee_div_zero 0
		.amdhsa_exception_fp_ieee_overflow 0
		.amdhsa_exception_fp_ieee_underflow 0
		.amdhsa_exception_fp_ieee_inexact 0
		.amdhsa_exception_int_div_zero 0
	.end_amdhsa_kernel
	.section	.text._ZN7rocprim17ROCPRIM_400000_NS6detail17trampoline_kernelINS0_14default_configENS1_25partition_config_selectorILNS1_17partition_subalgoE8EhNS0_10empty_typeEbEEZZNS1_14partition_implILS5_8ELb0ES3_jPKhPS6_PKS6_NS0_5tupleIJPhS6_EEENSE_IJSB_SB_EEENS0_18inequality_wrapperIN6hipcub16HIPCUB_304000_NS8EqualityEEEPlJS6_EEE10hipError_tPvRmT3_T4_T5_T6_T7_T9_mT8_P12ihipStream_tbDpT10_ENKUlT_T0_E_clISt17integral_constantIbLb0EES16_IbLb1EEEEDaS12_S13_EUlS12_E_NS1_11comp_targetILNS1_3genE9ELNS1_11target_archE1100ELNS1_3gpuE3ELNS1_3repE0EEENS1_30default_config_static_selectorELNS0_4arch9wavefront6targetE0EEEvT1_,"axG",@progbits,_ZN7rocprim17ROCPRIM_400000_NS6detail17trampoline_kernelINS0_14default_configENS1_25partition_config_selectorILNS1_17partition_subalgoE8EhNS0_10empty_typeEbEEZZNS1_14partition_implILS5_8ELb0ES3_jPKhPS6_PKS6_NS0_5tupleIJPhS6_EEENSE_IJSB_SB_EEENS0_18inequality_wrapperIN6hipcub16HIPCUB_304000_NS8EqualityEEEPlJS6_EEE10hipError_tPvRmT3_T4_T5_T6_T7_T9_mT8_P12ihipStream_tbDpT10_ENKUlT_T0_E_clISt17integral_constantIbLb0EES16_IbLb1EEEEDaS12_S13_EUlS12_E_NS1_11comp_targetILNS1_3genE9ELNS1_11target_archE1100ELNS1_3gpuE3ELNS1_3repE0EEENS1_30default_config_static_selectorELNS0_4arch9wavefront6targetE0EEEvT1_,comdat
.Lfunc_end164:
	.size	_ZN7rocprim17ROCPRIM_400000_NS6detail17trampoline_kernelINS0_14default_configENS1_25partition_config_selectorILNS1_17partition_subalgoE8EhNS0_10empty_typeEbEEZZNS1_14partition_implILS5_8ELb0ES3_jPKhPS6_PKS6_NS0_5tupleIJPhS6_EEENSE_IJSB_SB_EEENS0_18inequality_wrapperIN6hipcub16HIPCUB_304000_NS8EqualityEEEPlJS6_EEE10hipError_tPvRmT3_T4_T5_T6_T7_T9_mT8_P12ihipStream_tbDpT10_ENKUlT_T0_E_clISt17integral_constantIbLb0EES16_IbLb1EEEEDaS12_S13_EUlS12_E_NS1_11comp_targetILNS1_3genE9ELNS1_11target_archE1100ELNS1_3gpuE3ELNS1_3repE0EEENS1_30default_config_static_selectorELNS0_4arch9wavefront6targetE0EEEvT1_, .Lfunc_end164-_ZN7rocprim17ROCPRIM_400000_NS6detail17trampoline_kernelINS0_14default_configENS1_25partition_config_selectorILNS1_17partition_subalgoE8EhNS0_10empty_typeEbEEZZNS1_14partition_implILS5_8ELb0ES3_jPKhPS6_PKS6_NS0_5tupleIJPhS6_EEENSE_IJSB_SB_EEENS0_18inequality_wrapperIN6hipcub16HIPCUB_304000_NS8EqualityEEEPlJS6_EEE10hipError_tPvRmT3_T4_T5_T6_T7_T9_mT8_P12ihipStream_tbDpT10_ENKUlT_T0_E_clISt17integral_constantIbLb0EES16_IbLb1EEEEDaS12_S13_EUlS12_E_NS1_11comp_targetILNS1_3genE9ELNS1_11target_archE1100ELNS1_3gpuE3ELNS1_3repE0EEENS1_30default_config_static_selectorELNS0_4arch9wavefront6targetE0EEEvT1_
                                        ; -- End function
	.set _ZN7rocprim17ROCPRIM_400000_NS6detail17trampoline_kernelINS0_14default_configENS1_25partition_config_selectorILNS1_17partition_subalgoE8EhNS0_10empty_typeEbEEZZNS1_14partition_implILS5_8ELb0ES3_jPKhPS6_PKS6_NS0_5tupleIJPhS6_EEENSE_IJSB_SB_EEENS0_18inequality_wrapperIN6hipcub16HIPCUB_304000_NS8EqualityEEEPlJS6_EEE10hipError_tPvRmT3_T4_T5_T6_T7_T9_mT8_P12ihipStream_tbDpT10_ENKUlT_T0_E_clISt17integral_constantIbLb0EES16_IbLb1EEEEDaS12_S13_EUlS12_E_NS1_11comp_targetILNS1_3genE9ELNS1_11target_archE1100ELNS1_3gpuE3ELNS1_3repE0EEENS1_30default_config_static_selectorELNS0_4arch9wavefront6targetE0EEEvT1_.num_vgpr, 0
	.set _ZN7rocprim17ROCPRIM_400000_NS6detail17trampoline_kernelINS0_14default_configENS1_25partition_config_selectorILNS1_17partition_subalgoE8EhNS0_10empty_typeEbEEZZNS1_14partition_implILS5_8ELb0ES3_jPKhPS6_PKS6_NS0_5tupleIJPhS6_EEENSE_IJSB_SB_EEENS0_18inequality_wrapperIN6hipcub16HIPCUB_304000_NS8EqualityEEEPlJS6_EEE10hipError_tPvRmT3_T4_T5_T6_T7_T9_mT8_P12ihipStream_tbDpT10_ENKUlT_T0_E_clISt17integral_constantIbLb0EES16_IbLb1EEEEDaS12_S13_EUlS12_E_NS1_11comp_targetILNS1_3genE9ELNS1_11target_archE1100ELNS1_3gpuE3ELNS1_3repE0EEENS1_30default_config_static_selectorELNS0_4arch9wavefront6targetE0EEEvT1_.num_agpr, 0
	.set _ZN7rocprim17ROCPRIM_400000_NS6detail17trampoline_kernelINS0_14default_configENS1_25partition_config_selectorILNS1_17partition_subalgoE8EhNS0_10empty_typeEbEEZZNS1_14partition_implILS5_8ELb0ES3_jPKhPS6_PKS6_NS0_5tupleIJPhS6_EEENSE_IJSB_SB_EEENS0_18inequality_wrapperIN6hipcub16HIPCUB_304000_NS8EqualityEEEPlJS6_EEE10hipError_tPvRmT3_T4_T5_T6_T7_T9_mT8_P12ihipStream_tbDpT10_ENKUlT_T0_E_clISt17integral_constantIbLb0EES16_IbLb1EEEEDaS12_S13_EUlS12_E_NS1_11comp_targetILNS1_3genE9ELNS1_11target_archE1100ELNS1_3gpuE3ELNS1_3repE0EEENS1_30default_config_static_selectorELNS0_4arch9wavefront6targetE0EEEvT1_.numbered_sgpr, 0
	.set _ZN7rocprim17ROCPRIM_400000_NS6detail17trampoline_kernelINS0_14default_configENS1_25partition_config_selectorILNS1_17partition_subalgoE8EhNS0_10empty_typeEbEEZZNS1_14partition_implILS5_8ELb0ES3_jPKhPS6_PKS6_NS0_5tupleIJPhS6_EEENSE_IJSB_SB_EEENS0_18inequality_wrapperIN6hipcub16HIPCUB_304000_NS8EqualityEEEPlJS6_EEE10hipError_tPvRmT3_T4_T5_T6_T7_T9_mT8_P12ihipStream_tbDpT10_ENKUlT_T0_E_clISt17integral_constantIbLb0EES16_IbLb1EEEEDaS12_S13_EUlS12_E_NS1_11comp_targetILNS1_3genE9ELNS1_11target_archE1100ELNS1_3gpuE3ELNS1_3repE0EEENS1_30default_config_static_selectorELNS0_4arch9wavefront6targetE0EEEvT1_.num_named_barrier, 0
	.set _ZN7rocprim17ROCPRIM_400000_NS6detail17trampoline_kernelINS0_14default_configENS1_25partition_config_selectorILNS1_17partition_subalgoE8EhNS0_10empty_typeEbEEZZNS1_14partition_implILS5_8ELb0ES3_jPKhPS6_PKS6_NS0_5tupleIJPhS6_EEENSE_IJSB_SB_EEENS0_18inequality_wrapperIN6hipcub16HIPCUB_304000_NS8EqualityEEEPlJS6_EEE10hipError_tPvRmT3_T4_T5_T6_T7_T9_mT8_P12ihipStream_tbDpT10_ENKUlT_T0_E_clISt17integral_constantIbLb0EES16_IbLb1EEEEDaS12_S13_EUlS12_E_NS1_11comp_targetILNS1_3genE9ELNS1_11target_archE1100ELNS1_3gpuE3ELNS1_3repE0EEENS1_30default_config_static_selectorELNS0_4arch9wavefront6targetE0EEEvT1_.private_seg_size, 0
	.set _ZN7rocprim17ROCPRIM_400000_NS6detail17trampoline_kernelINS0_14default_configENS1_25partition_config_selectorILNS1_17partition_subalgoE8EhNS0_10empty_typeEbEEZZNS1_14partition_implILS5_8ELb0ES3_jPKhPS6_PKS6_NS0_5tupleIJPhS6_EEENSE_IJSB_SB_EEENS0_18inequality_wrapperIN6hipcub16HIPCUB_304000_NS8EqualityEEEPlJS6_EEE10hipError_tPvRmT3_T4_T5_T6_T7_T9_mT8_P12ihipStream_tbDpT10_ENKUlT_T0_E_clISt17integral_constantIbLb0EES16_IbLb1EEEEDaS12_S13_EUlS12_E_NS1_11comp_targetILNS1_3genE9ELNS1_11target_archE1100ELNS1_3gpuE3ELNS1_3repE0EEENS1_30default_config_static_selectorELNS0_4arch9wavefront6targetE0EEEvT1_.uses_vcc, 0
	.set _ZN7rocprim17ROCPRIM_400000_NS6detail17trampoline_kernelINS0_14default_configENS1_25partition_config_selectorILNS1_17partition_subalgoE8EhNS0_10empty_typeEbEEZZNS1_14partition_implILS5_8ELb0ES3_jPKhPS6_PKS6_NS0_5tupleIJPhS6_EEENSE_IJSB_SB_EEENS0_18inequality_wrapperIN6hipcub16HIPCUB_304000_NS8EqualityEEEPlJS6_EEE10hipError_tPvRmT3_T4_T5_T6_T7_T9_mT8_P12ihipStream_tbDpT10_ENKUlT_T0_E_clISt17integral_constantIbLb0EES16_IbLb1EEEEDaS12_S13_EUlS12_E_NS1_11comp_targetILNS1_3genE9ELNS1_11target_archE1100ELNS1_3gpuE3ELNS1_3repE0EEENS1_30default_config_static_selectorELNS0_4arch9wavefront6targetE0EEEvT1_.uses_flat_scratch, 0
	.set _ZN7rocprim17ROCPRIM_400000_NS6detail17trampoline_kernelINS0_14default_configENS1_25partition_config_selectorILNS1_17partition_subalgoE8EhNS0_10empty_typeEbEEZZNS1_14partition_implILS5_8ELb0ES3_jPKhPS6_PKS6_NS0_5tupleIJPhS6_EEENSE_IJSB_SB_EEENS0_18inequality_wrapperIN6hipcub16HIPCUB_304000_NS8EqualityEEEPlJS6_EEE10hipError_tPvRmT3_T4_T5_T6_T7_T9_mT8_P12ihipStream_tbDpT10_ENKUlT_T0_E_clISt17integral_constantIbLb0EES16_IbLb1EEEEDaS12_S13_EUlS12_E_NS1_11comp_targetILNS1_3genE9ELNS1_11target_archE1100ELNS1_3gpuE3ELNS1_3repE0EEENS1_30default_config_static_selectorELNS0_4arch9wavefront6targetE0EEEvT1_.has_dyn_sized_stack, 0
	.set _ZN7rocprim17ROCPRIM_400000_NS6detail17trampoline_kernelINS0_14default_configENS1_25partition_config_selectorILNS1_17partition_subalgoE8EhNS0_10empty_typeEbEEZZNS1_14partition_implILS5_8ELb0ES3_jPKhPS6_PKS6_NS0_5tupleIJPhS6_EEENSE_IJSB_SB_EEENS0_18inequality_wrapperIN6hipcub16HIPCUB_304000_NS8EqualityEEEPlJS6_EEE10hipError_tPvRmT3_T4_T5_T6_T7_T9_mT8_P12ihipStream_tbDpT10_ENKUlT_T0_E_clISt17integral_constantIbLb0EES16_IbLb1EEEEDaS12_S13_EUlS12_E_NS1_11comp_targetILNS1_3genE9ELNS1_11target_archE1100ELNS1_3gpuE3ELNS1_3repE0EEENS1_30default_config_static_selectorELNS0_4arch9wavefront6targetE0EEEvT1_.has_recursion, 0
	.set _ZN7rocprim17ROCPRIM_400000_NS6detail17trampoline_kernelINS0_14default_configENS1_25partition_config_selectorILNS1_17partition_subalgoE8EhNS0_10empty_typeEbEEZZNS1_14partition_implILS5_8ELb0ES3_jPKhPS6_PKS6_NS0_5tupleIJPhS6_EEENSE_IJSB_SB_EEENS0_18inequality_wrapperIN6hipcub16HIPCUB_304000_NS8EqualityEEEPlJS6_EEE10hipError_tPvRmT3_T4_T5_T6_T7_T9_mT8_P12ihipStream_tbDpT10_ENKUlT_T0_E_clISt17integral_constantIbLb0EES16_IbLb1EEEEDaS12_S13_EUlS12_E_NS1_11comp_targetILNS1_3genE9ELNS1_11target_archE1100ELNS1_3gpuE3ELNS1_3repE0EEENS1_30default_config_static_selectorELNS0_4arch9wavefront6targetE0EEEvT1_.has_indirect_call, 0
	.section	.AMDGPU.csdata,"",@progbits
; Kernel info:
; codeLenInByte = 0
; TotalNumSgprs: 0
; NumVgprs: 0
; ScratchSize: 0
; MemoryBound: 0
; FloatMode: 240
; IeeeMode: 1
; LDSByteSize: 0 bytes/workgroup (compile time only)
; SGPRBlocks: 0
; VGPRBlocks: 0
; NumSGPRsForWavesPerEU: 1
; NumVGPRsForWavesPerEU: 1
; NamedBarCnt: 0
; Occupancy: 16
; WaveLimiterHint : 0
; COMPUTE_PGM_RSRC2:SCRATCH_EN: 0
; COMPUTE_PGM_RSRC2:USER_SGPR: 2
; COMPUTE_PGM_RSRC2:TRAP_HANDLER: 0
; COMPUTE_PGM_RSRC2:TGID_X_EN: 1
; COMPUTE_PGM_RSRC2:TGID_Y_EN: 0
; COMPUTE_PGM_RSRC2:TGID_Z_EN: 0
; COMPUTE_PGM_RSRC2:TIDIG_COMP_CNT: 0
	.section	.text._ZN7rocprim17ROCPRIM_400000_NS6detail17trampoline_kernelINS0_14default_configENS1_25partition_config_selectorILNS1_17partition_subalgoE8EhNS0_10empty_typeEbEEZZNS1_14partition_implILS5_8ELb0ES3_jPKhPS6_PKS6_NS0_5tupleIJPhS6_EEENSE_IJSB_SB_EEENS0_18inequality_wrapperIN6hipcub16HIPCUB_304000_NS8EqualityEEEPlJS6_EEE10hipError_tPvRmT3_T4_T5_T6_T7_T9_mT8_P12ihipStream_tbDpT10_ENKUlT_T0_E_clISt17integral_constantIbLb0EES16_IbLb1EEEEDaS12_S13_EUlS12_E_NS1_11comp_targetILNS1_3genE8ELNS1_11target_archE1030ELNS1_3gpuE2ELNS1_3repE0EEENS1_30default_config_static_selectorELNS0_4arch9wavefront6targetE0EEEvT1_,"axG",@progbits,_ZN7rocprim17ROCPRIM_400000_NS6detail17trampoline_kernelINS0_14default_configENS1_25partition_config_selectorILNS1_17partition_subalgoE8EhNS0_10empty_typeEbEEZZNS1_14partition_implILS5_8ELb0ES3_jPKhPS6_PKS6_NS0_5tupleIJPhS6_EEENSE_IJSB_SB_EEENS0_18inequality_wrapperIN6hipcub16HIPCUB_304000_NS8EqualityEEEPlJS6_EEE10hipError_tPvRmT3_T4_T5_T6_T7_T9_mT8_P12ihipStream_tbDpT10_ENKUlT_T0_E_clISt17integral_constantIbLb0EES16_IbLb1EEEEDaS12_S13_EUlS12_E_NS1_11comp_targetILNS1_3genE8ELNS1_11target_archE1030ELNS1_3gpuE2ELNS1_3repE0EEENS1_30default_config_static_selectorELNS0_4arch9wavefront6targetE0EEEvT1_,comdat
	.protected	_ZN7rocprim17ROCPRIM_400000_NS6detail17trampoline_kernelINS0_14default_configENS1_25partition_config_selectorILNS1_17partition_subalgoE8EhNS0_10empty_typeEbEEZZNS1_14partition_implILS5_8ELb0ES3_jPKhPS6_PKS6_NS0_5tupleIJPhS6_EEENSE_IJSB_SB_EEENS0_18inequality_wrapperIN6hipcub16HIPCUB_304000_NS8EqualityEEEPlJS6_EEE10hipError_tPvRmT3_T4_T5_T6_T7_T9_mT8_P12ihipStream_tbDpT10_ENKUlT_T0_E_clISt17integral_constantIbLb0EES16_IbLb1EEEEDaS12_S13_EUlS12_E_NS1_11comp_targetILNS1_3genE8ELNS1_11target_archE1030ELNS1_3gpuE2ELNS1_3repE0EEENS1_30default_config_static_selectorELNS0_4arch9wavefront6targetE0EEEvT1_ ; -- Begin function _ZN7rocprim17ROCPRIM_400000_NS6detail17trampoline_kernelINS0_14default_configENS1_25partition_config_selectorILNS1_17partition_subalgoE8EhNS0_10empty_typeEbEEZZNS1_14partition_implILS5_8ELb0ES3_jPKhPS6_PKS6_NS0_5tupleIJPhS6_EEENSE_IJSB_SB_EEENS0_18inequality_wrapperIN6hipcub16HIPCUB_304000_NS8EqualityEEEPlJS6_EEE10hipError_tPvRmT3_T4_T5_T6_T7_T9_mT8_P12ihipStream_tbDpT10_ENKUlT_T0_E_clISt17integral_constantIbLb0EES16_IbLb1EEEEDaS12_S13_EUlS12_E_NS1_11comp_targetILNS1_3genE8ELNS1_11target_archE1030ELNS1_3gpuE2ELNS1_3repE0EEENS1_30default_config_static_selectorELNS0_4arch9wavefront6targetE0EEEvT1_
	.globl	_ZN7rocprim17ROCPRIM_400000_NS6detail17trampoline_kernelINS0_14default_configENS1_25partition_config_selectorILNS1_17partition_subalgoE8EhNS0_10empty_typeEbEEZZNS1_14partition_implILS5_8ELb0ES3_jPKhPS6_PKS6_NS0_5tupleIJPhS6_EEENSE_IJSB_SB_EEENS0_18inequality_wrapperIN6hipcub16HIPCUB_304000_NS8EqualityEEEPlJS6_EEE10hipError_tPvRmT3_T4_T5_T6_T7_T9_mT8_P12ihipStream_tbDpT10_ENKUlT_T0_E_clISt17integral_constantIbLb0EES16_IbLb1EEEEDaS12_S13_EUlS12_E_NS1_11comp_targetILNS1_3genE8ELNS1_11target_archE1030ELNS1_3gpuE2ELNS1_3repE0EEENS1_30default_config_static_selectorELNS0_4arch9wavefront6targetE0EEEvT1_
	.p2align	8
	.type	_ZN7rocprim17ROCPRIM_400000_NS6detail17trampoline_kernelINS0_14default_configENS1_25partition_config_selectorILNS1_17partition_subalgoE8EhNS0_10empty_typeEbEEZZNS1_14partition_implILS5_8ELb0ES3_jPKhPS6_PKS6_NS0_5tupleIJPhS6_EEENSE_IJSB_SB_EEENS0_18inequality_wrapperIN6hipcub16HIPCUB_304000_NS8EqualityEEEPlJS6_EEE10hipError_tPvRmT3_T4_T5_T6_T7_T9_mT8_P12ihipStream_tbDpT10_ENKUlT_T0_E_clISt17integral_constantIbLb0EES16_IbLb1EEEEDaS12_S13_EUlS12_E_NS1_11comp_targetILNS1_3genE8ELNS1_11target_archE1030ELNS1_3gpuE2ELNS1_3repE0EEENS1_30default_config_static_selectorELNS0_4arch9wavefront6targetE0EEEvT1_,@function
_ZN7rocprim17ROCPRIM_400000_NS6detail17trampoline_kernelINS0_14default_configENS1_25partition_config_selectorILNS1_17partition_subalgoE8EhNS0_10empty_typeEbEEZZNS1_14partition_implILS5_8ELb0ES3_jPKhPS6_PKS6_NS0_5tupleIJPhS6_EEENSE_IJSB_SB_EEENS0_18inequality_wrapperIN6hipcub16HIPCUB_304000_NS8EqualityEEEPlJS6_EEE10hipError_tPvRmT3_T4_T5_T6_T7_T9_mT8_P12ihipStream_tbDpT10_ENKUlT_T0_E_clISt17integral_constantIbLb0EES16_IbLb1EEEEDaS12_S13_EUlS12_E_NS1_11comp_targetILNS1_3genE8ELNS1_11target_archE1030ELNS1_3gpuE2ELNS1_3repE0EEENS1_30default_config_static_selectorELNS0_4arch9wavefront6targetE0EEEvT1_: ; @_ZN7rocprim17ROCPRIM_400000_NS6detail17trampoline_kernelINS0_14default_configENS1_25partition_config_selectorILNS1_17partition_subalgoE8EhNS0_10empty_typeEbEEZZNS1_14partition_implILS5_8ELb0ES3_jPKhPS6_PKS6_NS0_5tupleIJPhS6_EEENSE_IJSB_SB_EEENS0_18inequality_wrapperIN6hipcub16HIPCUB_304000_NS8EqualityEEEPlJS6_EEE10hipError_tPvRmT3_T4_T5_T6_T7_T9_mT8_P12ihipStream_tbDpT10_ENKUlT_T0_E_clISt17integral_constantIbLb0EES16_IbLb1EEEEDaS12_S13_EUlS12_E_NS1_11comp_targetILNS1_3genE8ELNS1_11target_archE1030ELNS1_3gpuE2ELNS1_3repE0EEENS1_30default_config_static_selectorELNS0_4arch9wavefront6targetE0EEEvT1_
; %bb.0:
	.section	.rodata,"a",@progbits
	.p2align	6, 0x0
	.amdhsa_kernel _ZN7rocprim17ROCPRIM_400000_NS6detail17trampoline_kernelINS0_14default_configENS1_25partition_config_selectorILNS1_17partition_subalgoE8EhNS0_10empty_typeEbEEZZNS1_14partition_implILS5_8ELb0ES3_jPKhPS6_PKS6_NS0_5tupleIJPhS6_EEENSE_IJSB_SB_EEENS0_18inequality_wrapperIN6hipcub16HIPCUB_304000_NS8EqualityEEEPlJS6_EEE10hipError_tPvRmT3_T4_T5_T6_T7_T9_mT8_P12ihipStream_tbDpT10_ENKUlT_T0_E_clISt17integral_constantIbLb0EES16_IbLb1EEEEDaS12_S13_EUlS12_E_NS1_11comp_targetILNS1_3genE8ELNS1_11target_archE1030ELNS1_3gpuE2ELNS1_3repE0EEENS1_30default_config_static_selectorELNS0_4arch9wavefront6targetE0EEEvT1_
		.amdhsa_group_segment_fixed_size 0
		.amdhsa_private_segment_fixed_size 0
		.amdhsa_kernarg_size 128
		.amdhsa_user_sgpr_count 2
		.amdhsa_user_sgpr_dispatch_ptr 0
		.amdhsa_user_sgpr_queue_ptr 0
		.amdhsa_user_sgpr_kernarg_segment_ptr 1
		.amdhsa_user_sgpr_dispatch_id 0
		.amdhsa_user_sgpr_kernarg_preload_length 0
		.amdhsa_user_sgpr_kernarg_preload_offset 0
		.amdhsa_user_sgpr_private_segment_size 0
		.amdhsa_wavefront_size32 1
		.amdhsa_uses_dynamic_stack 0
		.amdhsa_enable_private_segment 0
		.amdhsa_system_sgpr_workgroup_id_x 1
		.amdhsa_system_sgpr_workgroup_id_y 0
		.amdhsa_system_sgpr_workgroup_id_z 0
		.amdhsa_system_sgpr_workgroup_info 0
		.amdhsa_system_vgpr_workitem_id 0
		.amdhsa_next_free_vgpr 1
		.amdhsa_next_free_sgpr 1
		.amdhsa_named_barrier_count 0
		.amdhsa_reserve_vcc 0
		.amdhsa_float_round_mode_32 0
		.amdhsa_float_round_mode_16_64 0
		.amdhsa_float_denorm_mode_32 3
		.amdhsa_float_denorm_mode_16_64 3
		.amdhsa_fp16_overflow 0
		.amdhsa_memory_ordered 1
		.amdhsa_forward_progress 1
		.amdhsa_inst_pref_size 0
		.amdhsa_round_robin_scheduling 0
		.amdhsa_exception_fp_ieee_invalid_op 0
		.amdhsa_exception_fp_denorm_src 0
		.amdhsa_exception_fp_ieee_div_zero 0
		.amdhsa_exception_fp_ieee_overflow 0
		.amdhsa_exception_fp_ieee_underflow 0
		.amdhsa_exception_fp_ieee_inexact 0
		.amdhsa_exception_int_div_zero 0
	.end_amdhsa_kernel
	.section	.text._ZN7rocprim17ROCPRIM_400000_NS6detail17trampoline_kernelINS0_14default_configENS1_25partition_config_selectorILNS1_17partition_subalgoE8EhNS0_10empty_typeEbEEZZNS1_14partition_implILS5_8ELb0ES3_jPKhPS6_PKS6_NS0_5tupleIJPhS6_EEENSE_IJSB_SB_EEENS0_18inequality_wrapperIN6hipcub16HIPCUB_304000_NS8EqualityEEEPlJS6_EEE10hipError_tPvRmT3_T4_T5_T6_T7_T9_mT8_P12ihipStream_tbDpT10_ENKUlT_T0_E_clISt17integral_constantIbLb0EES16_IbLb1EEEEDaS12_S13_EUlS12_E_NS1_11comp_targetILNS1_3genE8ELNS1_11target_archE1030ELNS1_3gpuE2ELNS1_3repE0EEENS1_30default_config_static_selectorELNS0_4arch9wavefront6targetE0EEEvT1_,"axG",@progbits,_ZN7rocprim17ROCPRIM_400000_NS6detail17trampoline_kernelINS0_14default_configENS1_25partition_config_selectorILNS1_17partition_subalgoE8EhNS0_10empty_typeEbEEZZNS1_14partition_implILS5_8ELb0ES3_jPKhPS6_PKS6_NS0_5tupleIJPhS6_EEENSE_IJSB_SB_EEENS0_18inequality_wrapperIN6hipcub16HIPCUB_304000_NS8EqualityEEEPlJS6_EEE10hipError_tPvRmT3_T4_T5_T6_T7_T9_mT8_P12ihipStream_tbDpT10_ENKUlT_T0_E_clISt17integral_constantIbLb0EES16_IbLb1EEEEDaS12_S13_EUlS12_E_NS1_11comp_targetILNS1_3genE8ELNS1_11target_archE1030ELNS1_3gpuE2ELNS1_3repE0EEENS1_30default_config_static_selectorELNS0_4arch9wavefront6targetE0EEEvT1_,comdat
.Lfunc_end165:
	.size	_ZN7rocprim17ROCPRIM_400000_NS6detail17trampoline_kernelINS0_14default_configENS1_25partition_config_selectorILNS1_17partition_subalgoE8EhNS0_10empty_typeEbEEZZNS1_14partition_implILS5_8ELb0ES3_jPKhPS6_PKS6_NS0_5tupleIJPhS6_EEENSE_IJSB_SB_EEENS0_18inequality_wrapperIN6hipcub16HIPCUB_304000_NS8EqualityEEEPlJS6_EEE10hipError_tPvRmT3_T4_T5_T6_T7_T9_mT8_P12ihipStream_tbDpT10_ENKUlT_T0_E_clISt17integral_constantIbLb0EES16_IbLb1EEEEDaS12_S13_EUlS12_E_NS1_11comp_targetILNS1_3genE8ELNS1_11target_archE1030ELNS1_3gpuE2ELNS1_3repE0EEENS1_30default_config_static_selectorELNS0_4arch9wavefront6targetE0EEEvT1_, .Lfunc_end165-_ZN7rocprim17ROCPRIM_400000_NS6detail17trampoline_kernelINS0_14default_configENS1_25partition_config_selectorILNS1_17partition_subalgoE8EhNS0_10empty_typeEbEEZZNS1_14partition_implILS5_8ELb0ES3_jPKhPS6_PKS6_NS0_5tupleIJPhS6_EEENSE_IJSB_SB_EEENS0_18inequality_wrapperIN6hipcub16HIPCUB_304000_NS8EqualityEEEPlJS6_EEE10hipError_tPvRmT3_T4_T5_T6_T7_T9_mT8_P12ihipStream_tbDpT10_ENKUlT_T0_E_clISt17integral_constantIbLb0EES16_IbLb1EEEEDaS12_S13_EUlS12_E_NS1_11comp_targetILNS1_3genE8ELNS1_11target_archE1030ELNS1_3gpuE2ELNS1_3repE0EEENS1_30default_config_static_selectorELNS0_4arch9wavefront6targetE0EEEvT1_
                                        ; -- End function
	.set _ZN7rocprim17ROCPRIM_400000_NS6detail17trampoline_kernelINS0_14default_configENS1_25partition_config_selectorILNS1_17partition_subalgoE8EhNS0_10empty_typeEbEEZZNS1_14partition_implILS5_8ELb0ES3_jPKhPS6_PKS6_NS0_5tupleIJPhS6_EEENSE_IJSB_SB_EEENS0_18inequality_wrapperIN6hipcub16HIPCUB_304000_NS8EqualityEEEPlJS6_EEE10hipError_tPvRmT3_T4_T5_T6_T7_T9_mT8_P12ihipStream_tbDpT10_ENKUlT_T0_E_clISt17integral_constantIbLb0EES16_IbLb1EEEEDaS12_S13_EUlS12_E_NS1_11comp_targetILNS1_3genE8ELNS1_11target_archE1030ELNS1_3gpuE2ELNS1_3repE0EEENS1_30default_config_static_selectorELNS0_4arch9wavefront6targetE0EEEvT1_.num_vgpr, 0
	.set _ZN7rocprim17ROCPRIM_400000_NS6detail17trampoline_kernelINS0_14default_configENS1_25partition_config_selectorILNS1_17partition_subalgoE8EhNS0_10empty_typeEbEEZZNS1_14partition_implILS5_8ELb0ES3_jPKhPS6_PKS6_NS0_5tupleIJPhS6_EEENSE_IJSB_SB_EEENS0_18inequality_wrapperIN6hipcub16HIPCUB_304000_NS8EqualityEEEPlJS6_EEE10hipError_tPvRmT3_T4_T5_T6_T7_T9_mT8_P12ihipStream_tbDpT10_ENKUlT_T0_E_clISt17integral_constantIbLb0EES16_IbLb1EEEEDaS12_S13_EUlS12_E_NS1_11comp_targetILNS1_3genE8ELNS1_11target_archE1030ELNS1_3gpuE2ELNS1_3repE0EEENS1_30default_config_static_selectorELNS0_4arch9wavefront6targetE0EEEvT1_.num_agpr, 0
	.set _ZN7rocprim17ROCPRIM_400000_NS6detail17trampoline_kernelINS0_14default_configENS1_25partition_config_selectorILNS1_17partition_subalgoE8EhNS0_10empty_typeEbEEZZNS1_14partition_implILS5_8ELb0ES3_jPKhPS6_PKS6_NS0_5tupleIJPhS6_EEENSE_IJSB_SB_EEENS0_18inequality_wrapperIN6hipcub16HIPCUB_304000_NS8EqualityEEEPlJS6_EEE10hipError_tPvRmT3_T4_T5_T6_T7_T9_mT8_P12ihipStream_tbDpT10_ENKUlT_T0_E_clISt17integral_constantIbLb0EES16_IbLb1EEEEDaS12_S13_EUlS12_E_NS1_11comp_targetILNS1_3genE8ELNS1_11target_archE1030ELNS1_3gpuE2ELNS1_3repE0EEENS1_30default_config_static_selectorELNS0_4arch9wavefront6targetE0EEEvT1_.numbered_sgpr, 0
	.set _ZN7rocprim17ROCPRIM_400000_NS6detail17trampoline_kernelINS0_14default_configENS1_25partition_config_selectorILNS1_17partition_subalgoE8EhNS0_10empty_typeEbEEZZNS1_14partition_implILS5_8ELb0ES3_jPKhPS6_PKS6_NS0_5tupleIJPhS6_EEENSE_IJSB_SB_EEENS0_18inequality_wrapperIN6hipcub16HIPCUB_304000_NS8EqualityEEEPlJS6_EEE10hipError_tPvRmT3_T4_T5_T6_T7_T9_mT8_P12ihipStream_tbDpT10_ENKUlT_T0_E_clISt17integral_constantIbLb0EES16_IbLb1EEEEDaS12_S13_EUlS12_E_NS1_11comp_targetILNS1_3genE8ELNS1_11target_archE1030ELNS1_3gpuE2ELNS1_3repE0EEENS1_30default_config_static_selectorELNS0_4arch9wavefront6targetE0EEEvT1_.num_named_barrier, 0
	.set _ZN7rocprim17ROCPRIM_400000_NS6detail17trampoline_kernelINS0_14default_configENS1_25partition_config_selectorILNS1_17partition_subalgoE8EhNS0_10empty_typeEbEEZZNS1_14partition_implILS5_8ELb0ES3_jPKhPS6_PKS6_NS0_5tupleIJPhS6_EEENSE_IJSB_SB_EEENS0_18inequality_wrapperIN6hipcub16HIPCUB_304000_NS8EqualityEEEPlJS6_EEE10hipError_tPvRmT3_T4_T5_T6_T7_T9_mT8_P12ihipStream_tbDpT10_ENKUlT_T0_E_clISt17integral_constantIbLb0EES16_IbLb1EEEEDaS12_S13_EUlS12_E_NS1_11comp_targetILNS1_3genE8ELNS1_11target_archE1030ELNS1_3gpuE2ELNS1_3repE0EEENS1_30default_config_static_selectorELNS0_4arch9wavefront6targetE0EEEvT1_.private_seg_size, 0
	.set _ZN7rocprim17ROCPRIM_400000_NS6detail17trampoline_kernelINS0_14default_configENS1_25partition_config_selectorILNS1_17partition_subalgoE8EhNS0_10empty_typeEbEEZZNS1_14partition_implILS5_8ELb0ES3_jPKhPS6_PKS6_NS0_5tupleIJPhS6_EEENSE_IJSB_SB_EEENS0_18inequality_wrapperIN6hipcub16HIPCUB_304000_NS8EqualityEEEPlJS6_EEE10hipError_tPvRmT3_T4_T5_T6_T7_T9_mT8_P12ihipStream_tbDpT10_ENKUlT_T0_E_clISt17integral_constantIbLb0EES16_IbLb1EEEEDaS12_S13_EUlS12_E_NS1_11comp_targetILNS1_3genE8ELNS1_11target_archE1030ELNS1_3gpuE2ELNS1_3repE0EEENS1_30default_config_static_selectorELNS0_4arch9wavefront6targetE0EEEvT1_.uses_vcc, 0
	.set _ZN7rocprim17ROCPRIM_400000_NS6detail17trampoline_kernelINS0_14default_configENS1_25partition_config_selectorILNS1_17partition_subalgoE8EhNS0_10empty_typeEbEEZZNS1_14partition_implILS5_8ELb0ES3_jPKhPS6_PKS6_NS0_5tupleIJPhS6_EEENSE_IJSB_SB_EEENS0_18inequality_wrapperIN6hipcub16HIPCUB_304000_NS8EqualityEEEPlJS6_EEE10hipError_tPvRmT3_T4_T5_T6_T7_T9_mT8_P12ihipStream_tbDpT10_ENKUlT_T0_E_clISt17integral_constantIbLb0EES16_IbLb1EEEEDaS12_S13_EUlS12_E_NS1_11comp_targetILNS1_3genE8ELNS1_11target_archE1030ELNS1_3gpuE2ELNS1_3repE0EEENS1_30default_config_static_selectorELNS0_4arch9wavefront6targetE0EEEvT1_.uses_flat_scratch, 0
	.set _ZN7rocprim17ROCPRIM_400000_NS6detail17trampoline_kernelINS0_14default_configENS1_25partition_config_selectorILNS1_17partition_subalgoE8EhNS0_10empty_typeEbEEZZNS1_14partition_implILS5_8ELb0ES3_jPKhPS6_PKS6_NS0_5tupleIJPhS6_EEENSE_IJSB_SB_EEENS0_18inequality_wrapperIN6hipcub16HIPCUB_304000_NS8EqualityEEEPlJS6_EEE10hipError_tPvRmT3_T4_T5_T6_T7_T9_mT8_P12ihipStream_tbDpT10_ENKUlT_T0_E_clISt17integral_constantIbLb0EES16_IbLb1EEEEDaS12_S13_EUlS12_E_NS1_11comp_targetILNS1_3genE8ELNS1_11target_archE1030ELNS1_3gpuE2ELNS1_3repE0EEENS1_30default_config_static_selectorELNS0_4arch9wavefront6targetE0EEEvT1_.has_dyn_sized_stack, 0
	.set _ZN7rocprim17ROCPRIM_400000_NS6detail17trampoline_kernelINS0_14default_configENS1_25partition_config_selectorILNS1_17partition_subalgoE8EhNS0_10empty_typeEbEEZZNS1_14partition_implILS5_8ELb0ES3_jPKhPS6_PKS6_NS0_5tupleIJPhS6_EEENSE_IJSB_SB_EEENS0_18inequality_wrapperIN6hipcub16HIPCUB_304000_NS8EqualityEEEPlJS6_EEE10hipError_tPvRmT3_T4_T5_T6_T7_T9_mT8_P12ihipStream_tbDpT10_ENKUlT_T0_E_clISt17integral_constantIbLb0EES16_IbLb1EEEEDaS12_S13_EUlS12_E_NS1_11comp_targetILNS1_3genE8ELNS1_11target_archE1030ELNS1_3gpuE2ELNS1_3repE0EEENS1_30default_config_static_selectorELNS0_4arch9wavefront6targetE0EEEvT1_.has_recursion, 0
	.set _ZN7rocprim17ROCPRIM_400000_NS6detail17trampoline_kernelINS0_14default_configENS1_25partition_config_selectorILNS1_17partition_subalgoE8EhNS0_10empty_typeEbEEZZNS1_14partition_implILS5_8ELb0ES3_jPKhPS6_PKS6_NS0_5tupleIJPhS6_EEENSE_IJSB_SB_EEENS0_18inequality_wrapperIN6hipcub16HIPCUB_304000_NS8EqualityEEEPlJS6_EEE10hipError_tPvRmT3_T4_T5_T6_T7_T9_mT8_P12ihipStream_tbDpT10_ENKUlT_T0_E_clISt17integral_constantIbLb0EES16_IbLb1EEEEDaS12_S13_EUlS12_E_NS1_11comp_targetILNS1_3genE8ELNS1_11target_archE1030ELNS1_3gpuE2ELNS1_3repE0EEENS1_30default_config_static_selectorELNS0_4arch9wavefront6targetE0EEEvT1_.has_indirect_call, 0
	.section	.AMDGPU.csdata,"",@progbits
; Kernel info:
; codeLenInByte = 0
; TotalNumSgprs: 0
; NumVgprs: 0
; ScratchSize: 0
; MemoryBound: 0
; FloatMode: 240
; IeeeMode: 1
; LDSByteSize: 0 bytes/workgroup (compile time only)
; SGPRBlocks: 0
; VGPRBlocks: 0
; NumSGPRsForWavesPerEU: 1
; NumVGPRsForWavesPerEU: 1
; NamedBarCnt: 0
; Occupancy: 16
; WaveLimiterHint : 0
; COMPUTE_PGM_RSRC2:SCRATCH_EN: 0
; COMPUTE_PGM_RSRC2:USER_SGPR: 2
; COMPUTE_PGM_RSRC2:TRAP_HANDLER: 0
; COMPUTE_PGM_RSRC2:TGID_X_EN: 1
; COMPUTE_PGM_RSRC2:TGID_Y_EN: 0
; COMPUTE_PGM_RSRC2:TGID_Z_EN: 0
; COMPUTE_PGM_RSRC2:TIDIG_COMP_CNT: 0
	.section	.text._ZN7rocprim17ROCPRIM_400000_NS6detail17trampoline_kernelINS0_14default_configENS1_33run_length_encode_config_selectorIhjNS0_4plusIjEEEEZZNS1_33reduce_by_key_impl_wrapped_configILNS1_25lookback_scan_determinismE0ES3_S7_PKhNS0_17constant_iteratorIjlEEPhPlSF_S6_NS0_8equal_toIhEEEE10hipError_tPvRmT2_T3_mT4_T5_T6_T7_T8_P12ihipStream_tbENKUlT_T0_E_clISt17integral_constantIbLb0EESZ_EEDaSU_SV_EUlSU_E_NS1_11comp_targetILNS1_3genE0ELNS1_11target_archE4294967295ELNS1_3gpuE0ELNS1_3repE0EEENS1_30default_config_static_selectorELNS0_4arch9wavefront6targetE0EEEvT1_,"axG",@progbits,_ZN7rocprim17ROCPRIM_400000_NS6detail17trampoline_kernelINS0_14default_configENS1_33run_length_encode_config_selectorIhjNS0_4plusIjEEEEZZNS1_33reduce_by_key_impl_wrapped_configILNS1_25lookback_scan_determinismE0ES3_S7_PKhNS0_17constant_iteratorIjlEEPhPlSF_S6_NS0_8equal_toIhEEEE10hipError_tPvRmT2_T3_mT4_T5_T6_T7_T8_P12ihipStream_tbENKUlT_T0_E_clISt17integral_constantIbLb0EESZ_EEDaSU_SV_EUlSU_E_NS1_11comp_targetILNS1_3genE0ELNS1_11target_archE4294967295ELNS1_3gpuE0ELNS1_3repE0EEENS1_30default_config_static_selectorELNS0_4arch9wavefront6targetE0EEEvT1_,comdat
	.protected	_ZN7rocprim17ROCPRIM_400000_NS6detail17trampoline_kernelINS0_14default_configENS1_33run_length_encode_config_selectorIhjNS0_4plusIjEEEEZZNS1_33reduce_by_key_impl_wrapped_configILNS1_25lookback_scan_determinismE0ES3_S7_PKhNS0_17constant_iteratorIjlEEPhPlSF_S6_NS0_8equal_toIhEEEE10hipError_tPvRmT2_T3_mT4_T5_T6_T7_T8_P12ihipStream_tbENKUlT_T0_E_clISt17integral_constantIbLb0EESZ_EEDaSU_SV_EUlSU_E_NS1_11comp_targetILNS1_3genE0ELNS1_11target_archE4294967295ELNS1_3gpuE0ELNS1_3repE0EEENS1_30default_config_static_selectorELNS0_4arch9wavefront6targetE0EEEvT1_ ; -- Begin function _ZN7rocprim17ROCPRIM_400000_NS6detail17trampoline_kernelINS0_14default_configENS1_33run_length_encode_config_selectorIhjNS0_4plusIjEEEEZZNS1_33reduce_by_key_impl_wrapped_configILNS1_25lookback_scan_determinismE0ES3_S7_PKhNS0_17constant_iteratorIjlEEPhPlSF_S6_NS0_8equal_toIhEEEE10hipError_tPvRmT2_T3_mT4_T5_T6_T7_T8_P12ihipStream_tbENKUlT_T0_E_clISt17integral_constantIbLb0EESZ_EEDaSU_SV_EUlSU_E_NS1_11comp_targetILNS1_3genE0ELNS1_11target_archE4294967295ELNS1_3gpuE0ELNS1_3repE0EEENS1_30default_config_static_selectorELNS0_4arch9wavefront6targetE0EEEvT1_
	.globl	_ZN7rocprim17ROCPRIM_400000_NS6detail17trampoline_kernelINS0_14default_configENS1_33run_length_encode_config_selectorIhjNS0_4plusIjEEEEZZNS1_33reduce_by_key_impl_wrapped_configILNS1_25lookback_scan_determinismE0ES3_S7_PKhNS0_17constant_iteratorIjlEEPhPlSF_S6_NS0_8equal_toIhEEEE10hipError_tPvRmT2_T3_mT4_T5_T6_T7_T8_P12ihipStream_tbENKUlT_T0_E_clISt17integral_constantIbLb0EESZ_EEDaSU_SV_EUlSU_E_NS1_11comp_targetILNS1_3genE0ELNS1_11target_archE4294967295ELNS1_3gpuE0ELNS1_3repE0EEENS1_30default_config_static_selectorELNS0_4arch9wavefront6targetE0EEEvT1_
	.p2align	8
	.type	_ZN7rocprim17ROCPRIM_400000_NS6detail17trampoline_kernelINS0_14default_configENS1_33run_length_encode_config_selectorIhjNS0_4plusIjEEEEZZNS1_33reduce_by_key_impl_wrapped_configILNS1_25lookback_scan_determinismE0ES3_S7_PKhNS0_17constant_iteratorIjlEEPhPlSF_S6_NS0_8equal_toIhEEEE10hipError_tPvRmT2_T3_mT4_T5_T6_T7_T8_P12ihipStream_tbENKUlT_T0_E_clISt17integral_constantIbLb0EESZ_EEDaSU_SV_EUlSU_E_NS1_11comp_targetILNS1_3genE0ELNS1_11target_archE4294967295ELNS1_3gpuE0ELNS1_3repE0EEENS1_30default_config_static_selectorELNS0_4arch9wavefront6targetE0EEEvT1_,@function
_ZN7rocprim17ROCPRIM_400000_NS6detail17trampoline_kernelINS0_14default_configENS1_33run_length_encode_config_selectorIhjNS0_4plusIjEEEEZZNS1_33reduce_by_key_impl_wrapped_configILNS1_25lookback_scan_determinismE0ES3_S7_PKhNS0_17constant_iteratorIjlEEPhPlSF_S6_NS0_8equal_toIhEEEE10hipError_tPvRmT2_T3_mT4_T5_T6_T7_T8_P12ihipStream_tbENKUlT_T0_E_clISt17integral_constantIbLb0EESZ_EEDaSU_SV_EUlSU_E_NS1_11comp_targetILNS1_3genE0ELNS1_11target_archE4294967295ELNS1_3gpuE0ELNS1_3repE0EEENS1_30default_config_static_selectorELNS0_4arch9wavefront6targetE0EEEvT1_: ; @_ZN7rocprim17ROCPRIM_400000_NS6detail17trampoline_kernelINS0_14default_configENS1_33run_length_encode_config_selectorIhjNS0_4plusIjEEEEZZNS1_33reduce_by_key_impl_wrapped_configILNS1_25lookback_scan_determinismE0ES3_S7_PKhNS0_17constant_iteratorIjlEEPhPlSF_S6_NS0_8equal_toIhEEEE10hipError_tPvRmT2_T3_mT4_T5_T6_T7_T8_P12ihipStream_tbENKUlT_T0_E_clISt17integral_constantIbLb0EESZ_EEDaSU_SV_EUlSU_E_NS1_11comp_targetILNS1_3genE0ELNS1_11target_archE4294967295ELNS1_3gpuE0ELNS1_3repE0EEENS1_30default_config_static_selectorELNS0_4arch9wavefront6targetE0EEEvT1_
; %bb.0:
	s_clause 0x1
	s_load_b256 s[16:23], s[0:1], 0x40
	s_load_b128 s[8:11], s[0:1], 0x0
	s_bfe_u32 s4, ttmp6, 0x4000c
	s_load_b128 s[24:27], s[0:1], 0x60
	s_add_co_i32 s6, s4, 1
	s_load_b32 s4, s[0:1], 0x10
	s_and_b32 s2, ttmp6, 15
	s_mul_i32 s6, ttmp9, s6
	s_getreg_b32 s5, hwreg(HW_REG_IB_STS2, 6, 4)
	s_add_co_i32 s2, s2, s6
	s_mov_b32 s3, 0
	s_cmp_eq_u32 s5, 0
	s_mov_b32 s29, s3
	s_cselect_b32 s28, ttmp9, s2
	v_mad_u32_u24 v2, v0, 13, v0
	s_mul_i32 s2, s28, 0xe00
	s_wait_kmcnt 0x0
	s_mul_u64 s[6:7], s[20:21], s[18:19]
	s_add_nc_u64 s[12:13], s[22:23], -1
	s_add_nc_u64 s[22:23], s[6:7], s[28:29]
	s_add_nc_u64 s[6:7], s[8:9], s[10:11]
	s_cmp_eq_u64 s[22:23], s[12:13]
	s_add_nc_u64 s[20:21], s[6:7], s[2:3]
	s_cselect_b32 s15, -1, 0
	s_cmp_lg_u64 s[22:23], s[12:13]
	s_mul_i32 s29, s12, 0xfffff200
	s_cselect_b32 s2, -1, 0
	s_and_b32 vcc_lo, exec_lo, s15
	s_cbranch_vccnz .LBB166_2
; %bb.1:
	s_clause 0xd
	global_load_u8 v1, v0, s[20:21]
	global_load_u8 v3, v0, s[20:21] offset:256
	global_load_u8 v4, v0, s[20:21] offset:512
	;; [unrolled: 1-line block ×13, first 2 shown]
	s_mov_b32 s5, 0
	s_mov_b32 s3, -1
	s_wait_loadcnt 0xd
	ds_store_b8 v0, v1
	s_wait_loadcnt 0xc
	ds_store_b8 v0, v3 offset:256
	s_wait_loadcnt 0xb
	ds_store_b8 v0, v4 offset:512
	s_wait_loadcnt 0xa
	ds_store_b8 v0, v5 offset:768
	s_wait_loadcnt 0x9
	ds_store_b8 v0, v6 offset:1024
	s_wait_loadcnt 0x8
	ds_store_b8 v0, v7 offset:1280
	s_wait_loadcnt 0x7
	ds_store_b8 v0, v8 offset:1536
	s_wait_loadcnt 0x6
	ds_store_b8 v0, v9 offset:1792
	s_wait_loadcnt 0x5
	ds_store_b8 v0, v10 offset:2048
	s_wait_loadcnt 0x4
	ds_store_b8 v0, v11 offset:2304
	s_wait_loadcnt 0x3
	ds_store_b8 v0, v12 offset:2560
	s_wait_loadcnt 0x2
	ds_store_b8 v0, v13 offset:2816
	s_wait_loadcnt 0x1
	ds_store_b8 v0, v14 offset:3072
	s_wait_loadcnt 0x0
	ds_store_b8 v0, v15 offset:3328
	s_wait_dscnt 0x0
	s_barrier_signal -1
	s_barrier_wait -1
	ds_load_u16 v1, v2
	ds_load_b96 v[10:12], v2 offset:2
	s_wait_dscnt 0x1
	v_lshrrev_b16 v13, 8, v1
	s_branch .LBB166_3
.LBB166_2:
	s_mov_b32 s5, -1
                                        ; implicit-def: $vgpr10
                                        ; implicit-def: $vgpr1
                                        ; implicit-def: $vgpr13
.LBB166_3:
	v_dual_mov_b32 v50, s4 :: v_dual_mov_b32 v51, s4
	v_dual_mov_b32 v52, s4 :: v_dual_mov_b32 v54, s4
	;; [unrolled: 1-line block ×6, first 2 shown]
	v_mov_b32_e32 v53, s4
	s_and_not1_b32 vcc_lo, exec_lo, s5
	s_add_co_i32 s29, s29, s24
                                        ; implicit-def: $vgpr76
	s_cbranch_vccnz .LBB166_33
; %bb.4:
	s_mov_b32 s3, exec_lo
                                        ; implicit-def: $vgpr1
	v_cmpx_gt_u32_e64 s29, v0
	s_cbranch_execz .LBB166_6
; %bb.5:
	global_load_u8 v1, v0, s[20:21]
.LBB166_6:
	s_wait_xcnt 0x0
	s_or_b32 exec_lo, exec_lo, s3
	v_or_b32_e32 v3, 0x100, v0
	s_delay_alu instid0(VALU_DEP_1)
	v_cmp_gt_u32_e32 vcc_lo, s29, v3
                                        ; implicit-def: $vgpr3
	s_and_saveexec_b32 s3, vcc_lo
	s_cbranch_execz .LBB166_8
; %bb.7:
	global_load_u8 v3, v0, s[20:21] offset:256
.LBB166_8:
	s_wait_xcnt 0x0
	s_or_b32 exec_lo, exec_lo, s3
	v_or_b32_e32 v4, 0x200, v0
	s_delay_alu instid0(VALU_DEP_1)
	v_cmp_gt_u32_e32 vcc_lo, s29, v4
                                        ; implicit-def: $vgpr4
	s_and_saveexec_b32 s3, vcc_lo
	s_cbranch_execz .LBB166_10
; %bb.9:
	global_load_u8 v4, v0, s[20:21] offset:512
.LBB166_10:
	s_wait_xcnt 0x0
	s_or_b32 exec_lo, exec_lo, s3
	v_or_b32_e32 v5, 0x300, v0
	s_delay_alu instid0(VALU_DEP_1)
	v_cmp_gt_u32_e32 vcc_lo, s29, v5
                                        ; implicit-def: $vgpr5
	s_and_saveexec_b32 s3, vcc_lo
	s_cbranch_execz .LBB166_12
; %bb.11:
	global_load_u8 v5, v0, s[20:21] offset:768
.LBB166_12:
	s_wait_xcnt 0x0
	s_or_b32 exec_lo, exec_lo, s3
	v_or_b32_e32 v6, 0x400, v0
	s_delay_alu instid0(VALU_DEP_1)
	v_cmp_gt_u32_e32 vcc_lo, s29, v6
                                        ; implicit-def: $vgpr6
	s_and_saveexec_b32 s3, vcc_lo
	s_cbranch_execz .LBB166_14
; %bb.13:
	global_load_u8 v6, v0, s[20:21] offset:1024
.LBB166_14:
	s_wait_xcnt 0x0
	s_or_b32 exec_lo, exec_lo, s3
	v_or_b32_e32 v7, 0x500, v0
	s_delay_alu instid0(VALU_DEP_1)
	v_cmp_gt_u32_e32 vcc_lo, s29, v7
                                        ; implicit-def: $vgpr7
	s_and_saveexec_b32 s3, vcc_lo
	s_cbranch_execz .LBB166_16
; %bb.15:
	global_load_u8 v7, v0, s[20:21] offset:1280
.LBB166_16:
	s_wait_xcnt 0x0
	s_or_b32 exec_lo, exec_lo, s3
	v_or_b32_e32 v8, 0x600, v0
	s_delay_alu instid0(VALU_DEP_1)
	v_cmp_gt_u32_e32 vcc_lo, s29, v8
                                        ; implicit-def: $vgpr8
	s_and_saveexec_b32 s3, vcc_lo
	s_cbranch_execz .LBB166_18
; %bb.17:
	global_load_u8 v8, v0, s[20:21] offset:1536
.LBB166_18:
	s_wait_xcnt 0x0
	s_or_b32 exec_lo, exec_lo, s3
	v_or_b32_e32 v9, 0x700, v0
	s_delay_alu instid0(VALU_DEP_1)
	v_cmp_gt_u32_e32 vcc_lo, s29, v9
                                        ; implicit-def: $vgpr9
	s_and_saveexec_b32 s3, vcc_lo
	s_cbranch_execz .LBB166_20
; %bb.19:
	global_load_u8 v9, v0, s[20:21] offset:1792
.LBB166_20:
	s_wait_xcnt 0x0
	s_or_b32 exec_lo, exec_lo, s3
	s_wait_dscnt 0x0
	v_or_b32_e32 v10, 0x800, v0
	s_delay_alu instid0(VALU_DEP_1)
	v_cmp_gt_u32_e32 vcc_lo, s29, v10
                                        ; implicit-def: $vgpr10
	s_and_saveexec_b32 s3, vcc_lo
	s_cbranch_execz .LBB166_22
; %bb.21:
	global_load_u8 v10, v0, s[20:21] offset:2048
.LBB166_22:
	s_wait_xcnt 0x0
	s_or_b32 exec_lo, exec_lo, s3
	v_or_b32_e32 v11, 0x900, v0
	s_delay_alu instid0(VALU_DEP_1)
	v_cmp_gt_u32_e32 vcc_lo, s29, v11
                                        ; implicit-def: $vgpr11
	s_and_saveexec_b32 s3, vcc_lo
	s_cbranch_execz .LBB166_24
; %bb.23:
	global_load_u8 v11, v0, s[20:21] offset:2304
.LBB166_24:
	s_wait_xcnt 0x0
	s_or_b32 exec_lo, exec_lo, s3
	v_or_b32_e32 v12, 0xa00, v0
	s_delay_alu instid0(VALU_DEP_1)
	v_cmp_gt_u32_e32 vcc_lo, s29, v12
                                        ; implicit-def: $vgpr12
	s_and_saveexec_b32 s3, vcc_lo
	s_cbranch_execz .LBB166_26
; %bb.25:
	global_load_u8 v12, v0, s[20:21] offset:2560
.LBB166_26:
	s_wait_xcnt 0x0
	s_or_b32 exec_lo, exec_lo, s3
	v_or_b32_e32 v13, 0xb00, v0
	s_delay_alu instid0(VALU_DEP_1)
	v_cmp_gt_u32_e32 vcc_lo, s29, v13
                                        ; implicit-def: $vgpr13
	s_and_saveexec_b32 s3, vcc_lo
	s_cbranch_execz .LBB166_28
; %bb.27:
	global_load_u8 v13, v0, s[20:21] offset:2816
.LBB166_28:
	s_wait_xcnt 0x0
	s_or_b32 exec_lo, exec_lo, s3
	v_or_b32_e32 v14, 0xc00, v0
	s_delay_alu instid0(VALU_DEP_1)
	v_cmp_gt_u32_e32 vcc_lo, s29, v14
                                        ; implicit-def: $vgpr14
	s_and_saveexec_b32 s3, vcc_lo
	s_cbranch_execz .LBB166_30
; %bb.29:
	global_load_u8 v14, v0, s[20:21] offset:3072
.LBB166_30:
	s_wait_xcnt 0x0
	s_or_b32 exec_lo, exec_lo, s3
	v_or_b32_e32 v15, 0xd00, v0
	s_delay_alu instid0(VALU_DEP_1)
	v_cmp_gt_u32_e32 vcc_lo, s29, v15
                                        ; implicit-def: $vgpr15
	s_and_saveexec_b32 s3, vcc_lo
	s_cbranch_execz .LBB166_32
; %bb.31:
	global_load_u8 v15, v0, s[20:21] offset:3328
.LBB166_32:
	s_wait_xcnt 0x0
	s_or_b32 exec_lo, exec_lo, s3
	s_wait_loadcnt 0x0
	ds_store_b8 v0, v1
	ds_store_b8 v0, v3 offset:256
	ds_store_b8 v0, v4 offset:512
	;; [unrolled: 1-line block ×13, first 2 shown]
	v_mul_u32_u24_e32 v3, 14, v0
	s_wait_dscnt 0x0
	s_barrier_signal -1
	s_barrier_wait -1
	ds_load_u16 v1, v2
	ds_load_b96 v[10:12], v2 offset:2
	v_dual_mov_b32 v76, 0 :: v_dual_bitop2_b32 v2, 1, v3 bitop3:0x54
	v_cmp_gt_u32_e32 vcc_lo, s29, v3
	v_mad_u32_u24 v3, v0, 14, 2
	v_mad_u32_u24 v4, v0, 14, 4
	v_cndmask_b32_e64 v53, 0, s4, vcc_lo
	v_cmp_gt_u32_e32 vcc_lo, s29, v2
	v_mad_u32_u24 v2, v0, 14, 3
	v_cndmask_b32_e64 v55, 0, s4, vcc_lo
	v_cmp_gt_u32_e32 vcc_lo, s29, v3
	v_mad_u32_u24 v3, v0, 14, 5
	s_wait_dscnt 0x1
	v_lshrrev_b16 v13, 8, v1
	v_cndmask_b32_e64 v72, 0, s4, vcc_lo
	v_cmp_gt_u32_e32 vcc_lo, s29, v2
	v_mad_u32_u24 v2, v0, 14, 6
	v_cndmask_b32_e64 v74, 0, s4, vcc_lo
	v_cmp_gt_u32_e32 vcc_lo, s29, v4
	v_mad_u32_u24 v4, v0, 14, 8
	;; [unrolled: 3-line block ×8, first 2 shown]
	v_cndmask_b32_e64 v52, 0, s4, vcc_lo
	v_cmp_gt_u32_e32 vcc_lo, s29, v2
	s_delay_alu instid0(VALU_DEP_3)
	v_cmp_gt_u32_e64 s3, s29, v3
	v_cndmask_b32_e64 v51, 0, s4, vcc_lo
	v_cmp_gt_u32_e32 vcc_lo, s29, v4
	v_cndmask_b32_e64 v50, 0, s4, vcc_lo
.LBB166_33:
	s_delay_alu instid0(VALU_DEP_4)
	s_and_saveexec_b32 s5, s3
; %bb.34:
	v_mov_b32_e32 v76, s4
; %bb.35:
	s_or_b32 exec_lo, exec_lo, s5
	s_load_b64 s[30:31], s[0:1], 0x70
	s_cmp_eq_u64 s[22:23], 0
	s_wait_dscnt 0x0
	s_cselect_b32 s33, -1, 0
	s_cmp_lg_u64 s[22:23], 0
	s_barrier_signal -1
	s_cselect_b32 s36, -1, 0
	s_and_b32 vcc_lo, exec_lo, s2
	s_barrier_wait -1
	s_cbranch_vccz .LBB166_40
; %bb.36:
	s_and_b32 vcc_lo, exec_lo, s36
	s_cbranch_vccz .LBB166_41
; %bb.37:
	v_dual_mov_b32 v2, 0 :: v_dual_lshrrev_b32 v3, 16, v12
	v_dual_lshrrev_b32 v4, 24, v12 :: v_dual_lshrrev_b32 v5, 8, v12
	v_dual_lshrrev_b32 v6, 16, v11 :: v_dual_lshrrev_b32 v7, 16, v10
	global_load_u8 v2, v2, s[20:21] offset:-1
	v_and_b32_e32 v3, 0xff, v3
	v_and_b32_e32 v5, 0xff, v5
	ds_store_b8 v0, v4
	v_and_b32_e32 v8, 0xff, v12
	v_lshrrev_b32_e32 v9, 8, v11
	v_cmp_ne_u16_e32 vcc_lo, v3, v4
	v_lshrrev_b32_e32 v4, 24, v11
	v_cmp_ne_u16_e64 s2, v5, v3
	v_and_b32_e32 v3, 0xff, v6
	v_cmp_ne_u16_e64 s3, v8, v5
	v_and_b32_e32 v5, 0xff, v9
	;; [unrolled: 2-line block ×3, first 2 shown]
	v_lshrrev_b32_e32 v8, 24, v10
	v_cmp_ne_u16_e64 s5, v3, v4
	v_lshrrev_b32_e32 v4, 8, v10
	v_cmp_ne_u16_e64 s6, v5, v3
	v_cmp_ne_u16_e64 s7, v6, v5
	;; [unrolled: 1-line block ×3, first 2 shown]
	v_and_b32_e32 v5, 0xff, v7
	v_and_b32_e32 v4, 0xff, v4
	;; [unrolled: 1-line block ×5, first 2 shown]
	v_cmp_ne_u16_e64 s13, v5, v8
	v_cmp_ne_u16_e64 s9, v4, v5
	;; [unrolled: 1-line block ×5, first 2 shown]
	s_mov_b32 s37, 0
	s_mov_b32 s34, exec_lo
	s_wait_loadcnt_dscnt 0x0
	s_barrier_signal -1
	s_barrier_wait -1
	v_cmpx_ne_u32_e32 0, v0
; %bb.38:
	v_add_nc_u32_e32 v2, -1, v0
	ds_load_u8 v2, v2
; %bb.39:
	s_or_b32 exec_lo, exec_lo, s34
	s_wait_dscnt 0x0
	v_and_b32_e32 v2, 0xff, v2
	v_cndmask_b32_e64 v61, 0, 1, vcc_lo
	v_cndmask_b32_e64 v59, 0, 1, s2
	v_cndmask_b32_e64 v56, 0, 1, s3
	;; [unrolled: 1-line block ×12, first 2 shown]
	v_cmp_ne_u16_e64 s35, v2, v3
	s_mov_b32 s34, -1
	s_and_b32 vcc_lo, exec_lo, s37
	s_cbranch_vccnz .LBB166_42
	s_branch .LBB166_45
.LBB166_40:
	s_mov_b32 s34, 0
                                        ; implicit-def: $sgpr35
                                        ; implicit-def: $vgpr61
                                        ; implicit-def: $vgpr59
                                        ; implicit-def: $vgpr56
                                        ; implicit-def: $vgpr21
                                        ; implicit-def: $vgpr57
                                        ; implicit-def: $vgpr58
                                        ; implicit-def: $vgpr60
                                        ; implicit-def: $vgpr62
                                        ; implicit-def: $vgpr64
                                        ; implicit-def: $vgpr63
                                        ; implicit-def: $vgpr65
                                        ; implicit-def: $vgpr66
                                        ; implicit-def: $vgpr67
	s_cbranch_execnz .LBB166_46
	s_branch .LBB166_54
.LBB166_41:
	s_mov_b32 s34, 0
                                        ; implicit-def: $sgpr35
                                        ; implicit-def: $vgpr61
                                        ; implicit-def: $vgpr59
                                        ; implicit-def: $vgpr56
                                        ; implicit-def: $vgpr21
                                        ; implicit-def: $vgpr57
                                        ; implicit-def: $vgpr58
                                        ; implicit-def: $vgpr60
                                        ; implicit-def: $vgpr62
                                        ; implicit-def: $vgpr64
                                        ; implicit-def: $vgpr63
                                        ; implicit-def: $vgpr65
                                        ; implicit-def: $vgpr66
                                        ; implicit-def: $vgpr67
	s_cbranch_execz .LBB166_45
.LBB166_42:
	v_dual_lshrrev_b32 v2, 16, v12 :: v_dual_lshrrev_b32 v3, 16, v11
	v_dual_lshrrev_b32 v4, 8, v12 :: v_dual_lshrrev_b32 v5, 16, v10
	;; [unrolled: 1-line block ×3, first 2 shown]
	s_delay_alu instid0(VALU_DEP_3) | instskip(SKIP_1) | instid1(VALU_DEP_4)
	v_and_b32_e32 v2, 0xff, v2
	v_and_b32_e32 v7, 0xff, v12
	;; [unrolled: 1-line block ×3, first 2 shown]
	ds_store_b8 v0, v6
	v_cmp_ne_u32_e64 s14, 0, v0
	v_cmp_ne_u16_e32 vcc_lo, v2, v6
	v_lshrrev_b32_e32 v6, 8, v11
	v_cmp_ne_u16_e64 s2, v4, v2
	v_cmp_ne_u16_e64 s3, v7, v4
	v_and_b32_e32 v2, 0xff, v3
	v_cmp_ne_u16_e64 s4, v8, v7
	v_and_b32_e32 v4, 0xff, v11
	v_lshrrev_b32_e32 v7, 8, v10
	v_and_b32_e32 v3, 0xff, v6
	v_lshrrev_b32_e32 v6, 24, v10
	v_cmp_ne_u16_e64 s5, v2, v8
	s_wait_dscnt 0x0
	s_barrier_signal -1
	v_cmp_ne_u16_e64 s6, v3, v2
	v_cmp_ne_u16_e64 s7, v4, v3
	;; [unrolled: 1-line block ×3, first 2 shown]
	v_and_b32_e32 v3, 0xff, v5
	v_and_b32_e32 v4, 0xff, v7
	v_and_b32_e32 v5, 0xff, v10
	v_and_b32_e32 v7, 0xff, v13
	v_and_b32_e32 v2, 0xff, v1
	v_cmp_ne_u16_e64 s9, v3, v6
	v_cmp_ne_u16_e64 s10, v4, v3
	v_cmp_ne_u16_e64 s11, v5, v4
	v_cmp_ne_u16_e64 s12, v7, v5
	v_cmp_ne_u16_e64 s13, v2, v7
	s_barrier_wait -1
                                        ; implicit-def: $sgpr35
	s_and_saveexec_b32 s37, s14
	s_delay_alu instid0(SALU_CYCLE_1)
	s_xor_b32 s14, exec_lo, s37
	s_cbranch_execz .LBB166_44
; %bb.43:
	v_add_nc_u32_e32 v3, -1, v0
	s_or_b32 s34, s34, exec_lo
	ds_load_u8 v3, v3
	s_wait_dscnt 0x0
	v_cmp_ne_u16_e64 s35, v3, v2
.LBB166_44:
	s_or_b32 exec_lo, exec_lo, s14
	v_cndmask_b32_e64 v61, 0, 1, vcc_lo
	v_cndmask_b32_e64 v59, 0, 1, s2
	v_cndmask_b32_e64 v56, 0, 1, s3
	;; [unrolled: 1-line block ×12, first 2 shown]
.LBB166_45:
	s_branch .LBB166_54
.LBB166_46:
	s_mov_b64 s[2:3], 0xfffffffffffff200
	v_dual_lshrrev_b32 v39, 16, v12 :: v_dual_lshrrev_b32 v37, 16, v11
	s_mul_u64 s[4:5], s[22:23], s[2:3]
	v_lshrrev_b32_e32 v35, 16, v10
	v_mul_u32_u24_e32 v2, 14, v0
	v_mad_u32_u24 v4, v0, 14, 13
	v_mad_u32_u24 v30, v0, 14, 12
	v_mad_u32_u24 v28, v0, 14, 11
	v_and_b32_e32 v38, 0xff, v12
	v_mad_u32_u24 v26, v0, 14, 10
	v_mad_u32_u24 v24, v0, 14, 9
	v_mad_u32_u24 v22, v0, 14, 8
	v_mad_u32_u24 v20, v0, 14, 7
	v_and_b32_e32 v36, 0xff, v11
	v_mad_u32_u24 v18, v0, 14, 6
	;; [unrolled: 5-line block ×3, first 2 shown]
	v_and_b32_e32 v34, 0xff, v13
	v_and_b32_e32 v32, 0xff, v1
	v_cmp_ne_u32_e64 s2, 0, v0
	s_and_b32 vcc_lo, exec_lo, s36
	s_add_nc_u64 s[12:13], s[4:5], s[24:25]
	s_cbranch_vccz .LBB166_50
; %bb.47:
	v_dual_mov_b32 v5, 0 :: v_dual_lshrrev_b32 v3, 24, v12
	v_lshrrev_b32_e32 v7, 8, v12
	v_and_b32_e32 v9, 0xff, v39
	s_delay_alu instid0(VALU_DEP_3)
	v_dual_mov_b32 v43, v5 :: v_dual_bitop2_b32 v42, 1, v2 bitop3:0x54
	global_load_u8 v40, v5, s[20:21] offset:-1
	v_mov_b32_e32 v31, v5
	v_and_b32_e32 v7, 0xff, v7
	v_dual_mov_b32 v29, v5 :: v_dual_mov_b32 v27, v5
	v_cmp_gt_u64_e32 vcc_lo, s[12:13], v[4:5]
	v_cmp_ne_u16_e64 s3, v9, v3
	s_delay_alu instid0(VALU_DEP_4)
	v_cmp_ne_u16_e64 s5, v7, v9
	v_lshrrev_b32_e32 v9, 24, v11
	ds_store_b8 v0, v3
	v_dual_lshrrev_b32 v3, 8, v11 :: v_dual_mov_b32 v25, v5
	v_mov_b32_e32 v23, v5
	v_cmp_gt_u64_e64 s4, s[12:13], v[30:31]
	v_cmp_gt_u64_e64 s6, s[12:13], v[28:29]
	v_cmp_ne_u16_e64 s7, v38, v7
	v_and_b32_e32 v7, 0xff, v37
	v_and_b32_e32 v3, 0xff, v3
	s_and_b32 s14, vcc_lo, s3
	v_cmp_gt_u64_e32 vcc_lo, s[12:13], v[24:25]
	v_dual_mov_b32 v21, v5 :: v_dual_mov_b32 v19, v5
	v_cmp_ne_u16_e64 s3, v7, v9
	s_wait_xcnt 0x0
	s_and_b32 s20, s4, s5
	s_and_b32 s21, s6, s7
	v_cmp_ne_u16_e64 s5, v3, v7
	v_cmp_ne_u16_e64 s7, v36, v3
	v_dual_lshrrev_b32 v3, 24, v10 :: v_dual_mov_b32 v17, v5
	s_and_b32 s24, vcc_lo, s3
	v_cmp_gt_u64_e32 vcc_lo, s[12:13], v[18:19]
	v_and_b32_e32 v19, 0xff, v35
	s_delay_alu instid0(VALU_DEP_3)
	v_cmp_ne_u16_e64 s3, v3, v36
	v_dual_mov_b32 v15, v5 :: v_dual_lshrrev_b32 v7, 8, v10
	v_cmp_gt_u64_e64 s8, s[12:13], v[26:27]
	v_cmp_gt_u64_e64 s4, s[12:13], v[22:23]
	v_cmp_gt_u64_e64 s6, s[12:13], v[20:21]
	v_cmp_ne_u16_e64 s9, v9, v38
	s_and_b32 s34, vcc_lo, s3
	v_cmp_ne_u16_e64 s3, v19, v3
	v_and_b32_e32 v3, 0xff, v7
	v_dual_mov_b32 v9, v5 :: v_dual_mov_b32 v7, v5
	s_and_b32 s22, s8, s9
	s_and_b32 s25, s4, s5
	;; [unrolled: 1-line block ×3, first 2 shown]
	v_cmp_gt_u64_e32 vcc_lo, s[12:13], v[16:17]
	v_cmp_gt_u64_e64 s4, s[12:13], v[14:15]
	v_cmp_gt_u64_e64 s6, s[12:13], v[8:9]
	;; [unrolled: 1-line block ×4, first 2 shown]
	v_cmp_ne_u16_e64 s5, v3, v19
	v_cmp_ne_u16_e64 s7, v33, v3
	;; [unrolled: 1-line block ×4, first 2 shown]
	s_and_b32 s36, vcc_lo, s3
	s_and_b32 s35, s4, s5
	s_and_b32 s4, s6, s7
	;; [unrolled: 1-line block ×4, first 2 shown]
	s_mov_b32 s3, 0
	s_wait_loadcnt_dscnt 0x0
	s_barrier_signal -1
	s_barrier_wait -1
	s_and_saveexec_b32 s7, s2
; %bb.48:
	v_add_nc_u32_e32 v3, -1, v0
	ds_load_u8 v40, v3
; %bb.49:
	s_or_b32 exec_lo, exec_lo, s7
	v_mov_b32_e32 v3, v5
	s_wait_dscnt 0x0
	v_and_b32_e32 v5, 0xff, v40
	v_cndmask_b32_e64 v61, 0, 1, s14
	v_cndmask_b32_e64 v59, 0, 1, s20
	;; [unrolled: 1-line block ×3, first 2 shown]
	v_cmp_gt_u64_e32 vcc_lo, s[12:13], v[2:3]
	v_cmp_ne_u16_e64 s2, v5, v32
	v_cndmask_b32_e64 v21, 0, 1, s22
	v_cndmask_b32_e64 v57, 0, 1, s24
	;; [unrolled: 1-line block ×10, first 2 shown]
	s_and_b32 s35, vcc_lo, s2
	s_mov_b32 s34, -1
	s_and_b32 vcc_lo, exec_lo, s3
	s_cbranch_vccnz .LBB166_51
	s_branch .LBB166_54
.LBB166_50:
                                        ; implicit-def: $sgpr35
                                        ; implicit-def: $vgpr61
                                        ; implicit-def: $vgpr59
                                        ; implicit-def: $vgpr56
                                        ; implicit-def: $vgpr21
                                        ; implicit-def: $vgpr57
                                        ; implicit-def: $vgpr58
                                        ; implicit-def: $vgpr60
                                        ; implicit-def: $vgpr62
                                        ; implicit-def: $vgpr64
                                        ; implicit-def: $vgpr63
                                        ; implicit-def: $vgpr65
                                        ; implicit-def: $vgpr66
                                        ; implicit-def: $vgpr67
	s_cbranch_execz .LBB166_54
.LBB166_51:
	v_dual_lshrrev_b32 v3, 24, v12 :: v_dual_mov_b32 v5, 0
	v_and_b32_e32 v7, 0xff, v39
	v_lshrrev_b32_e32 v9, 8, v12
	v_cmp_ne_u16_e64 s9, v34, v33
	ds_store_b8 v0, v3
	v_cmp_gt_u64_e32 vcc_lo, s[12:13], v[4:5]
	v_dual_mov_b32 v29, v5 :: v_dual_mov_b32 v27, v5
	v_mov_b32_e32 v31, v5
	v_cmp_ne_u16_e64 s2, v7, v3
	v_and_b32_e32 v3, 0xff, v9
	v_lshrrev_b32_e32 v4, 24, v11
	v_cmp_gt_u64_e64 s7, s[12:13], v[26:27]
	v_dual_mov_b32 v25, v5 :: v_dual_mov_b32 v23, v5
	s_delay_alu instid0(VALU_DEP_4)
	v_cmp_ne_u16_e64 s5, v3, v7
	v_cmp_ne_u16_e64 s6, v38, v3
	s_and_b32 s11, vcc_lo, s2
	v_lshrrev_b32_e32 v3, 8, v11
	v_cmp_ne_u16_e32 vcc_lo, v4, v38
	v_and_b32_e32 v7, 0xff, v37
	v_cmp_gt_u64_e64 s4, s[12:13], v[28:29]
	v_dual_mov_b32 v21, v5 :: v_dual_mov_b32 v19, v5
	s_and_b32 s21, s7, vcc_lo
	v_cmp_gt_u64_e32 vcc_lo, s[12:13], v[24:25]
	v_cmp_ne_u16_e64 s2, v7, v4
	v_and_b32_e32 v3, 0xff, v3
	v_dual_mov_b32 v17, v5 :: v_dual_lshrrev_b32 v4, 24, v10
	v_cmp_gt_u64_e64 s3, s[12:13], v[30:31]
	s_and_b32 s20, s4, s6
	s_and_b32 s22, vcc_lo, s2
	v_cmp_gt_u64_e32 vcc_lo, s[12:13], v[18:19]
	v_cmp_ne_u16_e64 s4, v3, v7
	v_cmp_ne_u16_e64 s6, v36, v3
	;; [unrolled: 1-line block ×3, first 2 shown]
	v_and_b32_e32 v3, 0xff, v35
	v_dual_lshrrev_b32 v7, 8, v10 :: v_dual_mov_b32 v15, v5
	s_and_b32 s14, s3, s5
	v_cmp_gt_u64_e64 s3, s[12:13], v[22:23]
	v_cmp_gt_u64_e64 s5, s[12:13], v[20:21]
	s_and_b32 s25, vcc_lo, s2
	v_cmp_gt_u64_e32 vcc_lo, s[12:13], v[16:17]
	v_cmp_ne_u16_e64 s2, v3, v4
	v_and_b32_e32 v16, 0xff, v7
	v_dual_mov_b32 v9, v5 :: v_dual_mov_b32 v7, v5
	v_or_b32_e32 v4, 1, v2
	s_and_b32 s23, s3, s4
	s_and_b32 s24, s5, s6
	v_cmp_gt_u64_e64 s3, s[12:13], v[14:15]
	v_cmp_gt_u64_e64 s5, s[12:13], v[8:9]
	;; [unrolled: 1-line block ×4, first 2 shown]
	v_cmp_ne_u16_e64 s4, v16, v3
	v_cmp_ne_u16_e64 s6, v33, v16
	;; [unrolled: 1-line block ×3, first 2 shown]
	s_and_b32 s36, vcc_lo, s2
	s_wait_dscnt 0x0
	s_and_b32 s3, s3, s4
	s_and_b32 s4, s5, s6
	;; [unrolled: 1-line block ×4, first 2 shown]
	s_mov_b32 s7, exec_lo
	s_barrier_signal -1
	s_barrier_wait -1
                                        ; implicit-def: $sgpr35
	v_cmpx_ne_u32_e32 0, v0
	s_cbranch_execz .LBB166_53
; %bb.52:
	v_add_nc_u32_e32 v3, -1, v0
	s_or_b32 s34, s34, exec_lo
	ds_load_u8 v4, v3
	v_mov_b32_e32 v3, v5
	s_delay_alu instid0(VALU_DEP_1) | instskip(SKIP_2) | instid1(VALU_DEP_1)
	v_cmp_gt_u64_e32 vcc_lo, s[12:13], v[2:3]
	s_wait_dscnt 0x0
	v_and_b32_e32 v4, 0xff, v4
	v_cmp_ne_u16_e64 s2, v4, v32
	s_and_b32 s35, vcc_lo, s2
.LBB166_53:
	s_or_b32 exec_lo, exec_lo, s7
	v_cndmask_b32_e64 v61, 0, 1, s11
	v_cndmask_b32_e64 v59, 0, 1, s14
	;; [unrolled: 1-line block ×13, first 2 shown]
.LBB166_54:
	v_mov_b32_e32 v68, 1
	s_and_saveexec_b32 s2, s34
; %bb.55:
	v_cndmask_b32_e64 v68, 0, 1, s35
; %bb.56:
	s_or_b32 exec_lo, exec_lo, s2
	s_clause 0x1
	s_load_b128 s[20:23], s[0:1], 0x20
	s_load_b64 s[24:25], s[0:1], 0x30
	v_add_nc_u32_e32 v2, v67, v68
	v_cmp_eq_u32_e64 s11, 0, v67
	v_cmp_eq_u32_e64 s10, 0, v66
	;; [unrolled: 1-line block ×4, first 2 shown]
	v_add3_u32 v80, v2, v66, v65
	v_cmp_eq_u32_e64 s7, 0, v64
	v_cmp_eq_u32_e64 s6, 0, v62
	;; [unrolled: 1-line block ×6, first 2 shown]
	s_wait_xcnt 0x0
	v_cmp_eq_u32_e64 s1, 0, v56
	v_cmp_eq_u32_e64 s0, 0, v59
	v_mbcnt_lo_u32_b32 v77, -1, 0
	v_dual_lshrrev_b32 v78, 5, v0 :: v_dual_bitop2_b32 v79, 31, v0 bitop3:0x54
	s_cmp_eq_u64 s[18:19], 0
	v_cmp_eq_u32_e32 vcc_lo, 0, v61
	s_cselect_b32 s18, -1, 0
	s_cmp_lg_u32 s28, 0
	s_cbranch_scc0 .LBB166_77
; %bb.57:
	v_add3_u32 v3, v80, v63, v64
	v_cndmask_b32_e64 v2, 0, v53, s11
	v_and_b32_e32 v5, 15, v77
	s_delay_alu instid0(VALU_DEP_3) | instskip(NEXT) | instid1(VALU_DEP_3)
	v_add3_u32 v3, v3, v62, v60
	v_add_nc_u32_e32 v2, v2, v55
	s_delay_alu instid0(VALU_DEP_2) | instskip(NEXT) | instid1(VALU_DEP_1)
	v_add3_u32 v3, v3, v58, v57
	v_add3_u32 v3, v3, v21, v56
	s_delay_alu instid0(VALU_DEP_1) | instskip(NEXT) | instid1(VALU_DEP_4)
	v_add3_u32 v3, v3, v59, v61
	v_cndmask_b32_e64 v2, 0, v2, s10
	s_delay_alu instid0(VALU_DEP_2) | instskip(NEXT) | instid1(VALU_DEP_2)
	v_mov_b32_dpp v6, v3 row_shr:1 row_mask:0xf bank_mask:0xf
	v_add_nc_u32_e32 v2, v2, v72
	s_delay_alu instid0(VALU_DEP_1) | instskip(NEXT) | instid1(VALU_DEP_1)
	v_cndmask_b32_e64 v2, 0, v2, s9
	v_add_nc_u32_e32 v2, v2, v74
	s_delay_alu instid0(VALU_DEP_1) | instskip(NEXT) | instid1(VALU_DEP_1)
	v_cndmask_b32_e64 v2, 0, v2, s8
	v_add_nc_u32_e32 v2, v2, v70
	s_delay_alu instid0(VALU_DEP_1) | instskip(NEXT) | instid1(VALU_DEP_1)
	v_cndmask_b32_e64 v2, 0, v2, s7
	v_add_nc_u32_e32 v2, v2, v71
	s_delay_alu instid0(VALU_DEP_1) | instskip(NEXT) | instid1(VALU_DEP_1)
	v_cndmask_b32_e64 v2, 0, v2, s6
	v_add_nc_u32_e32 v2, v2, v75
	s_delay_alu instid0(VALU_DEP_1) | instskip(NEXT) | instid1(VALU_DEP_1)
	v_cndmask_b32_e64 v2, 0, v2, s5
	v_add_nc_u32_e32 v2, v2, v73
	s_delay_alu instid0(VALU_DEP_1) | instskip(NEXT) | instid1(VALU_DEP_1)
	v_cndmask_b32_e64 v2, 0, v2, s4
	v_add_nc_u32_e32 v2, v2, v69
	s_delay_alu instid0(VALU_DEP_1) | instskip(NEXT) | instid1(VALU_DEP_1)
	v_cndmask_b32_e64 v2, 0, v2, s3
	v_add_nc_u32_e32 v2, v2, v54
	s_delay_alu instid0(VALU_DEP_1) | instskip(NEXT) | instid1(VALU_DEP_1)
	v_cndmask_b32_e64 v2, 0, v2, s2
	v_add_nc_u32_e32 v2, v2, v52
	s_delay_alu instid0(VALU_DEP_1) | instskip(NEXT) | instid1(VALU_DEP_1)
	v_cndmask_b32_e64 v2, 0, v2, s1
	v_add_nc_u32_e32 v2, v2, v51
	s_delay_alu instid0(VALU_DEP_1) | instskip(NEXT) | instid1(VALU_DEP_1)
	v_cndmask_b32_e64 v2, 0, v2, s0
	v_add_nc_u32_e32 v2, v2, v50
	s_delay_alu instid0(VALU_DEP_1) | instskip(SKIP_1) | instid1(VALU_DEP_2)
	v_cndmask_b32_e32 v2, 0, v2, vcc_lo
	v_cmp_eq_u32_e32 vcc_lo, 0, v3
	v_add_nc_u32_e32 v2, v2, v76
	s_delay_alu instid0(VALU_DEP_1) | instskip(NEXT) | instid1(VALU_DEP_1)
	v_mov_b32_dpp v4, v2 row_shr:1 row_mask:0xf bank_mask:0xf
	v_cndmask_b32_e32 v4, 0, v4, vcc_lo
	v_cmp_eq_u32_e32 vcc_lo, 0, v5
	v_cndmask_b32_e64 v6, v6, 0, vcc_lo
	s_delay_alu instid0(VALU_DEP_3) | instskip(SKIP_1) | instid1(VALU_DEP_2)
	v_cndmask_b32_e64 v4, v4, 0, vcc_lo
	v_cmp_lt_u32_e32 vcc_lo, 1, v5
	v_dual_add_nc_u32 v3, v6, v3 :: v_dual_add_nc_u32 v2, v4, v2
	s_delay_alu instid0(VALU_DEP_1) | instskip(SKIP_1) | instid1(VALU_DEP_3)
	v_mov_b32_dpp v4, v3 row_shr:2 row_mask:0xf bank_mask:0xf
	v_cmp_eq_u32_e64 s12, 0, v3
	v_mov_b32_dpp v6, v2 row_shr:2 row_mask:0xf bank_mask:0xf
	s_delay_alu instid0(VALU_DEP_3) | instskip(SKIP_1) | instid1(VALU_DEP_2)
	v_cndmask_b32_e32 v4, 0, v4, vcc_lo
	s_and_b32 vcc_lo, vcc_lo, s12
	v_cndmask_b32_e32 v6, 0, v6, vcc_lo
	v_cmp_lt_u32_e32 vcc_lo, 3, v5
	s_delay_alu instid0(VALU_DEP_2) | instskip(NEXT) | instid1(VALU_DEP_1)
	v_dual_add_nc_u32 v3, v3, v4 :: v_dual_add_nc_u32 v2, v6, v2
	v_mov_b32_dpp v4, v3 row_shr:4 row_mask:0xf bank_mask:0xf
	v_cmp_eq_u32_e64 s12, 0, v3
	s_delay_alu instid0(VALU_DEP_3) | instskip(NEXT) | instid1(VALU_DEP_3)
	v_mov_b32_dpp v6, v2 row_shr:4 row_mask:0xf bank_mask:0xf
	v_cndmask_b32_e32 v4, 0, v4, vcc_lo
	s_and_b32 vcc_lo, vcc_lo, s12
	s_delay_alu instid0(VALU_DEP_2) | instskip(SKIP_1) | instid1(VALU_DEP_2)
	v_cndmask_b32_e32 v6, 0, v6, vcc_lo
	v_cmp_lt_u32_e32 vcc_lo, 7, v5
	v_dual_add_nc_u32 v3, v4, v3 :: v_dual_add_nc_u32 v2, v2, v6
	v_bfe_i32 v6, v77, 4, 1
	s_delay_alu instid0(VALU_DEP_2) | instskip(SKIP_1) | instid1(VALU_DEP_4)
	v_mov_b32_dpp v4, v3 row_shr:8 row_mask:0xf bank_mask:0xf
	v_cmp_eq_u32_e64 s12, 0, v3
	v_mov_b32_dpp v5, v2 row_shr:8 row_mask:0xf bank_mask:0xf
	s_delay_alu instid0(VALU_DEP_3) | instskip(SKIP_2) | instid1(VALU_DEP_2)
	v_cndmask_b32_e32 v4, 0, v4, vcc_lo
	s_and_b32 vcc_lo, vcc_lo, s12
	s_mov_b32 s12, exec_lo
	v_cndmask_b32_e32 v5, 0, v5, vcc_lo
	s_delay_alu instid0(VALU_DEP_1)
	v_dual_add_nc_u32 v5, v5, v2 :: v_dual_add_nc_u32 v2, v4, v3
	ds_swizzle_b32 v3, v5 offset:swizzle(BROADCAST,32,15)
	ds_swizzle_b32 v4, v2 offset:swizzle(BROADCAST,32,15)
	v_cmp_eq_u32_e32 vcc_lo, 0, v2
	s_wait_dscnt 0x0
	v_dual_cndmask_b32 v3, 0, v3, vcc_lo :: v_dual_bitop2_b32 v4, v6, v4 bitop3:0x40
	s_delay_alu instid0(VALU_DEP_1) | instskip(NEXT) | instid1(VALU_DEP_1)
	v_dual_add_nc_u32 v2, v4, v2 :: v_dual_bitop2_b32 v3, v6, v3 bitop3:0x40
	v_dual_lshlrev_b32 v4, 3, v78 :: v_dual_add_nc_u32 v3, v3, v5
	v_cmpx_eq_u32_e64 v0, v79
; %bb.58:
	ds_store_b64 v4, v[2:3] offset:528
; %bb.59:
	s_or_b32 exec_lo, exec_lo, s12
	s_delay_alu instid0(SALU_CYCLE_1)
	s_mov_b32 s13, exec_lo
	s_wait_dscnt 0x0
	s_barrier_signal -1
	s_barrier_wait -1
	v_cmpx_gt_u32_e32 8, v0
	s_cbranch_execz .LBB166_61
; %bb.60:
	v_dual_lshlrev_b32 v5, 3, v0 :: v_dual_bitop2_b32 v9, 7, v77 bitop3:0x40
	ds_load_b64 v[6:7], v5 offset:528
	s_wait_dscnt 0x0
	v_mov_b32_dpp v8, v7 row_shr:1 row_mask:0xf bank_mask:0xf
	v_cmp_eq_u32_e32 vcc_lo, 0, v6
	v_mov_b32_dpp v14, v6 row_shr:1 row_mask:0xf bank_mask:0xf
	s_delay_alu instid0(VALU_DEP_3) | instskip(SKIP_1) | instid1(VALU_DEP_3)
	v_cndmask_b32_e32 v8, 0, v8, vcc_lo
	v_cmp_eq_u32_e32 vcc_lo, 0, v9
	v_cndmask_b32_e64 v14, v14, 0, vcc_lo
	s_delay_alu instid0(VALU_DEP_1) | instskip(NEXT) | instid1(VALU_DEP_4)
	v_add_nc_u32_e32 v6, v14, v6
	v_cndmask_b32_e64 v8, v8, 0, vcc_lo
	v_cmp_lt_u32_e32 vcc_lo, 1, v9
	s_delay_alu instid0(VALU_DEP_3) | instskip(NEXT) | instid1(VALU_DEP_3)
	v_cmp_eq_u32_e64 s12, 0, v6
	v_add_nc_u32_e32 v7, v8, v7
	v_mov_b32_dpp v8, v6 row_shr:2 row_mask:0xf bank_mask:0xf
	s_delay_alu instid0(VALU_DEP_1) | instskip(NEXT) | instid1(VALU_DEP_3)
	v_cndmask_b32_e32 v8, 0, v8, vcc_lo
	v_mov_b32_dpp v14, v7 row_shr:2 row_mask:0xf bank_mask:0xf
	s_and_b32 vcc_lo, vcc_lo, s12
	s_delay_alu instid0(VALU_DEP_2) | instskip(NEXT) | instid1(VALU_DEP_1)
	v_add_nc_u32_e32 v6, v8, v6
	v_mov_b32_dpp v8, v6 row_shr:4 row_mask:0xf bank_mask:0xf
	s_delay_alu instid0(VALU_DEP_3) | instskip(SKIP_1) | instid1(VALU_DEP_2)
	v_cndmask_b32_e32 v14, 0, v14, vcc_lo
	v_cmp_lt_u32_e32 vcc_lo, 3, v9
	v_dual_cndmask_b32 v8, 0, v8 :: v_dual_add_nc_u32 v7, v14, v7
	v_cmp_eq_u32_e64 s12, 0, v6
	s_delay_alu instid0(VALU_DEP_2) | instskip(NEXT) | instid1(VALU_DEP_3)
	v_add_nc_u32_e32 v6, v8, v6
	v_mov_b32_dpp v9, v7 row_shr:4 row_mask:0xf bank_mask:0xf
	s_and_b32 vcc_lo, vcc_lo, s12
	s_delay_alu instid0(VALU_DEP_1) | instskip(NEXT) | instid1(VALU_DEP_1)
	v_cndmask_b32_e32 v9, 0, v9, vcc_lo
	v_add_nc_u32_e32 v7, v9, v7
	ds_store_b64 v5, v[6:7] offset:528
.LBB166_61:
	s_or_b32 exec_lo, exec_lo, s13
	v_dual_mov_b32 v14, 0 :: v_dual_mov_b32 v15, 0
	s_mov_b32 s13, exec_lo
	v_cmp_gt_u32_e32 vcc_lo, 32, v0
	s_wait_dscnt 0x0
	s_barrier_signal -1
	s_barrier_wait -1
	v_cmpx_lt_u32_e32 31, v0
	s_cbranch_execz .LBB166_63
; %bb.62:
	ds_load_b64 v[14:15], v4 offset:520
	v_cmp_eq_u32_e64 s12, 0, v2
	s_wait_dscnt 0x0
	s_delay_alu instid0(VALU_DEP_1) | instskip(NEXT) | instid1(VALU_DEP_1)
	v_dual_cndmask_b32 v4, 0, v15, s12 :: v_dual_add_nc_u32 v2, v14, v2
	v_add_nc_u32_e32 v3, v4, v3
.LBB166_63:
	s_or_b32 exec_lo, exec_lo, s13
	v_sub_co_u32 v4, s12, v77, 1
	s_delay_alu instid0(VALU_DEP_1) | instskip(NEXT) | instid1(VALU_DEP_1)
	v_cmp_gt_i32_e64 s13, 0, v4
	v_cndmask_b32_e64 v4, v4, v77, s13
	s_delay_alu instid0(VALU_DEP_1)
	v_lshlrev_b32_e32 v4, 2, v4
	ds_bpermute_b32 v20, v4, v2
	ds_bpermute_b32 v22, v4, v3
	s_and_saveexec_b32 s19, vcc_lo
	s_cbranch_execz .LBB166_82
; %bb.64:
	v_mov_b32_e32 v5, 0
	ds_load_b64 v[2:3], v5 offset:584
	s_and_saveexec_b32 s13, s12
	s_cbranch_execz .LBB166_66
; %bb.65:
	s_add_co_i32 s34, s28, 32
	s_mov_b32 s35, 0
	v_mov_b32_e32 v4, 1
	s_lshl_b64 s[34:35], s[34:35], 4
	s_delay_alu instid0(SALU_CYCLE_1) | instskip(NEXT) | instid1(SALU_CYCLE_1)
	s_add_nc_u64 s[34:35], s[16:17], s[34:35]
	v_mov_b64_e32 v[6:7], s[34:35]
	s_wait_dscnt 0x0
	;;#ASMSTART
	global_store_b128 v[6:7], v[2:5] off scope:SCOPE_DEV	
s_wait_storecnt 0x0
	;;#ASMEND
.LBB166_66:
	s_or_b32 exec_lo, exec_lo, s13
	v_xad_u32 v16, v77, -1, s28
	s_mov_b32 s14, 0
	s_mov_b32 s13, exec_lo
	s_delay_alu instid0(VALU_DEP_1) | instskip(NEXT) | instid1(VALU_DEP_1)
	v_add_nc_u32_e32 v4, 32, v16
	v_lshl_add_u64 v[4:5], v[4:5], 4, s[16:17]
	;;#ASMSTART
	global_load_b128 v[6:9], v[4:5] off scope:SCOPE_DEV	
s_wait_loadcnt 0x0
	;;#ASMEND
	v_and_b32_e32 v9, 0xff, v8
	s_delay_alu instid0(VALU_DEP_1)
	v_cmpx_eq_u16_e32 0, v9
	s_cbranch_execz .LBB166_69
.LBB166_67:                             ; =>This Inner Loop Header: Depth=1
	;;#ASMSTART
	global_load_b128 v[6:9], v[4:5] off scope:SCOPE_DEV	
s_wait_loadcnt 0x0
	;;#ASMEND
	v_and_b32_e32 v9, 0xff, v8
	s_delay_alu instid0(VALU_DEP_1) | instskip(SKIP_1) | instid1(SALU_CYCLE_1)
	v_cmp_ne_u16_e32 vcc_lo, 0, v9
	s_or_b32 s14, vcc_lo, s14
	s_and_not1_b32 exec_lo, exec_lo, s14
	s_cbranch_execnz .LBB166_67
; %bb.68:
	s_or_b32 exec_lo, exec_lo, s14
.LBB166_69:
	s_delay_alu instid0(SALU_CYCLE_1)
	s_or_b32 exec_lo, exec_lo, s13
	v_cmp_ne_u32_e32 vcc_lo, 31, v77
	v_lshlrev_b32_e64 v24, v77, -1
	v_cmp_gt_u32_e64 s14, 30, v77
	v_lshl_or_b32 v31, v77, 2, 64
	v_add_nc_u32_e32 v26, 2, v77
	v_add_co_ci_u32_e64 v4, null, 0, v77, vcc_lo
	s_delay_alu instid0(VALU_DEP_4) | instskip(SKIP_1) | instid1(VALU_DEP_3)
	v_cndmask_b32_e64 v17, 0, 2, s14
	v_dual_add_nc_u32 v28, 4, v77 :: v_dual_add_nc_u32 v30, 8, v77
	v_lshlrev_b32_e32 v23, 2, v4
	v_and_b32_e32 v4, 0xff, v8
	s_delay_alu instid0(VALU_DEP_4)
	v_add_lshl_u32 v25, v17, v77, 2
	v_add_nc_u32_e32 v32, 16, v77
	ds_bpermute_b32 v5, v23, v6
	v_cmp_eq_u16_e32 vcc_lo, 2, v4
	v_and_or_b32 v9, vcc_lo, v24, 0x80000000
	v_cmp_eq_u32_e32 vcc_lo, 0, v6
	s_delay_alu instid0(VALU_DEP_2) | instskip(NEXT) | instid1(VALU_DEP_1)
	v_ctz_i32_b32_e32 v9, v9
	v_cmp_lt_u32_e64 s13, v77, v9
	s_wait_dscnt 0x0
	s_delay_alu instid0(VALU_DEP_1) | instskip(SKIP_4) | instid1(VALU_DEP_1)
	v_cndmask_b32_e64 v5, 0, v5, s13
	ds_bpermute_b32 v4, v23, v7
	s_and_b32 vcc_lo, s13, vcc_lo
	s_wait_dscnt 0x0
	v_dual_cndmask_b32 v4, 0, v4 :: v_dual_add_nc_u32 v5, v5, v6
	v_cmp_eq_u32_e32 vcc_lo, 0, v5
	s_delay_alu instid0(VALU_DEP_2)
	v_add_nc_u32_e32 v4, v4, v7
	ds_bpermute_b32 v7, v25, v4
	s_wait_dscnt 0x0
	v_cndmask_b32_e32 v6, 0, v7, vcc_lo
	ds_bpermute_b32 v7, v25, v5
	v_cmp_gt_u32_e32 vcc_lo, 28, v77
	v_cndmask_b32_e64 v17, 0, 4, vcc_lo
	v_cmp_gt_u32_e32 vcc_lo, v26, v9
	s_delay_alu instid0(VALU_DEP_2) | instskip(SKIP_2) | instid1(VALU_DEP_1)
	v_add_lshl_u32 v27, v17, v77, 2
	s_wait_dscnt 0x0
	v_cndmask_b32_e64 v7, v7, 0, vcc_lo
	v_add_nc_u32_e32 v5, v5, v7
	v_cndmask_b32_e64 v6, v6, 0, vcc_lo
	ds_bpermute_b32 v7, v27, v5
	v_add_nc_u32_e32 v4, v6, v4
	v_cmp_eq_u32_e32 vcc_lo, 0, v5
	ds_bpermute_b32 v6, v27, v4
	s_wait_dscnt 0x0
	v_cndmask_b32_e32 v6, 0, v6, vcc_lo
	v_cmp_gt_u32_e32 vcc_lo, 24, v77
	v_cndmask_b32_e64 v17, 0, 8, vcc_lo
	v_cmp_gt_u32_e32 vcc_lo, v28, v9
	s_delay_alu instid0(VALU_DEP_2) | instskip(SKIP_1) | instid1(VALU_DEP_1)
	v_add_lshl_u32 v29, v17, v77, 2
	v_cndmask_b32_e64 v7, v7, 0, vcc_lo
	v_dual_mov_b32 v17, 0 :: v_dual_add_nc_u32 v5, v5, v7
	v_cndmask_b32_e64 v6, v6, 0, vcc_lo
	ds_bpermute_b32 v7, v29, v5
	v_add_nc_u32_e32 v4, v4, v6
	v_cmp_eq_u32_e32 vcc_lo, 0, v5
	ds_bpermute_b32 v6, v29, v4
	s_wait_dscnt 0x0
	v_cndmask_b32_e32 v6, 0, v6, vcc_lo
	v_cmp_gt_u32_e32 vcc_lo, v30, v9
	s_delay_alu instid0(VALU_DEP_2) | instskip(NEXT) | instid1(VALU_DEP_1)
	v_cndmask_b32_e64 v6, v6, 0, vcc_lo
	v_add_nc_u32_e32 v4, v4, v6
	v_cndmask_b32_e64 v6, v7, 0, vcc_lo
	s_delay_alu instid0(VALU_DEP_1)
	v_add_nc_u32_e32 v5, v5, v6
	ds_bpermute_b32 v7, v31, v4
	ds_bpermute_b32 v6, v31, v5
	v_cmp_eq_u32_e32 vcc_lo, 0, v5
	s_wait_dscnt 0x1
	v_cndmask_b32_e32 v7, 0, v7, vcc_lo
	v_cmp_gt_u32_e32 vcc_lo, v32, v9
	s_wait_dscnt 0x0
	v_cndmask_b32_e64 v6, v6, 0, vcc_lo
	s_delay_alu instid0(VALU_DEP_1) | instskip(SKIP_1) | instid1(VALU_DEP_1)
	v_add_nc_u32_e32 v6, v6, v5
	v_cndmask_b32_e64 v7, v7, 0, vcc_lo
	v_add_nc_u32_e32 v7, v7, v4
	s_branch .LBB166_73
.LBB166_70:                             ;   in Loop: Header=BB166_73 Depth=1
	s_or_b32 exec_lo, exec_lo, s14
.LBB166_71:                             ;   in Loop: Header=BB166_73 Depth=1
	s_delay_alu instid0(SALU_CYCLE_1)
	s_or_b32 exec_lo, exec_lo, s13
	v_and_b32_e32 v9, 0xff, v8
	ds_bpermute_b32 v18, v23, v6
	v_subrev_nc_u32_e32 v16, 32, v16
	v_cmp_eq_u16_e32 vcc_lo, 2, v9
	ds_bpermute_b32 v9, v23, v7
	v_and_or_b32 v19, vcc_lo, v24, 0x80000000
	v_cmp_eq_u32_e32 vcc_lo, 0, v6
	s_delay_alu instid0(VALU_DEP_2) | instskip(NEXT) | instid1(VALU_DEP_1)
	v_ctz_i32_b32_e32 v19, v19
	v_cmp_lt_u32_e64 s13, v77, v19
	s_and_b32 vcc_lo, s13, vcc_lo
	s_wait_dscnt 0x0
	v_dual_cndmask_b32 v18, 0, v18, s13 :: v_dual_cndmask_b32 v9, 0, v9, vcc_lo
	s_mov_b32 s13, 0
	s_delay_alu instid0(VALU_DEP_1)
	v_dual_add_nc_u32 v6, v18, v6 :: v_dual_add_nc_u32 v7, v9, v7
	ds_bpermute_b32 v18, v25, v6
	ds_bpermute_b32 v9, v25, v7
	v_cmp_eq_u32_e32 vcc_lo, 0, v6
	s_wait_dscnt 0x0
	v_cndmask_b32_e32 v9, 0, v9, vcc_lo
	v_cmp_gt_u32_e32 vcc_lo, v26, v19
	v_cndmask_b32_e64 v18, v18, 0, vcc_lo
	s_delay_alu instid0(VALU_DEP_1) | instskip(NEXT) | instid1(VALU_DEP_4)
	v_add_nc_u32_e32 v6, v6, v18
	v_cndmask_b32_e64 v9, v9, 0, vcc_lo
	s_delay_alu instid0(VALU_DEP_2) | instskip(NEXT) | instid1(VALU_DEP_2)
	v_cmp_eq_u32_e32 vcc_lo, 0, v6
	v_add_nc_u32_e32 v7, v9, v7
	ds_bpermute_b32 v18, v27, v6
	ds_bpermute_b32 v9, v27, v7
	s_wait_dscnt 0x0
	v_cndmask_b32_e32 v9, 0, v9, vcc_lo
	v_cmp_gt_u32_e32 vcc_lo, v28, v19
	s_delay_alu instid0(VALU_DEP_2) | instskip(SKIP_1) | instid1(VALU_DEP_1)
	v_cndmask_b32_e64 v9, v9, 0, vcc_lo
	v_cndmask_b32_e64 v18, v18, 0, vcc_lo
	v_dual_add_nc_u32 v7, v7, v9 :: v_dual_add_nc_u32 v6, v6, v18
	ds_bpermute_b32 v9, v29, v7
	ds_bpermute_b32 v18, v29, v6
	v_cmp_eq_u32_e32 vcc_lo, 0, v6
	s_wait_dscnt 0x1
	v_cndmask_b32_e32 v9, 0, v9, vcc_lo
	v_cmp_gt_u32_e32 vcc_lo, v30, v19
	s_wait_dscnt 0x0
	v_cndmask_b32_e64 v18, v18, 0, vcc_lo
	s_delay_alu instid0(VALU_DEP_1) | instskip(SKIP_1) | instid1(VALU_DEP_2)
	v_add_nc_u32_e32 v6, v6, v18
	v_cndmask_b32_e64 v9, v9, 0, vcc_lo
	v_cmp_eq_u32_e32 vcc_lo, 0, v6
	s_delay_alu instid0(VALU_DEP_2)
	v_add_nc_u32_e32 v7, v7, v9
	ds_bpermute_b32 v18, v31, v6
	ds_bpermute_b32 v9, v31, v7
	s_wait_dscnt 0x0
	v_cndmask_b32_e32 v9, 0, v9, vcc_lo
	v_cmp_gt_u32_e32 vcc_lo, v32, v19
	s_delay_alu instid0(VALU_DEP_2) | instskip(NEXT) | instid1(VALU_DEP_1)
	v_cndmask_b32_e64 v9, v9, 0, vcc_lo
	v_add_nc_u32_e32 v7, v9, v7
	v_cndmask_b32_e64 v9, v18, 0, vcc_lo
	v_cmp_eq_u32_e32 vcc_lo, 0, v4
	s_delay_alu instid0(VALU_DEP_2) | instskip(NEXT) | instid1(VALU_DEP_4)
	v_add3_u32 v6, v6, v4, v9
	v_cndmask_b32_e32 v7, 0, v7, vcc_lo
	s_delay_alu instid0(VALU_DEP_1)
	v_add_nc_u32_e32 v7, v7, v5
.LBB166_72:                             ;   in Loop: Header=BB166_73 Depth=1
	s_and_b32 vcc_lo, exec_lo, s13
	s_cbranch_vccnz .LBB166_78
.LBB166_73:                             ; =>This Loop Header: Depth=1
                                        ;     Child Loop BB166_76 Depth 2
	v_and_b32_e32 v4, 0xff, v8
	s_delay_alu instid0(VALU_DEP_2) | instskip(SKIP_1) | instid1(VALU_DEP_2)
	v_mov_b32_e32 v5, v7
	s_mov_b32 s13, -1
                                        ; implicit-def: $vgpr7
                                        ; implicit-def: $vgpr8
	v_cmp_ne_u16_e32 vcc_lo, 2, v4
	v_mov_b32_e32 v4, v6
                                        ; implicit-def: $vgpr6
	s_cmp_lg_u32 vcc_lo, exec_lo
	s_cbranch_scc1 .LBB166_72
; %bb.74:                               ;   in Loop: Header=BB166_73 Depth=1
	v_lshl_add_u64 v[18:19], v[16:17], 4, s[16:17]
	;;#ASMSTART
	global_load_b128 v[6:9], v[18:19] off scope:SCOPE_DEV	
s_wait_loadcnt 0x0
	;;#ASMEND
	v_and_b32_e32 v9, 0xff, v8
	s_mov_b32 s13, exec_lo
	s_delay_alu instid0(VALU_DEP_1)
	v_cmpx_eq_u16_e32 0, v9
	s_cbranch_execz .LBB166_71
; %bb.75:                               ;   in Loop: Header=BB166_73 Depth=1
	s_mov_b32 s14, 0
.LBB166_76:                             ;   Parent Loop BB166_73 Depth=1
                                        ; =>  This Inner Loop Header: Depth=2
	;;#ASMSTART
	global_load_b128 v[6:9], v[18:19] off scope:SCOPE_DEV	
s_wait_loadcnt 0x0
	;;#ASMEND
	v_and_b32_e32 v9, 0xff, v8
	s_delay_alu instid0(VALU_DEP_1) | instskip(SKIP_1) | instid1(SALU_CYCLE_1)
	v_cmp_ne_u16_e32 vcc_lo, 0, v9
	s_or_b32 s14, vcc_lo, s14
	s_and_not1_b32 exec_lo, exec_lo, s14
	s_cbranch_execnz .LBB166_76
	s_branch .LBB166_70
.LBB166_77:
                                        ; implicit-def: $vgpr16
                                        ; implicit-def: $vgpr20
                                        ; implicit-def: $vgpr22_vgpr23
                                        ; implicit-def: $vgpr28_vgpr29
                                        ; implicit-def: $vgpr36_vgpr37
                                        ; implicit-def: $vgpr30_vgpr31
                                        ; implicit-def: $vgpr44_vgpr45
                                        ; implicit-def: $vgpr48_vgpr49
                                        ; implicit-def: $vgpr46_vgpr47
                                        ; implicit-def: $vgpr42_vgpr43
                                        ; implicit-def: $vgpr38_vgpr39
                                        ; implicit-def: $vgpr32_vgpr33
                                        ; implicit-def: $vgpr34_vgpr35
                                        ; implicit-def: $vgpr40_vgpr41
                                        ; implicit-def: $vgpr24_vgpr25
                                        ; implicit-def: $vgpr26_vgpr27
	s_cbranch_execnz .LBB166_83
	s_branch .LBB166_94
.LBB166_78:
	s_and_saveexec_b32 s13, s12
	s_cbranch_execz .LBB166_80
; %bb.79:
	v_cmp_eq_u32_e32 vcc_lo, 0, v2
	s_mov_b32 s35, 0
	s_add_co_i32 s34, s28, 32
	v_mov_b32_e32 v9, 0
	s_lshl_b64 s[34:35], s[34:35], 4
	v_dual_cndmask_b32 v7, 0, v5 :: v_dual_add_nc_u32 v6, v4, v2
	s_add_nc_u64 s[34:35], s[16:17], s[34:35]
	v_mov_b32_e32 v8, 2
	v_mov_b64_e32 v[16:17], s[34:35]
	s_delay_alu instid0(VALU_DEP_3)
	v_add_nc_u32_e32 v7, v7, v3
	;;#ASMSTART
	global_store_b128 v[16:17], v[6:9] off scope:SCOPE_DEV	
s_wait_storecnt 0x0
	;;#ASMEND
	ds_store_b128 v9, v[2:5] offset:512
.LBB166_80:
	s_or_b32 exec_lo, exec_lo, s13
	v_cmp_eq_u32_e32 vcc_lo, 0, v0
	s_and_b32 exec_lo, exec_lo, vcc_lo
; %bb.81:
	v_mov_b32_e32 v2, 0
	ds_store_b64 v2, v[4:5] offset:584
.LBB166_82:
	s_or_b32 exec_lo, exec_lo, s19
	s_wait_dscnt 0x1
	v_dual_mov_b32 v4, 0 :: v_dual_cndmask_b32 v5, v20, v14, s12
	s_wait_dscnt 0x0
	s_barrier_signal -1
	s_barrier_wait -1
	ds_load_b64 v[2:3], v4 offset:584
	v_cmp_eq_u32_e32 vcc_lo, 0, v5
	v_cndmask_b32_e64 v6, v22, v15, s12
	v_cmp_eq_u32_e64 s12, 0, v68
	s_wait_dscnt 0x0
	s_barrier_signal -1
	s_barrier_wait -1
	ds_load_b128 v[16:19], v4 offset:512
	v_cndmask_b32_e32 v7, 0, v3, vcc_lo
	v_cmp_eq_u32_e32 vcc_lo, 0, v0
	s_delay_alu instid0(VALU_DEP_2) | instskip(SKIP_1) | instid1(VALU_DEP_2)
	v_add_nc_u32_e32 v6, v7, v6
	v_cndmask_b32_e64 v5, v5, 0, vcc_lo
	v_cndmask_b32_e32 v45, v6, v3, vcc_lo
	s_wait_dscnt 0x0
	v_cmp_eq_u32_e32 vcc_lo, 0, v16
	s_delay_alu instid0(VALU_DEP_3) | instskip(NEXT) | instid1(VALU_DEP_1)
	v_add_nc_u32_e32 v44, v2, v5
	v_dual_cndmask_b32 v3, 0, v45, s12 :: v_dual_add_nc_u32 v48, v44, v68
	s_delay_alu instid0(VALU_DEP_1) | instskip(NEXT) | instid1(VALU_DEP_1)
	v_dual_add_nc_u32 v49, v3, v53 :: v_dual_add_nc_u32 v46, v48, v67
	v_cndmask_b32_e64 v3, 0, v49, s11
	s_delay_alu instid0(VALU_DEP_1) | instskip(NEXT) | instid1(VALU_DEP_1)
	v_add_nc_u32_e32 v47, v3, v55
	v_cndmask_b32_e64 v3, 0, v47, s10
	s_delay_alu instid0(VALU_DEP_1) | instskip(NEXT) | instid1(VALU_DEP_1)
	v_add_nc_u32_e32 v43, v3, v72
	;; [unrolled: 3-line block ×4, first 2 shown]
	v_cndmask_b32_e64 v3, 0, v33, s7
	s_delay_alu instid0(VALU_DEP_1) | instskip(SKIP_1) | instid1(VALU_DEP_1)
	v_add_nc_u32_e32 v35, v3, v71
	v_cndmask_b32_e32 v3, 0, v19, vcc_lo
	v_dual_cndmask_b32 v2, 0, v35, s6 :: v_dual_add_nc_u32 v20, v3, v17
	s_delay_alu instid0(VALU_DEP_1) | instskip(NEXT) | instid1(VALU_DEP_1)
	v_add_nc_u32_e32 v41, v2, v75
	v_cndmask_b32_e64 v2, 0, v41, s5
	s_delay_alu instid0(VALU_DEP_1) | instskip(NEXT) | instid1(VALU_DEP_1)
	v_add_nc_u32_e32 v25, v2, v73
	v_dual_add_nc_u32 v42, v46, v66 :: v_dual_cndmask_b32 v2, 0, v25, s4
	s_delay_alu instid0(VALU_DEP_1) | instskip(NEXT) | instid1(VALU_DEP_1)
	v_add_nc_u32_e32 v38, v42, v65
	v_add_nc_u32_e32 v32, v38, v63
	s_delay_alu instid0(VALU_DEP_1) | instskip(NEXT) | instid1(VALU_DEP_1)
	v_dual_add_nc_u32 v27, v2, v69 :: v_dual_add_nc_u32 v34, v32, v64
	v_dual_cndmask_b32 v2, 0, v27, s3 :: v_dual_add_nc_u32 v40, v34, v62
	s_delay_alu instid0(VALU_DEP_1) | instskip(NEXT) | instid1(VALU_DEP_1)
	v_dual_add_nc_u32 v31, v2, v54 :: v_dual_add_nc_u32 v24, v40, v60
	v_dual_cndmask_b32 v2, 0, v31, s2 :: v_dual_add_nc_u32 v26, v24, v58
	s_delay_alu instid0(VALU_DEP_1) | instskip(NEXT) | instid1(VALU_DEP_2)
	v_add_nc_u32_e32 v37, v2, v52
	v_add_nc_u32_e32 v30, v26, v57
	s_delay_alu instid0(VALU_DEP_2) | instskip(NEXT) | instid1(VALU_DEP_2)
	v_cndmask_b32_e64 v2, 0, v37, s1
	v_add_nc_u32_e32 v36, v30, v21
	s_delay_alu instid0(VALU_DEP_1) | instskip(NEXT) | instid1(VALU_DEP_1)
	v_dual_add_nc_u32 v29, v2, v51 :: v_dual_add_nc_u32 v28, v36, v56
	v_cndmask_b32_e64 v2, 0, v29, s0
	s_delay_alu instid0(VALU_DEP_1)
	v_dual_add_nc_u32 v22, v28, v59 :: v_dual_add_nc_u32 v23, v2, v50
	s_branch .LBB166_94
.LBB166_83:
	s_wait_kmcnt 0x0
	s_cmp_eq_u64 s[30:31], 0
	v_mov_b32_e32 v6, v53
	s_cselect_b32 s0, -1, 0
	s_delay_alu instid0(SALU_CYCLE_1) | instskip(NEXT) | instid1(SALU_CYCLE_1)
	s_or_b32 s0, s18, s0
	s_and_b32 vcc_lo, exec_lo, s0
	s_cbranch_vccnz .LBB166_85
; %bb.84:
	v_mov_b32_e32 v2, 0
	global_load_b32 v6, v2, s[30:31]
.LBB166_85:
	v_add3_u32 v3, v80, v63, v64
	v_cmp_eq_u32_e64 s5, 0, v67
	v_cmp_eq_u32_e64 s6, 0, v66
	;; [unrolled: 1-line block ×4, first 2 shown]
	v_add3_u32 v3, v3, v62, v60
	s_wait_xcnt 0x0
	v_cndmask_b32_e64 v2, 0, v53, s5
	v_cmp_eq_u32_e64 s10, 0, v64
	v_cmp_eq_u32_e64 s9, 0, v62
	;; [unrolled: 1-line block ×3, first 2 shown]
	v_add3_u32 v3, v3, v58, v57
	v_dual_add_nc_u32 v2, v2, v55 :: v_dual_bitop2_b32 v5, 15, v77 bitop3:0x40
	v_cmp_eq_u32_e64 s3, 0, v58
	v_cmp_eq_u32_e64 s2, 0, v57
	s_delay_alu instid0(VALU_DEP_4)
	v_add3_u32 v3, v3, v21, v56
	v_cmp_eq_u32_e64 s1, 0, v21
	v_cmp_eq_u32_e32 vcc_lo, 0, v56
	v_cmp_eq_u32_e64 s0, 0, v59
	v_cmp_eq_u32_e64 s11, 0, v61
	v_add3_u32 v3, v3, v59, v61
	v_cndmask_b32_e64 v2, 0, v2, s6
	s_delay_alu instid0(VALU_DEP_2) | instskip(NEXT) | instid1(VALU_DEP_2)
	v_mov_b32_dpp v7, v3 row_shr:1 row_mask:0xf bank_mask:0xf
	v_add_nc_u32_e32 v2, v2, v72
	s_delay_alu instid0(VALU_DEP_1) | instskip(NEXT) | instid1(VALU_DEP_1)
	v_cndmask_b32_e64 v2, 0, v2, s7
	v_add_nc_u32_e32 v2, v2, v74
	s_delay_alu instid0(VALU_DEP_1) | instskip(NEXT) | instid1(VALU_DEP_1)
	v_cndmask_b32_e64 v2, 0, v2, s8
	;; [unrolled: 3-line block ×8, first 2 shown]
	v_add_nc_u32_e32 v2, v2, v52
	s_delay_alu instid0(VALU_DEP_1) | instskip(NEXT) | instid1(VALU_DEP_1)
	v_cndmask_b32_e32 v2, 0, v2, vcc_lo
	v_add_nc_u32_e32 v2, v2, v51
	s_delay_alu instid0(VALU_DEP_1) | instskip(NEXT) | instid1(VALU_DEP_1)
	v_cndmask_b32_e64 v2, 0, v2, s0
	v_add_nc_u32_e32 v2, v2, v50
	s_delay_alu instid0(VALU_DEP_1) | instskip(SKIP_1) | instid1(VALU_DEP_2)
	v_cndmask_b32_e64 v2, 0, v2, s11
	v_cmp_eq_u32_e64 s11, 0, v3
	v_add_nc_u32_e32 v2, v2, v76
	s_delay_alu instid0(VALU_DEP_1) | instskip(NEXT) | instid1(VALU_DEP_1)
	v_mov_b32_dpp v4, v2 row_shr:1 row_mask:0xf bank_mask:0xf
	v_cndmask_b32_e64 v4, 0, v4, s11
	v_cmp_eq_u32_e64 s11, 0, v5
	s_delay_alu instid0(VALU_DEP_1) | instskip(NEXT) | instid1(VALU_DEP_3)
	v_cndmask_b32_e64 v7, v7, 0, s11
	v_cndmask_b32_e64 v4, v4, 0, s11
	v_cmp_lt_u32_e64 s11, 1, v5
	s_delay_alu instid0(VALU_DEP_2) | instskip(NEXT) | instid1(VALU_DEP_1)
	v_dual_add_nc_u32 v3, v7, v3 :: v_dual_add_nc_u32 v2, v4, v2
	v_mov_b32_dpp v4, v3 row_shr:2 row_mask:0xf bank_mask:0xf
	v_cmp_eq_u32_e64 s12, 0, v3
	s_delay_alu instid0(VALU_DEP_3) | instskip(NEXT) | instid1(VALU_DEP_3)
	v_mov_b32_dpp v7, v2 row_shr:2 row_mask:0xf bank_mask:0xf
	v_cndmask_b32_e64 v4, 0, v4, s11
	s_and_b32 s11, s11, s12
	s_delay_alu instid0(VALU_DEP_2) | instid1(SALU_CYCLE_1)
	v_cndmask_b32_e64 v7, 0, v7, s11
	v_cmp_lt_u32_e64 s11, 3, v5
	s_delay_alu instid0(VALU_DEP_3) | instskip(NEXT) | instid1(VALU_DEP_3)
	v_add_nc_u32_e32 v3, v3, v4
	v_add_nc_u32_e32 v2, v7, v2
	s_delay_alu instid0(VALU_DEP_2) | instskip(SKIP_1) | instid1(VALU_DEP_3)
	v_mov_b32_dpp v4, v3 row_shr:4 row_mask:0xf bank_mask:0xf
	v_cmp_eq_u32_e64 s12, 0, v3
	v_mov_b32_dpp v7, v2 row_shr:4 row_mask:0xf bank_mask:0xf
	s_delay_alu instid0(VALU_DEP_3)
	v_cndmask_b32_e64 v4, 0, v4, s11
	s_and_b32 s11, s11, s12
	s_delay_alu instid0(VALU_DEP_2) | instid1(SALU_CYCLE_1)
	v_cndmask_b32_e64 v7, 0, v7, s11
	v_cmp_lt_u32_e64 s11, 7, v5
	s_delay_alu instid0(VALU_DEP_3) | instskip(NEXT) | instid1(VALU_DEP_3)
	v_add_nc_u32_e32 v3, v4, v3
	v_add_nc_u32_e32 v2, v2, v7
	v_bfe_i32 v7, v77, 4, 1
	s_delay_alu instid0(VALU_DEP_3) | instskip(SKIP_1) | instid1(VALU_DEP_4)
	v_mov_b32_dpp v4, v3 row_shr:8 row_mask:0xf bank_mask:0xf
	v_cmp_eq_u32_e64 s12, 0, v3
	v_mov_b32_dpp v5, v2 row_shr:8 row_mask:0xf bank_mask:0xf
	s_delay_alu instid0(VALU_DEP_3) | instskip(SKIP_2) | instid1(VALU_DEP_2)
	v_cndmask_b32_e64 v4, 0, v4, s11
	s_and_b32 s11, s11, s12
	s_mov_b32 s12, exec_lo
	v_cndmask_b32_e64 v5, 0, v5, s11
	s_delay_alu instid0(VALU_DEP_1) | instskip(SKIP_4) | instid1(VALU_DEP_1)
	v_dual_add_nc_u32 v5, v5, v2 :: v_dual_add_nc_u32 v2, v4, v3
	ds_swizzle_b32 v3, v5 offset:swizzle(BROADCAST,32,15)
	ds_swizzle_b32 v4, v2 offset:swizzle(BROADCAST,32,15)
	v_cmp_eq_u32_e64 s11, 0, v2
	s_wait_dscnt 0x0
	v_dual_cndmask_b32 v3, 0, v3, s11 :: v_dual_bitop2_b32 v4, v7, v4 bitop3:0x40
	s_delay_alu instid0(VALU_DEP_1) | instskip(NEXT) | instid1(VALU_DEP_1)
	v_dual_add_nc_u32 v2, v4, v2 :: v_dual_bitop2_b32 v3, v7, v3 bitop3:0x40
	v_dual_add_nc_u32 v3, v3, v5 :: v_dual_lshlrev_b32 v5, 3, v78
	v_cmpx_eq_u32_e64 v0, v79
; %bb.86:
	ds_store_b64 v5, v[2:3] offset:528
; %bb.87:
	s_or_b32 exec_lo, exec_lo, s12
	s_delay_alu instid0(SALU_CYCLE_1)
	s_mov_b32 s13, exec_lo
	s_wait_loadcnt_dscnt 0x0
	s_barrier_signal -1
	s_barrier_wait -1
	v_cmpx_gt_u32_e32 8, v0
	s_cbranch_execz .LBB166_89
; %bb.88:
	v_dual_lshlrev_b32 v4, 3, v0 :: v_dual_bitop2_b32 v14, 7, v77 bitop3:0x40
	ds_load_b64 v[8:9], v4 offset:528
	s_wait_dscnt 0x0
	v_mov_b32_dpp v7, v9 row_shr:1 row_mask:0xf bank_mask:0xf
	v_cmp_eq_u32_e64 s11, 0, v8
	v_mov_b32_dpp v15, v8 row_shr:1 row_mask:0xf bank_mask:0xf
	s_delay_alu instid0(VALU_DEP_2) | instskip(SKIP_1) | instid1(VALU_DEP_1)
	v_cndmask_b32_e64 v7, 0, v7, s11
	v_cmp_eq_u32_e64 s11, 0, v14
	v_cndmask_b32_e64 v15, v15, 0, s11
	s_delay_alu instid0(VALU_DEP_1) | instskip(NEXT) | instid1(VALU_DEP_4)
	v_add_nc_u32_e32 v8, v15, v8
	v_cndmask_b32_e64 v7, v7, 0, s11
	v_cmp_lt_u32_e64 s11, 1, v14
	s_delay_alu instid0(VALU_DEP_3) | instskip(NEXT) | instid1(VALU_DEP_3)
	v_cmp_eq_u32_e64 s12, 0, v8
	v_add_nc_u32_e32 v7, v7, v9
	v_mov_b32_dpp v9, v8 row_shr:2 row_mask:0xf bank_mask:0xf
	s_delay_alu instid0(VALU_DEP_1) | instskip(NEXT) | instid1(VALU_DEP_3)
	v_cndmask_b32_e64 v9, 0, v9, s11
	v_mov_b32_dpp v15, v7 row_shr:2 row_mask:0xf bank_mask:0xf
	s_and_b32 s11, s11, s12
	s_delay_alu instid0(VALU_DEP_1) | instid1(SALU_CYCLE_1)
	v_dual_add_nc_u32 v8, v9, v8 :: v_dual_cndmask_b32 v15, 0, v15, s11
	v_cmp_lt_u32_e64 s11, 3, v14
	s_delay_alu instid0(VALU_DEP_2) | instskip(NEXT) | instid1(VALU_DEP_3)
	v_mov_b32_dpp v9, v8 row_shr:4 row_mask:0xf bank_mask:0xf
	v_add_nc_u32_e32 v7, v15, v7
	v_cmp_eq_u32_e64 s12, 0, v8
	s_delay_alu instid0(VALU_DEP_3) | instskip(NEXT) | instid1(VALU_DEP_3)
	v_cndmask_b32_e64 v9, 0, v9, s11
	v_mov_b32_dpp v14, v7 row_shr:4 row_mask:0xf bank_mask:0xf
	s_and_b32 s11, s11, s12
	s_delay_alu instid0(VALU_DEP_1) | instid1(SALU_CYCLE_1)
	v_dual_add_nc_u32 v8, v9, v8 :: v_dual_cndmask_b32 v14, 0, v14, s11
	s_delay_alu instid0(VALU_DEP_1)
	v_add_nc_u32_e32 v9, v14, v7
	ds_store_b64 v4, v[8:9] offset:528
.LBB166_89:
	s_or_b32 exec_lo, exec_lo, s13
	v_dual_mov_b32 v7, 0 :: v_dual_mov_b32 v4, 0
	v_mov_b32_e32 v8, v6
	s_mov_b32 s12, exec_lo
	s_wait_dscnt 0x0
	s_barrier_signal -1
	s_barrier_wait -1
	v_cmpx_lt_u32_e32 31, v0
	s_cbranch_execz .LBB166_91
; %bb.90:
	ds_load_b64 v[4:5], v5 offset:520
	s_wait_dscnt 0x0
	v_cmp_eq_u32_e64 s11, 0, v4
	s_delay_alu instid0(VALU_DEP_1) | instskip(NEXT) | instid1(VALU_DEP_1)
	v_cndmask_b32_e64 v8, 0, v6, s11
	v_add_nc_u32_e32 v8, v8, v5
.LBB166_91:
	s_or_b32 exec_lo, exec_lo, s12
	v_sub_co_u32 v5, s11, v77, 1
	ds_load_b64 v[16:17], v7 offset:584
	v_cmp_gt_i32_e64 s12, 0, v5
	s_delay_alu instid0(VALU_DEP_1) | instskip(SKIP_1) | instid1(VALU_DEP_1)
	v_cndmask_b32_e64 v5, v5, v77, s12
	v_cmp_eq_u32_e64 s12, 0, v2
	v_dual_cndmask_b32 v9, 0, v8, s12 :: v_dual_add_nc_u32 v2, v4, v2
	s_delay_alu instid0(VALU_DEP_3)
	v_lshlrev_b32_e32 v5, 2, v5
	v_cmp_eq_u32_e64 s12, 0, v68
	ds_bpermute_b32 v2, v5, v2
	s_wait_dscnt 0x0
	v_dual_add_nc_u32 v3, v9, v3 :: v_dual_cndmask_b32 v2, v2, v4, s11
	ds_bpermute_b32 v3, v5, v3
	s_wait_dscnt 0x0
	v_cndmask_b32_e64 v3, v3, v8, s11
	v_cmp_eq_u32_e64 s11, 0, v0
	s_delay_alu instid0(VALU_DEP_1) | instskip(SKIP_1) | instid1(VALU_DEP_1)
	v_cndmask_b32_e64 v45, v3, v6, s11
	v_cndmask_b32_e64 v44, v2, 0, s11
	v_dual_cndmask_b32 v3, 0, v45, s12 :: v_dual_add_nc_u32 v48, v44, v68
	s_delay_alu instid0(VALU_DEP_1) | instskip(NEXT) | instid1(VALU_DEP_1)
	v_dual_add_nc_u32 v49, v3, v53 :: v_dual_add_nc_u32 v46, v48, v67
	v_dual_cndmask_b32 v3, 0, v49, s5 :: v_dual_add_nc_u32 v42, v46, v66
	s_delay_alu instid0(VALU_DEP_1) | instskip(NEXT) | instid1(VALU_DEP_1)
	v_dual_add_nc_u32 v47, v3, v55 :: v_dual_add_nc_u32 v38, v42, v65
	v_cndmask_b32_e64 v3, 0, v47, s6
	s_delay_alu instid0(VALU_DEP_1) | instskip(NEXT) | instid1(VALU_DEP_1)
	v_dual_add_nc_u32 v32, v38, v63 :: v_dual_add_nc_u32 v43, v3, v72
	v_dual_add_nc_u32 v34, v32, v64 :: v_dual_cndmask_b32 v3, 0, v43, s7
	s_delay_alu instid0(VALU_DEP_1) | instskip(NEXT) | instid1(VALU_DEP_1)
	v_add_nc_u32_e32 v40, v34, v62
	v_dual_add_nc_u32 v39, v3, v74 :: v_dual_add_nc_u32 v24, v40, v60
	s_delay_alu instid0(VALU_DEP_1) | instskip(NEXT) | instid1(VALU_DEP_1)
	v_dual_cndmask_b32 v3, 0, v39, s8 :: v_dual_add_nc_u32 v26, v24, v58
	v_dual_add_nc_u32 v33, v3, v70 :: v_dual_add_nc_u32 v30, v26, v57
	s_delay_alu instid0(VALU_DEP_1) | instskip(NEXT) | instid1(VALU_DEP_1)
	v_cndmask_b32_e64 v3, 0, v33, s10
	v_dual_add_nc_u32 v36, v30, v21 :: v_dual_add_nc_u32 v35, v3, v71
	s_delay_alu instid0(VALU_DEP_1) | instskip(NEXT) | instid1(VALU_DEP_1)
	v_dual_add_nc_u32 v28, v36, v56 :: v_dual_cndmask_b32 v2, 0, v35, s9
	v_add_nc_u32_e32 v22, v28, v59
	s_delay_alu instid0(VALU_DEP_2) | instskip(NEXT) | instid1(VALU_DEP_1)
	v_add_nc_u32_e32 v41, v2, v75
	v_cndmask_b32_e64 v2, 0, v41, s4
	s_delay_alu instid0(VALU_DEP_1) | instskip(NEXT) | instid1(VALU_DEP_1)
	v_add_nc_u32_e32 v25, v2, v73
	v_cndmask_b32_e64 v2, 0, v25, s3
	s_delay_alu instid0(VALU_DEP_1) | instskip(NEXT) | instid1(VALU_DEP_1)
	;; [unrolled: 3-line block ×4, first 2 shown]
	v_add_nc_u32_e32 v37, v2, v52
	v_cndmask_b32_e32 v2, 0, v37, vcc_lo
	v_cmp_eq_u32_e32 vcc_lo, 0, v16
	s_delay_alu instid0(VALU_DEP_2) | instskip(NEXT) | instid1(VALU_DEP_1)
	v_dual_cndmask_b32 v3, 0, v6, vcc_lo :: v_dual_add_nc_u32 v29, v2, v51
	v_add_nc_u32_e32 v20, v3, v17
	s_delay_alu instid0(VALU_DEP_2) | instskip(NEXT) | instid1(VALU_DEP_1)
	v_cndmask_b32_e64 v2, 0, v29, s0
	v_add_nc_u32_e32 v23, v2, v50
	s_and_saveexec_b32 s0, s11
	s_cbranch_execz .LBB166_93
; %bb.92:
	s_add_nc_u64 s[2:3], s[16:17], 0x200
	v_dual_mov_b32 v18, 2 :: v_dual_mov_b32 v19, 0
	v_mov_b32_e32 v17, v20
	v_mov_b64_e32 v[2:3], s[2:3]
	;;#ASMSTART
	global_store_b128 v[2:3], v[16:19] off scope:SCOPE_DEV	
s_wait_storecnt 0x0
	;;#ASMEND
.LBB166_93:
	s_or_b32 exec_lo, exec_lo, s0
	v_mov_b32_e32 v18, 0
.LBB166_94:
	s_cmp_eq_u64 s[26:27], 0
	v_mov_b64_e32 v[50:51], 0
	s_cselect_b32 s0, -1, 0
	s_delay_alu instid0(SALU_CYCLE_1)
	s_or_b32 s0, s18, s0
	s_barrier_signal -1
	s_and_b32 vcc_lo, exec_lo, s0
	s_barrier_wait -1
	s_cbranch_vccnz .LBB166_96
; %bb.95:
	v_mov_b32_e32 v2, 0
	global_load_b64 v[50:51], v2, s[26:27]
.LBB166_96:
	v_cmp_eq_u32_e32 vcc_lo, 0, v68
	v_cmp_ne_u32_e64 s13, 0, v68
	v_cmp_ne_u32_e64 s12, 0, v67
	;; [unrolled: 1-line block ×4, first 2 shown]
	s_wait_xcnt 0x0
	v_cndmask_b32_e64 v2, 1, 2, vcc_lo
	v_cmp_eq_u32_e32 vcc_lo, 0, v67
	v_cmp_ne_u32_e64 s9, 0, v63
	v_cmp_ne_u32_e64 s8, 0, v64
	;; [unrolled: 1-line block ×4, first 2 shown]
	v_cndmask_b32_e64 v3, 1, 2, vcc_lo
	v_cmp_eq_u32_e32 vcc_lo, 0, v66
	v_cmp_ne_u32_e64 s5, 0, v58
	v_cmp_ne_u32_e64 s4, 0, v57
	s_delay_alu instid0(VALU_DEP_4)
	v_dual_mov_b32 v19, 0 :: v_dual_bitop2_b32 v2, v3, v2 bitop3:0x40
	v_cndmask_b32_e64 v3, 1, 2, vcc_lo
	v_cmp_eq_u32_e32 vcc_lo, 0, v65
	v_cmp_ne_u32_e64 s3, 0, v21
	v_cmp_ne_u32_e64 s2, 0, v56
	;; [unrolled: 1-line block ×4, first 2 shown]
	v_cndmask_b32_e64 v4, 1, 2, vcc_lo
	v_cmp_eq_u32_e32 vcc_lo, 0, v63
	s_mov_b32 s16, -1
	s_delay_alu instid0(VALU_DEP_2) | instskip(SKIP_4) | instid1(VALU_DEP_2)
	v_bitop3_b16 v2, v2, v4, v3 bitop3:0x80
	v_cndmask_b32_e64 v5, 1, 2, vcc_lo
	v_cmp_eq_u32_e32 vcc_lo, 0, v64
	v_cndmask_b32_e64 v6, 1, 2, vcc_lo
	v_cmp_eq_u32_e32 vcc_lo, 0, v62
	v_bitop3_b16 v4, v2, v6, v5 bitop3:0x80
	v_cndmask_b32_e64 v5, 1, 2, vcc_lo
	v_cmp_eq_u32_e32 vcc_lo, 0, v60
	s_wait_loadcnt 0x0
	s_wait_kmcnt 0x0
	v_add_nc_u64_e32 v[2:3], s[20:21], v[50:51]
	v_cndmask_b32_e64 v6, 1, 2, vcc_lo
	v_cmp_eq_u32_e32 vcc_lo, 0, v58
	s_delay_alu instid0(VALU_DEP_3) | instskip(NEXT) | instid1(VALU_DEP_3)
	v_add_nc_u64_e32 v[52:53], v[2:3], v[18:19]
	v_bitop3_b16 v4, v4, v6, v5 bitop3:0x80
	v_cndmask_b32_e64 v5, 1, 2, vcc_lo
	v_cmp_eq_u32_e32 vcc_lo, 0, v57
	v_cndmask_b32_e64 v6, 1, 2, vcc_lo
	v_cmp_eq_u32_e32 vcc_lo, 0, v21
	s_delay_alu instid0(VALU_DEP_2) | instskip(SKIP_4) | instid1(VALU_DEP_2)
	v_bitop3_b16 v2, v4, v6, v5 bitop3:0x80
	v_cndmask_b32_e64 v3, 1, 2, vcc_lo
	v_cmp_eq_u32_e32 vcc_lo, 0, v56
	v_cndmask_b32_e64 v4, 1, 2, vcc_lo
	v_cmp_eq_u32_e32 vcc_lo, 0, v59
	v_bitop3_b16 v2, v2, v4, v3 bitop3:0x80
	v_cndmask_b32_e64 v3, 1, 2, vcc_lo
	v_cmp_eq_u32_e32 vcc_lo, 0, v61
	v_cndmask_b32_e64 v4, 1, 2, vcc_lo
	v_cmp_gt_u32_e32 vcc_lo, 0x100, v16
	s_delay_alu instid0(VALU_DEP_2) | instskip(NEXT) | instid1(VALU_DEP_1)
	v_bitop3_b16 v2, v2, v4, v3 bitop3:0x80
	v_cmp_gt_i16_e64 s14, 2, v2
	s_cbranch_vccz .LBB166_103
; %bb.97:
	s_and_saveexec_b32 s16, s14
	s_cbranch_execz .LBB166_102
; %bb.98:
	s_mov_b32 s17, 0
	s_mov_b32 s14, exec_lo
	v_cmpx_ne_u16_e32 1, v2
	s_xor_b32 s14, exec_lo, s14
	s_cbranch_execnz .LBB166_145
; %bb.99:
	s_and_not1_saveexec_b32 s14, s14
	s_cbranch_execnz .LBB166_160
.LBB166_100:
	s_or_b32 exec_lo, exec_lo, s14
	s_delay_alu instid0(SALU_CYCLE_1)
	s_and_b32 exec_lo, exec_lo, s17
	s_cbranch_execz .LBB166_102
.LBB166_101:
	v_dual_sub_nc_u32 v3, v22, v18 :: v_dual_lshrrev_b32 v4, 24, v12
	v_readfirstlane_b32 s18, v52
	v_readfirstlane_b32 s19, v53
	global_store_b8 v3, v4, s[18:19]
.LBB166_102:
	s_wait_xcnt 0x0
	s_or_b32 exec_lo, exec_lo, s16
	s_mov_b32 s16, 0
.LBB166_103:
	s_delay_alu instid0(SALU_CYCLE_1)
	s_and_b32 vcc_lo, exec_lo, s16
	s_cbranch_vccz .LBB166_124
; %bb.104:
	s_mov_b32 s14, exec_lo
	v_cmpx_gt_i16_e32 2, v2
	s_cbranch_execz .LBB166_109
; %bb.105:
	s_mov_b32 s17, 0
	s_mov_b32 s16, exec_lo
	v_cmpx_ne_u16_e32 1, v2
	s_xor_b32 s16, exec_lo, s16
	s_cbranch_execnz .LBB166_161
; %bb.106:
	s_and_not1_saveexec_b32 s0, s16
	s_cbranch_execnz .LBB166_176
.LBB166_107:
	s_or_b32 exec_lo, exec_lo, s0
	s_delay_alu instid0(SALU_CYCLE_1)
	s_and_b32 exec_lo, exec_lo, s17
.LBB166_108:
	v_dual_sub_nc_u32 v1, v22, v18 :: v_dual_lshrrev_b32 v2, 24, v12
	ds_store_b8 v1, v2
.LBB166_109:
	s_or_b32 exec_lo, exec_lo, s14
	s_delay_alu instid0(SALU_CYCLE_1)
	s_mov_b32 s0, exec_lo
	s_wait_storecnt_dscnt 0x0
	s_barrier_signal -1
	s_barrier_wait -1
	v_cmpx_lt_u32_e64 v0, v16
	s_cbranch_execz .LBB166_123
; %bb.110:
	v_xad_u32 v2, v0, -1, v16
	v_mov_b32_e32 v1, v0
	s_mov_b32 s4, -1
	s_mov_b32 s2, exec_lo
	s_delay_alu instid0(VALU_DEP_2)
	v_cmp_gt_u32_e64 s1, 0x1f00, v2
	v_cmpx_lt_u32_e32 0x1eff, v2
	s_cbranch_execz .LBB166_120
; %bb.111:
	v_sub_nc_u32_e32 v1, v0, v16
	s_delay_alu instid0(VALU_DEP_1) | instskip(NEXT) | instid1(VALU_DEP_1)
	v_or_b32_e32 v1, 0xff, v1
	v_cmp_ge_u32_e32 vcc_lo, v1, v0
	v_mov_b32_e32 v1, v0
	s_and_saveexec_b32 s3, vcc_lo
	s_cbranch_execz .LBB166_119
; %bb.112:
	v_or_b32_e32 v7, 0x700, v0
	v_or_b32_e32 v6, 0x600, v0
	v_dual_mov_b32 v54, 0 :: v_dual_lshrrev_b32 v17, 8, v2
	v_or_b32_e32 v5, 0x500, v0
	v_or_b32_e32 v4, 0x400, v0
	;; [unrolled: 1-line block ×5, first 2 shown]
	v_mov_b64_e32 v[14:15], v[6:7]
	v_mov_b64_e32 v[12:13], v[4:5]
	v_add_nc_u32_e32 v69, -7, v17
	v_mov_b64_e32 v[10:11], v[2:3]
	v_mov_b64_e32 v[8:9], v[0:1]
	s_mov_b32 s4, exec_lo
	s_delay_alu instid0(VALU_DEP_3)
	v_cmpx_lt_u32_e32 7, v69
	s_cbranch_execz .LBB166_116
; %bb.113:
	v_dual_mov_b32 v55, 0 :: v_dual_lshrrev_b32 v8, 3, v69
	s_mov_b32 s5, 0
	s_mov_b32 s6, 0
	s_delay_alu instid0(VALU_DEP_1) | instskip(NEXT) | instid1(VALU_DEP_1)
	v_dual_mov_b32 v70, v0 :: v_dual_add_nc_u32 v8, 1, v8
	v_and_b32_e32 v71, 0x3ffffffe, v8
	v_mov_b64_e32 v[14:15], v[6:7]
	v_mov_b64_e32 v[12:13], v[4:5]
	v_mov_b64_e32 v[10:11], v[2:3]
	v_mov_b64_e32 v[8:9], v[0:1]
.LBB166_114:                            ; =>This Inner Loop Header: Depth=1
	s_delay_alu instid0(VALU_DEP_1)
	v_dual_mov_b32 v54, v8 :: v_dual_mov_b32 v79, v55
	v_add_nc_u32_e32 v71, -2, v71
	s_add_co_i32 s6, s6, 16
	s_delay_alu instid0(VALU_DEP_3) | instid1(SALU_CYCLE_1)
	v_dual_mov_b32 v1, s6 :: v_dual_add_nc_u32 v78, 0x800, v9
	s_delay_alu instid0(VALU_DEP_3)
	v_add_nc_u64_e32 v[80:81], v[52:53], v[54:55]
	v_dual_mov_b32 v54, v9 :: v_dual_add_nc_u32 v9, 0x1000, v9
	ds_load_u8 v88, v70
	ds_load_u8 v89, v70 offset:256
	ds_load_u8 v90, v70 offset:512
	;; [unrolled: 1-line block ×7, first 2 shown]
	v_dual_mov_b32 v5, v55 :: v_dual_add_nc_u32 v74, 0x800, v11
	v_add_nc_u64_e32 v[82:83], v[52:53], v[54:55]
	v_mov_b32_e32 v54, v10
	ds_load_u8 v96, v70 offset:2048
	ds_load_u8 v97, v70 offset:2304
	;; [unrolled: 1-line block ×8, first 2 shown]
	v_dual_mov_b32 v77, v55 :: v_dual_add_nc_u32 v2, 0x800, v15
	s_wait_dscnt 0xf
	global_store_b8 v[80:81], v88, off
	s_wait_dscnt 0xe
	global_store_b8 v[82:83], v89, off
	v_add_nc_u64_e32 v[84:85], v[52:53], v[54:55]
	v_dual_mov_b32 v54, v11 :: v_dual_add_nc_u32 v11, 0x1000, v11
	v_dual_mov_b32 v3, v55 :: v_dual_add_nc_u32 v76, 0x800, v10
	;; [unrolled: 1-line block ×3, first 2 shown]
	s_delay_alu instid0(VALU_DEP_3)
	v_add_nc_u64_e32 v[86:87], v[52:53], v[54:55]
	v_mov_b32_e32 v54, v12
	s_wait_dscnt 0xd
	global_store_b8 v[84:85], v90, off
	v_dual_mov_b32 v73, v55 :: v_dual_add_nc_u32 v6, 0x800, v13
	v_dual_mov_b32 v7, v55 :: v_dual_add_nc_u32 v72, 0x800, v12
	s_wait_xcnt 0x2
	v_add_nc_u64_e32 v[80:81], v[52:53], v[54:55]
	v_mov_b32_e32 v54, v13
	s_wait_dscnt 0xc
	global_store_b8 v[86:87], v91, off
	v_cmp_eq_u32_e32 vcc_lo, 0, v71
	v_add_nc_u32_e32 v70, 0x1000, v70
	v_add_nc_u64_e32 v[78:79], v[52:53], v[78:79]
	s_wait_xcnt 0x2
	v_add_nc_u64_e32 v[82:83], v[52:53], v[54:55]
	v_mov_b32_e32 v54, v14
	s_wait_dscnt 0xb
	global_store_b8 v[80:81], v92, off
	v_add_nc_u32_e32 v10, 0x1000, v10
	v_add_nc_u32_e32 v12, 0x1000, v12
	;; [unrolled: 1-line block ×3, first 2 shown]
	s_wait_xcnt 0x0
	v_add_nc_u64_e32 v[80:81], v[52:53], v[54:55]
	v_mov_b32_e32 v54, v15
	s_wait_dscnt 0xa
	global_store_b8 v[82:83], v93, off
	v_add_nc_u32_e32 v14, 0x1000, v14
	v_add_nc_u32_e32 v15, 0x1000, v15
	v_add_nc_u64_e32 v[76:77], v[52:53], v[76:77]
	s_wait_xcnt 0x0
	v_add_nc_u64_e32 v[82:83], v[52:53], v[54:55]
	v_add_nc_u32_e32 v54, 0x800, v8
	s_wait_dscnt 0x9
	global_store_b8 v[80:81], v94, off
	v_add_nc_u32_e32 v8, 0x1000, v8
	v_add_nc_u64_e32 v[74:75], v[52:53], v[74:75]
	v_add_nc_u64_e32 v[72:73], v[52:53], v[72:73]
	s_wait_xcnt 0x0
	v_add_nc_u64_e32 v[80:81], v[52:53], v[54:55]
	s_or_b32 s5, vcc_lo, s5
	v_add_nc_u64_e32 v[6:7], v[52:53], v[6:7]
	v_add_nc_u64_e32 v[4:5], v[52:53], v[4:5]
	;; [unrolled: 1-line block ×3, first 2 shown]
	s_wait_dscnt 0x8
	global_store_b8 v[82:83], v95, off
	s_wait_dscnt 0x7
	global_store_b8 v[80:81], v96, off
	;; [unrolled: 2-line block ×9, first 2 shown]
	s_wait_xcnt 0x0
	s_and_not1_b32 exec_lo, exec_lo, s5
	s_cbranch_execnz .LBB166_114
; %bb.115:
	s_or_b32 exec_lo, exec_lo, s5
	v_lshlrev_b32_e32 v54, 8, v1
.LBB166_116:
	s_or_b32 exec_lo, exec_lo, s4
	v_and_b32_e32 v1, 8, v69
	s_mov_b32 s4, exec_lo
	s_delay_alu instid0(VALU_DEP_1)
	v_cmpx_eq_u32_e32 0, v1
	s_cbranch_execz .LBB166_118
; %bb.117:
	v_dual_mov_b32 v3, 0 :: v_dual_mov_b32 v2, v8
	v_or_b32_e32 v1, v0, v54
	ds_load_u8 v69, v1
	ds_load_u8 v72, v1 offset:256
	ds_load_u8 v73, v1 offset:512
	;; [unrolled: 1-line block ×7, first 2 shown]
	v_add_nc_u64_e32 v[4:5], v[52:53], v[2:3]
	v_mov_b32_e32 v2, v9
	s_delay_alu instid0(VALU_DEP_1) | instskip(SKIP_1) | instid1(VALU_DEP_1)
	v_add_nc_u64_e32 v[6:7], v[52:53], v[2:3]
	v_mov_b32_e32 v2, v10
	v_add_nc_u64_e32 v[8:9], v[52:53], v[2:3]
	v_mov_b32_e32 v2, v11
	s_delay_alu instid0(VALU_DEP_1) | instskip(SKIP_1) | instid1(VALU_DEP_1)
	v_add_nc_u64_e32 v[10:11], v[52:53], v[2:3]
	v_mov_b32_e32 v2, v12
	;; [unrolled: 5-line block ×3, first 2 shown]
	v_add_nc_u64_e32 v[70:71], v[52:53], v[2:3]
	v_mov_b32_e32 v2, v15
	s_delay_alu instid0(VALU_DEP_1)
	v_add_nc_u64_e32 v[2:3], v[52:53], v[2:3]
	s_wait_dscnt 0x7
	global_store_b8 v[4:5], v69, off
	s_wait_dscnt 0x6
	global_store_b8 v[6:7], v72, off
	;; [unrolled: 2-line block ×8, first 2 shown]
.LBB166_118:
	s_wait_xcnt 0x0
	s_or_b32 exec_lo, exec_lo, s4
	v_add_nc_u32_e32 v1, 1, v17
	s_delay_alu instid0(VALU_DEP_1) | instskip(NEXT) | instid1(VALU_DEP_1)
	v_and_b32_e32 v2, 0x1fffff8, v1
	v_cmp_ne_u32_e32 vcc_lo, v1, v2
	v_lshl_or_b32 v1, v2, 8, v0
	s_or_not1_b32 s4, vcc_lo, exec_lo
.LBB166_119:
	s_or_b32 exec_lo, exec_lo, s3
	s_delay_alu instid0(SALU_CYCLE_1) | instskip(SKIP_1) | instid1(SALU_CYCLE_1)
	s_and_not1_b32 s1, s1, exec_lo
	s_and_b32 s3, s4, exec_lo
	s_or_b32 s1, s1, s3
.LBB166_120:
	s_or_b32 exec_lo, exec_lo, s2
	s_delay_alu instid0(SALU_CYCLE_1)
	s_and_b32 exec_lo, exec_lo, s1
	s_cbranch_execz .LBB166_123
; %bb.121:
	s_mov_b32 s1, 0
.LBB166_122:                            ; =>This Inner Loop Header: Depth=1
	ds_load_u8 v2, v1
	v_readfirstlane_b32 s2, v52
	v_readfirstlane_b32 s3, v53
	s_wait_dscnt 0x0
	global_store_b8 v1, v2, s[2:3]
	s_wait_xcnt 0x0
	v_add_nc_u32_e32 v1, 0x100, v1
	s_delay_alu instid0(VALU_DEP_1) | instskip(SKIP_1) | instid1(SALU_CYCLE_1)
	v_cmp_ge_u32_e32 vcc_lo, v1, v16
	s_or_b32 s1, vcc_lo, s1
	s_and_not1_b32 exec_lo, exec_lo, s1
	s_cbranch_execnz .LBB166_122
.LBB166_123:
	s_or_b32 exec_lo, exec_lo, s0
.LBB166_124:
	s_cmp_lg_u32 s29, 0xe00
	v_cmp_eq_u32_e32 vcc_lo, 0, v0
	s_cselect_b32 s0, -1, 0
	s_lshr_b32 s1, s29, 1
	s_and_b32 s0, s15, s0
	v_cndmask_b32_e64 v6, 0, 1, s33
	v_mad_i32_i24 v3, v0, -14, s29
	v_cndmask_b32_e64 v2, 0, 1, s0
	s_mul_hi_u32 s0, s1, 0x92492493
	s_and_b32 s1, vcc_lo, s33
	s_lshr_b32 s0, s0, 2
	v_cndmask_b32_e64 v4, v68, 0, s1
	v_cmp_eq_u32_e32 vcc_lo, s0, v0
	v_cmp_ne_u32_e64 s0, 0, v3
	v_sub_nc_u32_e32 v1, v16, v6
	s_mov_b32 s16, -1
	s_wait_storecnt 0x0
	s_and_b32 vcc_lo, s15, vcc_lo
	s_barrier_signal -1
	v_dual_add_nc_u32 v1, v1, v2 :: v_dual_cndmask_b32 v2, 1, v4, s0
	v_cmp_ne_u32_e64 s0, 1, v3
	s_barrier_wait -1
	s_delay_alu instid0(VALU_DEP_1) | instskip(SKIP_1) | instid1(VALU_DEP_2)
	v_dual_cndmask_b32 v54, v4, v2, vcc_lo :: v_dual_cndmask_b32 v5, 1, v67, s0
	v_cmp_ne_u32_e64 s0, 2, v3
	v_cmp_ne_u32_e64 s13, 0, v54
	s_delay_alu instid0(VALU_DEP_2) | instskip(SKIP_1) | instid1(VALU_DEP_1)
	v_cndmask_b32_e64 v7, 1, v66, s0
	v_cmp_ne_u32_e64 s0, 3, v3
	v_cndmask_b32_e64 v8, 1, v65, s0
	v_cmp_ne_u32_e64 s0, 4, v3
	s_delay_alu instid0(VALU_DEP_4) | instskip(SKIP_1) | instid1(VALU_DEP_3)
	v_dual_cndmask_b32 v55, v67, v5, vcc_lo :: v_dual_cndmask_b32 v7, v66, v7, vcc_lo
	v_lshlrev_b64_e32 v[4:5], 3, v[18:19]
	v_cndmask_b32_e64 v9, 1, v63, s0
	v_cmp_ne_u32_e64 s0, 5, v3
	s_delay_alu instid0(VALU_DEP_4) | instskip(SKIP_1) | instid1(VALU_DEP_3)
	v_cmp_ne_u32_e64 s11, 0, v7
	v_cmp_ne_u32_e64 s12, 0, v55
	v_cndmask_b32_e64 v10, 1, v64, s0
	v_cmp_ne_u32_e64 s0, 6, v3
	v_dual_cndmask_b32 v8, v65, v8 :: v_dual_cndmask_b32 v9, v63, v9
	s_delay_alu instid0(VALU_DEP_3) | instskip(NEXT) | instid1(VALU_DEP_3)
	v_cndmask_b32_e32 v10, v64, v10, vcc_lo
	v_cndmask_b32_e64 v11, 1, v62, s0
	v_cmp_ne_u32_e64 s0, 7, v3
	s_delay_alu instid0(VALU_DEP_4) | instskip(SKIP_2) | instid1(VALU_DEP_4)
	v_cmp_ne_u32_e64 s10, 0, v8
	v_cmp_ne_u32_e64 s9, 0, v9
	;; [unrolled: 1-line block ×3, first 2 shown]
	v_cndmask_b32_e64 v12, 1, v60, s0
	v_cmp_ne_u32_e64 s0, 8, v3
	s_delay_alu instid0(VALU_DEP_1) | instskip(SKIP_1) | instid1(VALU_DEP_2)
	v_dual_cndmask_b32 v11, v62, v11, vcc_lo :: v_dual_cndmask_b32 v13, 1, v58, s0
	v_cmp_ne_u32_e64 s0, 9, v3
	v_cmp_ne_u32_e64 s7, 0, v11
	s_delay_alu instid0(VALU_DEP_2) | instskip(SKIP_2) | instid1(VALU_DEP_2)
	v_cndmask_b32_e64 v14, 1, v57, s0
	v_cmp_ne_u32_e64 s0, 10, v3
	v_dual_cndmask_b32 v12, v60, v12 :: v_dual_cndmask_b32 v13, v58, v13
	v_dual_cndmask_b32 v14, v57, v14, vcc_lo :: v_dual_cndmask_b32 v15, 1, v21, s0
	v_cmp_ne_u32_e64 s0, 13, v3
	s_delay_alu instid0(VALU_DEP_3) | instskip(NEXT) | instid1(VALU_DEP_4)
	v_cmp_ne_u32_e64 s6, 0, v12
	v_cmp_ne_u32_e64 s5, 0, v13
	s_delay_alu instid0(VALU_DEP_4) | instskip(NEXT) | instid1(VALU_DEP_4)
	v_cmp_ne_u32_e64 s4, 0, v14
	v_cndmask_b32_e64 v17, 1, v61, s0
	v_cmp_ne_u32_e64 s0, 12, v3
	s_delay_alu instid0(VALU_DEP_1) | instskip(SKIP_2) | instid1(VALU_DEP_3)
	v_cndmask_b32_e64 v52, 1, v59, s0
	v_cmp_ne_u32_e64 s0, 11, v3
	v_lshlrev_b64_e32 v[2:3], 3, v[50:51]
	v_dual_cndmask_b32 v15, v21, v15 :: v_dual_cndmask_b32 v52, v59, v52
	s_delay_alu instid0(VALU_DEP_3) | instskip(SKIP_1) | instid1(VALU_DEP_4)
	v_dual_cndmask_b32 v53, 1, v56, s0 :: v_dual_cndmask_b32 v17, v61, v17, vcc_lo
	v_cmp_eq_u32_e64 s0, 0, v54
	v_add_nc_u64_e32 v[2:3], s[22:23], v[2:3]
	s_delay_alu instid0(VALU_DEP_4) | instskip(NEXT) | instid1(VALU_DEP_4)
	v_cmp_ne_u32_e64 s3, 0, v15
	v_cndmask_b32_e32 v53, v56, v53, vcc_lo
	v_cmp_eq_u32_e32 vcc_lo, 0, v13
	v_cndmask_b32_e64 v59, 1, 2, s0
	v_cmp_eq_u32_e64 s0, 0, v55
	v_cmp_ne_u32_e64 s1, 0, v52
	v_add_nc_u64_e32 v[2:3], v[2:3], v[4:5]
	v_dual_mov_b32 v5, 0 :: v_dual_lshlrev_b32 v4, 3, v6
	s_delay_alu instid0(VALU_DEP_4)
	v_cndmask_b32_e64 v61, 1, 2, s0
	v_cmp_eq_u32_e64 s0, 0, v7
	v_add_nc_u32_e32 v6, v18, v6
	v_cmp_ne_u32_e64 s2, 0, v53
	v_add_nc_u64_e32 v[4:5], v[2:3], v[4:5]
	v_and_b32_e32 v59, v61, v59
	v_cndmask_b32_e64 v61, 1, 2, s0
	v_cmp_eq_u32_e64 s0, 0, v8
	s_delay_alu instid0(VALU_DEP_4) | instskip(NEXT) | instid1(VALU_DEP_2)
	v_add_nc_u64_e32 v[4:5], -8, v[4:5]
	v_cndmask_b32_e64 v64, 1, 2, s0
	v_cmp_eq_u32_e64 s0, 0, v9
	s_delay_alu instid0(VALU_DEP_2) | instskip(NEXT) | instid1(VALU_DEP_2)
	v_bitop3_b16 v59, v59, v64, v61 bitop3:0x80
	v_cndmask_b32_e64 v61, 1, 2, s0
	v_cmp_eq_u32_e64 s0, 0, v10
	s_delay_alu instid0(VALU_DEP_1) | instskip(SKIP_1) | instid1(VALU_DEP_2)
	v_cndmask_b32_e64 v63, 1, 2, s0
	v_cmp_eq_u32_e64 s0, 0, v11
	v_bitop3_b16 v56, v59, v63, v61 bitop3:0x80
	s_delay_alu instid0(VALU_DEP_2) | instskip(SKIP_1) | instid1(VALU_DEP_1)
	v_cndmask_b32_e64 v59, 1, 2, s0
	v_cmp_eq_u32_e64 s0, 0, v12
	v_cndmask_b32_e64 v60, 1, 2, s0
	v_cmp_ne_u32_e64 s0, 0, v17
	s_delay_alu instid0(VALU_DEP_2) | instskip(SKIP_4) | instid1(VALU_DEP_2)
	v_bitop3_b16 v21, v56, v60, v59 bitop3:0x80
	v_cndmask_b32_e64 v56, 1, 2, vcc_lo
	v_cmp_eq_u32_e32 vcc_lo, 0, v14
	v_cndmask_b32_e64 v57, 1, 2, vcc_lo
	v_cmp_eq_u32_e32 vcc_lo, 0, v15
	v_bitop3_b16 v7, v21, v57, v56 bitop3:0x80
	v_cndmask_b32_e64 v21, 1, 2, vcc_lo
	v_cmp_eq_u32_e32 vcc_lo, 0, v53
	v_cndmask_b32_e64 v54, 1, 2, vcc_lo
	v_cmp_eq_u32_e32 vcc_lo, 0, v52
	s_delay_alu instid0(VALU_DEP_2) | instskip(SKIP_4) | instid1(VALU_DEP_2)
	v_bitop3_b16 v7, v7, v54, v21 bitop3:0x80
	v_cndmask_b32_e64 v8, 1, 2, vcc_lo
	v_cmp_eq_u32_e32 vcc_lo, 0, v17
	v_cndmask_b32_e64 v9, 1, 2, vcc_lo
	v_cmp_gt_u32_e32 vcc_lo, 0x100, v1
	v_bitop3_b16 v7, v7, v9, v8 bitop3:0x80
	s_delay_alu instid0(VALU_DEP_1)
	v_cmp_gt_i16_e64 s14, 2, v7
	s_cbranch_vccnz .LBB166_128
; %bb.125:
	s_and_b32 vcc_lo, exec_lo, s16
	s_cbranch_vccnz .LBB166_134
.LBB166_126:
	v_cmp_eq_u32_e32 vcc_lo, 0xff, v0
	s_and_b32 s0, vcc_lo, s15
	s_delay_alu instid0(SALU_CYCLE_1)
	s_and_saveexec_b32 s1, s0
	s_cbranch_execnz .LBB166_143
.LBB166_127:
	s_sendmsg sendmsg(MSG_DEALLOC_VGPRS)
	s_endpgm
.LBB166_128:
	s_and_saveexec_b32 s16, s14
	s_cbranch_execz .LBB166_133
; %bb.129:
	s_mov_b32 s17, 0
	s_mov_b32 s14, exec_lo
	v_cmpx_ne_u16_e32 1, v7
	s_xor_b32 s14, exec_lo, s14
	s_cbranch_execnz .LBB166_177
; %bb.130:
	s_and_not1_saveexec_b32 s14, s14
	s_cbranch_execnz .LBB166_192
.LBB166_131:
	s_or_b32 exec_lo, exec_lo, s14
	s_delay_alu instid0(SALU_CYCLE_1)
	s_and_b32 exec_lo, exec_lo, s17
	s_cbranch_execz .LBB166_133
.LBB166_132:
	v_dual_mov_b32 v9, 0 :: v_dual_mov_b32 v8, v23
	v_sub_nc_u32_e32 v10, v22, v6
	v_readfirstlane_b32 s18, v4
	v_readfirstlane_b32 s19, v5
	global_store_b64 v10, v[8:9], s[18:19] scale_offset
.LBB166_133:
	s_wait_xcnt 0x0
	s_or_b32 exec_lo, exec_lo, s16
	s_branch .LBB166_126
.LBB166_134:
	s_mov_b32 s14, exec_lo
	v_cmpx_gt_i16_e32 2, v7
	s_cbranch_execz .LBB166_139
; %bb.135:
	s_mov_b32 s17, 0
	s_mov_b32 s16, exec_lo
	v_cmpx_ne_u16_e32 1, v7
	s_xor_b32 s16, exec_lo, s16
	s_cbranch_execnz .LBB166_193
; %bb.136:
	s_and_not1_saveexec_b32 s0, s16
	s_cbranch_execnz .LBB166_208
.LBB166_137:
	s_or_b32 exec_lo, exec_lo, s0
	s_delay_alu instid0(SALU_CYCLE_1)
	s_and_b32 exec_lo, exec_lo, s17
.LBB166_138:
	v_sub_nc_u32_e32 v6, v22, v6
	s_delay_alu instid0(VALU_DEP_1)
	v_lshlrev_b32_e32 v6, 2, v6
	ds_store_b32 v6, v23
.LBB166_139:
	s_or_b32 exec_lo, exec_lo, s14
	s_delay_alu instid0(SALU_CYCLE_1)
	s_mov_b32 s0, exec_lo
	s_wait_storecnt_dscnt 0x0
	s_barrier_signal -1
	s_barrier_wait -1
	v_cmpx_lt_u32_e64 v0, v1
	s_cbranch_execz .LBB166_142
; %bb.140:
	v_dual_mov_b32 v7, 0 :: v_dual_lshlrev_b32 v8, 2, v0
	v_mov_b32_e32 v9, v0
	s_mov_b32 s1, 0
.LBB166_141:                            ; =>This Inner Loop Header: Depth=1
	ds_load_b32 v6, v8
	v_readfirstlane_b32 s2, v4
	v_readfirstlane_b32 s3, v5
	v_add_nc_u32_e32 v8, 0x400, v8
	s_wait_dscnt 0x0
	global_store_b64 v9, v[6:7], s[2:3] scale_offset
	s_wait_xcnt 0x0
	v_add_nc_u32_e32 v9, 0x100, v9
	s_delay_alu instid0(VALU_DEP_1) | instskip(SKIP_1) | instid1(SALU_CYCLE_1)
	v_cmp_ge_u32_e32 vcc_lo, v9, v1
	s_or_b32 s1, vcc_lo, s1
	s_and_not1_b32 exec_lo, exec_lo, s1
	s_cbranch_execnz .LBB166_141
.LBB166_142:
	s_or_b32 exec_lo, exec_lo, s0
	v_cmp_eq_u32_e32 vcc_lo, 0xff, v0
	s_and_b32 s0, vcc_lo, s15
	s_delay_alu instid0(SALU_CYCLE_1)
	s_and_saveexec_b32 s1, s0
	s_cbranch_execz .LBB166_127
.LBB166_143:
	v_mov_b32_e32 v17, 0
	s_cmp_lg_u32 s29, 0xe00
	s_delay_alu instid0(VALU_DEP_1) | instskip(NEXT) | instid1(VALU_DEP_1)
	v_add_nc_u64_e32 v[0:1], v[16:17], v[18:19]
	v_add_nc_u64_e32 v[0:1], v[0:1], v[50:51]
	global_store_b64 v17, v[0:1], s[24:25]
	s_cbranch_scc1 .LBB166_127
; %bb.144:
	s_wait_xcnt 0x0
	v_lshlrev_b64_e32 v[0:1], 3, v[16:17]
	v_mov_b32_e32 v21, v17
	s_delay_alu instid0(VALU_DEP_2)
	v_add_nc_u64_e32 v[0:1], v[2:3], v[0:1]
	global_store_b64 v[0:1], v[20:21], off offset:-8
	s_sendmsg sendmsg(MSG_DEALLOC_VGPRS)
	s_endpgm
.LBB166_145:
	s_and_saveexec_b32 s17, s13
	s_cbranch_execnz .LBB166_209
; %bb.146:
	s_or_b32 exec_lo, exec_lo, s17
	s_and_saveexec_b32 s17, s12
	s_cbranch_execnz .LBB166_210
.LBB166_147:
	s_or_b32 exec_lo, exec_lo, s17
	s_and_saveexec_b32 s17, s11
	s_cbranch_execnz .LBB166_211
.LBB166_148:
	s_or_b32 exec_lo, exec_lo, s17
	s_and_saveexec_b32 s17, s10
	s_cbranch_execnz .LBB166_212
.LBB166_149:
	s_or_b32 exec_lo, exec_lo, s17
	s_and_saveexec_b32 s17, s9
	s_cbranch_execnz .LBB166_213
.LBB166_150:
	s_or_b32 exec_lo, exec_lo, s17
	s_and_saveexec_b32 s17, s8
	s_cbranch_execnz .LBB166_214
.LBB166_151:
	s_or_b32 exec_lo, exec_lo, s17
	s_and_saveexec_b32 s17, s7
	s_cbranch_execnz .LBB166_215
.LBB166_152:
	s_or_b32 exec_lo, exec_lo, s17
	s_and_saveexec_b32 s17, s6
	s_cbranch_execnz .LBB166_216
.LBB166_153:
	s_or_b32 exec_lo, exec_lo, s17
	s_and_saveexec_b32 s17, s5
	s_cbranch_execnz .LBB166_217
.LBB166_154:
	s_or_b32 exec_lo, exec_lo, s17
	s_and_saveexec_b32 s17, s4
	s_cbranch_execnz .LBB166_218
.LBB166_155:
	s_or_b32 exec_lo, exec_lo, s17
	s_and_saveexec_b32 s17, s3
	s_cbranch_execnz .LBB166_219
.LBB166_156:
	s_or_b32 exec_lo, exec_lo, s17
	s_and_saveexec_b32 s17, s2
	s_cbranch_execnz .LBB166_220
.LBB166_157:
	s_or_b32 exec_lo, exec_lo, s17
	s_and_saveexec_b32 s17, s1
	s_cbranch_execz .LBB166_159
.LBB166_158:
	v_sub_nc_u32_e32 v3, v28, v18
	v_readfirstlane_b32 s18, v52
	v_readfirstlane_b32 s19, v53
	global_store_d16_hi_b8 v3, v12, s[18:19]
.LBB166_159:
	s_wait_xcnt 0x0
	s_or_b32 exec_lo, exec_lo, s17
	s_delay_alu instid0(SALU_CYCLE_1)
	s_and_b32 s17, s0, exec_lo
	s_and_not1_saveexec_b32 s14, s14
	s_cbranch_execz .LBB166_100
.LBB166_160:
	v_dual_sub_nc_u32 v3, v44, v18 :: v_dual_sub_nc_u32 v5, v46, v18
	v_readfirstlane_b32 s18, v52
	v_readfirstlane_b32 s19, v53
	v_sub_nc_u32_e32 v4, v48, v18
	s_clause 0x2
	global_store_b8 v3, v1, s[18:19]
	global_store_b8 v4, v13, s[18:19]
	;; [unrolled: 1-line block ×3, first 2 shown]
	s_wait_xcnt 0x2
	v_sub_nc_u32_e32 v3, v42, v18
	s_wait_xcnt 0x1
	v_dual_lshrrev_b32 v4, 8, v10 :: v_dual_lshrrev_b32 v7, 24, v10
	s_wait_xcnt 0x0
	v_dual_sub_nc_u32 v5, v38, v18 :: v_dual_sub_nc_u32 v6, v32, v18
	v_dual_sub_nc_u32 v8, v34, v18 :: v_dual_sub_nc_u32 v9, v40, v18
	v_lshrrev_b32_e32 v14, 8, v11
	s_clause 0x4
	global_store_b8 v3, v4, s[18:19]
	global_store_d16_hi_b8 v5, v10, s[18:19]
	global_store_b8 v6, v7, s[18:19]
	global_store_b8 v8, v11, s[18:19]
	;; [unrolled: 1-line block ×3, first 2 shown]
	s_wait_xcnt 0x4
	v_dual_sub_nc_u32 v3, v24, v18 :: v_dual_sub_nc_u32 v4, v26, v18
	s_wait_xcnt 0x1
	v_dual_lshrrev_b32 v5, 24, v11 :: v_dual_lshrrev_b32 v8, 8, v12
	v_dual_sub_nc_u32 v6, v30, v18 :: v_dual_sub_nc_u32 v7, v36, v18
	global_store_d16_hi_b8 v3, v11, s[18:19]
	s_wait_xcnt 0x0
	v_sub_nc_u32_e32 v3, v28, v18
	s_or_b32 s17, s17, exec_lo
	s_clause 0x3
	global_store_b8 v4, v5, s[18:19]
	global_store_b8 v6, v12, s[18:19]
	;; [unrolled: 1-line block ×3, first 2 shown]
	global_store_d16_hi_b8 v3, v12, s[18:19]
	s_wait_xcnt 0x0
	s_or_b32 exec_lo, exec_lo, s14
	s_delay_alu instid0(SALU_CYCLE_1)
	s_and_b32 exec_lo, exec_lo, s17
	s_cbranch_execnz .LBB166_101
	s_branch .LBB166_102
.LBB166_161:
	s_and_saveexec_b32 s17, s13
	s_cbranch_execnz .LBB166_221
; %bb.162:
	s_or_b32 exec_lo, exec_lo, s17
	s_and_saveexec_b32 s13, s12
	s_cbranch_execnz .LBB166_222
.LBB166_163:
	s_or_b32 exec_lo, exec_lo, s13
	s_and_saveexec_b32 s12, s11
	s_cbranch_execnz .LBB166_223
.LBB166_164:
	s_or_b32 exec_lo, exec_lo, s12
	s_and_saveexec_b32 s11, s10
	s_cbranch_execnz .LBB166_224
.LBB166_165:
	s_or_b32 exec_lo, exec_lo, s11
	s_and_saveexec_b32 s10, s9
	s_cbranch_execnz .LBB166_225
.LBB166_166:
	s_or_b32 exec_lo, exec_lo, s10
	s_and_saveexec_b32 s9, s8
	s_cbranch_execnz .LBB166_226
.LBB166_167:
	s_or_b32 exec_lo, exec_lo, s9
	s_and_saveexec_b32 s8, s7
	s_cbranch_execnz .LBB166_227
.LBB166_168:
	s_or_b32 exec_lo, exec_lo, s8
	s_and_saveexec_b32 s7, s6
	s_cbranch_execnz .LBB166_228
.LBB166_169:
	s_or_b32 exec_lo, exec_lo, s7
	s_and_saveexec_b32 s6, s5
	s_cbranch_execnz .LBB166_229
.LBB166_170:
	s_or_b32 exec_lo, exec_lo, s6
	s_and_saveexec_b32 s5, s4
	s_cbranch_execnz .LBB166_230
.LBB166_171:
	s_or_b32 exec_lo, exec_lo, s5
	s_and_saveexec_b32 s4, s3
	s_cbranch_execnz .LBB166_231
.LBB166_172:
	s_or_b32 exec_lo, exec_lo, s4
	s_and_saveexec_b32 s3, s2
	s_cbranch_execnz .LBB166_232
.LBB166_173:
	s_or_b32 exec_lo, exec_lo, s3
	s_and_saveexec_b32 s2, s1
.LBB166_174:
	v_sub_nc_u32_e32 v1, v28, v18
	ds_store_b8_d16_hi v1, v12
.LBB166_175:
	s_or_b32 exec_lo, exec_lo, s2
	s_delay_alu instid0(SALU_CYCLE_1)
	s_and_b32 s17, s0, exec_lo
                                        ; implicit-def: $vgpr1
                                        ; implicit-def: $vgpr13
	s_and_not1_saveexec_b32 s0, s16
	s_cbranch_execz .LBB166_107
.LBB166_176:
	v_dual_sub_nc_u32 v2, v44, v18 :: v_dual_sub_nc_u32 v4, v46, v18
	v_dual_sub_nc_u32 v3, v48, v18 :: v_dual_sub_nc_u32 v6, v34, v18
	v_sub_nc_u32_e32 v7, v40, v18
	ds_store_b8 v2, v1
	ds_store_b8 v3, v13
	ds_store_b8 v4, v10
	v_sub_nc_u32_e32 v1, v42, v18
	v_dual_lshrrev_b32 v2, 8, v10 :: v_dual_lshrrev_b32 v5, 24, v10
	v_dual_sub_nc_u32 v3, v38, v18 :: v_dual_sub_nc_u32 v4, v32, v18
	v_lshrrev_b32_e32 v8, 8, v11
	ds_store_b8 v1, v2
	ds_store_b8_d16_hi v3, v10
	ds_store_b8 v4, v5
	ds_store_b8 v6, v11
	;; [unrolled: 1-line block ×3, first 2 shown]
	v_dual_sub_nc_u32 v1, v24, v18 :: v_dual_sub_nc_u32 v2, v26, v18
	v_dual_lshrrev_b32 v3, 24, v11 :: v_dual_lshrrev_b32 v6, 8, v12
	v_dual_sub_nc_u32 v4, v30, v18 :: v_dual_sub_nc_u32 v5, v36, v18
	ds_store_b8_d16_hi v1, v11
	v_sub_nc_u32_e32 v1, v28, v18
	s_or_b32 s17, s17, exec_lo
	ds_store_b8 v2, v3
	ds_store_b8 v4, v12
	;; [unrolled: 1-line block ×3, first 2 shown]
	ds_store_b8_d16_hi v1, v12
	s_or_b32 exec_lo, exec_lo, s0
	s_delay_alu instid0(SALU_CYCLE_1)
	s_and_b32 exec_lo, exec_lo, s17
	s_cbranch_execnz .LBB166_108
	s_branch .LBB166_109
.LBB166_177:
	s_and_saveexec_b32 s17, s13
	s_cbranch_execnz .LBB166_233
; %bb.178:
	s_or_b32 exec_lo, exec_lo, s17
	s_and_saveexec_b32 s17, s12
	s_cbranch_execnz .LBB166_234
.LBB166_179:
	s_or_b32 exec_lo, exec_lo, s17
	s_and_saveexec_b32 s17, s11
	s_cbranch_execnz .LBB166_235
.LBB166_180:
	s_or_b32 exec_lo, exec_lo, s17
	s_and_saveexec_b32 s17, s10
	s_cbranch_execnz .LBB166_236
.LBB166_181:
	s_or_b32 exec_lo, exec_lo, s17
	s_and_saveexec_b32 s17, s9
	s_cbranch_execnz .LBB166_237
.LBB166_182:
	s_or_b32 exec_lo, exec_lo, s17
	s_and_saveexec_b32 s17, s8
	s_cbranch_execnz .LBB166_238
.LBB166_183:
	s_or_b32 exec_lo, exec_lo, s17
	s_and_saveexec_b32 s17, s7
	s_cbranch_execnz .LBB166_239
.LBB166_184:
	s_or_b32 exec_lo, exec_lo, s17
	s_and_saveexec_b32 s17, s6
	s_cbranch_execnz .LBB166_240
.LBB166_185:
	s_or_b32 exec_lo, exec_lo, s17
	s_and_saveexec_b32 s17, s5
	s_cbranch_execnz .LBB166_241
.LBB166_186:
	s_or_b32 exec_lo, exec_lo, s17
	s_and_saveexec_b32 s17, s4
	s_cbranch_execnz .LBB166_242
.LBB166_187:
	s_or_b32 exec_lo, exec_lo, s17
	s_and_saveexec_b32 s17, s3
	s_cbranch_execnz .LBB166_243
.LBB166_188:
	s_or_b32 exec_lo, exec_lo, s17
	s_and_saveexec_b32 s17, s2
	s_cbranch_execnz .LBB166_244
.LBB166_189:
	s_or_b32 exec_lo, exec_lo, s17
	s_and_saveexec_b32 s17, s1
	s_cbranch_execz .LBB166_191
.LBB166_190:
	v_dual_mov_b32 v9, 0 :: v_dual_sub_nc_u32 v10, v28, v6
	v_mov_b32_e32 v8, v29
	v_readfirstlane_b32 s18, v4
	v_readfirstlane_b32 s19, v5
	global_store_b64 v10, v[8:9], s[18:19] scale_offset
.LBB166_191:
	s_wait_xcnt 0x0
	s_or_b32 exec_lo, exec_lo, s17
	s_delay_alu instid0(SALU_CYCLE_1)
	s_and_b32 s17, s0, exec_lo
	s_and_not1_saveexec_b32 s14, s14
	s_cbranch_execz .LBB166_131
.LBB166_192:
	v_dual_mov_b32 v9, 0 :: v_dual_mov_b32 v8, v45
	v_sub_nc_u32_e32 v10, v44, v6
	v_readfirstlane_b32 s18, v4
	v_readfirstlane_b32 s19, v5
	v_sub_nc_u32_e32 v11, v46, v6
	s_or_b32 s17, s17, exec_lo
	global_store_b64 v10, v[8:9], s[18:19] scale_offset
	s_wait_xcnt 0x0
	v_dual_sub_nc_u32 v10, v48, v6 :: v_dual_mov_b32 v8, v49
	global_store_b64 v10, v[8:9], s[18:19] scale_offset
	s_wait_xcnt 0x0
	v_dual_mov_b32 v8, v47 :: v_dual_sub_nc_u32 v10, v42, v6
	global_store_b64 v11, v[8:9], s[18:19] scale_offset
	s_wait_xcnt 0x0
	v_dual_mov_b32 v8, v43 :: v_dual_sub_nc_u32 v11, v38, v6
	;; [unrolled: 3-line block ×9, first 2 shown]
	global_store_b64 v11, v[8:9], s[18:19] scale_offset
	s_wait_xcnt 0x0
	v_mov_b32_e32 v8, v37
	global_store_b64 v10, v[8:9], s[18:19] scale_offset
	s_wait_xcnt 0x0
	v_dual_mov_b32 v8, v29 :: v_dual_sub_nc_u32 v10, v28, v6
	global_store_b64 v10, v[8:9], s[18:19] scale_offset
	s_wait_xcnt 0x0
	s_or_b32 exec_lo, exec_lo, s14
	s_delay_alu instid0(SALU_CYCLE_1)
	s_and_b32 exec_lo, exec_lo, s17
	s_cbranch_execnz .LBB166_132
	s_branch .LBB166_133
.LBB166_193:
	s_and_saveexec_b32 s17, s13
	s_cbranch_execnz .LBB166_245
; %bb.194:
	s_or_b32 exec_lo, exec_lo, s17
	s_and_saveexec_b32 s13, s12
	s_cbranch_execnz .LBB166_246
.LBB166_195:
	s_or_b32 exec_lo, exec_lo, s13
	s_and_saveexec_b32 s12, s11
	s_cbranch_execnz .LBB166_247
.LBB166_196:
	s_or_b32 exec_lo, exec_lo, s12
	s_and_saveexec_b32 s11, s10
	s_cbranch_execnz .LBB166_248
.LBB166_197:
	s_or_b32 exec_lo, exec_lo, s11
	s_and_saveexec_b32 s10, s9
	s_cbranch_execnz .LBB166_249
.LBB166_198:
	s_or_b32 exec_lo, exec_lo, s10
	s_and_saveexec_b32 s9, s8
	s_cbranch_execnz .LBB166_250
.LBB166_199:
	s_or_b32 exec_lo, exec_lo, s9
	s_and_saveexec_b32 s8, s7
	s_cbranch_execnz .LBB166_251
.LBB166_200:
	s_or_b32 exec_lo, exec_lo, s8
	s_and_saveexec_b32 s7, s6
	s_cbranch_execnz .LBB166_252
.LBB166_201:
	s_or_b32 exec_lo, exec_lo, s7
	s_and_saveexec_b32 s6, s5
	s_cbranch_execnz .LBB166_253
.LBB166_202:
	s_or_b32 exec_lo, exec_lo, s6
	s_and_saveexec_b32 s5, s4
	s_cbranch_execnz .LBB166_254
.LBB166_203:
	s_or_b32 exec_lo, exec_lo, s5
	s_and_saveexec_b32 s4, s3
	s_cbranch_execnz .LBB166_255
.LBB166_204:
	s_or_b32 exec_lo, exec_lo, s4
	s_and_saveexec_b32 s3, s2
	s_cbranch_execnz .LBB166_256
.LBB166_205:
	s_or_b32 exec_lo, exec_lo, s3
	s_and_saveexec_b32 s2, s1
.LBB166_206:
	v_sub_nc_u32_e32 v7, v28, v6
	s_delay_alu instid0(VALU_DEP_1)
	v_lshlrev_b32_e32 v7, 2, v7
	ds_store_b32 v7, v29
.LBB166_207:
	s_or_b32 exec_lo, exec_lo, s2
	s_delay_alu instid0(SALU_CYCLE_1)
	s_and_b32 s17, s0, exec_lo
                                        ; implicit-def: $vgpr28_vgpr29
                                        ; implicit-def: $vgpr36_vgpr37
                                        ; implicit-def: $vgpr30_vgpr31
                                        ; implicit-def: $vgpr44_vgpr45
                                        ; implicit-def: $vgpr48_vgpr49
                                        ; implicit-def: $vgpr46_vgpr47
                                        ; implicit-def: $vgpr42_vgpr43
                                        ; implicit-def: $vgpr38_vgpr39
                                        ; implicit-def: $vgpr32_vgpr33
                                        ; implicit-def: $vgpr34_vgpr35
                                        ; implicit-def: $vgpr40_vgpr41
                                        ; implicit-def: $vgpr24_vgpr25
                                        ; implicit-def: $vgpr26_vgpr27
	s_and_not1_saveexec_b32 s0, s16
	s_cbranch_execz .LBB166_137
.LBB166_208:
	v_dual_sub_nc_u32 v7, v44, v6 :: v_dual_sub_nc_u32 v9, v46, v6
	v_dual_sub_nc_u32 v8, v48, v6 :: v_dual_sub_nc_u32 v10, v42, v6
	s_delay_alu instid0(VALU_DEP_2) | instskip(NEXT) | instid1(VALU_DEP_2)
	v_dual_sub_nc_u32 v11, v38, v6 :: v_dual_lshlrev_b32 v7, 2, v7
	v_dual_lshlrev_b32 v9, 2, v9 :: v_dual_lshlrev_b32 v8, 2, v8
	s_or_b32 s17, s17, exec_lo
	ds_store_b32 v7, v45
	ds_store_b32 v8, v49
	;; [unrolled: 1-line block ×3, first 2 shown]
	v_sub_nc_u32_e32 v7, v32, v6
	v_lshlrev_b32_e32 v9, 2, v10
	v_dual_sub_nc_u32 v10, v40, v6 :: v_dual_sub_nc_u32 v8, v34, v6
	v_lshlrev_b32_e32 v11, 2, v11
	s_delay_alu instid0(VALU_DEP_4)
	v_lshlrev_b32_e32 v7, 2, v7
	ds_store_b32 v9, v43
	v_dual_lshlrev_b32 v9, 2, v10 :: v_dual_lshlrev_b32 v8, 2, v8
	ds_store_b32 v11, v39
	ds_store_b32 v7, v33
	;; [unrolled: 1-line block ×3, first 2 shown]
	v_dual_sub_nc_u32 v7, v24, v6 :: v_dual_sub_nc_u32 v8, v26, v6
	ds_store_b32 v9, v41
	v_dual_sub_nc_u32 v9, v30, v6 :: v_dual_sub_nc_u32 v10, v36, v6
	v_dual_lshlrev_b32 v7, 2, v7 :: v_dual_sub_nc_u32 v11, v28, v6
	s_delay_alu instid0(VALU_DEP_2) | instskip(NEXT) | instid1(VALU_DEP_3)
	v_dual_lshlrev_b32 v8, 2, v8 :: v_dual_lshlrev_b32 v9, 2, v9
	v_lshlrev_b32_e32 v10, 2, v10
	ds_store_b32 v7, v25
	v_lshlrev_b32_e32 v7, 2, v11
	ds_store_b32 v8, v27
	ds_store_b32 v9, v31
	;; [unrolled: 1-line block ×4, first 2 shown]
	s_or_b32 exec_lo, exec_lo, s0
	s_delay_alu instid0(SALU_CYCLE_1)
	s_and_b32 exec_lo, exec_lo, s17
	s_cbranch_execnz .LBB166_138
	s_branch .LBB166_139
.LBB166_209:
	v_sub_nc_u32_e32 v3, v44, v18
	v_readfirstlane_b32 s18, v52
	v_readfirstlane_b32 s19, v53
	global_store_b8 v3, v1, s[18:19]
	s_wait_xcnt 0x0
	s_or_b32 exec_lo, exec_lo, s17
	s_and_saveexec_b32 s17, s12
	s_cbranch_execz .LBB166_147
.LBB166_210:
	v_sub_nc_u32_e32 v3, v48, v18
	v_readfirstlane_b32 s18, v52
	v_readfirstlane_b32 s19, v53
	global_store_b8 v3, v13, s[18:19]
	s_wait_xcnt 0x0
	s_or_b32 exec_lo, exec_lo, s17
	s_and_saveexec_b32 s17, s11
	s_cbranch_execz .LBB166_148
.LBB166_211:
	v_sub_nc_u32_e32 v3, v46, v18
	v_readfirstlane_b32 s18, v52
	v_readfirstlane_b32 s19, v53
	global_store_b8 v3, v10, s[18:19]
	s_wait_xcnt 0x0
	s_or_b32 exec_lo, exec_lo, s17
	s_and_saveexec_b32 s17, s10
	s_cbranch_execz .LBB166_149
.LBB166_212:
	v_sub_nc_u32_e32 v3, v42, v18
	v_lshrrev_b32_e32 v4, 8, v10
	v_readfirstlane_b32 s18, v52
	v_readfirstlane_b32 s19, v53
	global_store_b8 v3, v4, s[18:19]
	s_wait_xcnt 0x0
	s_or_b32 exec_lo, exec_lo, s17
	s_and_saveexec_b32 s17, s9
	s_cbranch_execz .LBB166_150
.LBB166_213:
	v_sub_nc_u32_e32 v3, v38, v18
	v_readfirstlane_b32 s18, v52
	v_readfirstlane_b32 s19, v53
	global_store_d16_hi_b8 v3, v10, s[18:19]
	s_wait_xcnt 0x0
	s_or_b32 exec_lo, exec_lo, s17
	s_and_saveexec_b32 s17, s8
	s_cbranch_execz .LBB166_151
.LBB166_214:
	v_sub_nc_u32_e32 v3, v32, v18
	v_lshrrev_b32_e32 v4, 24, v10
	v_readfirstlane_b32 s18, v52
	v_readfirstlane_b32 s19, v53
	global_store_b8 v3, v4, s[18:19]
	s_wait_xcnt 0x0
	s_or_b32 exec_lo, exec_lo, s17
	s_and_saveexec_b32 s17, s7
	s_cbranch_execz .LBB166_152
.LBB166_215:
	v_sub_nc_u32_e32 v3, v34, v18
	v_readfirstlane_b32 s18, v52
	v_readfirstlane_b32 s19, v53
	global_store_b8 v3, v11, s[18:19]
	s_wait_xcnt 0x0
	s_or_b32 exec_lo, exec_lo, s17
	s_and_saveexec_b32 s17, s6
	s_cbranch_execz .LBB166_153
.LBB166_216:
	v_dual_sub_nc_u32 v3, v40, v18 :: v_dual_lshrrev_b32 v4, 8, v11
	v_readfirstlane_b32 s18, v52
	v_readfirstlane_b32 s19, v53
	global_store_b8 v3, v4, s[18:19]
	s_wait_xcnt 0x0
	s_or_b32 exec_lo, exec_lo, s17
	s_and_saveexec_b32 s17, s5
	s_cbranch_execz .LBB166_154
.LBB166_217:
	v_sub_nc_u32_e32 v3, v24, v18
	v_readfirstlane_b32 s18, v52
	v_readfirstlane_b32 s19, v53
	global_store_d16_hi_b8 v3, v11, s[18:19]
	s_wait_xcnt 0x0
	s_or_b32 exec_lo, exec_lo, s17
	s_and_saveexec_b32 s17, s4
	s_cbranch_execz .LBB166_155
.LBB166_218:
	v_dual_sub_nc_u32 v3, v26, v18 :: v_dual_lshrrev_b32 v4, 24, v11
	v_readfirstlane_b32 s18, v52
	v_readfirstlane_b32 s19, v53
	global_store_b8 v3, v4, s[18:19]
	s_wait_xcnt 0x0
	s_or_b32 exec_lo, exec_lo, s17
	s_and_saveexec_b32 s17, s3
	s_cbranch_execz .LBB166_156
.LBB166_219:
	v_sub_nc_u32_e32 v3, v30, v18
	v_readfirstlane_b32 s18, v52
	v_readfirstlane_b32 s19, v53
	global_store_b8 v3, v12, s[18:19]
	s_wait_xcnt 0x0
	s_or_b32 exec_lo, exec_lo, s17
	s_and_saveexec_b32 s17, s2
	s_cbranch_execz .LBB166_157
.LBB166_220:
	v_dual_sub_nc_u32 v3, v36, v18 :: v_dual_lshrrev_b32 v4, 8, v12
	v_readfirstlane_b32 s18, v52
	v_readfirstlane_b32 s19, v53
	global_store_b8 v3, v4, s[18:19]
	s_wait_xcnt 0x0
	s_or_b32 exec_lo, exec_lo, s17
	s_and_saveexec_b32 s17, s1
	s_cbranch_execnz .LBB166_158
	s_branch .LBB166_159
.LBB166_221:
	v_sub_nc_u32_e32 v2, v44, v18
	ds_store_b8 v2, v1
	s_or_b32 exec_lo, exec_lo, s17
	s_and_saveexec_b32 s13, s12
	s_cbranch_execz .LBB166_163
.LBB166_222:
	v_sub_nc_u32_e32 v1, v48, v18
	ds_store_b8 v1, v13
	s_or_b32 exec_lo, exec_lo, s13
	s_and_saveexec_b32 s12, s11
	s_cbranch_execz .LBB166_164
.LBB166_223:
	v_sub_nc_u32_e32 v1, v46, v18
	ds_store_b8 v1, v10
	s_or_b32 exec_lo, exec_lo, s12
	s_and_saveexec_b32 s11, s10
	s_cbranch_execz .LBB166_165
.LBB166_224:
	v_sub_nc_u32_e32 v1, v42, v18
	v_lshrrev_b32_e32 v2, 8, v10
	ds_store_b8 v1, v2
	s_or_b32 exec_lo, exec_lo, s11
	s_and_saveexec_b32 s10, s9
	s_cbranch_execz .LBB166_166
.LBB166_225:
	v_sub_nc_u32_e32 v1, v38, v18
	ds_store_b8_d16_hi v1, v10
	s_or_b32 exec_lo, exec_lo, s10
	s_and_saveexec_b32 s9, s8
	s_cbranch_execz .LBB166_167
.LBB166_226:
	v_sub_nc_u32_e32 v1, v32, v18
	v_lshrrev_b32_e32 v2, 24, v10
	ds_store_b8 v1, v2
	s_or_b32 exec_lo, exec_lo, s9
	s_and_saveexec_b32 s8, s7
	s_cbranch_execz .LBB166_168
.LBB166_227:
	v_sub_nc_u32_e32 v1, v34, v18
	ds_store_b8 v1, v11
	s_or_b32 exec_lo, exec_lo, s8
	s_and_saveexec_b32 s7, s6
	s_cbranch_execz .LBB166_169
.LBB166_228:
	v_dual_sub_nc_u32 v1, v40, v18 :: v_dual_lshrrev_b32 v2, 8, v11
	ds_store_b8 v1, v2
	s_or_b32 exec_lo, exec_lo, s7
	s_and_saveexec_b32 s6, s5
	s_cbranch_execz .LBB166_170
.LBB166_229:
	v_sub_nc_u32_e32 v1, v24, v18
	ds_store_b8_d16_hi v1, v11
	s_or_b32 exec_lo, exec_lo, s6
	s_and_saveexec_b32 s5, s4
	s_cbranch_execz .LBB166_171
.LBB166_230:
	v_dual_sub_nc_u32 v1, v26, v18 :: v_dual_lshrrev_b32 v2, 24, v11
	ds_store_b8 v1, v2
	s_or_b32 exec_lo, exec_lo, s5
	s_and_saveexec_b32 s4, s3
	s_cbranch_execz .LBB166_172
.LBB166_231:
	v_sub_nc_u32_e32 v1, v30, v18
	ds_store_b8 v1, v12
	s_or_b32 exec_lo, exec_lo, s4
	s_and_saveexec_b32 s3, s2
	s_cbranch_execz .LBB166_173
.LBB166_232:
	v_dual_sub_nc_u32 v1, v36, v18 :: v_dual_lshrrev_b32 v2, 8, v12
	ds_store_b8 v1, v2
	s_or_b32 exec_lo, exec_lo, s3
	s_and_saveexec_b32 s2, s1
	s_cbranch_execnz .LBB166_174
	s_branch .LBB166_175
.LBB166_233:
	v_dual_mov_b32 v9, 0 :: v_dual_sub_nc_u32 v10, v44, v6
	v_mov_b32_e32 v8, v45
	v_readfirstlane_b32 s18, v4
	v_readfirstlane_b32 s19, v5
	global_store_b64 v10, v[8:9], s[18:19] scale_offset
	s_wait_xcnt 0x0
	s_or_b32 exec_lo, exec_lo, s17
	s_and_saveexec_b32 s17, s12
	s_cbranch_execz .LBB166_179
.LBB166_234:
	v_dual_mov_b32 v9, 0 :: v_dual_sub_nc_u32 v10, v48, v6
	v_mov_b32_e32 v8, v49
	v_readfirstlane_b32 s18, v4
	v_readfirstlane_b32 s19, v5
	global_store_b64 v10, v[8:9], s[18:19] scale_offset
	s_wait_xcnt 0x0
	s_or_b32 exec_lo, exec_lo, s17
	s_and_saveexec_b32 s17, s11
	s_cbranch_execz .LBB166_180
.LBB166_235:
	v_dual_mov_b32 v9, 0 :: v_dual_sub_nc_u32 v10, v46, v6
	v_mov_b32_e32 v8, v47
	v_readfirstlane_b32 s18, v4
	v_readfirstlane_b32 s19, v5
	global_store_b64 v10, v[8:9], s[18:19] scale_offset
	s_wait_xcnt 0x0
	s_or_b32 exec_lo, exec_lo, s17
	s_and_saveexec_b32 s17, s10
	s_cbranch_execz .LBB166_181
.LBB166_236:
	v_dual_mov_b32 v9, 0 :: v_dual_sub_nc_u32 v10, v42, v6
	v_mov_b32_e32 v8, v43
	v_readfirstlane_b32 s18, v4
	v_readfirstlane_b32 s19, v5
	global_store_b64 v10, v[8:9], s[18:19] scale_offset
	s_wait_xcnt 0x0
	s_or_b32 exec_lo, exec_lo, s17
	s_and_saveexec_b32 s17, s9
	s_cbranch_execz .LBB166_182
.LBB166_237:
	v_dual_mov_b32 v9, 0 :: v_dual_sub_nc_u32 v10, v38, v6
	v_mov_b32_e32 v8, v39
	v_readfirstlane_b32 s18, v4
	v_readfirstlane_b32 s19, v5
	global_store_b64 v10, v[8:9], s[18:19] scale_offset
	s_wait_xcnt 0x0
	s_or_b32 exec_lo, exec_lo, s17
	s_and_saveexec_b32 s17, s8
	s_cbranch_execz .LBB166_183
.LBB166_238:
	v_dual_mov_b32 v9, 0 :: v_dual_sub_nc_u32 v10, v32, v6
	v_mov_b32_e32 v8, v33
	v_readfirstlane_b32 s18, v4
	v_readfirstlane_b32 s19, v5
	global_store_b64 v10, v[8:9], s[18:19] scale_offset
	s_wait_xcnt 0x0
	s_or_b32 exec_lo, exec_lo, s17
	s_and_saveexec_b32 s17, s7
	s_cbranch_execz .LBB166_184
.LBB166_239:
	v_dual_mov_b32 v9, 0 :: v_dual_sub_nc_u32 v10, v34, v6
	v_mov_b32_e32 v8, v35
	v_readfirstlane_b32 s18, v4
	v_readfirstlane_b32 s19, v5
	global_store_b64 v10, v[8:9], s[18:19] scale_offset
	s_wait_xcnt 0x0
	s_or_b32 exec_lo, exec_lo, s17
	s_and_saveexec_b32 s17, s6
	s_cbranch_execz .LBB166_185
.LBB166_240:
	v_dual_mov_b32 v9, 0 :: v_dual_sub_nc_u32 v10, v40, v6
	v_mov_b32_e32 v8, v41
	v_readfirstlane_b32 s18, v4
	v_readfirstlane_b32 s19, v5
	global_store_b64 v10, v[8:9], s[18:19] scale_offset
	s_wait_xcnt 0x0
	s_or_b32 exec_lo, exec_lo, s17
	s_and_saveexec_b32 s17, s5
	s_cbranch_execz .LBB166_186
.LBB166_241:
	v_dual_mov_b32 v9, 0 :: v_dual_sub_nc_u32 v10, v24, v6
	v_mov_b32_e32 v8, v25
	v_readfirstlane_b32 s18, v4
	v_readfirstlane_b32 s19, v5
	global_store_b64 v10, v[8:9], s[18:19] scale_offset
	s_wait_xcnt 0x0
	s_or_b32 exec_lo, exec_lo, s17
	s_and_saveexec_b32 s17, s4
	s_cbranch_execz .LBB166_187
.LBB166_242:
	v_dual_mov_b32 v9, 0 :: v_dual_sub_nc_u32 v10, v26, v6
	v_mov_b32_e32 v8, v27
	v_readfirstlane_b32 s18, v4
	v_readfirstlane_b32 s19, v5
	global_store_b64 v10, v[8:9], s[18:19] scale_offset
	s_wait_xcnt 0x0
	s_or_b32 exec_lo, exec_lo, s17
	s_and_saveexec_b32 s17, s3
	s_cbranch_execz .LBB166_188
.LBB166_243:
	v_dual_mov_b32 v9, 0 :: v_dual_sub_nc_u32 v10, v30, v6
	v_mov_b32_e32 v8, v31
	v_readfirstlane_b32 s18, v4
	v_readfirstlane_b32 s19, v5
	global_store_b64 v10, v[8:9], s[18:19] scale_offset
	s_wait_xcnt 0x0
	s_or_b32 exec_lo, exec_lo, s17
	s_and_saveexec_b32 s17, s2
	s_cbranch_execz .LBB166_189
.LBB166_244:
	v_dual_mov_b32 v9, 0 :: v_dual_sub_nc_u32 v10, v36, v6
	v_mov_b32_e32 v8, v37
	v_readfirstlane_b32 s18, v4
	v_readfirstlane_b32 s19, v5
	global_store_b64 v10, v[8:9], s[18:19] scale_offset
	s_wait_xcnt 0x0
	s_or_b32 exec_lo, exec_lo, s17
	s_and_saveexec_b32 s17, s1
	s_cbranch_execnz .LBB166_190
	s_branch .LBB166_191
.LBB166_245:
	v_sub_nc_u32_e32 v7, v44, v6
	s_delay_alu instid0(VALU_DEP_1)
	v_lshlrev_b32_e32 v7, 2, v7
	ds_store_b32 v7, v45
	s_or_b32 exec_lo, exec_lo, s17
	s_and_saveexec_b32 s13, s12
	s_cbranch_execz .LBB166_195
.LBB166_246:
	v_sub_nc_u32_e32 v7, v48, v6
	s_delay_alu instid0(VALU_DEP_1)
	v_lshlrev_b32_e32 v7, 2, v7
	ds_store_b32 v7, v49
	s_or_b32 exec_lo, exec_lo, s13
	s_and_saveexec_b32 s12, s11
	s_cbranch_execz .LBB166_196
.LBB166_247:
	v_sub_nc_u32_e32 v7, v46, v6
	s_delay_alu instid0(VALU_DEP_1)
	v_lshlrev_b32_e32 v7, 2, v7
	ds_store_b32 v7, v47
	s_or_b32 exec_lo, exec_lo, s12
	s_and_saveexec_b32 s11, s10
	s_cbranch_execz .LBB166_197
.LBB166_248:
	v_sub_nc_u32_e32 v7, v42, v6
	s_delay_alu instid0(VALU_DEP_1)
	v_lshlrev_b32_e32 v7, 2, v7
	ds_store_b32 v7, v43
	s_or_b32 exec_lo, exec_lo, s11
	s_and_saveexec_b32 s10, s9
	s_cbranch_execz .LBB166_198
.LBB166_249:
	v_sub_nc_u32_e32 v7, v38, v6
	s_delay_alu instid0(VALU_DEP_1)
	v_lshlrev_b32_e32 v7, 2, v7
	ds_store_b32 v7, v39
	s_or_b32 exec_lo, exec_lo, s10
	s_and_saveexec_b32 s9, s8
	s_cbranch_execz .LBB166_199
.LBB166_250:
	v_sub_nc_u32_e32 v7, v32, v6
	s_delay_alu instid0(VALU_DEP_1)
	v_lshlrev_b32_e32 v7, 2, v7
	ds_store_b32 v7, v33
	s_or_b32 exec_lo, exec_lo, s9
	s_and_saveexec_b32 s8, s7
	s_cbranch_execz .LBB166_200
.LBB166_251:
	v_sub_nc_u32_e32 v7, v34, v6
	s_delay_alu instid0(VALU_DEP_1)
	v_lshlrev_b32_e32 v7, 2, v7
	ds_store_b32 v7, v35
	s_or_b32 exec_lo, exec_lo, s8
	s_and_saveexec_b32 s7, s6
	s_cbranch_execz .LBB166_201
.LBB166_252:
	v_sub_nc_u32_e32 v7, v40, v6
	s_delay_alu instid0(VALU_DEP_1)
	v_lshlrev_b32_e32 v7, 2, v7
	ds_store_b32 v7, v41
	s_or_b32 exec_lo, exec_lo, s7
	s_and_saveexec_b32 s6, s5
	s_cbranch_execz .LBB166_202
.LBB166_253:
	v_sub_nc_u32_e32 v7, v24, v6
	s_delay_alu instid0(VALU_DEP_1)
	v_lshlrev_b32_e32 v7, 2, v7
	ds_store_b32 v7, v25
	s_or_b32 exec_lo, exec_lo, s6
	s_and_saveexec_b32 s5, s4
	s_cbranch_execz .LBB166_203
.LBB166_254:
	v_sub_nc_u32_e32 v7, v26, v6
	s_delay_alu instid0(VALU_DEP_1)
	v_lshlrev_b32_e32 v7, 2, v7
	ds_store_b32 v7, v27
	s_or_b32 exec_lo, exec_lo, s5
	s_and_saveexec_b32 s4, s3
	s_cbranch_execz .LBB166_204
.LBB166_255:
	v_sub_nc_u32_e32 v7, v30, v6
	s_delay_alu instid0(VALU_DEP_1)
	v_lshlrev_b32_e32 v7, 2, v7
	ds_store_b32 v7, v31
	s_or_b32 exec_lo, exec_lo, s4
	s_and_saveexec_b32 s3, s2
	s_cbranch_execz .LBB166_205
.LBB166_256:
	v_sub_nc_u32_e32 v7, v36, v6
	s_delay_alu instid0(VALU_DEP_1)
	v_lshlrev_b32_e32 v7, 2, v7
	ds_store_b32 v7, v37
	s_or_b32 exec_lo, exec_lo, s3
	s_and_saveexec_b32 s2, s1
	s_cbranch_execnz .LBB166_206
	s_branch .LBB166_207
	.section	.rodata,"a",@progbits
	.p2align	6, 0x0
	.amdhsa_kernel _ZN7rocprim17ROCPRIM_400000_NS6detail17trampoline_kernelINS0_14default_configENS1_33run_length_encode_config_selectorIhjNS0_4plusIjEEEEZZNS1_33reduce_by_key_impl_wrapped_configILNS1_25lookback_scan_determinismE0ES3_S7_PKhNS0_17constant_iteratorIjlEEPhPlSF_S6_NS0_8equal_toIhEEEE10hipError_tPvRmT2_T3_mT4_T5_T6_T7_T8_P12ihipStream_tbENKUlT_T0_E_clISt17integral_constantIbLb0EESZ_EEDaSU_SV_EUlSU_E_NS1_11comp_targetILNS1_3genE0ELNS1_11target_archE4294967295ELNS1_3gpuE0ELNS1_3repE0EEENS1_30default_config_static_selectorELNS0_4arch9wavefront6targetE0EEEvT1_
		.amdhsa_group_segment_fixed_size 14336
		.amdhsa_private_segment_fixed_size 0
		.amdhsa_kernarg_size 128
		.amdhsa_user_sgpr_count 2
		.amdhsa_user_sgpr_dispatch_ptr 0
		.amdhsa_user_sgpr_queue_ptr 0
		.amdhsa_user_sgpr_kernarg_segment_ptr 1
		.amdhsa_user_sgpr_dispatch_id 0
		.amdhsa_user_sgpr_kernarg_preload_length 0
		.amdhsa_user_sgpr_kernarg_preload_offset 0
		.amdhsa_user_sgpr_private_segment_size 0
		.amdhsa_wavefront_size32 1
		.amdhsa_uses_dynamic_stack 0
		.amdhsa_enable_private_segment 0
		.amdhsa_system_sgpr_workgroup_id_x 1
		.amdhsa_system_sgpr_workgroup_id_y 0
		.amdhsa_system_sgpr_workgroup_id_z 0
		.amdhsa_system_sgpr_workgroup_info 0
		.amdhsa_system_vgpr_workitem_id 0
		.amdhsa_next_free_vgpr 104
		.amdhsa_next_free_sgpr 38
		.amdhsa_named_barrier_count 0
		.amdhsa_reserve_vcc 1
		.amdhsa_float_round_mode_32 0
		.amdhsa_float_round_mode_16_64 0
		.amdhsa_float_denorm_mode_32 3
		.amdhsa_float_denorm_mode_16_64 3
		.amdhsa_fp16_overflow 0
		.amdhsa_memory_ordered 1
		.amdhsa_forward_progress 1
		.amdhsa_inst_pref_size 123
		.amdhsa_round_robin_scheduling 0
		.amdhsa_exception_fp_ieee_invalid_op 0
		.amdhsa_exception_fp_denorm_src 0
		.amdhsa_exception_fp_ieee_div_zero 0
		.amdhsa_exception_fp_ieee_overflow 0
		.amdhsa_exception_fp_ieee_underflow 0
		.amdhsa_exception_fp_ieee_inexact 0
		.amdhsa_exception_int_div_zero 0
	.end_amdhsa_kernel
	.section	.text._ZN7rocprim17ROCPRIM_400000_NS6detail17trampoline_kernelINS0_14default_configENS1_33run_length_encode_config_selectorIhjNS0_4plusIjEEEEZZNS1_33reduce_by_key_impl_wrapped_configILNS1_25lookback_scan_determinismE0ES3_S7_PKhNS0_17constant_iteratorIjlEEPhPlSF_S6_NS0_8equal_toIhEEEE10hipError_tPvRmT2_T3_mT4_T5_T6_T7_T8_P12ihipStream_tbENKUlT_T0_E_clISt17integral_constantIbLb0EESZ_EEDaSU_SV_EUlSU_E_NS1_11comp_targetILNS1_3genE0ELNS1_11target_archE4294967295ELNS1_3gpuE0ELNS1_3repE0EEENS1_30default_config_static_selectorELNS0_4arch9wavefront6targetE0EEEvT1_,"axG",@progbits,_ZN7rocprim17ROCPRIM_400000_NS6detail17trampoline_kernelINS0_14default_configENS1_33run_length_encode_config_selectorIhjNS0_4plusIjEEEEZZNS1_33reduce_by_key_impl_wrapped_configILNS1_25lookback_scan_determinismE0ES3_S7_PKhNS0_17constant_iteratorIjlEEPhPlSF_S6_NS0_8equal_toIhEEEE10hipError_tPvRmT2_T3_mT4_T5_T6_T7_T8_P12ihipStream_tbENKUlT_T0_E_clISt17integral_constantIbLb0EESZ_EEDaSU_SV_EUlSU_E_NS1_11comp_targetILNS1_3genE0ELNS1_11target_archE4294967295ELNS1_3gpuE0ELNS1_3repE0EEENS1_30default_config_static_selectorELNS0_4arch9wavefront6targetE0EEEvT1_,comdat
.Lfunc_end166:
	.size	_ZN7rocprim17ROCPRIM_400000_NS6detail17trampoline_kernelINS0_14default_configENS1_33run_length_encode_config_selectorIhjNS0_4plusIjEEEEZZNS1_33reduce_by_key_impl_wrapped_configILNS1_25lookback_scan_determinismE0ES3_S7_PKhNS0_17constant_iteratorIjlEEPhPlSF_S6_NS0_8equal_toIhEEEE10hipError_tPvRmT2_T3_mT4_T5_T6_T7_T8_P12ihipStream_tbENKUlT_T0_E_clISt17integral_constantIbLb0EESZ_EEDaSU_SV_EUlSU_E_NS1_11comp_targetILNS1_3genE0ELNS1_11target_archE4294967295ELNS1_3gpuE0ELNS1_3repE0EEENS1_30default_config_static_selectorELNS0_4arch9wavefront6targetE0EEEvT1_, .Lfunc_end166-_ZN7rocprim17ROCPRIM_400000_NS6detail17trampoline_kernelINS0_14default_configENS1_33run_length_encode_config_selectorIhjNS0_4plusIjEEEEZZNS1_33reduce_by_key_impl_wrapped_configILNS1_25lookback_scan_determinismE0ES3_S7_PKhNS0_17constant_iteratorIjlEEPhPlSF_S6_NS0_8equal_toIhEEEE10hipError_tPvRmT2_T3_mT4_T5_T6_T7_T8_P12ihipStream_tbENKUlT_T0_E_clISt17integral_constantIbLb0EESZ_EEDaSU_SV_EUlSU_E_NS1_11comp_targetILNS1_3genE0ELNS1_11target_archE4294967295ELNS1_3gpuE0ELNS1_3repE0EEENS1_30default_config_static_selectorELNS0_4arch9wavefront6targetE0EEEvT1_
                                        ; -- End function
	.set _ZN7rocprim17ROCPRIM_400000_NS6detail17trampoline_kernelINS0_14default_configENS1_33run_length_encode_config_selectorIhjNS0_4plusIjEEEEZZNS1_33reduce_by_key_impl_wrapped_configILNS1_25lookback_scan_determinismE0ES3_S7_PKhNS0_17constant_iteratorIjlEEPhPlSF_S6_NS0_8equal_toIhEEEE10hipError_tPvRmT2_T3_mT4_T5_T6_T7_T8_P12ihipStream_tbENKUlT_T0_E_clISt17integral_constantIbLb0EESZ_EEDaSU_SV_EUlSU_E_NS1_11comp_targetILNS1_3genE0ELNS1_11target_archE4294967295ELNS1_3gpuE0ELNS1_3repE0EEENS1_30default_config_static_selectorELNS0_4arch9wavefront6targetE0EEEvT1_.num_vgpr, 104
	.set _ZN7rocprim17ROCPRIM_400000_NS6detail17trampoline_kernelINS0_14default_configENS1_33run_length_encode_config_selectorIhjNS0_4plusIjEEEEZZNS1_33reduce_by_key_impl_wrapped_configILNS1_25lookback_scan_determinismE0ES3_S7_PKhNS0_17constant_iteratorIjlEEPhPlSF_S6_NS0_8equal_toIhEEEE10hipError_tPvRmT2_T3_mT4_T5_T6_T7_T8_P12ihipStream_tbENKUlT_T0_E_clISt17integral_constantIbLb0EESZ_EEDaSU_SV_EUlSU_E_NS1_11comp_targetILNS1_3genE0ELNS1_11target_archE4294967295ELNS1_3gpuE0ELNS1_3repE0EEENS1_30default_config_static_selectorELNS0_4arch9wavefront6targetE0EEEvT1_.num_agpr, 0
	.set _ZN7rocprim17ROCPRIM_400000_NS6detail17trampoline_kernelINS0_14default_configENS1_33run_length_encode_config_selectorIhjNS0_4plusIjEEEEZZNS1_33reduce_by_key_impl_wrapped_configILNS1_25lookback_scan_determinismE0ES3_S7_PKhNS0_17constant_iteratorIjlEEPhPlSF_S6_NS0_8equal_toIhEEEE10hipError_tPvRmT2_T3_mT4_T5_T6_T7_T8_P12ihipStream_tbENKUlT_T0_E_clISt17integral_constantIbLb0EESZ_EEDaSU_SV_EUlSU_E_NS1_11comp_targetILNS1_3genE0ELNS1_11target_archE4294967295ELNS1_3gpuE0ELNS1_3repE0EEENS1_30default_config_static_selectorELNS0_4arch9wavefront6targetE0EEEvT1_.numbered_sgpr, 38
	.set _ZN7rocprim17ROCPRIM_400000_NS6detail17trampoline_kernelINS0_14default_configENS1_33run_length_encode_config_selectorIhjNS0_4plusIjEEEEZZNS1_33reduce_by_key_impl_wrapped_configILNS1_25lookback_scan_determinismE0ES3_S7_PKhNS0_17constant_iteratorIjlEEPhPlSF_S6_NS0_8equal_toIhEEEE10hipError_tPvRmT2_T3_mT4_T5_T6_T7_T8_P12ihipStream_tbENKUlT_T0_E_clISt17integral_constantIbLb0EESZ_EEDaSU_SV_EUlSU_E_NS1_11comp_targetILNS1_3genE0ELNS1_11target_archE4294967295ELNS1_3gpuE0ELNS1_3repE0EEENS1_30default_config_static_selectorELNS0_4arch9wavefront6targetE0EEEvT1_.num_named_barrier, 0
	.set _ZN7rocprim17ROCPRIM_400000_NS6detail17trampoline_kernelINS0_14default_configENS1_33run_length_encode_config_selectorIhjNS0_4plusIjEEEEZZNS1_33reduce_by_key_impl_wrapped_configILNS1_25lookback_scan_determinismE0ES3_S7_PKhNS0_17constant_iteratorIjlEEPhPlSF_S6_NS0_8equal_toIhEEEE10hipError_tPvRmT2_T3_mT4_T5_T6_T7_T8_P12ihipStream_tbENKUlT_T0_E_clISt17integral_constantIbLb0EESZ_EEDaSU_SV_EUlSU_E_NS1_11comp_targetILNS1_3genE0ELNS1_11target_archE4294967295ELNS1_3gpuE0ELNS1_3repE0EEENS1_30default_config_static_selectorELNS0_4arch9wavefront6targetE0EEEvT1_.private_seg_size, 0
	.set _ZN7rocprim17ROCPRIM_400000_NS6detail17trampoline_kernelINS0_14default_configENS1_33run_length_encode_config_selectorIhjNS0_4plusIjEEEEZZNS1_33reduce_by_key_impl_wrapped_configILNS1_25lookback_scan_determinismE0ES3_S7_PKhNS0_17constant_iteratorIjlEEPhPlSF_S6_NS0_8equal_toIhEEEE10hipError_tPvRmT2_T3_mT4_T5_T6_T7_T8_P12ihipStream_tbENKUlT_T0_E_clISt17integral_constantIbLb0EESZ_EEDaSU_SV_EUlSU_E_NS1_11comp_targetILNS1_3genE0ELNS1_11target_archE4294967295ELNS1_3gpuE0ELNS1_3repE0EEENS1_30default_config_static_selectorELNS0_4arch9wavefront6targetE0EEEvT1_.uses_vcc, 1
	.set _ZN7rocprim17ROCPRIM_400000_NS6detail17trampoline_kernelINS0_14default_configENS1_33run_length_encode_config_selectorIhjNS0_4plusIjEEEEZZNS1_33reduce_by_key_impl_wrapped_configILNS1_25lookback_scan_determinismE0ES3_S7_PKhNS0_17constant_iteratorIjlEEPhPlSF_S6_NS0_8equal_toIhEEEE10hipError_tPvRmT2_T3_mT4_T5_T6_T7_T8_P12ihipStream_tbENKUlT_T0_E_clISt17integral_constantIbLb0EESZ_EEDaSU_SV_EUlSU_E_NS1_11comp_targetILNS1_3genE0ELNS1_11target_archE4294967295ELNS1_3gpuE0ELNS1_3repE0EEENS1_30default_config_static_selectorELNS0_4arch9wavefront6targetE0EEEvT1_.uses_flat_scratch, 0
	.set _ZN7rocprim17ROCPRIM_400000_NS6detail17trampoline_kernelINS0_14default_configENS1_33run_length_encode_config_selectorIhjNS0_4plusIjEEEEZZNS1_33reduce_by_key_impl_wrapped_configILNS1_25lookback_scan_determinismE0ES3_S7_PKhNS0_17constant_iteratorIjlEEPhPlSF_S6_NS0_8equal_toIhEEEE10hipError_tPvRmT2_T3_mT4_T5_T6_T7_T8_P12ihipStream_tbENKUlT_T0_E_clISt17integral_constantIbLb0EESZ_EEDaSU_SV_EUlSU_E_NS1_11comp_targetILNS1_3genE0ELNS1_11target_archE4294967295ELNS1_3gpuE0ELNS1_3repE0EEENS1_30default_config_static_selectorELNS0_4arch9wavefront6targetE0EEEvT1_.has_dyn_sized_stack, 0
	.set _ZN7rocprim17ROCPRIM_400000_NS6detail17trampoline_kernelINS0_14default_configENS1_33run_length_encode_config_selectorIhjNS0_4plusIjEEEEZZNS1_33reduce_by_key_impl_wrapped_configILNS1_25lookback_scan_determinismE0ES3_S7_PKhNS0_17constant_iteratorIjlEEPhPlSF_S6_NS0_8equal_toIhEEEE10hipError_tPvRmT2_T3_mT4_T5_T6_T7_T8_P12ihipStream_tbENKUlT_T0_E_clISt17integral_constantIbLb0EESZ_EEDaSU_SV_EUlSU_E_NS1_11comp_targetILNS1_3genE0ELNS1_11target_archE4294967295ELNS1_3gpuE0ELNS1_3repE0EEENS1_30default_config_static_selectorELNS0_4arch9wavefront6targetE0EEEvT1_.has_recursion, 0
	.set _ZN7rocprim17ROCPRIM_400000_NS6detail17trampoline_kernelINS0_14default_configENS1_33run_length_encode_config_selectorIhjNS0_4plusIjEEEEZZNS1_33reduce_by_key_impl_wrapped_configILNS1_25lookback_scan_determinismE0ES3_S7_PKhNS0_17constant_iteratorIjlEEPhPlSF_S6_NS0_8equal_toIhEEEE10hipError_tPvRmT2_T3_mT4_T5_T6_T7_T8_P12ihipStream_tbENKUlT_T0_E_clISt17integral_constantIbLb0EESZ_EEDaSU_SV_EUlSU_E_NS1_11comp_targetILNS1_3genE0ELNS1_11target_archE4294967295ELNS1_3gpuE0ELNS1_3repE0EEENS1_30default_config_static_selectorELNS0_4arch9wavefront6targetE0EEEvT1_.has_indirect_call, 0
	.section	.AMDGPU.csdata,"",@progbits
; Kernel info:
; codeLenInByte = 15736
; TotalNumSgprs: 40
; NumVgprs: 104
; ScratchSize: 0
; MemoryBound: 0
; FloatMode: 240
; IeeeMode: 1
; LDSByteSize: 14336 bytes/workgroup (compile time only)
; SGPRBlocks: 0
; VGPRBlocks: 6
; NumSGPRsForWavesPerEU: 40
; NumVGPRsForWavesPerEU: 104
; NamedBarCnt: 0
; Occupancy: 9
; WaveLimiterHint : 1
; COMPUTE_PGM_RSRC2:SCRATCH_EN: 0
; COMPUTE_PGM_RSRC2:USER_SGPR: 2
; COMPUTE_PGM_RSRC2:TRAP_HANDLER: 0
; COMPUTE_PGM_RSRC2:TGID_X_EN: 1
; COMPUTE_PGM_RSRC2:TGID_Y_EN: 0
; COMPUTE_PGM_RSRC2:TGID_Z_EN: 0
; COMPUTE_PGM_RSRC2:TIDIG_COMP_CNT: 0
	.section	.text._ZN7rocprim17ROCPRIM_400000_NS6detail17trampoline_kernelINS0_14default_configENS1_33run_length_encode_config_selectorIhjNS0_4plusIjEEEEZZNS1_33reduce_by_key_impl_wrapped_configILNS1_25lookback_scan_determinismE0ES3_S7_PKhNS0_17constant_iteratorIjlEEPhPlSF_S6_NS0_8equal_toIhEEEE10hipError_tPvRmT2_T3_mT4_T5_T6_T7_T8_P12ihipStream_tbENKUlT_T0_E_clISt17integral_constantIbLb0EESZ_EEDaSU_SV_EUlSU_E_NS1_11comp_targetILNS1_3genE5ELNS1_11target_archE942ELNS1_3gpuE9ELNS1_3repE0EEENS1_30default_config_static_selectorELNS0_4arch9wavefront6targetE0EEEvT1_,"axG",@progbits,_ZN7rocprim17ROCPRIM_400000_NS6detail17trampoline_kernelINS0_14default_configENS1_33run_length_encode_config_selectorIhjNS0_4plusIjEEEEZZNS1_33reduce_by_key_impl_wrapped_configILNS1_25lookback_scan_determinismE0ES3_S7_PKhNS0_17constant_iteratorIjlEEPhPlSF_S6_NS0_8equal_toIhEEEE10hipError_tPvRmT2_T3_mT4_T5_T6_T7_T8_P12ihipStream_tbENKUlT_T0_E_clISt17integral_constantIbLb0EESZ_EEDaSU_SV_EUlSU_E_NS1_11comp_targetILNS1_3genE5ELNS1_11target_archE942ELNS1_3gpuE9ELNS1_3repE0EEENS1_30default_config_static_selectorELNS0_4arch9wavefront6targetE0EEEvT1_,comdat
	.protected	_ZN7rocprim17ROCPRIM_400000_NS6detail17trampoline_kernelINS0_14default_configENS1_33run_length_encode_config_selectorIhjNS0_4plusIjEEEEZZNS1_33reduce_by_key_impl_wrapped_configILNS1_25lookback_scan_determinismE0ES3_S7_PKhNS0_17constant_iteratorIjlEEPhPlSF_S6_NS0_8equal_toIhEEEE10hipError_tPvRmT2_T3_mT4_T5_T6_T7_T8_P12ihipStream_tbENKUlT_T0_E_clISt17integral_constantIbLb0EESZ_EEDaSU_SV_EUlSU_E_NS1_11comp_targetILNS1_3genE5ELNS1_11target_archE942ELNS1_3gpuE9ELNS1_3repE0EEENS1_30default_config_static_selectorELNS0_4arch9wavefront6targetE0EEEvT1_ ; -- Begin function _ZN7rocprim17ROCPRIM_400000_NS6detail17trampoline_kernelINS0_14default_configENS1_33run_length_encode_config_selectorIhjNS0_4plusIjEEEEZZNS1_33reduce_by_key_impl_wrapped_configILNS1_25lookback_scan_determinismE0ES3_S7_PKhNS0_17constant_iteratorIjlEEPhPlSF_S6_NS0_8equal_toIhEEEE10hipError_tPvRmT2_T3_mT4_T5_T6_T7_T8_P12ihipStream_tbENKUlT_T0_E_clISt17integral_constantIbLb0EESZ_EEDaSU_SV_EUlSU_E_NS1_11comp_targetILNS1_3genE5ELNS1_11target_archE942ELNS1_3gpuE9ELNS1_3repE0EEENS1_30default_config_static_selectorELNS0_4arch9wavefront6targetE0EEEvT1_
	.globl	_ZN7rocprim17ROCPRIM_400000_NS6detail17trampoline_kernelINS0_14default_configENS1_33run_length_encode_config_selectorIhjNS0_4plusIjEEEEZZNS1_33reduce_by_key_impl_wrapped_configILNS1_25lookback_scan_determinismE0ES3_S7_PKhNS0_17constant_iteratorIjlEEPhPlSF_S6_NS0_8equal_toIhEEEE10hipError_tPvRmT2_T3_mT4_T5_T6_T7_T8_P12ihipStream_tbENKUlT_T0_E_clISt17integral_constantIbLb0EESZ_EEDaSU_SV_EUlSU_E_NS1_11comp_targetILNS1_3genE5ELNS1_11target_archE942ELNS1_3gpuE9ELNS1_3repE0EEENS1_30default_config_static_selectorELNS0_4arch9wavefront6targetE0EEEvT1_
	.p2align	8
	.type	_ZN7rocprim17ROCPRIM_400000_NS6detail17trampoline_kernelINS0_14default_configENS1_33run_length_encode_config_selectorIhjNS0_4plusIjEEEEZZNS1_33reduce_by_key_impl_wrapped_configILNS1_25lookback_scan_determinismE0ES3_S7_PKhNS0_17constant_iteratorIjlEEPhPlSF_S6_NS0_8equal_toIhEEEE10hipError_tPvRmT2_T3_mT4_T5_T6_T7_T8_P12ihipStream_tbENKUlT_T0_E_clISt17integral_constantIbLb0EESZ_EEDaSU_SV_EUlSU_E_NS1_11comp_targetILNS1_3genE5ELNS1_11target_archE942ELNS1_3gpuE9ELNS1_3repE0EEENS1_30default_config_static_selectorELNS0_4arch9wavefront6targetE0EEEvT1_,@function
_ZN7rocprim17ROCPRIM_400000_NS6detail17trampoline_kernelINS0_14default_configENS1_33run_length_encode_config_selectorIhjNS0_4plusIjEEEEZZNS1_33reduce_by_key_impl_wrapped_configILNS1_25lookback_scan_determinismE0ES3_S7_PKhNS0_17constant_iteratorIjlEEPhPlSF_S6_NS0_8equal_toIhEEEE10hipError_tPvRmT2_T3_mT4_T5_T6_T7_T8_P12ihipStream_tbENKUlT_T0_E_clISt17integral_constantIbLb0EESZ_EEDaSU_SV_EUlSU_E_NS1_11comp_targetILNS1_3genE5ELNS1_11target_archE942ELNS1_3gpuE9ELNS1_3repE0EEENS1_30default_config_static_selectorELNS0_4arch9wavefront6targetE0EEEvT1_: ; @_ZN7rocprim17ROCPRIM_400000_NS6detail17trampoline_kernelINS0_14default_configENS1_33run_length_encode_config_selectorIhjNS0_4plusIjEEEEZZNS1_33reduce_by_key_impl_wrapped_configILNS1_25lookback_scan_determinismE0ES3_S7_PKhNS0_17constant_iteratorIjlEEPhPlSF_S6_NS0_8equal_toIhEEEE10hipError_tPvRmT2_T3_mT4_T5_T6_T7_T8_P12ihipStream_tbENKUlT_T0_E_clISt17integral_constantIbLb0EESZ_EEDaSU_SV_EUlSU_E_NS1_11comp_targetILNS1_3genE5ELNS1_11target_archE942ELNS1_3gpuE9ELNS1_3repE0EEENS1_30default_config_static_selectorELNS0_4arch9wavefront6targetE0EEEvT1_
; %bb.0:
	.section	.rodata,"a",@progbits
	.p2align	6, 0x0
	.amdhsa_kernel _ZN7rocprim17ROCPRIM_400000_NS6detail17trampoline_kernelINS0_14default_configENS1_33run_length_encode_config_selectorIhjNS0_4plusIjEEEEZZNS1_33reduce_by_key_impl_wrapped_configILNS1_25lookback_scan_determinismE0ES3_S7_PKhNS0_17constant_iteratorIjlEEPhPlSF_S6_NS0_8equal_toIhEEEE10hipError_tPvRmT2_T3_mT4_T5_T6_T7_T8_P12ihipStream_tbENKUlT_T0_E_clISt17integral_constantIbLb0EESZ_EEDaSU_SV_EUlSU_E_NS1_11comp_targetILNS1_3genE5ELNS1_11target_archE942ELNS1_3gpuE9ELNS1_3repE0EEENS1_30default_config_static_selectorELNS0_4arch9wavefront6targetE0EEEvT1_
		.amdhsa_group_segment_fixed_size 0
		.amdhsa_private_segment_fixed_size 0
		.amdhsa_kernarg_size 128
		.amdhsa_user_sgpr_count 2
		.amdhsa_user_sgpr_dispatch_ptr 0
		.amdhsa_user_sgpr_queue_ptr 0
		.amdhsa_user_sgpr_kernarg_segment_ptr 1
		.amdhsa_user_sgpr_dispatch_id 0
		.amdhsa_user_sgpr_kernarg_preload_length 0
		.amdhsa_user_sgpr_kernarg_preload_offset 0
		.amdhsa_user_sgpr_private_segment_size 0
		.amdhsa_wavefront_size32 1
		.amdhsa_uses_dynamic_stack 0
		.amdhsa_enable_private_segment 0
		.amdhsa_system_sgpr_workgroup_id_x 1
		.amdhsa_system_sgpr_workgroup_id_y 0
		.amdhsa_system_sgpr_workgroup_id_z 0
		.amdhsa_system_sgpr_workgroup_info 0
		.amdhsa_system_vgpr_workitem_id 0
		.amdhsa_next_free_vgpr 1
		.amdhsa_next_free_sgpr 1
		.amdhsa_named_barrier_count 0
		.amdhsa_reserve_vcc 0
		.amdhsa_float_round_mode_32 0
		.amdhsa_float_round_mode_16_64 0
		.amdhsa_float_denorm_mode_32 3
		.amdhsa_float_denorm_mode_16_64 3
		.amdhsa_fp16_overflow 0
		.amdhsa_memory_ordered 1
		.amdhsa_forward_progress 1
		.amdhsa_inst_pref_size 0
		.amdhsa_round_robin_scheduling 0
		.amdhsa_exception_fp_ieee_invalid_op 0
		.amdhsa_exception_fp_denorm_src 0
		.amdhsa_exception_fp_ieee_div_zero 0
		.amdhsa_exception_fp_ieee_overflow 0
		.amdhsa_exception_fp_ieee_underflow 0
		.amdhsa_exception_fp_ieee_inexact 0
		.amdhsa_exception_int_div_zero 0
	.end_amdhsa_kernel
	.section	.text._ZN7rocprim17ROCPRIM_400000_NS6detail17trampoline_kernelINS0_14default_configENS1_33run_length_encode_config_selectorIhjNS0_4plusIjEEEEZZNS1_33reduce_by_key_impl_wrapped_configILNS1_25lookback_scan_determinismE0ES3_S7_PKhNS0_17constant_iteratorIjlEEPhPlSF_S6_NS0_8equal_toIhEEEE10hipError_tPvRmT2_T3_mT4_T5_T6_T7_T8_P12ihipStream_tbENKUlT_T0_E_clISt17integral_constantIbLb0EESZ_EEDaSU_SV_EUlSU_E_NS1_11comp_targetILNS1_3genE5ELNS1_11target_archE942ELNS1_3gpuE9ELNS1_3repE0EEENS1_30default_config_static_selectorELNS0_4arch9wavefront6targetE0EEEvT1_,"axG",@progbits,_ZN7rocprim17ROCPRIM_400000_NS6detail17trampoline_kernelINS0_14default_configENS1_33run_length_encode_config_selectorIhjNS0_4plusIjEEEEZZNS1_33reduce_by_key_impl_wrapped_configILNS1_25lookback_scan_determinismE0ES3_S7_PKhNS0_17constant_iteratorIjlEEPhPlSF_S6_NS0_8equal_toIhEEEE10hipError_tPvRmT2_T3_mT4_T5_T6_T7_T8_P12ihipStream_tbENKUlT_T0_E_clISt17integral_constantIbLb0EESZ_EEDaSU_SV_EUlSU_E_NS1_11comp_targetILNS1_3genE5ELNS1_11target_archE942ELNS1_3gpuE9ELNS1_3repE0EEENS1_30default_config_static_selectorELNS0_4arch9wavefront6targetE0EEEvT1_,comdat
.Lfunc_end167:
	.size	_ZN7rocprim17ROCPRIM_400000_NS6detail17trampoline_kernelINS0_14default_configENS1_33run_length_encode_config_selectorIhjNS0_4plusIjEEEEZZNS1_33reduce_by_key_impl_wrapped_configILNS1_25lookback_scan_determinismE0ES3_S7_PKhNS0_17constant_iteratorIjlEEPhPlSF_S6_NS0_8equal_toIhEEEE10hipError_tPvRmT2_T3_mT4_T5_T6_T7_T8_P12ihipStream_tbENKUlT_T0_E_clISt17integral_constantIbLb0EESZ_EEDaSU_SV_EUlSU_E_NS1_11comp_targetILNS1_3genE5ELNS1_11target_archE942ELNS1_3gpuE9ELNS1_3repE0EEENS1_30default_config_static_selectorELNS0_4arch9wavefront6targetE0EEEvT1_, .Lfunc_end167-_ZN7rocprim17ROCPRIM_400000_NS6detail17trampoline_kernelINS0_14default_configENS1_33run_length_encode_config_selectorIhjNS0_4plusIjEEEEZZNS1_33reduce_by_key_impl_wrapped_configILNS1_25lookback_scan_determinismE0ES3_S7_PKhNS0_17constant_iteratorIjlEEPhPlSF_S6_NS0_8equal_toIhEEEE10hipError_tPvRmT2_T3_mT4_T5_T6_T7_T8_P12ihipStream_tbENKUlT_T0_E_clISt17integral_constantIbLb0EESZ_EEDaSU_SV_EUlSU_E_NS1_11comp_targetILNS1_3genE5ELNS1_11target_archE942ELNS1_3gpuE9ELNS1_3repE0EEENS1_30default_config_static_selectorELNS0_4arch9wavefront6targetE0EEEvT1_
                                        ; -- End function
	.set _ZN7rocprim17ROCPRIM_400000_NS6detail17trampoline_kernelINS0_14default_configENS1_33run_length_encode_config_selectorIhjNS0_4plusIjEEEEZZNS1_33reduce_by_key_impl_wrapped_configILNS1_25lookback_scan_determinismE0ES3_S7_PKhNS0_17constant_iteratorIjlEEPhPlSF_S6_NS0_8equal_toIhEEEE10hipError_tPvRmT2_T3_mT4_T5_T6_T7_T8_P12ihipStream_tbENKUlT_T0_E_clISt17integral_constantIbLb0EESZ_EEDaSU_SV_EUlSU_E_NS1_11comp_targetILNS1_3genE5ELNS1_11target_archE942ELNS1_3gpuE9ELNS1_3repE0EEENS1_30default_config_static_selectorELNS0_4arch9wavefront6targetE0EEEvT1_.num_vgpr, 0
	.set _ZN7rocprim17ROCPRIM_400000_NS6detail17trampoline_kernelINS0_14default_configENS1_33run_length_encode_config_selectorIhjNS0_4plusIjEEEEZZNS1_33reduce_by_key_impl_wrapped_configILNS1_25lookback_scan_determinismE0ES3_S7_PKhNS0_17constant_iteratorIjlEEPhPlSF_S6_NS0_8equal_toIhEEEE10hipError_tPvRmT2_T3_mT4_T5_T6_T7_T8_P12ihipStream_tbENKUlT_T0_E_clISt17integral_constantIbLb0EESZ_EEDaSU_SV_EUlSU_E_NS1_11comp_targetILNS1_3genE5ELNS1_11target_archE942ELNS1_3gpuE9ELNS1_3repE0EEENS1_30default_config_static_selectorELNS0_4arch9wavefront6targetE0EEEvT1_.num_agpr, 0
	.set _ZN7rocprim17ROCPRIM_400000_NS6detail17trampoline_kernelINS0_14default_configENS1_33run_length_encode_config_selectorIhjNS0_4plusIjEEEEZZNS1_33reduce_by_key_impl_wrapped_configILNS1_25lookback_scan_determinismE0ES3_S7_PKhNS0_17constant_iteratorIjlEEPhPlSF_S6_NS0_8equal_toIhEEEE10hipError_tPvRmT2_T3_mT4_T5_T6_T7_T8_P12ihipStream_tbENKUlT_T0_E_clISt17integral_constantIbLb0EESZ_EEDaSU_SV_EUlSU_E_NS1_11comp_targetILNS1_3genE5ELNS1_11target_archE942ELNS1_3gpuE9ELNS1_3repE0EEENS1_30default_config_static_selectorELNS0_4arch9wavefront6targetE0EEEvT1_.numbered_sgpr, 0
	.set _ZN7rocprim17ROCPRIM_400000_NS6detail17trampoline_kernelINS0_14default_configENS1_33run_length_encode_config_selectorIhjNS0_4plusIjEEEEZZNS1_33reduce_by_key_impl_wrapped_configILNS1_25lookback_scan_determinismE0ES3_S7_PKhNS0_17constant_iteratorIjlEEPhPlSF_S6_NS0_8equal_toIhEEEE10hipError_tPvRmT2_T3_mT4_T5_T6_T7_T8_P12ihipStream_tbENKUlT_T0_E_clISt17integral_constantIbLb0EESZ_EEDaSU_SV_EUlSU_E_NS1_11comp_targetILNS1_3genE5ELNS1_11target_archE942ELNS1_3gpuE9ELNS1_3repE0EEENS1_30default_config_static_selectorELNS0_4arch9wavefront6targetE0EEEvT1_.num_named_barrier, 0
	.set _ZN7rocprim17ROCPRIM_400000_NS6detail17trampoline_kernelINS0_14default_configENS1_33run_length_encode_config_selectorIhjNS0_4plusIjEEEEZZNS1_33reduce_by_key_impl_wrapped_configILNS1_25lookback_scan_determinismE0ES3_S7_PKhNS0_17constant_iteratorIjlEEPhPlSF_S6_NS0_8equal_toIhEEEE10hipError_tPvRmT2_T3_mT4_T5_T6_T7_T8_P12ihipStream_tbENKUlT_T0_E_clISt17integral_constantIbLb0EESZ_EEDaSU_SV_EUlSU_E_NS1_11comp_targetILNS1_3genE5ELNS1_11target_archE942ELNS1_3gpuE9ELNS1_3repE0EEENS1_30default_config_static_selectorELNS0_4arch9wavefront6targetE0EEEvT1_.private_seg_size, 0
	.set _ZN7rocprim17ROCPRIM_400000_NS6detail17trampoline_kernelINS0_14default_configENS1_33run_length_encode_config_selectorIhjNS0_4plusIjEEEEZZNS1_33reduce_by_key_impl_wrapped_configILNS1_25lookback_scan_determinismE0ES3_S7_PKhNS0_17constant_iteratorIjlEEPhPlSF_S6_NS0_8equal_toIhEEEE10hipError_tPvRmT2_T3_mT4_T5_T6_T7_T8_P12ihipStream_tbENKUlT_T0_E_clISt17integral_constantIbLb0EESZ_EEDaSU_SV_EUlSU_E_NS1_11comp_targetILNS1_3genE5ELNS1_11target_archE942ELNS1_3gpuE9ELNS1_3repE0EEENS1_30default_config_static_selectorELNS0_4arch9wavefront6targetE0EEEvT1_.uses_vcc, 0
	.set _ZN7rocprim17ROCPRIM_400000_NS6detail17trampoline_kernelINS0_14default_configENS1_33run_length_encode_config_selectorIhjNS0_4plusIjEEEEZZNS1_33reduce_by_key_impl_wrapped_configILNS1_25lookback_scan_determinismE0ES3_S7_PKhNS0_17constant_iteratorIjlEEPhPlSF_S6_NS0_8equal_toIhEEEE10hipError_tPvRmT2_T3_mT4_T5_T6_T7_T8_P12ihipStream_tbENKUlT_T0_E_clISt17integral_constantIbLb0EESZ_EEDaSU_SV_EUlSU_E_NS1_11comp_targetILNS1_3genE5ELNS1_11target_archE942ELNS1_3gpuE9ELNS1_3repE0EEENS1_30default_config_static_selectorELNS0_4arch9wavefront6targetE0EEEvT1_.uses_flat_scratch, 0
	.set _ZN7rocprim17ROCPRIM_400000_NS6detail17trampoline_kernelINS0_14default_configENS1_33run_length_encode_config_selectorIhjNS0_4plusIjEEEEZZNS1_33reduce_by_key_impl_wrapped_configILNS1_25lookback_scan_determinismE0ES3_S7_PKhNS0_17constant_iteratorIjlEEPhPlSF_S6_NS0_8equal_toIhEEEE10hipError_tPvRmT2_T3_mT4_T5_T6_T7_T8_P12ihipStream_tbENKUlT_T0_E_clISt17integral_constantIbLb0EESZ_EEDaSU_SV_EUlSU_E_NS1_11comp_targetILNS1_3genE5ELNS1_11target_archE942ELNS1_3gpuE9ELNS1_3repE0EEENS1_30default_config_static_selectorELNS0_4arch9wavefront6targetE0EEEvT1_.has_dyn_sized_stack, 0
	.set _ZN7rocprim17ROCPRIM_400000_NS6detail17trampoline_kernelINS0_14default_configENS1_33run_length_encode_config_selectorIhjNS0_4plusIjEEEEZZNS1_33reduce_by_key_impl_wrapped_configILNS1_25lookback_scan_determinismE0ES3_S7_PKhNS0_17constant_iteratorIjlEEPhPlSF_S6_NS0_8equal_toIhEEEE10hipError_tPvRmT2_T3_mT4_T5_T6_T7_T8_P12ihipStream_tbENKUlT_T0_E_clISt17integral_constantIbLb0EESZ_EEDaSU_SV_EUlSU_E_NS1_11comp_targetILNS1_3genE5ELNS1_11target_archE942ELNS1_3gpuE9ELNS1_3repE0EEENS1_30default_config_static_selectorELNS0_4arch9wavefront6targetE0EEEvT1_.has_recursion, 0
	.set _ZN7rocprim17ROCPRIM_400000_NS6detail17trampoline_kernelINS0_14default_configENS1_33run_length_encode_config_selectorIhjNS0_4plusIjEEEEZZNS1_33reduce_by_key_impl_wrapped_configILNS1_25lookback_scan_determinismE0ES3_S7_PKhNS0_17constant_iteratorIjlEEPhPlSF_S6_NS0_8equal_toIhEEEE10hipError_tPvRmT2_T3_mT4_T5_T6_T7_T8_P12ihipStream_tbENKUlT_T0_E_clISt17integral_constantIbLb0EESZ_EEDaSU_SV_EUlSU_E_NS1_11comp_targetILNS1_3genE5ELNS1_11target_archE942ELNS1_3gpuE9ELNS1_3repE0EEENS1_30default_config_static_selectorELNS0_4arch9wavefront6targetE0EEEvT1_.has_indirect_call, 0
	.section	.AMDGPU.csdata,"",@progbits
; Kernel info:
; codeLenInByte = 0
; TotalNumSgprs: 0
; NumVgprs: 0
; ScratchSize: 0
; MemoryBound: 0
; FloatMode: 240
; IeeeMode: 1
; LDSByteSize: 0 bytes/workgroup (compile time only)
; SGPRBlocks: 0
; VGPRBlocks: 0
; NumSGPRsForWavesPerEU: 1
; NumVGPRsForWavesPerEU: 1
; NamedBarCnt: 0
; Occupancy: 16
; WaveLimiterHint : 0
; COMPUTE_PGM_RSRC2:SCRATCH_EN: 0
; COMPUTE_PGM_RSRC2:USER_SGPR: 2
; COMPUTE_PGM_RSRC2:TRAP_HANDLER: 0
; COMPUTE_PGM_RSRC2:TGID_X_EN: 1
; COMPUTE_PGM_RSRC2:TGID_Y_EN: 0
; COMPUTE_PGM_RSRC2:TGID_Z_EN: 0
; COMPUTE_PGM_RSRC2:TIDIG_COMP_CNT: 0
	.section	.text._ZN7rocprim17ROCPRIM_400000_NS6detail17trampoline_kernelINS0_14default_configENS1_33run_length_encode_config_selectorIhjNS0_4plusIjEEEEZZNS1_33reduce_by_key_impl_wrapped_configILNS1_25lookback_scan_determinismE0ES3_S7_PKhNS0_17constant_iteratorIjlEEPhPlSF_S6_NS0_8equal_toIhEEEE10hipError_tPvRmT2_T3_mT4_T5_T6_T7_T8_P12ihipStream_tbENKUlT_T0_E_clISt17integral_constantIbLb0EESZ_EEDaSU_SV_EUlSU_E_NS1_11comp_targetILNS1_3genE4ELNS1_11target_archE910ELNS1_3gpuE8ELNS1_3repE0EEENS1_30default_config_static_selectorELNS0_4arch9wavefront6targetE0EEEvT1_,"axG",@progbits,_ZN7rocprim17ROCPRIM_400000_NS6detail17trampoline_kernelINS0_14default_configENS1_33run_length_encode_config_selectorIhjNS0_4plusIjEEEEZZNS1_33reduce_by_key_impl_wrapped_configILNS1_25lookback_scan_determinismE0ES3_S7_PKhNS0_17constant_iteratorIjlEEPhPlSF_S6_NS0_8equal_toIhEEEE10hipError_tPvRmT2_T3_mT4_T5_T6_T7_T8_P12ihipStream_tbENKUlT_T0_E_clISt17integral_constantIbLb0EESZ_EEDaSU_SV_EUlSU_E_NS1_11comp_targetILNS1_3genE4ELNS1_11target_archE910ELNS1_3gpuE8ELNS1_3repE0EEENS1_30default_config_static_selectorELNS0_4arch9wavefront6targetE0EEEvT1_,comdat
	.protected	_ZN7rocprim17ROCPRIM_400000_NS6detail17trampoline_kernelINS0_14default_configENS1_33run_length_encode_config_selectorIhjNS0_4plusIjEEEEZZNS1_33reduce_by_key_impl_wrapped_configILNS1_25lookback_scan_determinismE0ES3_S7_PKhNS0_17constant_iteratorIjlEEPhPlSF_S6_NS0_8equal_toIhEEEE10hipError_tPvRmT2_T3_mT4_T5_T6_T7_T8_P12ihipStream_tbENKUlT_T0_E_clISt17integral_constantIbLb0EESZ_EEDaSU_SV_EUlSU_E_NS1_11comp_targetILNS1_3genE4ELNS1_11target_archE910ELNS1_3gpuE8ELNS1_3repE0EEENS1_30default_config_static_selectorELNS0_4arch9wavefront6targetE0EEEvT1_ ; -- Begin function _ZN7rocprim17ROCPRIM_400000_NS6detail17trampoline_kernelINS0_14default_configENS1_33run_length_encode_config_selectorIhjNS0_4plusIjEEEEZZNS1_33reduce_by_key_impl_wrapped_configILNS1_25lookback_scan_determinismE0ES3_S7_PKhNS0_17constant_iteratorIjlEEPhPlSF_S6_NS0_8equal_toIhEEEE10hipError_tPvRmT2_T3_mT4_T5_T6_T7_T8_P12ihipStream_tbENKUlT_T0_E_clISt17integral_constantIbLb0EESZ_EEDaSU_SV_EUlSU_E_NS1_11comp_targetILNS1_3genE4ELNS1_11target_archE910ELNS1_3gpuE8ELNS1_3repE0EEENS1_30default_config_static_selectorELNS0_4arch9wavefront6targetE0EEEvT1_
	.globl	_ZN7rocprim17ROCPRIM_400000_NS6detail17trampoline_kernelINS0_14default_configENS1_33run_length_encode_config_selectorIhjNS0_4plusIjEEEEZZNS1_33reduce_by_key_impl_wrapped_configILNS1_25lookback_scan_determinismE0ES3_S7_PKhNS0_17constant_iteratorIjlEEPhPlSF_S6_NS0_8equal_toIhEEEE10hipError_tPvRmT2_T3_mT4_T5_T6_T7_T8_P12ihipStream_tbENKUlT_T0_E_clISt17integral_constantIbLb0EESZ_EEDaSU_SV_EUlSU_E_NS1_11comp_targetILNS1_3genE4ELNS1_11target_archE910ELNS1_3gpuE8ELNS1_3repE0EEENS1_30default_config_static_selectorELNS0_4arch9wavefront6targetE0EEEvT1_
	.p2align	8
	.type	_ZN7rocprim17ROCPRIM_400000_NS6detail17trampoline_kernelINS0_14default_configENS1_33run_length_encode_config_selectorIhjNS0_4plusIjEEEEZZNS1_33reduce_by_key_impl_wrapped_configILNS1_25lookback_scan_determinismE0ES3_S7_PKhNS0_17constant_iteratorIjlEEPhPlSF_S6_NS0_8equal_toIhEEEE10hipError_tPvRmT2_T3_mT4_T5_T6_T7_T8_P12ihipStream_tbENKUlT_T0_E_clISt17integral_constantIbLb0EESZ_EEDaSU_SV_EUlSU_E_NS1_11comp_targetILNS1_3genE4ELNS1_11target_archE910ELNS1_3gpuE8ELNS1_3repE0EEENS1_30default_config_static_selectorELNS0_4arch9wavefront6targetE0EEEvT1_,@function
_ZN7rocprim17ROCPRIM_400000_NS6detail17trampoline_kernelINS0_14default_configENS1_33run_length_encode_config_selectorIhjNS0_4plusIjEEEEZZNS1_33reduce_by_key_impl_wrapped_configILNS1_25lookback_scan_determinismE0ES3_S7_PKhNS0_17constant_iteratorIjlEEPhPlSF_S6_NS0_8equal_toIhEEEE10hipError_tPvRmT2_T3_mT4_T5_T6_T7_T8_P12ihipStream_tbENKUlT_T0_E_clISt17integral_constantIbLb0EESZ_EEDaSU_SV_EUlSU_E_NS1_11comp_targetILNS1_3genE4ELNS1_11target_archE910ELNS1_3gpuE8ELNS1_3repE0EEENS1_30default_config_static_selectorELNS0_4arch9wavefront6targetE0EEEvT1_: ; @_ZN7rocprim17ROCPRIM_400000_NS6detail17trampoline_kernelINS0_14default_configENS1_33run_length_encode_config_selectorIhjNS0_4plusIjEEEEZZNS1_33reduce_by_key_impl_wrapped_configILNS1_25lookback_scan_determinismE0ES3_S7_PKhNS0_17constant_iteratorIjlEEPhPlSF_S6_NS0_8equal_toIhEEEE10hipError_tPvRmT2_T3_mT4_T5_T6_T7_T8_P12ihipStream_tbENKUlT_T0_E_clISt17integral_constantIbLb0EESZ_EEDaSU_SV_EUlSU_E_NS1_11comp_targetILNS1_3genE4ELNS1_11target_archE910ELNS1_3gpuE8ELNS1_3repE0EEENS1_30default_config_static_selectorELNS0_4arch9wavefront6targetE0EEEvT1_
; %bb.0:
	.section	.rodata,"a",@progbits
	.p2align	6, 0x0
	.amdhsa_kernel _ZN7rocprim17ROCPRIM_400000_NS6detail17trampoline_kernelINS0_14default_configENS1_33run_length_encode_config_selectorIhjNS0_4plusIjEEEEZZNS1_33reduce_by_key_impl_wrapped_configILNS1_25lookback_scan_determinismE0ES3_S7_PKhNS0_17constant_iteratorIjlEEPhPlSF_S6_NS0_8equal_toIhEEEE10hipError_tPvRmT2_T3_mT4_T5_T6_T7_T8_P12ihipStream_tbENKUlT_T0_E_clISt17integral_constantIbLb0EESZ_EEDaSU_SV_EUlSU_E_NS1_11comp_targetILNS1_3genE4ELNS1_11target_archE910ELNS1_3gpuE8ELNS1_3repE0EEENS1_30default_config_static_selectorELNS0_4arch9wavefront6targetE0EEEvT1_
		.amdhsa_group_segment_fixed_size 0
		.amdhsa_private_segment_fixed_size 0
		.amdhsa_kernarg_size 128
		.amdhsa_user_sgpr_count 2
		.amdhsa_user_sgpr_dispatch_ptr 0
		.amdhsa_user_sgpr_queue_ptr 0
		.amdhsa_user_sgpr_kernarg_segment_ptr 1
		.amdhsa_user_sgpr_dispatch_id 0
		.amdhsa_user_sgpr_kernarg_preload_length 0
		.amdhsa_user_sgpr_kernarg_preload_offset 0
		.amdhsa_user_sgpr_private_segment_size 0
		.amdhsa_wavefront_size32 1
		.amdhsa_uses_dynamic_stack 0
		.amdhsa_enable_private_segment 0
		.amdhsa_system_sgpr_workgroup_id_x 1
		.amdhsa_system_sgpr_workgroup_id_y 0
		.amdhsa_system_sgpr_workgroup_id_z 0
		.amdhsa_system_sgpr_workgroup_info 0
		.amdhsa_system_vgpr_workitem_id 0
		.amdhsa_next_free_vgpr 1
		.amdhsa_next_free_sgpr 1
		.amdhsa_named_barrier_count 0
		.amdhsa_reserve_vcc 0
		.amdhsa_float_round_mode_32 0
		.amdhsa_float_round_mode_16_64 0
		.amdhsa_float_denorm_mode_32 3
		.amdhsa_float_denorm_mode_16_64 3
		.amdhsa_fp16_overflow 0
		.amdhsa_memory_ordered 1
		.amdhsa_forward_progress 1
		.amdhsa_inst_pref_size 0
		.amdhsa_round_robin_scheduling 0
		.amdhsa_exception_fp_ieee_invalid_op 0
		.amdhsa_exception_fp_denorm_src 0
		.amdhsa_exception_fp_ieee_div_zero 0
		.amdhsa_exception_fp_ieee_overflow 0
		.amdhsa_exception_fp_ieee_underflow 0
		.amdhsa_exception_fp_ieee_inexact 0
		.amdhsa_exception_int_div_zero 0
	.end_amdhsa_kernel
	.section	.text._ZN7rocprim17ROCPRIM_400000_NS6detail17trampoline_kernelINS0_14default_configENS1_33run_length_encode_config_selectorIhjNS0_4plusIjEEEEZZNS1_33reduce_by_key_impl_wrapped_configILNS1_25lookback_scan_determinismE0ES3_S7_PKhNS0_17constant_iteratorIjlEEPhPlSF_S6_NS0_8equal_toIhEEEE10hipError_tPvRmT2_T3_mT4_T5_T6_T7_T8_P12ihipStream_tbENKUlT_T0_E_clISt17integral_constantIbLb0EESZ_EEDaSU_SV_EUlSU_E_NS1_11comp_targetILNS1_3genE4ELNS1_11target_archE910ELNS1_3gpuE8ELNS1_3repE0EEENS1_30default_config_static_selectorELNS0_4arch9wavefront6targetE0EEEvT1_,"axG",@progbits,_ZN7rocprim17ROCPRIM_400000_NS6detail17trampoline_kernelINS0_14default_configENS1_33run_length_encode_config_selectorIhjNS0_4plusIjEEEEZZNS1_33reduce_by_key_impl_wrapped_configILNS1_25lookback_scan_determinismE0ES3_S7_PKhNS0_17constant_iteratorIjlEEPhPlSF_S6_NS0_8equal_toIhEEEE10hipError_tPvRmT2_T3_mT4_T5_T6_T7_T8_P12ihipStream_tbENKUlT_T0_E_clISt17integral_constantIbLb0EESZ_EEDaSU_SV_EUlSU_E_NS1_11comp_targetILNS1_3genE4ELNS1_11target_archE910ELNS1_3gpuE8ELNS1_3repE0EEENS1_30default_config_static_selectorELNS0_4arch9wavefront6targetE0EEEvT1_,comdat
.Lfunc_end168:
	.size	_ZN7rocprim17ROCPRIM_400000_NS6detail17trampoline_kernelINS0_14default_configENS1_33run_length_encode_config_selectorIhjNS0_4plusIjEEEEZZNS1_33reduce_by_key_impl_wrapped_configILNS1_25lookback_scan_determinismE0ES3_S7_PKhNS0_17constant_iteratorIjlEEPhPlSF_S6_NS0_8equal_toIhEEEE10hipError_tPvRmT2_T3_mT4_T5_T6_T7_T8_P12ihipStream_tbENKUlT_T0_E_clISt17integral_constantIbLb0EESZ_EEDaSU_SV_EUlSU_E_NS1_11comp_targetILNS1_3genE4ELNS1_11target_archE910ELNS1_3gpuE8ELNS1_3repE0EEENS1_30default_config_static_selectorELNS0_4arch9wavefront6targetE0EEEvT1_, .Lfunc_end168-_ZN7rocprim17ROCPRIM_400000_NS6detail17trampoline_kernelINS0_14default_configENS1_33run_length_encode_config_selectorIhjNS0_4plusIjEEEEZZNS1_33reduce_by_key_impl_wrapped_configILNS1_25lookback_scan_determinismE0ES3_S7_PKhNS0_17constant_iteratorIjlEEPhPlSF_S6_NS0_8equal_toIhEEEE10hipError_tPvRmT2_T3_mT4_T5_T6_T7_T8_P12ihipStream_tbENKUlT_T0_E_clISt17integral_constantIbLb0EESZ_EEDaSU_SV_EUlSU_E_NS1_11comp_targetILNS1_3genE4ELNS1_11target_archE910ELNS1_3gpuE8ELNS1_3repE0EEENS1_30default_config_static_selectorELNS0_4arch9wavefront6targetE0EEEvT1_
                                        ; -- End function
	.set _ZN7rocprim17ROCPRIM_400000_NS6detail17trampoline_kernelINS0_14default_configENS1_33run_length_encode_config_selectorIhjNS0_4plusIjEEEEZZNS1_33reduce_by_key_impl_wrapped_configILNS1_25lookback_scan_determinismE0ES3_S7_PKhNS0_17constant_iteratorIjlEEPhPlSF_S6_NS0_8equal_toIhEEEE10hipError_tPvRmT2_T3_mT4_T5_T6_T7_T8_P12ihipStream_tbENKUlT_T0_E_clISt17integral_constantIbLb0EESZ_EEDaSU_SV_EUlSU_E_NS1_11comp_targetILNS1_3genE4ELNS1_11target_archE910ELNS1_3gpuE8ELNS1_3repE0EEENS1_30default_config_static_selectorELNS0_4arch9wavefront6targetE0EEEvT1_.num_vgpr, 0
	.set _ZN7rocprim17ROCPRIM_400000_NS6detail17trampoline_kernelINS0_14default_configENS1_33run_length_encode_config_selectorIhjNS0_4plusIjEEEEZZNS1_33reduce_by_key_impl_wrapped_configILNS1_25lookback_scan_determinismE0ES3_S7_PKhNS0_17constant_iteratorIjlEEPhPlSF_S6_NS0_8equal_toIhEEEE10hipError_tPvRmT2_T3_mT4_T5_T6_T7_T8_P12ihipStream_tbENKUlT_T0_E_clISt17integral_constantIbLb0EESZ_EEDaSU_SV_EUlSU_E_NS1_11comp_targetILNS1_3genE4ELNS1_11target_archE910ELNS1_3gpuE8ELNS1_3repE0EEENS1_30default_config_static_selectorELNS0_4arch9wavefront6targetE0EEEvT1_.num_agpr, 0
	.set _ZN7rocprim17ROCPRIM_400000_NS6detail17trampoline_kernelINS0_14default_configENS1_33run_length_encode_config_selectorIhjNS0_4plusIjEEEEZZNS1_33reduce_by_key_impl_wrapped_configILNS1_25lookback_scan_determinismE0ES3_S7_PKhNS0_17constant_iteratorIjlEEPhPlSF_S6_NS0_8equal_toIhEEEE10hipError_tPvRmT2_T3_mT4_T5_T6_T7_T8_P12ihipStream_tbENKUlT_T0_E_clISt17integral_constantIbLb0EESZ_EEDaSU_SV_EUlSU_E_NS1_11comp_targetILNS1_3genE4ELNS1_11target_archE910ELNS1_3gpuE8ELNS1_3repE0EEENS1_30default_config_static_selectorELNS0_4arch9wavefront6targetE0EEEvT1_.numbered_sgpr, 0
	.set _ZN7rocprim17ROCPRIM_400000_NS6detail17trampoline_kernelINS0_14default_configENS1_33run_length_encode_config_selectorIhjNS0_4plusIjEEEEZZNS1_33reduce_by_key_impl_wrapped_configILNS1_25lookback_scan_determinismE0ES3_S7_PKhNS0_17constant_iteratorIjlEEPhPlSF_S6_NS0_8equal_toIhEEEE10hipError_tPvRmT2_T3_mT4_T5_T6_T7_T8_P12ihipStream_tbENKUlT_T0_E_clISt17integral_constantIbLb0EESZ_EEDaSU_SV_EUlSU_E_NS1_11comp_targetILNS1_3genE4ELNS1_11target_archE910ELNS1_3gpuE8ELNS1_3repE0EEENS1_30default_config_static_selectorELNS0_4arch9wavefront6targetE0EEEvT1_.num_named_barrier, 0
	.set _ZN7rocprim17ROCPRIM_400000_NS6detail17trampoline_kernelINS0_14default_configENS1_33run_length_encode_config_selectorIhjNS0_4plusIjEEEEZZNS1_33reduce_by_key_impl_wrapped_configILNS1_25lookback_scan_determinismE0ES3_S7_PKhNS0_17constant_iteratorIjlEEPhPlSF_S6_NS0_8equal_toIhEEEE10hipError_tPvRmT2_T3_mT4_T5_T6_T7_T8_P12ihipStream_tbENKUlT_T0_E_clISt17integral_constantIbLb0EESZ_EEDaSU_SV_EUlSU_E_NS1_11comp_targetILNS1_3genE4ELNS1_11target_archE910ELNS1_3gpuE8ELNS1_3repE0EEENS1_30default_config_static_selectorELNS0_4arch9wavefront6targetE0EEEvT1_.private_seg_size, 0
	.set _ZN7rocprim17ROCPRIM_400000_NS6detail17trampoline_kernelINS0_14default_configENS1_33run_length_encode_config_selectorIhjNS0_4plusIjEEEEZZNS1_33reduce_by_key_impl_wrapped_configILNS1_25lookback_scan_determinismE0ES3_S7_PKhNS0_17constant_iteratorIjlEEPhPlSF_S6_NS0_8equal_toIhEEEE10hipError_tPvRmT2_T3_mT4_T5_T6_T7_T8_P12ihipStream_tbENKUlT_T0_E_clISt17integral_constantIbLb0EESZ_EEDaSU_SV_EUlSU_E_NS1_11comp_targetILNS1_3genE4ELNS1_11target_archE910ELNS1_3gpuE8ELNS1_3repE0EEENS1_30default_config_static_selectorELNS0_4arch9wavefront6targetE0EEEvT1_.uses_vcc, 0
	.set _ZN7rocprim17ROCPRIM_400000_NS6detail17trampoline_kernelINS0_14default_configENS1_33run_length_encode_config_selectorIhjNS0_4plusIjEEEEZZNS1_33reduce_by_key_impl_wrapped_configILNS1_25lookback_scan_determinismE0ES3_S7_PKhNS0_17constant_iteratorIjlEEPhPlSF_S6_NS0_8equal_toIhEEEE10hipError_tPvRmT2_T3_mT4_T5_T6_T7_T8_P12ihipStream_tbENKUlT_T0_E_clISt17integral_constantIbLb0EESZ_EEDaSU_SV_EUlSU_E_NS1_11comp_targetILNS1_3genE4ELNS1_11target_archE910ELNS1_3gpuE8ELNS1_3repE0EEENS1_30default_config_static_selectorELNS0_4arch9wavefront6targetE0EEEvT1_.uses_flat_scratch, 0
	.set _ZN7rocprim17ROCPRIM_400000_NS6detail17trampoline_kernelINS0_14default_configENS1_33run_length_encode_config_selectorIhjNS0_4plusIjEEEEZZNS1_33reduce_by_key_impl_wrapped_configILNS1_25lookback_scan_determinismE0ES3_S7_PKhNS0_17constant_iteratorIjlEEPhPlSF_S6_NS0_8equal_toIhEEEE10hipError_tPvRmT2_T3_mT4_T5_T6_T7_T8_P12ihipStream_tbENKUlT_T0_E_clISt17integral_constantIbLb0EESZ_EEDaSU_SV_EUlSU_E_NS1_11comp_targetILNS1_3genE4ELNS1_11target_archE910ELNS1_3gpuE8ELNS1_3repE0EEENS1_30default_config_static_selectorELNS0_4arch9wavefront6targetE0EEEvT1_.has_dyn_sized_stack, 0
	.set _ZN7rocprim17ROCPRIM_400000_NS6detail17trampoline_kernelINS0_14default_configENS1_33run_length_encode_config_selectorIhjNS0_4plusIjEEEEZZNS1_33reduce_by_key_impl_wrapped_configILNS1_25lookback_scan_determinismE0ES3_S7_PKhNS0_17constant_iteratorIjlEEPhPlSF_S6_NS0_8equal_toIhEEEE10hipError_tPvRmT2_T3_mT4_T5_T6_T7_T8_P12ihipStream_tbENKUlT_T0_E_clISt17integral_constantIbLb0EESZ_EEDaSU_SV_EUlSU_E_NS1_11comp_targetILNS1_3genE4ELNS1_11target_archE910ELNS1_3gpuE8ELNS1_3repE0EEENS1_30default_config_static_selectorELNS0_4arch9wavefront6targetE0EEEvT1_.has_recursion, 0
	.set _ZN7rocprim17ROCPRIM_400000_NS6detail17trampoline_kernelINS0_14default_configENS1_33run_length_encode_config_selectorIhjNS0_4plusIjEEEEZZNS1_33reduce_by_key_impl_wrapped_configILNS1_25lookback_scan_determinismE0ES3_S7_PKhNS0_17constant_iteratorIjlEEPhPlSF_S6_NS0_8equal_toIhEEEE10hipError_tPvRmT2_T3_mT4_T5_T6_T7_T8_P12ihipStream_tbENKUlT_T0_E_clISt17integral_constantIbLb0EESZ_EEDaSU_SV_EUlSU_E_NS1_11comp_targetILNS1_3genE4ELNS1_11target_archE910ELNS1_3gpuE8ELNS1_3repE0EEENS1_30default_config_static_selectorELNS0_4arch9wavefront6targetE0EEEvT1_.has_indirect_call, 0
	.section	.AMDGPU.csdata,"",@progbits
; Kernel info:
; codeLenInByte = 0
; TotalNumSgprs: 0
; NumVgprs: 0
; ScratchSize: 0
; MemoryBound: 0
; FloatMode: 240
; IeeeMode: 1
; LDSByteSize: 0 bytes/workgroup (compile time only)
; SGPRBlocks: 0
; VGPRBlocks: 0
; NumSGPRsForWavesPerEU: 1
; NumVGPRsForWavesPerEU: 1
; NamedBarCnt: 0
; Occupancy: 16
; WaveLimiterHint : 0
; COMPUTE_PGM_RSRC2:SCRATCH_EN: 0
; COMPUTE_PGM_RSRC2:USER_SGPR: 2
; COMPUTE_PGM_RSRC2:TRAP_HANDLER: 0
; COMPUTE_PGM_RSRC2:TGID_X_EN: 1
; COMPUTE_PGM_RSRC2:TGID_Y_EN: 0
; COMPUTE_PGM_RSRC2:TGID_Z_EN: 0
; COMPUTE_PGM_RSRC2:TIDIG_COMP_CNT: 0
	.section	.text._ZN7rocprim17ROCPRIM_400000_NS6detail17trampoline_kernelINS0_14default_configENS1_33run_length_encode_config_selectorIhjNS0_4plusIjEEEEZZNS1_33reduce_by_key_impl_wrapped_configILNS1_25lookback_scan_determinismE0ES3_S7_PKhNS0_17constant_iteratorIjlEEPhPlSF_S6_NS0_8equal_toIhEEEE10hipError_tPvRmT2_T3_mT4_T5_T6_T7_T8_P12ihipStream_tbENKUlT_T0_E_clISt17integral_constantIbLb0EESZ_EEDaSU_SV_EUlSU_E_NS1_11comp_targetILNS1_3genE3ELNS1_11target_archE908ELNS1_3gpuE7ELNS1_3repE0EEENS1_30default_config_static_selectorELNS0_4arch9wavefront6targetE0EEEvT1_,"axG",@progbits,_ZN7rocprim17ROCPRIM_400000_NS6detail17trampoline_kernelINS0_14default_configENS1_33run_length_encode_config_selectorIhjNS0_4plusIjEEEEZZNS1_33reduce_by_key_impl_wrapped_configILNS1_25lookback_scan_determinismE0ES3_S7_PKhNS0_17constant_iteratorIjlEEPhPlSF_S6_NS0_8equal_toIhEEEE10hipError_tPvRmT2_T3_mT4_T5_T6_T7_T8_P12ihipStream_tbENKUlT_T0_E_clISt17integral_constantIbLb0EESZ_EEDaSU_SV_EUlSU_E_NS1_11comp_targetILNS1_3genE3ELNS1_11target_archE908ELNS1_3gpuE7ELNS1_3repE0EEENS1_30default_config_static_selectorELNS0_4arch9wavefront6targetE0EEEvT1_,comdat
	.protected	_ZN7rocprim17ROCPRIM_400000_NS6detail17trampoline_kernelINS0_14default_configENS1_33run_length_encode_config_selectorIhjNS0_4plusIjEEEEZZNS1_33reduce_by_key_impl_wrapped_configILNS1_25lookback_scan_determinismE0ES3_S7_PKhNS0_17constant_iteratorIjlEEPhPlSF_S6_NS0_8equal_toIhEEEE10hipError_tPvRmT2_T3_mT4_T5_T6_T7_T8_P12ihipStream_tbENKUlT_T0_E_clISt17integral_constantIbLb0EESZ_EEDaSU_SV_EUlSU_E_NS1_11comp_targetILNS1_3genE3ELNS1_11target_archE908ELNS1_3gpuE7ELNS1_3repE0EEENS1_30default_config_static_selectorELNS0_4arch9wavefront6targetE0EEEvT1_ ; -- Begin function _ZN7rocprim17ROCPRIM_400000_NS6detail17trampoline_kernelINS0_14default_configENS1_33run_length_encode_config_selectorIhjNS0_4plusIjEEEEZZNS1_33reduce_by_key_impl_wrapped_configILNS1_25lookback_scan_determinismE0ES3_S7_PKhNS0_17constant_iteratorIjlEEPhPlSF_S6_NS0_8equal_toIhEEEE10hipError_tPvRmT2_T3_mT4_T5_T6_T7_T8_P12ihipStream_tbENKUlT_T0_E_clISt17integral_constantIbLb0EESZ_EEDaSU_SV_EUlSU_E_NS1_11comp_targetILNS1_3genE3ELNS1_11target_archE908ELNS1_3gpuE7ELNS1_3repE0EEENS1_30default_config_static_selectorELNS0_4arch9wavefront6targetE0EEEvT1_
	.globl	_ZN7rocprim17ROCPRIM_400000_NS6detail17trampoline_kernelINS0_14default_configENS1_33run_length_encode_config_selectorIhjNS0_4plusIjEEEEZZNS1_33reduce_by_key_impl_wrapped_configILNS1_25lookback_scan_determinismE0ES3_S7_PKhNS0_17constant_iteratorIjlEEPhPlSF_S6_NS0_8equal_toIhEEEE10hipError_tPvRmT2_T3_mT4_T5_T6_T7_T8_P12ihipStream_tbENKUlT_T0_E_clISt17integral_constantIbLb0EESZ_EEDaSU_SV_EUlSU_E_NS1_11comp_targetILNS1_3genE3ELNS1_11target_archE908ELNS1_3gpuE7ELNS1_3repE0EEENS1_30default_config_static_selectorELNS0_4arch9wavefront6targetE0EEEvT1_
	.p2align	8
	.type	_ZN7rocprim17ROCPRIM_400000_NS6detail17trampoline_kernelINS0_14default_configENS1_33run_length_encode_config_selectorIhjNS0_4plusIjEEEEZZNS1_33reduce_by_key_impl_wrapped_configILNS1_25lookback_scan_determinismE0ES3_S7_PKhNS0_17constant_iteratorIjlEEPhPlSF_S6_NS0_8equal_toIhEEEE10hipError_tPvRmT2_T3_mT4_T5_T6_T7_T8_P12ihipStream_tbENKUlT_T0_E_clISt17integral_constantIbLb0EESZ_EEDaSU_SV_EUlSU_E_NS1_11comp_targetILNS1_3genE3ELNS1_11target_archE908ELNS1_3gpuE7ELNS1_3repE0EEENS1_30default_config_static_selectorELNS0_4arch9wavefront6targetE0EEEvT1_,@function
_ZN7rocprim17ROCPRIM_400000_NS6detail17trampoline_kernelINS0_14default_configENS1_33run_length_encode_config_selectorIhjNS0_4plusIjEEEEZZNS1_33reduce_by_key_impl_wrapped_configILNS1_25lookback_scan_determinismE0ES3_S7_PKhNS0_17constant_iteratorIjlEEPhPlSF_S6_NS0_8equal_toIhEEEE10hipError_tPvRmT2_T3_mT4_T5_T6_T7_T8_P12ihipStream_tbENKUlT_T0_E_clISt17integral_constantIbLb0EESZ_EEDaSU_SV_EUlSU_E_NS1_11comp_targetILNS1_3genE3ELNS1_11target_archE908ELNS1_3gpuE7ELNS1_3repE0EEENS1_30default_config_static_selectorELNS0_4arch9wavefront6targetE0EEEvT1_: ; @_ZN7rocprim17ROCPRIM_400000_NS6detail17trampoline_kernelINS0_14default_configENS1_33run_length_encode_config_selectorIhjNS0_4plusIjEEEEZZNS1_33reduce_by_key_impl_wrapped_configILNS1_25lookback_scan_determinismE0ES3_S7_PKhNS0_17constant_iteratorIjlEEPhPlSF_S6_NS0_8equal_toIhEEEE10hipError_tPvRmT2_T3_mT4_T5_T6_T7_T8_P12ihipStream_tbENKUlT_T0_E_clISt17integral_constantIbLb0EESZ_EEDaSU_SV_EUlSU_E_NS1_11comp_targetILNS1_3genE3ELNS1_11target_archE908ELNS1_3gpuE7ELNS1_3repE0EEENS1_30default_config_static_selectorELNS0_4arch9wavefront6targetE0EEEvT1_
; %bb.0:
	.section	.rodata,"a",@progbits
	.p2align	6, 0x0
	.amdhsa_kernel _ZN7rocprim17ROCPRIM_400000_NS6detail17trampoline_kernelINS0_14default_configENS1_33run_length_encode_config_selectorIhjNS0_4plusIjEEEEZZNS1_33reduce_by_key_impl_wrapped_configILNS1_25lookback_scan_determinismE0ES3_S7_PKhNS0_17constant_iteratorIjlEEPhPlSF_S6_NS0_8equal_toIhEEEE10hipError_tPvRmT2_T3_mT4_T5_T6_T7_T8_P12ihipStream_tbENKUlT_T0_E_clISt17integral_constantIbLb0EESZ_EEDaSU_SV_EUlSU_E_NS1_11comp_targetILNS1_3genE3ELNS1_11target_archE908ELNS1_3gpuE7ELNS1_3repE0EEENS1_30default_config_static_selectorELNS0_4arch9wavefront6targetE0EEEvT1_
		.amdhsa_group_segment_fixed_size 0
		.amdhsa_private_segment_fixed_size 0
		.amdhsa_kernarg_size 128
		.amdhsa_user_sgpr_count 2
		.amdhsa_user_sgpr_dispatch_ptr 0
		.amdhsa_user_sgpr_queue_ptr 0
		.amdhsa_user_sgpr_kernarg_segment_ptr 1
		.amdhsa_user_sgpr_dispatch_id 0
		.amdhsa_user_sgpr_kernarg_preload_length 0
		.amdhsa_user_sgpr_kernarg_preload_offset 0
		.amdhsa_user_sgpr_private_segment_size 0
		.amdhsa_wavefront_size32 1
		.amdhsa_uses_dynamic_stack 0
		.amdhsa_enable_private_segment 0
		.amdhsa_system_sgpr_workgroup_id_x 1
		.amdhsa_system_sgpr_workgroup_id_y 0
		.amdhsa_system_sgpr_workgroup_id_z 0
		.amdhsa_system_sgpr_workgroup_info 0
		.amdhsa_system_vgpr_workitem_id 0
		.amdhsa_next_free_vgpr 1
		.amdhsa_next_free_sgpr 1
		.amdhsa_named_barrier_count 0
		.amdhsa_reserve_vcc 0
		.amdhsa_float_round_mode_32 0
		.amdhsa_float_round_mode_16_64 0
		.amdhsa_float_denorm_mode_32 3
		.amdhsa_float_denorm_mode_16_64 3
		.amdhsa_fp16_overflow 0
		.amdhsa_memory_ordered 1
		.amdhsa_forward_progress 1
		.amdhsa_inst_pref_size 0
		.amdhsa_round_robin_scheduling 0
		.amdhsa_exception_fp_ieee_invalid_op 0
		.amdhsa_exception_fp_denorm_src 0
		.amdhsa_exception_fp_ieee_div_zero 0
		.amdhsa_exception_fp_ieee_overflow 0
		.amdhsa_exception_fp_ieee_underflow 0
		.amdhsa_exception_fp_ieee_inexact 0
		.amdhsa_exception_int_div_zero 0
	.end_amdhsa_kernel
	.section	.text._ZN7rocprim17ROCPRIM_400000_NS6detail17trampoline_kernelINS0_14default_configENS1_33run_length_encode_config_selectorIhjNS0_4plusIjEEEEZZNS1_33reduce_by_key_impl_wrapped_configILNS1_25lookback_scan_determinismE0ES3_S7_PKhNS0_17constant_iteratorIjlEEPhPlSF_S6_NS0_8equal_toIhEEEE10hipError_tPvRmT2_T3_mT4_T5_T6_T7_T8_P12ihipStream_tbENKUlT_T0_E_clISt17integral_constantIbLb0EESZ_EEDaSU_SV_EUlSU_E_NS1_11comp_targetILNS1_3genE3ELNS1_11target_archE908ELNS1_3gpuE7ELNS1_3repE0EEENS1_30default_config_static_selectorELNS0_4arch9wavefront6targetE0EEEvT1_,"axG",@progbits,_ZN7rocprim17ROCPRIM_400000_NS6detail17trampoline_kernelINS0_14default_configENS1_33run_length_encode_config_selectorIhjNS0_4plusIjEEEEZZNS1_33reduce_by_key_impl_wrapped_configILNS1_25lookback_scan_determinismE0ES3_S7_PKhNS0_17constant_iteratorIjlEEPhPlSF_S6_NS0_8equal_toIhEEEE10hipError_tPvRmT2_T3_mT4_T5_T6_T7_T8_P12ihipStream_tbENKUlT_T0_E_clISt17integral_constantIbLb0EESZ_EEDaSU_SV_EUlSU_E_NS1_11comp_targetILNS1_3genE3ELNS1_11target_archE908ELNS1_3gpuE7ELNS1_3repE0EEENS1_30default_config_static_selectorELNS0_4arch9wavefront6targetE0EEEvT1_,comdat
.Lfunc_end169:
	.size	_ZN7rocprim17ROCPRIM_400000_NS6detail17trampoline_kernelINS0_14default_configENS1_33run_length_encode_config_selectorIhjNS0_4plusIjEEEEZZNS1_33reduce_by_key_impl_wrapped_configILNS1_25lookback_scan_determinismE0ES3_S7_PKhNS0_17constant_iteratorIjlEEPhPlSF_S6_NS0_8equal_toIhEEEE10hipError_tPvRmT2_T3_mT4_T5_T6_T7_T8_P12ihipStream_tbENKUlT_T0_E_clISt17integral_constantIbLb0EESZ_EEDaSU_SV_EUlSU_E_NS1_11comp_targetILNS1_3genE3ELNS1_11target_archE908ELNS1_3gpuE7ELNS1_3repE0EEENS1_30default_config_static_selectorELNS0_4arch9wavefront6targetE0EEEvT1_, .Lfunc_end169-_ZN7rocprim17ROCPRIM_400000_NS6detail17trampoline_kernelINS0_14default_configENS1_33run_length_encode_config_selectorIhjNS0_4plusIjEEEEZZNS1_33reduce_by_key_impl_wrapped_configILNS1_25lookback_scan_determinismE0ES3_S7_PKhNS0_17constant_iteratorIjlEEPhPlSF_S6_NS0_8equal_toIhEEEE10hipError_tPvRmT2_T3_mT4_T5_T6_T7_T8_P12ihipStream_tbENKUlT_T0_E_clISt17integral_constantIbLb0EESZ_EEDaSU_SV_EUlSU_E_NS1_11comp_targetILNS1_3genE3ELNS1_11target_archE908ELNS1_3gpuE7ELNS1_3repE0EEENS1_30default_config_static_selectorELNS0_4arch9wavefront6targetE0EEEvT1_
                                        ; -- End function
	.set _ZN7rocprim17ROCPRIM_400000_NS6detail17trampoline_kernelINS0_14default_configENS1_33run_length_encode_config_selectorIhjNS0_4plusIjEEEEZZNS1_33reduce_by_key_impl_wrapped_configILNS1_25lookback_scan_determinismE0ES3_S7_PKhNS0_17constant_iteratorIjlEEPhPlSF_S6_NS0_8equal_toIhEEEE10hipError_tPvRmT2_T3_mT4_T5_T6_T7_T8_P12ihipStream_tbENKUlT_T0_E_clISt17integral_constantIbLb0EESZ_EEDaSU_SV_EUlSU_E_NS1_11comp_targetILNS1_3genE3ELNS1_11target_archE908ELNS1_3gpuE7ELNS1_3repE0EEENS1_30default_config_static_selectorELNS0_4arch9wavefront6targetE0EEEvT1_.num_vgpr, 0
	.set _ZN7rocprim17ROCPRIM_400000_NS6detail17trampoline_kernelINS0_14default_configENS1_33run_length_encode_config_selectorIhjNS0_4plusIjEEEEZZNS1_33reduce_by_key_impl_wrapped_configILNS1_25lookback_scan_determinismE0ES3_S7_PKhNS0_17constant_iteratorIjlEEPhPlSF_S6_NS0_8equal_toIhEEEE10hipError_tPvRmT2_T3_mT4_T5_T6_T7_T8_P12ihipStream_tbENKUlT_T0_E_clISt17integral_constantIbLb0EESZ_EEDaSU_SV_EUlSU_E_NS1_11comp_targetILNS1_3genE3ELNS1_11target_archE908ELNS1_3gpuE7ELNS1_3repE0EEENS1_30default_config_static_selectorELNS0_4arch9wavefront6targetE0EEEvT1_.num_agpr, 0
	.set _ZN7rocprim17ROCPRIM_400000_NS6detail17trampoline_kernelINS0_14default_configENS1_33run_length_encode_config_selectorIhjNS0_4plusIjEEEEZZNS1_33reduce_by_key_impl_wrapped_configILNS1_25lookback_scan_determinismE0ES3_S7_PKhNS0_17constant_iteratorIjlEEPhPlSF_S6_NS0_8equal_toIhEEEE10hipError_tPvRmT2_T3_mT4_T5_T6_T7_T8_P12ihipStream_tbENKUlT_T0_E_clISt17integral_constantIbLb0EESZ_EEDaSU_SV_EUlSU_E_NS1_11comp_targetILNS1_3genE3ELNS1_11target_archE908ELNS1_3gpuE7ELNS1_3repE0EEENS1_30default_config_static_selectorELNS0_4arch9wavefront6targetE0EEEvT1_.numbered_sgpr, 0
	.set _ZN7rocprim17ROCPRIM_400000_NS6detail17trampoline_kernelINS0_14default_configENS1_33run_length_encode_config_selectorIhjNS0_4plusIjEEEEZZNS1_33reduce_by_key_impl_wrapped_configILNS1_25lookback_scan_determinismE0ES3_S7_PKhNS0_17constant_iteratorIjlEEPhPlSF_S6_NS0_8equal_toIhEEEE10hipError_tPvRmT2_T3_mT4_T5_T6_T7_T8_P12ihipStream_tbENKUlT_T0_E_clISt17integral_constantIbLb0EESZ_EEDaSU_SV_EUlSU_E_NS1_11comp_targetILNS1_3genE3ELNS1_11target_archE908ELNS1_3gpuE7ELNS1_3repE0EEENS1_30default_config_static_selectorELNS0_4arch9wavefront6targetE0EEEvT1_.num_named_barrier, 0
	.set _ZN7rocprim17ROCPRIM_400000_NS6detail17trampoline_kernelINS0_14default_configENS1_33run_length_encode_config_selectorIhjNS0_4plusIjEEEEZZNS1_33reduce_by_key_impl_wrapped_configILNS1_25lookback_scan_determinismE0ES3_S7_PKhNS0_17constant_iteratorIjlEEPhPlSF_S6_NS0_8equal_toIhEEEE10hipError_tPvRmT2_T3_mT4_T5_T6_T7_T8_P12ihipStream_tbENKUlT_T0_E_clISt17integral_constantIbLb0EESZ_EEDaSU_SV_EUlSU_E_NS1_11comp_targetILNS1_3genE3ELNS1_11target_archE908ELNS1_3gpuE7ELNS1_3repE0EEENS1_30default_config_static_selectorELNS0_4arch9wavefront6targetE0EEEvT1_.private_seg_size, 0
	.set _ZN7rocprim17ROCPRIM_400000_NS6detail17trampoline_kernelINS0_14default_configENS1_33run_length_encode_config_selectorIhjNS0_4plusIjEEEEZZNS1_33reduce_by_key_impl_wrapped_configILNS1_25lookback_scan_determinismE0ES3_S7_PKhNS0_17constant_iteratorIjlEEPhPlSF_S6_NS0_8equal_toIhEEEE10hipError_tPvRmT2_T3_mT4_T5_T6_T7_T8_P12ihipStream_tbENKUlT_T0_E_clISt17integral_constantIbLb0EESZ_EEDaSU_SV_EUlSU_E_NS1_11comp_targetILNS1_3genE3ELNS1_11target_archE908ELNS1_3gpuE7ELNS1_3repE0EEENS1_30default_config_static_selectorELNS0_4arch9wavefront6targetE0EEEvT1_.uses_vcc, 0
	.set _ZN7rocprim17ROCPRIM_400000_NS6detail17trampoline_kernelINS0_14default_configENS1_33run_length_encode_config_selectorIhjNS0_4plusIjEEEEZZNS1_33reduce_by_key_impl_wrapped_configILNS1_25lookback_scan_determinismE0ES3_S7_PKhNS0_17constant_iteratorIjlEEPhPlSF_S6_NS0_8equal_toIhEEEE10hipError_tPvRmT2_T3_mT4_T5_T6_T7_T8_P12ihipStream_tbENKUlT_T0_E_clISt17integral_constantIbLb0EESZ_EEDaSU_SV_EUlSU_E_NS1_11comp_targetILNS1_3genE3ELNS1_11target_archE908ELNS1_3gpuE7ELNS1_3repE0EEENS1_30default_config_static_selectorELNS0_4arch9wavefront6targetE0EEEvT1_.uses_flat_scratch, 0
	.set _ZN7rocprim17ROCPRIM_400000_NS6detail17trampoline_kernelINS0_14default_configENS1_33run_length_encode_config_selectorIhjNS0_4plusIjEEEEZZNS1_33reduce_by_key_impl_wrapped_configILNS1_25lookback_scan_determinismE0ES3_S7_PKhNS0_17constant_iteratorIjlEEPhPlSF_S6_NS0_8equal_toIhEEEE10hipError_tPvRmT2_T3_mT4_T5_T6_T7_T8_P12ihipStream_tbENKUlT_T0_E_clISt17integral_constantIbLb0EESZ_EEDaSU_SV_EUlSU_E_NS1_11comp_targetILNS1_3genE3ELNS1_11target_archE908ELNS1_3gpuE7ELNS1_3repE0EEENS1_30default_config_static_selectorELNS0_4arch9wavefront6targetE0EEEvT1_.has_dyn_sized_stack, 0
	.set _ZN7rocprim17ROCPRIM_400000_NS6detail17trampoline_kernelINS0_14default_configENS1_33run_length_encode_config_selectorIhjNS0_4plusIjEEEEZZNS1_33reduce_by_key_impl_wrapped_configILNS1_25lookback_scan_determinismE0ES3_S7_PKhNS0_17constant_iteratorIjlEEPhPlSF_S6_NS0_8equal_toIhEEEE10hipError_tPvRmT2_T3_mT4_T5_T6_T7_T8_P12ihipStream_tbENKUlT_T0_E_clISt17integral_constantIbLb0EESZ_EEDaSU_SV_EUlSU_E_NS1_11comp_targetILNS1_3genE3ELNS1_11target_archE908ELNS1_3gpuE7ELNS1_3repE0EEENS1_30default_config_static_selectorELNS0_4arch9wavefront6targetE0EEEvT1_.has_recursion, 0
	.set _ZN7rocprim17ROCPRIM_400000_NS6detail17trampoline_kernelINS0_14default_configENS1_33run_length_encode_config_selectorIhjNS0_4plusIjEEEEZZNS1_33reduce_by_key_impl_wrapped_configILNS1_25lookback_scan_determinismE0ES3_S7_PKhNS0_17constant_iteratorIjlEEPhPlSF_S6_NS0_8equal_toIhEEEE10hipError_tPvRmT2_T3_mT4_T5_T6_T7_T8_P12ihipStream_tbENKUlT_T0_E_clISt17integral_constantIbLb0EESZ_EEDaSU_SV_EUlSU_E_NS1_11comp_targetILNS1_3genE3ELNS1_11target_archE908ELNS1_3gpuE7ELNS1_3repE0EEENS1_30default_config_static_selectorELNS0_4arch9wavefront6targetE0EEEvT1_.has_indirect_call, 0
	.section	.AMDGPU.csdata,"",@progbits
; Kernel info:
; codeLenInByte = 0
; TotalNumSgprs: 0
; NumVgprs: 0
; ScratchSize: 0
; MemoryBound: 0
; FloatMode: 240
; IeeeMode: 1
; LDSByteSize: 0 bytes/workgroup (compile time only)
; SGPRBlocks: 0
; VGPRBlocks: 0
; NumSGPRsForWavesPerEU: 1
; NumVGPRsForWavesPerEU: 1
; NamedBarCnt: 0
; Occupancy: 16
; WaveLimiterHint : 0
; COMPUTE_PGM_RSRC2:SCRATCH_EN: 0
; COMPUTE_PGM_RSRC2:USER_SGPR: 2
; COMPUTE_PGM_RSRC2:TRAP_HANDLER: 0
; COMPUTE_PGM_RSRC2:TGID_X_EN: 1
; COMPUTE_PGM_RSRC2:TGID_Y_EN: 0
; COMPUTE_PGM_RSRC2:TGID_Z_EN: 0
; COMPUTE_PGM_RSRC2:TIDIG_COMP_CNT: 0
	.section	.text._ZN7rocprim17ROCPRIM_400000_NS6detail17trampoline_kernelINS0_14default_configENS1_33run_length_encode_config_selectorIhjNS0_4plusIjEEEEZZNS1_33reduce_by_key_impl_wrapped_configILNS1_25lookback_scan_determinismE0ES3_S7_PKhNS0_17constant_iteratorIjlEEPhPlSF_S6_NS0_8equal_toIhEEEE10hipError_tPvRmT2_T3_mT4_T5_T6_T7_T8_P12ihipStream_tbENKUlT_T0_E_clISt17integral_constantIbLb0EESZ_EEDaSU_SV_EUlSU_E_NS1_11comp_targetILNS1_3genE2ELNS1_11target_archE906ELNS1_3gpuE6ELNS1_3repE0EEENS1_30default_config_static_selectorELNS0_4arch9wavefront6targetE0EEEvT1_,"axG",@progbits,_ZN7rocprim17ROCPRIM_400000_NS6detail17trampoline_kernelINS0_14default_configENS1_33run_length_encode_config_selectorIhjNS0_4plusIjEEEEZZNS1_33reduce_by_key_impl_wrapped_configILNS1_25lookback_scan_determinismE0ES3_S7_PKhNS0_17constant_iteratorIjlEEPhPlSF_S6_NS0_8equal_toIhEEEE10hipError_tPvRmT2_T3_mT4_T5_T6_T7_T8_P12ihipStream_tbENKUlT_T0_E_clISt17integral_constantIbLb0EESZ_EEDaSU_SV_EUlSU_E_NS1_11comp_targetILNS1_3genE2ELNS1_11target_archE906ELNS1_3gpuE6ELNS1_3repE0EEENS1_30default_config_static_selectorELNS0_4arch9wavefront6targetE0EEEvT1_,comdat
	.protected	_ZN7rocprim17ROCPRIM_400000_NS6detail17trampoline_kernelINS0_14default_configENS1_33run_length_encode_config_selectorIhjNS0_4plusIjEEEEZZNS1_33reduce_by_key_impl_wrapped_configILNS1_25lookback_scan_determinismE0ES3_S7_PKhNS0_17constant_iteratorIjlEEPhPlSF_S6_NS0_8equal_toIhEEEE10hipError_tPvRmT2_T3_mT4_T5_T6_T7_T8_P12ihipStream_tbENKUlT_T0_E_clISt17integral_constantIbLb0EESZ_EEDaSU_SV_EUlSU_E_NS1_11comp_targetILNS1_3genE2ELNS1_11target_archE906ELNS1_3gpuE6ELNS1_3repE0EEENS1_30default_config_static_selectorELNS0_4arch9wavefront6targetE0EEEvT1_ ; -- Begin function _ZN7rocprim17ROCPRIM_400000_NS6detail17trampoline_kernelINS0_14default_configENS1_33run_length_encode_config_selectorIhjNS0_4plusIjEEEEZZNS1_33reduce_by_key_impl_wrapped_configILNS1_25lookback_scan_determinismE0ES3_S7_PKhNS0_17constant_iteratorIjlEEPhPlSF_S6_NS0_8equal_toIhEEEE10hipError_tPvRmT2_T3_mT4_T5_T6_T7_T8_P12ihipStream_tbENKUlT_T0_E_clISt17integral_constantIbLb0EESZ_EEDaSU_SV_EUlSU_E_NS1_11comp_targetILNS1_3genE2ELNS1_11target_archE906ELNS1_3gpuE6ELNS1_3repE0EEENS1_30default_config_static_selectorELNS0_4arch9wavefront6targetE0EEEvT1_
	.globl	_ZN7rocprim17ROCPRIM_400000_NS6detail17trampoline_kernelINS0_14default_configENS1_33run_length_encode_config_selectorIhjNS0_4plusIjEEEEZZNS1_33reduce_by_key_impl_wrapped_configILNS1_25lookback_scan_determinismE0ES3_S7_PKhNS0_17constant_iteratorIjlEEPhPlSF_S6_NS0_8equal_toIhEEEE10hipError_tPvRmT2_T3_mT4_T5_T6_T7_T8_P12ihipStream_tbENKUlT_T0_E_clISt17integral_constantIbLb0EESZ_EEDaSU_SV_EUlSU_E_NS1_11comp_targetILNS1_3genE2ELNS1_11target_archE906ELNS1_3gpuE6ELNS1_3repE0EEENS1_30default_config_static_selectorELNS0_4arch9wavefront6targetE0EEEvT1_
	.p2align	8
	.type	_ZN7rocprim17ROCPRIM_400000_NS6detail17trampoline_kernelINS0_14default_configENS1_33run_length_encode_config_selectorIhjNS0_4plusIjEEEEZZNS1_33reduce_by_key_impl_wrapped_configILNS1_25lookback_scan_determinismE0ES3_S7_PKhNS0_17constant_iteratorIjlEEPhPlSF_S6_NS0_8equal_toIhEEEE10hipError_tPvRmT2_T3_mT4_T5_T6_T7_T8_P12ihipStream_tbENKUlT_T0_E_clISt17integral_constantIbLb0EESZ_EEDaSU_SV_EUlSU_E_NS1_11comp_targetILNS1_3genE2ELNS1_11target_archE906ELNS1_3gpuE6ELNS1_3repE0EEENS1_30default_config_static_selectorELNS0_4arch9wavefront6targetE0EEEvT1_,@function
_ZN7rocprim17ROCPRIM_400000_NS6detail17trampoline_kernelINS0_14default_configENS1_33run_length_encode_config_selectorIhjNS0_4plusIjEEEEZZNS1_33reduce_by_key_impl_wrapped_configILNS1_25lookback_scan_determinismE0ES3_S7_PKhNS0_17constant_iteratorIjlEEPhPlSF_S6_NS0_8equal_toIhEEEE10hipError_tPvRmT2_T3_mT4_T5_T6_T7_T8_P12ihipStream_tbENKUlT_T0_E_clISt17integral_constantIbLb0EESZ_EEDaSU_SV_EUlSU_E_NS1_11comp_targetILNS1_3genE2ELNS1_11target_archE906ELNS1_3gpuE6ELNS1_3repE0EEENS1_30default_config_static_selectorELNS0_4arch9wavefront6targetE0EEEvT1_: ; @_ZN7rocprim17ROCPRIM_400000_NS6detail17trampoline_kernelINS0_14default_configENS1_33run_length_encode_config_selectorIhjNS0_4plusIjEEEEZZNS1_33reduce_by_key_impl_wrapped_configILNS1_25lookback_scan_determinismE0ES3_S7_PKhNS0_17constant_iteratorIjlEEPhPlSF_S6_NS0_8equal_toIhEEEE10hipError_tPvRmT2_T3_mT4_T5_T6_T7_T8_P12ihipStream_tbENKUlT_T0_E_clISt17integral_constantIbLb0EESZ_EEDaSU_SV_EUlSU_E_NS1_11comp_targetILNS1_3genE2ELNS1_11target_archE906ELNS1_3gpuE6ELNS1_3repE0EEENS1_30default_config_static_selectorELNS0_4arch9wavefront6targetE0EEEvT1_
; %bb.0:
	.section	.rodata,"a",@progbits
	.p2align	6, 0x0
	.amdhsa_kernel _ZN7rocprim17ROCPRIM_400000_NS6detail17trampoline_kernelINS0_14default_configENS1_33run_length_encode_config_selectorIhjNS0_4plusIjEEEEZZNS1_33reduce_by_key_impl_wrapped_configILNS1_25lookback_scan_determinismE0ES3_S7_PKhNS0_17constant_iteratorIjlEEPhPlSF_S6_NS0_8equal_toIhEEEE10hipError_tPvRmT2_T3_mT4_T5_T6_T7_T8_P12ihipStream_tbENKUlT_T0_E_clISt17integral_constantIbLb0EESZ_EEDaSU_SV_EUlSU_E_NS1_11comp_targetILNS1_3genE2ELNS1_11target_archE906ELNS1_3gpuE6ELNS1_3repE0EEENS1_30default_config_static_selectorELNS0_4arch9wavefront6targetE0EEEvT1_
		.amdhsa_group_segment_fixed_size 0
		.amdhsa_private_segment_fixed_size 0
		.amdhsa_kernarg_size 128
		.amdhsa_user_sgpr_count 2
		.amdhsa_user_sgpr_dispatch_ptr 0
		.amdhsa_user_sgpr_queue_ptr 0
		.amdhsa_user_sgpr_kernarg_segment_ptr 1
		.amdhsa_user_sgpr_dispatch_id 0
		.amdhsa_user_sgpr_kernarg_preload_length 0
		.amdhsa_user_sgpr_kernarg_preload_offset 0
		.amdhsa_user_sgpr_private_segment_size 0
		.amdhsa_wavefront_size32 1
		.amdhsa_uses_dynamic_stack 0
		.amdhsa_enable_private_segment 0
		.amdhsa_system_sgpr_workgroup_id_x 1
		.amdhsa_system_sgpr_workgroup_id_y 0
		.amdhsa_system_sgpr_workgroup_id_z 0
		.amdhsa_system_sgpr_workgroup_info 0
		.amdhsa_system_vgpr_workitem_id 0
		.amdhsa_next_free_vgpr 1
		.amdhsa_next_free_sgpr 1
		.amdhsa_named_barrier_count 0
		.amdhsa_reserve_vcc 0
		.amdhsa_float_round_mode_32 0
		.amdhsa_float_round_mode_16_64 0
		.amdhsa_float_denorm_mode_32 3
		.amdhsa_float_denorm_mode_16_64 3
		.amdhsa_fp16_overflow 0
		.amdhsa_memory_ordered 1
		.amdhsa_forward_progress 1
		.amdhsa_inst_pref_size 0
		.amdhsa_round_robin_scheduling 0
		.amdhsa_exception_fp_ieee_invalid_op 0
		.amdhsa_exception_fp_denorm_src 0
		.amdhsa_exception_fp_ieee_div_zero 0
		.amdhsa_exception_fp_ieee_overflow 0
		.amdhsa_exception_fp_ieee_underflow 0
		.amdhsa_exception_fp_ieee_inexact 0
		.amdhsa_exception_int_div_zero 0
	.end_amdhsa_kernel
	.section	.text._ZN7rocprim17ROCPRIM_400000_NS6detail17trampoline_kernelINS0_14default_configENS1_33run_length_encode_config_selectorIhjNS0_4plusIjEEEEZZNS1_33reduce_by_key_impl_wrapped_configILNS1_25lookback_scan_determinismE0ES3_S7_PKhNS0_17constant_iteratorIjlEEPhPlSF_S6_NS0_8equal_toIhEEEE10hipError_tPvRmT2_T3_mT4_T5_T6_T7_T8_P12ihipStream_tbENKUlT_T0_E_clISt17integral_constantIbLb0EESZ_EEDaSU_SV_EUlSU_E_NS1_11comp_targetILNS1_3genE2ELNS1_11target_archE906ELNS1_3gpuE6ELNS1_3repE0EEENS1_30default_config_static_selectorELNS0_4arch9wavefront6targetE0EEEvT1_,"axG",@progbits,_ZN7rocprim17ROCPRIM_400000_NS6detail17trampoline_kernelINS0_14default_configENS1_33run_length_encode_config_selectorIhjNS0_4plusIjEEEEZZNS1_33reduce_by_key_impl_wrapped_configILNS1_25lookback_scan_determinismE0ES3_S7_PKhNS0_17constant_iteratorIjlEEPhPlSF_S6_NS0_8equal_toIhEEEE10hipError_tPvRmT2_T3_mT4_T5_T6_T7_T8_P12ihipStream_tbENKUlT_T0_E_clISt17integral_constantIbLb0EESZ_EEDaSU_SV_EUlSU_E_NS1_11comp_targetILNS1_3genE2ELNS1_11target_archE906ELNS1_3gpuE6ELNS1_3repE0EEENS1_30default_config_static_selectorELNS0_4arch9wavefront6targetE0EEEvT1_,comdat
.Lfunc_end170:
	.size	_ZN7rocprim17ROCPRIM_400000_NS6detail17trampoline_kernelINS0_14default_configENS1_33run_length_encode_config_selectorIhjNS0_4plusIjEEEEZZNS1_33reduce_by_key_impl_wrapped_configILNS1_25lookback_scan_determinismE0ES3_S7_PKhNS0_17constant_iteratorIjlEEPhPlSF_S6_NS0_8equal_toIhEEEE10hipError_tPvRmT2_T3_mT4_T5_T6_T7_T8_P12ihipStream_tbENKUlT_T0_E_clISt17integral_constantIbLb0EESZ_EEDaSU_SV_EUlSU_E_NS1_11comp_targetILNS1_3genE2ELNS1_11target_archE906ELNS1_3gpuE6ELNS1_3repE0EEENS1_30default_config_static_selectorELNS0_4arch9wavefront6targetE0EEEvT1_, .Lfunc_end170-_ZN7rocprim17ROCPRIM_400000_NS6detail17trampoline_kernelINS0_14default_configENS1_33run_length_encode_config_selectorIhjNS0_4plusIjEEEEZZNS1_33reduce_by_key_impl_wrapped_configILNS1_25lookback_scan_determinismE0ES3_S7_PKhNS0_17constant_iteratorIjlEEPhPlSF_S6_NS0_8equal_toIhEEEE10hipError_tPvRmT2_T3_mT4_T5_T6_T7_T8_P12ihipStream_tbENKUlT_T0_E_clISt17integral_constantIbLb0EESZ_EEDaSU_SV_EUlSU_E_NS1_11comp_targetILNS1_3genE2ELNS1_11target_archE906ELNS1_3gpuE6ELNS1_3repE0EEENS1_30default_config_static_selectorELNS0_4arch9wavefront6targetE0EEEvT1_
                                        ; -- End function
	.set _ZN7rocprim17ROCPRIM_400000_NS6detail17trampoline_kernelINS0_14default_configENS1_33run_length_encode_config_selectorIhjNS0_4plusIjEEEEZZNS1_33reduce_by_key_impl_wrapped_configILNS1_25lookback_scan_determinismE0ES3_S7_PKhNS0_17constant_iteratorIjlEEPhPlSF_S6_NS0_8equal_toIhEEEE10hipError_tPvRmT2_T3_mT4_T5_T6_T7_T8_P12ihipStream_tbENKUlT_T0_E_clISt17integral_constantIbLb0EESZ_EEDaSU_SV_EUlSU_E_NS1_11comp_targetILNS1_3genE2ELNS1_11target_archE906ELNS1_3gpuE6ELNS1_3repE0EEENS1_30default_config_static_selectorELNS0_4arch9wavefront6targetE0EEEvT1_.num_vgpr, 0
	.set _ZN7rocprim17ROCPRIM_400000_NS6detail17trampoline_kernelINS0_14default_configENS1_33run_length_encode_config_selectorIhjNS0_4plusIjEEEEZZNS1_33reduce_by_key_impl_wrapped_configILNS1_25lookback_scan_determinismE0ES3_S7_PKhNS0_17constant_iteratorIjlEEPhPlSF_S6_NS0_8equal_toIhEEEE10hipError_tPvRmT2_T3_mT4_T5_T6_T7_T8_P12ihipStream_tbENKUlT_T0_E_clISt17integral_constantIbLb0EESZ_EEDaSU_SV_EUlSU_E_NS1_11comp_targetILNS1_3genE2ELNS1_11target_archE906ELNS1_3gpuE6ELNS1_3repE0EEENS1_30default_config_static_selectorELNS0_4arch9wavefront6targetE0EEEvT1_.num_agpr, 0
	.set _ZN7rocprim17ROCPRIM_400000_NS6detail17trampoline_kernelINS0_14default_configENS1_33run_length_encode_config_selectorIhjNS0_4plusIjEEEEZZNS1_33reduce_by_key_impl_wrapped_configILNS1_25lookback_scan_determinismE0ES3_S7_PKhNS0_17constant_iteratorIjlEEPhPlSF_S6_NS0_8equal_toIhEEEE10hipError_tPvRmT2_T3_mT4_T5_T6_T7_T8_P12ihipStream_tbENKUlT_T0_E_clISt17integral_constantIbLb0EESZ_EEDaSU_SV_EUlSU_E_NS1_11comp_targetILNS1_3genE2ELNS1_11target_archE906ELNS1_3gpuE6ELNS1_3repE0EEENS1_30default_config_static_selectorELNS0_4arch9wavefront6targetE0EEEvT1_.numbered_sgpr, 0
	.set _ZN7rocprim17ROCPRIM_400000_NS6detail17trampoline_kernelINS0_14default_configENS1_33run_length_encode_config_selectorIhjNS0_4plusIjEEEEZZNS1_33reduce_by_key_impl_wrapped_configILNS1_25lookback_scan_determinismE0ES3_S7_PKhNS0_17constant_iteratorIjlEEPhPlSF_S6_NS0_8equal_toIhEEEE10hipError_tPvRmT2_T3_mT4_T5_T6_T7_T8_P12ihipStream_tbENKUlT_T0_E_clISt17integral_constantIbLb0EESZ_EEDaSU_SV_EUlSU_E_NS1_11comp_targetILNS1_3genE2ELNS1_11target_archE906ELNS1_3gpuE6ELNS1_3repE0EEENS1_30default_config_static_selectorELNS0_4arch9wavefront6targetE0EEEvT1_.num_named_barrier, 0
	.set _ZN7rocprim17ROCPRIM_400000_NS6detail17trampoline_kernelINS0_14default_configENS1_33run_length_encode_config_selectorIhjNS0_4plusIjEEEEZZNS1_33reduce_by_key_impl_wrapped_configILNS1_25lookback_scan_determinismE0ES3_S7_PKhNS0_17constant_iteratorIjlEEPhPlSF_S6_NS0_8equal_toIhEEEE10hipError_tPvRmT2_T3_mT4_T5_T6_T7_T8_P12ihipStream_tbENKUlT_T0_E_clISt17integral_constantIbLb0EESZ_EEDaSU_SV_EUlSU_E_NS1_11comp_targetILNS1_3genE2ELNS1_11target_archE906ELNS1_3gpuE6ELNS1_3repE0EEENS1_30default_config_static_selectorELNS0_4arch9wavefront6targetE0EEEvT1_.private_seg_size, 0
	.set _ZN7rocprim17ROCPRIM_400000_NS6detail17trampoline_kernelINS0_14default_configENS1_33run_length_encode_config_selectorIhjNS0_4plusIjEEEEZZNS1_33reduce_by_key_impl_wrapped_configILNS1_25lookback_scan_determinismE0ES3_S7_PKhNS0_17constant_iteratorIjlEEPhPlSF_S6_NS0_8equal_toIhEEEE10hipError_tPvRmT2_T3_mT4_T5_T6_T7_T8_P12ihipStream_tbENKUlT_T0_E_clISt17integral_constantIbLb0EESZ_EEDaSU_SV_EUlSU_E_NS1_11comp_targetILNS1_3genE2ELNS1_11target_archE906ELNS1_3gpuE6ELNS1_3repE0EEENS1_30default_config_static_selectorELNS0_4arch9wavefront6targetE0EEEvT1_.uses_vcc, 0
	.set _ZN7rocprim17ROCPRIM_400000_NS6detail17trampoline_kernelINS0_14default_configENS1_33run_length_encode_config_selectorIhjNS0_4plusIjEEEEZZNS1_33reduce_by_key_impl_wrapped_configILNS1_25lookback_scan_determinismE0ES3_S7_PKhNS0_17constant_iteratorIjlEEPhPlSF_S6_NS0_8equal_toIhEEEE10hipError_tPvRmT2_T3_mT4_T5_T6_T7_T8_P12ihipStream_tbENKUlT_T0_E_clISt17integral_constantIbLb0EESZ_EEDaSU_SV_EUlSU_E_NS1_11comp_targetILNS1_3genE2ELNS1_11target_archE906ELNS1_3gpuE6ELNS1_3repE0EEENS1_30default_config_static_selectorELNS0_4arch9wavefront6targetE0EEEvT1_.uses_flat_scratch, 0
	.set _ZN7rocprim17ROCPRIM_400000_NS6detail17trampoline_kernelINS0_14default_configENS1_33run_length_encode_config_selectorIhjNS0_4plusIjEEEEZZNS1_33reduce_by_key_impl_wrapped_configILNS1_25lookback_scan_determinismE0ES3_S7_PKhNS0_17constant_iteratorIjlEEPhPlSF_S6_NS0_8equal_toIhEEEE10hipError_tPvRmT2_T3_mT4_T5_T6_T7_T8_P12ihipStream_tbENKUlT_T0_E_clISt17integral_constantIbLb0EESZ_EEDaSU_SV_EUlSU_E_NS1_11comp_targetILNS1_3genE2ELNS1_11target_archE906ELNS1_3gpuE6ELNS1_3repE0EEENS1_30default_config_static_selectorELNS0_4arch9wavefront6targetE0EEEvT1_.has_dyn_sized_stack, 0
	.set _ZN7rocprim17ROCPRIM_400000_NS6detail17trampoline_kernelINS0_14default_configENS1_33run_length_encode_config_selectorIhjNS0_4plusIjEEEEZZNS1_33reduce_by_key_impl_wrapped_configILNS1_25lookback_scan_determinismE0ES3_S7_PKhNS0_17constant_iteratorIjlEEPhPlSF_S6_NS0_8equal_toIhEEEE10hipError_tPvRmT2_T3_mT4_T5_T6_T7_T8_P12ihipStream_tbENKUlT_T0_E_clISt17integral_constantIbLb0EESZ_EEDaSU_SV_EUlSU_E_NS1_11comp_targetILNS1_3genE2ELNS1_11target_archE906ELNS1_3gpuE6ELNS1_3repE0EEENS1_30default_config_static_selectorELNS0_4arch9wavefront6targetE0EEEvT1_.has_recursion, 0
	.set _ZN7rocprim17ROCPRIM_400000_NS6detail17trampoline_kernelINS0_14default_configENS1_33run_length_encode_config_selectorIhjNS0_4plusIjEEEEZZNS1_33reduce_by_key_impl_wrapped_configILNS1_25lookback_scan_determinismE0ES3_S7_PKhNS0_17constant_iteratorIjlEEPhPlSF_S6_NS0_8equal_toIhEEEE10hipError_tPvRmT2_T3_mT4_T5_T6_T7_T8_P12ihipStream_tbENKUlT_T0_E_clISt17integral_constantIbLb0EESZ_EEDaSU_SV_EUlSU_E_NS1_11comp_targetILNS1_3genE2ELNS1_11target_archE906ELNS1_3gpuE6ELNS1_3repE0EEENS1_30default_config_static_selectorELNS0_4arch9wavefront6targetE0EEEvT1_.has_indirect_call, 0
	.section	.AMDGPU.csdata,"",@progbits
; Kernel info:
; codeLenInByte = 0
; TotalNumSgprs: 0
; NumVgprs: 0
; ScratchSize: 0
; MemoryBound: 0
; FloatMode: 240
; IeeeMode: 1
; LDSByteSize: 0 bytes/workgroup (compile time only)
; SGPRBlocks: 0
; VGPRBlocks: 0
; NumSGPRsForWavesPerEU: 1
; NumVGPRsForWavesPerEU: 1
; NamedBarCnt: 0
; Occupancy: 16
; WaveLimiterHint : 0
; COMPUTE_PGM_RSRC2:SCRATCH_EN: 0
; COMPUTE_PGM_RSRC2:USER_SGPR: 2
; COMPUTE_PGM_RSRC2:TRAP_HANDLER: 0
; COMPUTE_PGM_RSRC2:TGID_X_EN: 1
; COMPUTE_PGM_RSRC2:TGID_Y_EN: 0
; COMPUTE_PGM_RSRC2:TGID_Z_EN: 0
; COMPUTE_PGM_RSRC2:TIDIG_COMP_CNT: 0
	.section	.text._ZN7rocprim17ROCPRIM_400000_NS6detail17trampoline_kernelINS0_14default_configENS1_33run_length_encode_config_selectorIhjNS0_4plusIjEEEEZZNS1_33reduce_by_key_impl_wrapped_configILNS1_25lookback_scan_determinismE0ES3_S7_PKhNS0_17constant_iteratorIjlEEPhPlSF_S6_NS0_8equal_toIhEEEE10hipError_tPvRmT2_T3_mT4_T5_T6_T7_T8_P12ihipStream_tbENKUlT_T0_E_clISt17integral_constantIbLb0EESZ_EEDaSU_SV_EUlSU_E_NS1_11comp_targetILNS1_3genE10ELNS1_11target_archE1201ELNS1_3gpuE5ELNS1_3repE0EEENS1_30default_config_static_selectorELNS0_4arch9wavefront6targetE0EEEvT1_,"axG",@progbits,_ZN7rocprim17ROCPRIM_400000_NS6detail17trampoline_kernelINS0_14default_configENS1_33run_length_encode_config_selectorIhjNS0_4plusIjEEEEZZNS1_33reduce_by_key_impl_wrapped_configILNS1_25lookback_scan_determinismE0ES3_S7_PKhNS0_17constant_iteratorIjlEEPhPlSF_S6_NS0_8equal_toIhEEEE10hipError_tPvRmT2_T3_mT4_T5_T6_T7_T8_P12ihipStream_tbENKUlT_T0_E_clISt17integral_constantIbLb0EESZ_EEDaSU_SV_EUlSU_E_NS1_11comp_targetILNS1_3genE10ELNS1_11target_archE1201ELNS1_3gpuE5ELNS1_3repE0EEENS1_30default_config_static_selectorELNS0_4arch9wavefront6targetE0EEEvT1_,comdat
	.protected	_ZN7rocprim17ROCPRIM_400000_NS6detail17trampoline_kernelINS0_14default_configENS1_33run_length_encode_config_selectorIhjNS0_4plusIjEEEEZZNS1_33reduce_by_key_impl_wrapped_configILNS1_25lookback_scan_determinismE0ES3_S7_PKhNS0_17constant_iteratorIjlEEPhPlSF_S6_NS0_8equal_toIhEEEE10hipError_tPvRmT2_T3_mT4_T5_T6_T7_T8_P12ihipStream_tbENKUlT_T0_E_clISt17integral_constantIbLb0EESZ_EEDaSU_SV_EUlSU_E_NS1_11comp_targetILNS1_3genE10ELNS1_11target_archE1201ELNS1_3gpuE5ELNS1_3repE0EEENS1_30default_config_static_selectorELNS0_4arch9wavefront6targetE0EEEvT1_ ; -- Begin function _ZN7rocprim17ROCPRIM_400000_NS6detail17trampoline_kernelINS0_14default_configENS1_33run_length_encode_config_selectorIhjNS0_4plusIjEEEEZZNS1_33reduce_by_key_impl_wrapped_configILNS1_25lookback_scan_determinismE0ES3_S7_PKhNS0_17constant_iteratorIjlEEPhPlSF_S6_NS0_8equal_toIhEEEE10hipError_tPvRmT2_T3_mT4_T5_T6_T7_T8_P12ihipStream_tbENKUlT_T0_E_clISt17integral_constantIbLb0EESZ_EEDaSU_SV_EUlSU_E_NS1_11comp_targetILNS1_3genE10ELNS1_11target_archE1201ELNS1_3gpuE5ELNS1_3repE0EEENS1_30default_config_static_selectorELNS0_4arch9wavefront6targetE0EEEvT1_
	.globl	_ZN7rocprim17ROCPRIM_400000_NS6detail17trampoline_kernelINS0_14default_configENS1_33run_length_encode_config_selectorIhjNS0_4plusIjEEEEZZNS1_33reduce_by_key_impl_wrapped_configILNS1_25lookback_scan_determinismE0ES3_S7_PKhNS0_17constant_iteratorIjlEEPhPlSF_S6_NS0_8equal_toIhEEEE10hipError_tPvRmT2_T3_mT4_T5_T6_T7_T8_P12ihipStream_tbENKUlT_T0_E_clISt17integral_constantIbLb0EESZ_EEDaSU_SV_EUlSU_E_NS1_11comp_targetILNS1_3genE10ELNS1_11target_archE1201ELNS1_3gpuE5ELNS1_3repE0EEENS1_30default_config_static_selectorELNS0_4arch9wavefront6targetE0EEEvT1_
	.p2align	8
	.type	_ZN7rocprim17ROCPRIM_400000_NS6detail17trampoline_kernelINS0_14default_configENS1_33run_length_encode_config_selectorIhjNS0_4plusIjEEEEZZNS1_33reduce_by_key_impl_wrapped_configILNS1_25lookback_scan_determinismE0ES3_S7_PKhNS0_17constant_iteratorIjlEEPhPlSF_S6_NS0_8equal_toIhEEEE10hipError_tPvRmT2_T3_mT4_T5_T6_T7_T8_P12ihipStream_tbENKUlT_T0_E_clISt17integral_constantIbLb0EESZ_EEDaSU_SV_EUlSU_E_NS1_11comp_targetILNS1_3genE10ELNS1_11target_archE1201ELNS1_3gpuE5ELNS1_3repE0EEENS1_30default_config_static_selectorELNS0_4arch9wavefront6targetE0EEEvT1_,@function
_ZN7rocprim17ROCPRIM_400000_NS6detail17trampoline_kernelINS0_14default_configENS1_33run_length_encode_config_selectorIhjNS0_4plusIjEEEEZZNS1_33reduce_by_key_impl_wrapped_configILNS1_25lookback_scan_determinismE0ES3_S7_PKhNS0_17constant_iteratorIjlEEPhPlSF_S6_NS0_8equal_toIhEEEE10hipError_tPvRmT2_T3_mT4_T5_T6_T7_T8_P12ihipStream_tbENKUlT_T0_E_clISt17integral_constantIbLb0EESZ_EEDaSU_SV_EUlSU_E_NS1_11comp_targetILNS1_3genE10ELNS1_11target_archE1201ELNS1_3gpuE5ELNS1_3repE0EEENS1_30default_config_static_selectorELNS0_4arch9wavefront6targetE0EEEvT1_: ; @_ZN7rocprim17ROCPRIM_400000_NS6detail17trampoline_kernelINS0_14default_configENS1_33run_length_encode_config_selectorIhjNS0_4plusIjEEEEZZNS1_33reduce_by_key_impl_wrapped_configILNS1_25lookback_scan_determinismE0ES3_S7_PKhNS0_17constant_iteratorIjlEEPhPlSF_S6_NS0_8equal_toIhEEEE10hipError_tPvRmT2_T3_mT4_T5_T6_T7_T8_P12ihipStream_tbENKUlT_T0_E_clISt17integral_constantIbLb0EESZ_EEDaSU_SV_EUlSU_E_NS1_11comp_targetILNS1_3genE10ELNS1_11target_archE1201ELNS1_3gpuE5ELNS1_3repE0EEENS1_30default_config_static_selectorELNS0_4arch9wavefront6targetE0EEEvT1_
; %bb.0:
	.section	.rodata,"a",@progbits
	.p2align	6, 0x0
	.amdhsa_kernel _ZN7rocprim17ROCPRIM_400000_NS6detail17trampoline_kernelINS0_14default_configENS1_33run_length_encode_config_selectorIhjNS0_4plusIjEEEEZZNS1_33reduce_by_key_impl_wrapped_configILNS1_25lookback_scan_determinismE0ES3_S7_PKhNS0_17constant_iteratorIjlEEPhPlSF_S6_NS0_8equal_toIhEEEE10hipError_tPvRmT2_T3_mT4_T5_T6_T7_T8_P12ihipStream_tbENKUlT_T0_E_clISt17integral_constantIbLb0EESZ_EEDaSU_SV_EUlSU_E_NS1_11comp_targetILNS1_3genE10ELNS1_11target_archE1201ELNS1_3gpuE5ELNS1_3repE0EEENS1_30default_config_static_selectorELNS0_4arch9wavefront6targetE0EEEvT1_
		.amdhsa_group_segment_fixed_size 0
		.amdhsa_private_segment_fixed_size 0
		.amdhsa_kernarg_size 128
		.amdhsa_user_sgpr_count 2
		.amdhsa_user_sgpr_dispatch_ptr 0
		.amdhsa_user_sgpr_queue_ptr 0
		.amdhsa_user_sgpr_kernarg_segment_ptr 1
		.amdhsa_user_sgpr_dispatch_id 0
		.amdhsa_user_sgpr_kernarg_preload_length 0
		.amdhsa_user_sgpr_kernarg_preload_offset 0
		.amdhsa_user_sgpr_private_segment_size 0
		.amdhsa_wavefront_size32 1
		.amdhsa_uses_dynamic_stack 0
		.amdhsa_enable_private_segment 0
		.amdhsa_system_sgpr_workgroup_id_x 1
		.amdhsa_system_sgpr_workgroup_id_y 0
		.amdhsa_system_sgpr_workgroup_id_z 0
		.amdhsa_system_sgpr_workgroup_info 0
		.amdhsa_system_vgpr_workitem_id 0
		.amdhsa_next_free_vgpr 1
		.amdhsa_next_free_sgpr 1
		.amdhsa_named_barrier_count 0
		.amdhsa_reserve_vcc 0
		.amdhsa_float_round_mode_32 0
		.amdhsa_float_round_mode_16_64 0
		.amdhsa_float_denorm_mode_32 3
		.amdhsa_float_denorm_mode_16_64 3
		.amdhsa_fp16_overflow 0
		.amdhsa_memory_ordered 1
		.amdhsa_forward_progress 1
		.amdhsa_inst_pref_size 0
		.amdhsa_round_robin_scheduling 0
		.amdhsa_exception_fp_ieee_invalid_op 0
		.amdhsa_exception_fp_denorm_src 0
		.amdhsa_exception_fp_ieee_div_zero 0
		.amdhsa_exception_fp_ieee_overflow 0
		.amdhsa_exception_fp_ieee_underflow 0
		.amdhsa_exception_fp_ieee_inexact 0
		.amdhsa_exception_int_div_zero 0
	.end_amdhsa_kernel
	.section	.text._ZN7rocprim17ROCPRIM_400000_NS6detail17trampoline_kernelINS0_14default_configENS1_33run_length_encode_config_selectorIhjNS0_4plusIjEEEEZZNS1_33reduce_by_key_impl_wrapped_configILNS1_25lookback_scan_determinismE0ES3_S7_PKhNS0_17constant_iteratorIjlEEPhPlSF_S6_NS0_8equal_toIhEEEE10hipError_tPvRmT2_T3_mT4_T5_T6_T7_T8_P12ihipStream_tbENKUlT_T0_E_clISt17integral_constantIbLb0EESZ_EEDaSU_SV_EUlSU_E_NS1_11comp_targetILNS1_3genE10ELNS1_11target_archE1201ELNS1_3gpuE5ELNS1_3repE0EEENS1_30default_config_static_selectorELNS0_4arch9wavefront6targetE0EEEvT1_,"axG",@progbits,_ZN7rocprim17ROCPRIM_400000_NS6detail17trampoline_kernelINS0_14default_configENS1_33run_length_encode_config_selectorIhjNS0_4plusIjEEEEZZNS1_33reduce_by_key_impl_wrapped_configILNS1_25lookback_scan_determinismE0ES3_S7_PKhNS0_17constant_iteratorIjlEEPhPlSF_S6_NS0_8equal_toIhEEEE10hipError_tPvRmT2_T3_mT4_T5_T6_T7_T8_P12ihipStream_tbENKUlT_T0_E_clISt17integral_constantIbLb0EESZ_EEDaSU_SV_EUlSU_E_NS1_11comp_targetILNS1_3genE10ELNS1_11target_archE1201ELNS1_3gpuE5ELNS1_3repE0EEENS1_30default_config_static_selectorELNS0_4arch9wavefront6targetE0EEEvT1_,comdat
.Lfunc_end171:
	.size	_ZN7rocprim17ROCPRIM_400000_NS6detail17trampoline_kernelINS0_14default_configENS1_33run_length_encode_config_selectorIhjNS0_4plusIjEEEEZZNS1_33reduce_by_key_impl_wrapped_configILNS1_25lookback_scan_determinismE0ES3_S7_PKhNS0_17constant_iteratorIjlEEPhPlSF_S6_NS0_8equal_toIhEEEE10hipError_tPvRmT2_T3_mT4_T5_T6_T7_T8_P12ihipStream_tbENKUlT_T0_E_clISt17integral_constantIbLb0EESZ_EEDaSU_SV_EUlSU_E_NS1_11comp_targetILNS1_3genE10ELNS1_11target_archE1201ELNS1_3gpuE5ELNS1_3repE0EEENS1_30default_config_static_selectorELNS0_4arch9wavefront6targetE0EEEvT1_, .Lfunc_end171-_ZN7rocprim17ROCPRIM_400000_NS6detail17trampoline_kernelINS0_14default_configENS1_33run_length_encode_config_selectorIhjNS0_4plusIjEEEEZZNS1_33reduce_by_key_impl_wrapped_configILNS1_25lookback_scan_determinismE0ES3_S7_PKhNS0_17constant_iteratorIjlEEPhPlSF_S6_NS0_8equal_toIhEEEE10hipError_tPvRmT2_T3_mT4_T5_T6_T7_T8_P12ihipStream_tbENKUlT_T0_E_clISt17integral_constantIbLb0EESZ_EEDaSU_SV_EUlSU_E_NS1_11comp_targetILNS1_3genE10ELNS1_11target_archE1201ELNS1_3gpuE5ELNS1_3repE0EEENS1_30default_config_static_selectorELNS0_4arch9wavefront6targetE0EEEvT1_
                                        ; -- End function
	.set _ZN7rocprim17ROCPRIM_400000_NS6detail17trampoline_kernelINS0_14default_configENS1_33run_length_encode_config_selectorIhjNS0_4plusIjEEEEZZNS1_33reduce_by_key_impl_wrapped_configILNS1_25lookback_scan_determinismE0ES3_S7_PKhNS0_17constant_iteratorIjlEEPhPlSF_S6_NS0_8equal_toIhEEEE10hipError_tPvRmT2_T3_mT4_T5_T6_T7_T8_P12ihipStream_tbENKUlT_T0_E_clISt17integral_constantIbLb0EESZ_EEDaSU_SV_EUlSU_E_NS1_11comp_targetILNS1_3genE10ELNS1_11target_archE1201ELNS1_3gpuE5ELNS1_3repE0EEENS1_30default_config_static_selectorELNS0_4arch9wavefront6targetE0EEEvT1_.num_vgpr, 0
	.set _ZN7rocprim17ROCPRIM_400000_NS6detail17trampoline_kernelINS0_14default_configENS1_33run_length_encode_config_selectorIhjNS0_4plusIjEEEEZZNS1_33reduce_by_key_impl_wrapped_configILNS1_25lookback_scan_determinismE0ES3_S7_PKhNS0_17constant_iteratorIjlEEPhPlSF_S6_NS0_8equal_toIhEEEE10hipError_tPvRmT2_T3_mT4_T5_T6_T7_T8_P12ihipStream_tbENKUlT_T0_E_clISt17integral_constantIbLb0EESZ_EEDaSU_SV_EUlSU_E_NS1_11comp_targetILNS1_3genE10ELNS1_11target_archE1201ELNS1_3gpuE5ELNS1_3repE0EEENS1_30default_config_static_selectorELNS0_4arch9wavefront6targetE0EEEvT1_.num_agpr, 0
	.set _ZN7rocprim17ROCPRIM_400000_NS6detail17trampoline_kernelINS0_14default_configENS1_33run_length_encode_config_selectorIhjNS0_4plusIjEEEEZZNS1_33reduce_by_key_impl_wrapped_configILNS1_25lookback_scan_determinismE0ES3_S7_PKhNS0_17constant_iteratorIjlEEPhPlSF_S6_NS0_8equal_toIhEEEE10hipError_tPvRmT2_T3_mT4_T5_T6_T7_T8_P12ihipStream_tbENKUlT_T0_E_clISt17integral_constantIbLb0EESZ_EEDaSU_SV_EUlSU_E_NS1_11comp_targetILNS1_3genE10ELNS1_11target_archE1201ELNS1_3gpuE5ELNS1_3repE0EEENS1_30default_config_static_selectorELNS0_4arch9wavefront6targetE0EEEvT1_.numbered_sgpr, 0
	.set _ZN7rocprim17ROCPRIM_400000_NS6detail17trampoline_kernelINS0_14default_configENS1_33run_length_encode_config_selectorIhjNS0_4plusIjEEEEZZNS1_33reduce_by_key_impl_wrapped_configILNS1_25lookback_scan_determinismE0ES3_S7_PKhNS0_17constant_iteratorIjlEEPhPlSF_S6_NS0_8equal_toIhEEEE10hipError_tPvRmT2_T3_mT4_T5_T6_T7_T8_P12ihipStream_tbENKUlT_T0_E_clISt17integral_constantIbLb0EESZ_EEDaSU_SV_EUlSU_E_NS1_11comp_targetILNS1_3genE10ELNS1_11target_archE1201ELNS1_3gpuE5ELNS1_3repE0EEENS1_30default_config_static_selectorELNS0_4arch9wavefront6targetE0EEEvT1_.num_named_barrier, 0
	.set _ZN7rocprim17ROCPRIM_400000_NS6detail17trampoline_kernelINS0_14default_configENS1_33run_length_encode_config_selectorIhjNS0_4plusIjEEEEZZNS1_33reduce_by_key_impl_wrapped_configILNS1_25lookback_scan_determinismE0ES3_S7_PKhNS0_17constant_iteratorIjlEEPhPlSF_S6_NS0_8equal_toIhEEEE10hipError_tPvRmT2_T3_mT4_T5_T6_T7_T8_P12ihipStream_tbENKUlT_T0_E_clISt17integral_constantIbLb0EESZ_EEDaSU_SV_EUlSU_E_NS1_11comp_targetILNS1_3genE10ELNS1_11target_archE1201ELNS1_3gpuE5ELNS1_3repE0EEENS1_30default_config_static_selectorELNS0_4arch9wavefront6targetE0EEEvT1_.private_seg_size, 0
	.set _ZN7rocprim17ROCPRIM_400000_NS6detail17trampoline_kernelINS0_14default_configENS1_33run_length_encode_config_selectorIhjNS0_4plusIjEEEEZZNS1_33reduce_by_key_impl_wrapped_configILNS1_25lookback_scan_determinismE0ES3_S7_PKhNS0_17constant_iteratorIjlEEPhPlSF_S6_NS0_8equal_toIhEEEE10hipError_tPvRmT2_T3_mT4_T5_T6_T7_T8_P12ihipStream_tbENKUlT_T0_E_clISt17integral_constantIbLb0EESZ_EEDaSU_SV_EUlSU_E_NS1_11comp_targetILNS1_3genE10ELNS1_11target_archE1201ELNS1_3gpuE5ELNS1_3repE0EEENS1_30default_config_static_selectorELNS0_4arch9wavefront6targetE0EEEvT1_.uses_vcc, 0
	.set _ZN7rocprim17ROCPRIM_400000_NS6detail17trampoline_kernelINS0_14default_configENS1_33run_length_encode_config_selectorIhjNS0_4plusIjEEEEZZNS1_33reduce_by_key_impl_wrapped_configILNS1_25lookback_scan_determinismE0ES3_S7_PKhNS0_17constant_iteratorIjlEEPhPlSF_S6_NS0_8equal_toIhEEEE10hipError_tPvRmT2_T3_mT4_T5_T6_T7_T8_P12ihipStream_tbENKUlT_T0_E_clISt17integral_constantIbLb0EESZ_EEDaSU_SV_EUlSU_E_NS1_11comp_targetILNS1_3genE10ELNS1_11target_archE1201ELNS1_3gpuE5ELNS1_3repE0EEENS1_30default_config_static_selectorELNS0_4arch9wavefront6targetE0EEEvT1_.uses_flat_scratch, 0
	.set _ZN7rocprim17ROCPRIM_400000_NS6detail17trampoline_kernelINS0_14default_configENS1_33run_length_encode_config_selectorIhjNS0_4plusIjEEEEZZNS1_33reduce_by_key_impl_wrapped_configILNS1_25lookback_scan_determinismE0ES3_S7_PKhNS0_17constant_iteratorIjlEEPhPlSF_S6_NS0_8equal_toIhEEEE10hipError_tPvRmT2_T3_mT4_T5_T6_T7_T8_P12ihipStream_tbENKUlT_T0_E_clISt17integral_constantIbLb0EESZ_EEDaSU_SV_EUlSU_E_NS1_11comp_targetILNS1_3genE10ELNS1_11target_archE1201ELNS1_3gpuE5ELNS1_3repE0EEENS1_30default_config_static_selectorELNS0_4arch9wavefront6targetE0EEEvT1_.has_dyn_sized_stack, 0
	.set _ZN7rocprim17ROCPRIM_400000_NS6detail17trampoline_kernelINS0_14default_configENS1_33run_length_encode_config_selectorIhjNS0_4plusIjEEEEZZNS1_33reduce_by_key_impl_wrapped_configILNS1_25lookback_scan_determinismE0ES3_S7_PKhNS0_17constant_iteratorIjlEEPhPlSF_S6_NS0_8equal_toIhEEEE10hipError_tPvRmT2_T3_mT4_T5_T6_T7_T8_P12ihipStream_tbENKUlT_T0_E_clISt17integral_constantIbLb0EESZ_EEDaSU_SV_EUlSU_E_NS1_11comp_targetILNS1_3genE10ELNS1_11target_archE1201ELNS1_3gpuE5ELNS1_3repE0EEENS1_30default_config_static_selectorELNS0_4arch9wavefront6targetE0EEEvT1_.has_recursion, 0
	.set _ZN7rocprim17ROCPRIM_400000_NS6detail17trampoline_kernelINS0_14default_configENS1_33run_length_encode_config_selectorIhjNS0_4plusIjEEEEZZNS1_33reduce_by_key_impl_wrapped_configILNS1_25lookback_scan_determinismE0ES3_S7_PKhNS0_17constant_iteratorIjlEEPhPlSF_S6_NS0_8equal_toIhEEEE10hipError_tPvRmT2_T3_mT4_T5_T6_T7_T8_P12ihipStream_tbENKUlT_T0_E_clISt17integral_constantIbLb0EESZ_EEDaSU_SV_EUlSU_E_NS1_11comp_targetILNS1_3genE10ELNS1_11target_archE1201ELNS1_3gpuE5ELNS1_3repE0EEENS1_30default_config_static_selectorELNS0_4arch9wavefront6targetE0EEEvT1_.has_indirect_call, 0
	.section	.AMDGPU.csdata,"",@progbits
; Kernel info:
; codeLenInByte = 0
; TotalNumSgprs: 0
; NumVgprs: 0
; ScratchSize: 0
; MemoryBound: 0
; FloatMode: 240
; IeeeMode: 1
; LDSByteSize: 0 bytes/workgroup (compile time only)
; SGPRBlocks: 0
; VGPRBlocks: 0
; NumSGPRsForWavesPerEU: 1
; NumVGPRsForWavesPerEU: 1
; NamedBarCnt: 0
; Occupancy: 16
; WaveLimiterHint : 0
; COMPUTE_PGM_RSRC2:SCRATCH_EN: 0
; COMPUTE_PGM_RSRC2:USER_SGPR: 2
; COMPUTE_PGM_RSRC2:TRAP_HANDLER: 0
; COMPUTE_PGM_RSRC2:TGID_X_EN: 1
; COMPUTE_PGM_RSRC2:TGID_Y_EN: 0
; COMPUTE_PGM_RSRC2:TGID_Z_EN: 0
; COMPUTE_PGM_RSRC2:TIDIG_COMP_CNT: 0
	.section	.text._ZN7rocprim17ROCPRIM_400000_NS6detail17trampoline_kernelINS0_14default_configENS1_33run_length_encode_config_selectorIhjNS0_4plusIjEEEEZZNS1_33reduce_by_key_impl_wrapped_configILNS1_25lookback_scan_determinismE0ES3_S7_PKhNS0_17constant_iteratorIjlEEPhPlSF_S6_NS0_8equal_toIhEEEE10hipError_tPvRmT2_T3_mT4_T5_T6_T7_T8_P12ihipStream_tbENKUlT_T0_E_clISt17integral_constantIbLb0EESZ_EEDaSU_SV_EUlSU_E_NS1_11comp_targetILNS1_3genE10ELNS1_11target_archE1200ELNS1_3gpuE4ELNS1_3repE0EEENS1_30default_config_static_selectorELNS0_4arch9wavefront6targetE0EEEvT1_,"axG",@progbits,_ZN7rocprim17ROCPRIM_400000_NS6detail17trampoline_kernelINS0_14default_configENS1_33run_length_encode_config_selectorIhjNS0_4plusIjEEEEZZNS1_33reduce_by_key_impl_wrapped_configILNS1_25lookback_scan_determinismE0ES3_S7_PKhNS0_17constant_iteratorIjlEEPhPlSF_S6_NS0_8equal_toIhEEEE10hipError_tPvRmT2_T3_mT4_T5_T6_T7_T8_P12ihipStream_tbENKUlT_T0_E_clISt17integral_constantIbLb0EESZ_EEDaSU_SV_EUlSU_E_NS1_11comp_targetILNS1_3genE10ELNS1_11target_archE1200ELNS1_3gpuE4ELNS1_3repE0EEENS1_30default_config_static_selectorELNS0_4arch9wavefront6targetE0EEEvT1_,comdat
	.protected	_ZN7rocprim17ROCPRIM_400000_NS6detail17trampoline_kernelINS0_14default_configENS1_33run_length_encode_config_selectorIhjNS0_4plusIjEEEEZZNS1_33reduce_by_key_impl_wrapped_configILNS1_25lookback_scan_determinismE0ES3_S7_PKhNS0_17constant_iteratorIjlEEPhPlSF_S6_NS0_8equal_toIhEEEE10hipError_tPvRmT2_T3_mT4_T5_T6_T7_T8_P12ihipStream_tbENKUlT_T0_E_clISt17integral_constantIbLb0EESZ_EEDaSU_SV_EUlSU_E_NS1_11comp_targetILNS1_3genE10ELNS1_11target_archE1200ELNS1_3gpuE4ELNS1_3repE0EEENS1_30default_config_static_selectorELNS0_4arch9wavefront6targetE0EEEvT1_ ; -- Begin function _ZN7rocprim17ROCPRIM_400000_NS6detail17trampoline_kernelINS0_14default_configENS1_33run_length_encode_config_selectorIhjNS0_4plusIjEEEEZZNS1_33reduce_by_key_impl_wrapped_configILNS1_25lookback_scan_determinismE0ES3_S7_PKhNS0_17constant_iteratorIjlEEPhPlSF_S6_NS0_8equal_toIhEEEE10hipError_tPvRmT2_T3_mT4_T5_T6_T7_T8_P12ihipStream_tbENKUlT_T0_E_clISt17integral_constantIbLb0EESZ_EEDaSU_SV_EUlSU_E_NS1_11comp_targetILNS1_3genE10ELNS1_11target_archE1200ELNS1_3gpuE4ELNS1_3repE0EEENS1_30default_config_static_selectorELNS0_4arch9wavefront6targetE0EEEvT1_
	.globl	_ZN7rocprim17ROCPRIM_400000_NS6detail17trampoline_kernelINS0_14default_configENS1_33run_length_encode_config_selectorIhjNS0_4plusIjEEEEZZNS1_33reduce_by_key_impl_wrapped_configILNS1_25lookback_scan_determinismE0ES3_S7_PKhNS0_17constant_iteratorIjlEEPhPlSF_S6_NS0_8equal_toIhEEEE10hipError_tPvRmT2_T3_mT4_T5_T6_T7_T8_P12ihipStream_tbENKUlT_T0_E_clISt17integral_constantIbLb0EESZ_EEDaSU_SV_EUlSU_E_NS1_11comp_targetILNS1_3genE10ELNS1_11target_archE1200ELNS1_3gpuE4ELNS1_3repE0EEENS1_30default_config_static_selectorELNS0_4arch9wavefront6targetE0EEEvT1_
	.p2align	8
	.type	_ZN7rocprim17ROCPRIM_400000_NS6detail17trampoline_kernelINS0_14default_configENS1_33run_length_encode_config_selectorIhjNS0_4plusIjEEEEZZNS1_33reduce_by_key_impl_wrapped_configILNS1_25lookback_scan_determinismE0ES3_S7_PKhNS0_17constant_iteratorIjlEEPhPlSF_S6_NS0_8equal_toIhEEEE10hipError_tPvRmT2_T3_mT4_T5_T6_T7_T8_P12ihipStream_tbENKUlT_T0_E_clISt17integral_constantIbLb0EESZ_EEDaSU_SV_EUlSU_E_NS1_11comp_targetILNS1_3genE10ELNS1_11target_archE1200ELNS1_3gpuE4ELNS1_3repE0EEENS1_30default_config_static_selectorELNS0_4arch9wavefront6targetE0EEEvT1_,@function
_ZN7rocprim17ROCPRIM_400000_NS6detail17trampoline_kernelINS0_14default_configENS1_33run_length_encode_config_selectorIhjNS0_4plusIjEEEEZZNS1_33reduce_by_key_impl_wrapped_configILNS1_25lookback_scan_determinismE0ES3_S7_PKhNS0_17constant_iteratorIjlEEPhPlSF_S6_NS0_8equal_toIhEEEE10hipError_tPvRmT2_T3_mT4_T5_T6_T7_T8_P12ihipStream_tbENKUlT_T0_E_clISt17integral_constantIbLb0EESZ_EEDaSU_SV_EUlSU_E_NS1_11comp_targetILNS1_3genE10ELNS1_11target_archE1200ELNS1_3gpuE4ELNS1_3repE0EEENS1_30default_config_static_selectorELNS0_4arch9wavefront6targetE0EEEvT1_: ; @_ZN7rocprim17ROCPRIM_400000_NS6detail17trampoline_kernelINS0_14default_configENS1_33run_length_encode_config_selectorIhjNS0_4plusIjEEEEZZNS1_33reduce_by_key_impl_wrapped_configILNS1_25lookback_scan_determinismE0ES3_S7_PKhNS0_17constant_iteratorIjlEEPhPlSF_S6_NS0_8equal_toIhEEEE10hipError_tPvRmT2_T3_mT4_T5_T6_T7_T8_P12ihipStream_tbENKUlT_T0_E_clISt17integral_constantIbLb0EESZ_EEDaSU_SV_EUlSU_E_NS1_11comp_targetILNS1_3genE10ELNS1_11target_archE1200ELNS1_3gpuE4ELNS1_3repE0EEENS1_30default_config_static_selectorELNS0_4arch9wavefront6targetE0EEEvT1_
; %bb.0:
	.section	.rodata,"a",@progbits
	.p2align	6, 0x0
	.amdhsa_kernel _ZN7rocprim17ROCPRIM_400000_NS6detail17trampoline_kernelINS0_14default_configENS1_33run_length_encode_config_selectorIhjNS0_4plusIjEEEEZZNS1_33reduce_by_key_impl_wrapped_configILNS1_25lookback_scan_determinismE0ES3_S7_PKhNS0_17constant_iteratorIjlEEPhPlSF_S6_NS0_8equal_toIhEEEE10hipError_tPvRmT2_T3_mT4_T5_T6_T7_T8_P12ihipStream_tbENKUlT_T0_E_clISt17integral_constantIbLb0EESZ_EEDaSU_SV_EUlSU_E_NS1_11comp_targetILNS1_3genE10ELNS1_11target_archE1200ELNS1_3gpuE4ELNS1_3repE0EEENS1_30default_config_static_selectorELNS0_4arch9wavefront6targetE0EEEvT1_
		.amdhsa_group_segment_fixed_size 0
		.amdhsa_private_segment_fixed_size 0
		.amdhsa_kernarg_size 128
		.amdhsa_user_sgpr_count 2
		.amdhsa_user_sgpr_dispatch_ptr 0
		.amdhsa_user_sgpr_queue_ptr 0
		.amdhsa_user_sgpr_kernarg_segment_ptr 1
		.amdhsa_user_sgpr_dispatch_id 0
		.amdhsa_user_sgpr_kernarg_preload_length 0
		.amdhsa_user_sgpr_kernarg_preload_offset 0
		.amdhsa_user_sgpr_private_segment_size 0
		.amdhsa_wavefront_size32 1
		.amdhsa_uses_dynamic_stack 0
		.amdhsa_enable_private_segment 0
		.amdhsa_system_sgpr_workgroup_id_x 1
		.amdhsa_system_sgpr_workgroup_id_y 0
		.amdhsa_system_sgpr_workgroup_id_z 0
		.amdhsa_system_sgpr_workgroup_info 0
		.amdhsa_system_vgpr_workitem_id 0
		.amdhsa_next_free_vgpr 1
		.amdhsa_next_free_sgpr 1
		.amdhsa_named_barrier_count 0
		.amdhsa_reserve_vcc 0
		.amdhsa_float_round_mode_32 0
		.amdhsa_float_round_mode_16_64 0
		.amdhsa_float_denorm_mode_32 3
		.amdhsa_float_denorm_mode_16_64 3
		.amdhsa_fp16_overflow 0
		.amdhsa_memory_ordered 1
		.amdhsa_forward_progress 1
		.amdhsa_inst_pref_size 0
		.amdhsa_round_robin_scheduling 0
		.amdhsa_exception_fp_ieee_invalid_op 0
		.amdhsa_exception_fp_denorm_src 0
		.amdhsa_exception_fp_ieee_div_zero 0
		.amdhsa_exception_fp_ieee_overflow 0
		.amdhsa_exception_fp_ieee_underflow 0
		.amdhsa_exception_fp_ieee_inexact 0
		.amdhsa_exception_int_div_zero 0
	.end_amdhsa_kernel
	.section	.text._ZN7rocprim17ROCPRIM_400000_NS6detail17trampoline_kernelINS0_14default_configENS1_33run_length_encode_config_selectorIhjNS0_4plusIjEEEEZZNS1_33reduce_by_key_impl_wrapped_configILNS1_25lookback_scan_determinismE0ES3_S7_PKhNS0_17constant_iteratorIjlEEPhPlSF_S6_NS0_8equal_toIhEEEE10hipError_tPvRmT2_T3_mT4_T5_T6_T7_T8_P12ihipStream_tbENKUlT_T0_E_clISt17integral_constantIbLb0EESZ_EEDaSU_SV_EUlSU_E_NS1_11comp_targetILNS1_3genE10ELNS1_11target_archE1200ELNS1_3gpuE4ELNS1_3repE0EEENS1_30default_config_static_selectorELNS0_4arch9wavefront6targetE0EEEvT1_,"axG",@progbits,_ZN7rocprim17ROCPRIM_400000_NS6detail17trampoline_kernelINS0_14default_configENS1_33run_length_encode_config_selectorIhjNS0_4plusIjEEEEZZNS1_33reduce_by_key_impl_wrapped_configILNS1_25lookback_scan_determinismE0ES3_S7_PKhNS0_17constant_iteratorIjlEEPhPlSF_S6_NS0_8equal_toIhEEEE10hipError_tPvRmT2_T3_mT4_T5_T6_T7_T8_P12ihipStream_tbENKUlT_T0_E_clISt17integral_constantIbLb0EESZ_EEDaSU_SV_EUlSU_E_NS1_11comp_targetILNS1_3genE10ELNS1_11target_archE1200ELNS1_3gpuE4ELNS1_3repE0EEENS1_30default_config_static_selectorELNS0_4arch9wavefront6targetE0EEEvT1_,comdat
.Lfunc_end172:
	.size	_ZN7rocprim17ROCPRIM_400000_NS6detail17trampoline_kernelINS0_14default_configENS1_33run_length_encode_config_selectorIhjNS0_4plusIjEEEEZZNS1_33reduce_by_key_impl_wrapped_configILNS1_25lookback_scan_determinismE0ES3_S7_PKhNS0_17constant_iteratorIjlEEPhPlSF_S6_NS0_8equal_toIhEEEE10hipError_tPvRmT2_T3_mT4_T5_T6_T7_T8_P12ihipStream_tbENKUlT_T0_E_clISt17integral_constantIbLb0EESZ_EEDaSU_SV_EUlSU_E_NS1_11comp_targetILNS1_3genE10ELNS1_11target_archE1200ELNS1_3gpuE4ELNS1_3repE0EEENS1_30default_config_static_selectorELNS0_4arch9wavefront6targetE0EEEvT1_, .Lfunc_end172-_ZN7rocprim17ROCPRIM_400000_NS6detail17trampoline_kernelINS0_14default_configENS1_33run_length_encode_config_selectorIhjNS0_4plusIjEEEEZZNS1_33reduce_by_key_impl_wrapped_configILNS1_25lookback_scan_determinismE0ES3_S7_PKhNS0_17constant_iteratorIjlEEPhPlSF_S6_NS0_8equal_toIhEEEE10hipError_tPvRmT2_T3_mT4_T5_T6_T7_T8_P12ihipStream_tbENKUlT_T0_E_clISt17integral_constantIbLb0EESZ_EEDaSU_SV_EUlSU_E_NS1_11comp_targetILNS1_3genE10ELNS1_11target_archE1200ELNS1_3gpuE4ELNS1_3repE0EEENS1_30default_config_static_selectorELNS0_4arch9wavefront6targetE0EEEvT1_
                                        ; -- End function
	.set _ZN7rocprim17ROCPRIM_400000_NS6detail17trampoline_kernelINS0_14default_configENS1_33run_length_encode_config_selectorIhjNS0_4plusIjEEEEZZNS1_33reduce_by_key_impl_wrapped_configILNS1_25lookback_scan_determinismE0ES3_S7_PKhNS0_17constant_iteratorIjlEEPhPlSF_S6_NS0_8equal_toIhEEEE10hipError_tPvRmT2_T3_mT4_T5_T6_T7_T8_P12ihipStream_tbENKUlT_T0_E_clISt17integral_constantIbLb0EESZ_EEDaSU_SV_EUlSU_E_NS1_11comp_targetILNS1_3genE10ELNS1_11target_archE1200ELNS1_3gpuE4ELNS1_3repE0EEENS1_30default_config_static_selectorELNS0_4arch9wavefront6targetE0EEEvT1_.num_vgpr, 0
	.set _ZN7rocprim17ROCPRIM_400000_NS6detail17trampoline_kernelINS0_14default_configENS1_33run_length_encode_config_selectorIhjNS0_4plusIjEEEEZZNS1_33reduce_by_key_impl_wrapped_configILNS1_25lookback_scan_determinismE0ES3_S7_PKhNS0_17constant_iteratorIjlEEPhPlSF_S6_NS0_8equal_toIhEEEE10hipError_tPvRmT2_T3_mT4_T5_T6_T7_T8_P12ihipStream_tbENKUlT_T0_E_clISt17integral_constantIbLb0EESZ_EEDaSU_SV_EUlSU_E_NS1_11comp_targetILNS1_3genE10ELNS1_11target_archE1200ELNS1_3gpuE4ELNS1_3repE0EEENS1_30default_config_static_selectorELNS0_4arch9wavefront6targetE0EEEvT1_.num_agpr, 0
	.set _ZN7rocprim17ROCPRIM_400000_NS6detail17trampoline_kernelINS0_14default_configENS1_33run_length_encode_config_selectorIhjNS0_4plusIjEEEEZZNS1_33reduce_by_key_impl_wrapped_configILNS1_25lookback_scan_determinismE0ES3_S7_PKhNS0_17constant_iteratorIjlEEPhPlSF_S6_NS0_8equal_toIhEEEE10hipError_tPvRmT2_T3_mT4_T5_T6_T7_T8_P12ihipStream_tbENKUlT_T0_E_clISt17integral_constantIbLb0EESZ_EEDaSU_SV_EUlSU_E_NS1_11comp_targetILNS1_3genE10ELNS1_11target_archE1200ELNS1_3gpuE4ELNS1_3repE0EEENS1_30default_config_static_selectorELNS0_4arch9wavefront6targetE0EEEvT1_.numbered_sgpr, 0
	.set _ZN7rocprim17ROCPRIM_400000_NS6detail17trampoline_kernelINS0_14default_configENS1_33run_length_encode_config_selectorIhjNS0_4plusIjEEEEZZNS1_33reduce_by_key_impl_wrapped_configILNS1_25lookback_scan_determinismE0ES3_S7_PKhNS0_17constant_iteratorIjlEEPhPlSF_S6_NS0_8equal_toIhEEEE10hipError_tPvRmT2_T3_mT4_T5_T6_T7_T8_P12ihipStream_tbENKUlT_T0_E_clISt17integral_constantIbLb0EESZ_EEDaSU_SV_EUlSU_E_NS1_11comp_targetILNS1_3genE10ELNS1_11target_archE1200ELNS1_3gpuE4ELNS1_3repE0EEENS1_30default_config_static_selectorELNS0_4arch9wavefront6targetE0EEEvT1_.num_named_barrier, 0
	.set _ZN7rocprim17ROCPRIM_400000_NS6detail17trampoline_kernelINS0_14default_configENS1_33run_length_encode_config_selectorIhjNS0_4plusIjEEEEZZNS1_33reduce_by_key_impl_wrapped_configILNS1_25lookback_scan_determinismE0ES3_S7_PKhNS0_17constant_iteratorIjlEEPhPlSF_S6_NS0_8equal_toIhEEEE10hipError_tPvRmT2_T3_mT4_T5_T6_T7_T8_P12ihipStream_tbENKUlT_T0_E_clISt17integral_constantIbLb0EESZ_EEDaSU_SV_EUlSU_E_NS1_11comp_targetILNS1_3genE10ELNS1_11target_archE1200ELNS1_3gpuE4ELNS1_3repE0EEENS1_30default_config_static_selectorELNS0_4arch9wavefront6targetE0EEEvT1_.private_seg_size, 0
	.set _ZN7rocprim17ROCPRIM_400000_NS6detail17trampoline_kernelINS0_14default_configENS1_33run_length_encode_config_selectorIhjNS0_4plusIjEEEEZZNS1_33reduce_by_key_impl_wrapped_configILNS1_25lookback_scan_determinismE0ES3_S7_PKhNS0_17constant_iteratorIjlEEPhPlSF_S6_NS0_8equal_toIhEEEE10hipError_tPvRmT2_T3_mT4_T5_T6_T7_T8_P12ihipStream_tbENKUlT_T0_E_clISt17integral_constantIbLb0EESZ_EEDaSU_SV_EUlSU_E_NS1_11comp_targetILNS1_3genE10ELNS1_11target_archE1200ELNS1_3gpuE4ELNS1_3repE0EEENS1_30default_config_static_selectorELNS0_4arch9wavefront6targetE0EEEvT1_.uses_vcc, 0
	.set _ZN7rocprim17ROCPRIM_400000_NS6detail17trampoline_kernelINS0_14default_configENS1_33run_length_encode_config_selectorIhjNS0_4plusIjEEEEZZNS1_33reduce_by_key_impl_wrapped_configILNS1_25lookback_scan_determinismE0ES3_S7_PKhNS0_17constant_iteratorIjlEEPhPlSF_S6_NS0_8equal_toIhEEEE10hipError_tPvRmT2_T3_mT4_T5_T6_T7_T8_P12ihipStream_tbENKUlT_T0_E_clISt17integral_constantIbLb0EESZ_EEDaSU_SV_EUlSU_E_NS1_11comp_targetILNS1_3genE10ELNS1_11target_archE1200ELNS1_3gpuE4ELNS1_3repE0EEENS1_30default_config_static_selectorELNS0_4arch9wavefront6targetE0EEEvT1_.uses_flat_scratch, 0
	.set _ZN7rocprim17ROCPRIM_400000_NS6detail17trampoline_kernelINS0_14default_configENS1_33run_length_encode_config_selectorIhjNS0_4plusIjEEEEZZNS1_33reduce_by_key_impl_wrapped_configILNS1_25lookback_scan_determinismE0ES3_S7_PKhNS0_17constant_iteratorIjlEEPhPlSF_S6_NS0_8equal_toIhEEEE10hipError_tPvRmT2_T3_mT4_T5_T6_T7_T8_P12ihipStream_tbENKUlT_T0_E_clISt17integral_constantIbLb0EESZ_EEDaSU_SV_EUlSU_E_NS1_11comp_targetILNS1_3genE10ELNS1_11target_archE1200ELNS1_3gpuE4ELNS1_3repE0EEENS1_30default_config_static_selectorELNS0_4arch9wavefront6targetE0EEEvT1_.has_dyn_sized_stack, 0
	.set _ZN7rocprim17ROCPRIM_400000_NS6detail17trampoline_kernelINS0_14default_configENS1_33run_length_encode_config_selectorIhjNS0_4plusIjEEEEZZNS1_33reduce_by_key_impl_wrapped_configILNS1_25lookback_scan_determinismE0ES3_S7_PKhNS0_17constant_iteratorIjlEEPhPlSF_S6_NS0_8equal_toIhEEEE10hipError_tPvRmT2_T3_mT4_T5_T6_T7_T8_P12ihipStream_tbENKUlT_T0_E_clISt17integral_constantIbLb0EESZ_EEDaSU_SV_EUlSU_E_NS1_11comp_targetILNS1_3genE10ELNS1_11target_archE1200ELNS1_3gpuE4ELNS1_3repE0EEENS1_30default_config_static_selectorELNS0_4arch9wavefront6targetE0EEEvT1_.has_recursion, 0
	.set _ZN7rocprim17ROCPRIM_400000_NS6detail17trampoline_kernelINS0_14default_configENS1_33run_length_encode_config_selectorIhjNS0_4plusIjEEEEZZNS1_33reduce_by_key_impl_wrapped_configILNS1_25lookback_scan_determinismE0ES3_S7_PKhNS0_17constant_iteratorIjlEEPhPlSF_S6_NS0_8equal_toIhEEEE10hipError_tPvRmT2_T3_mT4_T5_T6_T7_T8_P12ihipStream_tbENKUlT_T0_E_clISt17integral_constantIbLb0EESZ_EEDaSU_SV_EUlSU_E_NS1_11comp_targetILNS1_3genE10ELNS1_11target_archE1200ELNS1_3gpuE4ELNS1_3repE0EEENS1_30default_config_static_selectorELNS0_4arch9wavefront6targetE0EEEvT1_.has_indirect_call, 0
	.section	.AMDGPU.csdata,"",@progbits
; Kernel info:
; codeLenInByte = 0
; TotalNumSgprs: 0
; NumVgprs: 0
; ScratchSize: 0
; MemoryBound: 0
; FloatMode: 240
; IeeeMode: 1
; LDSByteSize: 0 bytes/workgroup (compile time only)
; SGPRBlocks: 0
; VGPRBlocks: 0
; NumSGPRsForWavesPerEU: 1
; NumVGPRsForWavesPerEU: 1
; NamedBarCnt: 0
; Occupancy: 16
; WaveLimiterHint : 0
; COMPUTE_PGM_RSRC2:SCRATCH_EN: 0
; COMPUTE_PGM_RSRC2:USER_SGPR: 2
; COMPUTE_PGM_RSRC2:TRAP_HANDLER: 0
; COMPUTE_PGM_RSRC2:TGID_X_EN: 1
; COMPUTE_PGM_RSRC2:TGID_Y_EN: 0
; COMPUTE_PGM_RSRC2:TGID_Z_EN: 0
; COMPUTE_PGM_RSRC2:TIDIG_COMP_CNT: 0
	.section	.text._ZN7rocprim17ROCPRIM_400000_NS6detail17trampoline_kernelINS0_14default_configENS1_33run_length_encode_config_selectorIhjNS0_4plusIjEEEEZZNS1_33reduce_by_key_impl_wrapped_configILNS1_25lookback_scan_determinismE0ES3_S7_PKhNS0_17constant_iteratorIjlEEPhPlSF_S6_NS0_8equal_toIhEEEE10hipError_tPvRmT2_T3_mT4_T5_T6_T7_T8_P12ihipStream_tbENKUlT_T0_E_clISt17integral_constantIbLb0EESZ_EEDaSU_SV_EUlSU_E_NS1_11comp_targetILNS1_3genE9ELNS1_11target_archE1100ELNS1_3gpuE3ELNS1_3repE0EEENS1_30default_config_static_selectorELNS0_4arch9wavefront6targetE0EEEvT1_,"axG",@progbits,_ZN7rocprim17ROCPRIM_400000_NS6detail17trampoline_kernelINS0_14default_configENS1_33run_length_encode_config_selectorIhjNS0_4plusIjEEEEZZNS1_33reduce_by_key_impl_wrapped_configILNS1_25lookback_scan_determinismE0ES3_S7_PKhNS0_17constant_iteratorIjlEEPhPlSF_S6_NS0_8equal_toIhEEEE10hipError_tPvRmT2_T3_mT4_T5_T6_T7_T8_P12ihipStream_tbENKUlT_T0_E_clISt17integral_constantIbLb0EESZ_EEDaSU_SV_EUlSU_E_NS1_11comp_targetILNS1_3genE9ELNS1_11target_archE1100ELNS1_3gpuE3ELNS1_3repE0EEENS1_30default_config_static_selectorELNS0_4arch9wavefront6targetE0EEEvT1_,comdat
	.protected	_ZN7rocprim17ROCPRIM_400000_NS6detail17trampoline_kernelINS0_14default_configENS1_33run_length_encode_config_selectorIhjNS0_4plusIjEEEEZZNS1_33reduce_by_key_impl_wrapped_configILNS1_25lookback_scan_determinismE0ES3_S7_PKhNS0_17constant_iteratorIjlEEPhPlSF_S6_NS0_8equal_toIhEEEE10hipError_tPvRmT2_T3_mT4_T5_T6_T7_T8_P12ihipStream_tbENKUlT_T0_E_clISt17integral_constantIbLb0EESZ_EEDaSU_SV_EUlSU_E_NS1_11comp_targetILNS1_3genE9ELNS1_11target_archE1100ELNS1_3gpuE3ELNS1_3repE0EEENS1_30default_config_static_selectorELNS0_4arch9wavefront6targetE0EEEvT1_ ; -- Begin function _ZN7rocprim17ROCPRIM_400000_NS6detail17trampoline_kernelINS0_14default_configENS1_33run_length_encode_config_selectorIhjNS0_4plusIjEEEEZZNS1_33reduce_by_key_impl_wrapped_configILNS1_25lookback_scan_determinismE0ES3_S7_PKhNS0_17constant_iteratorIjlEEPhPlSF_S6_NS0_8equal_toIhEEEE10hipError_tPvRmT2_T3_mT4_T5_T6_T7_T8_P12ihipStream_tbENKUlT_T0_E_clISt17integral_constantIbLb0EESZ_EEDaSU_SV_EUlSU_E_NS1_11comp_targetILNS1_3genE9ELNS1_11target_archE1100ELNS1_3gpuE3ELNS1_3repE0EEENS1_30default_config_static_selectorELNS0_4arch9wavefront6targetE0EEEvT1_
	.globl	_ZN7rocprim17ROCPRIM_400000_NS6detail17trampoline_kernelINS0_14default_configENS1_33run_length_encode_config_selectorIhjNS0_4plusIjEEEEZZNS1_33reduce_by_key_impl_wrapped_configILNS1_25lookback_scan_determinismE0ES3_S7_PKhNS0_17constant_iteratorIjlEEPhPlSF_S6_NS0_8equal_toIhEEEE10hipError_tPvRmT2_T3_mT4_T5_T6_T7_T8_P12ihipStream_tbENKUlT_T0_E_clISt17integral_constantIbLb0EESZ_EEDaSU_SV_EUlSU_E_NS1_11comp_targetILNS1_3genE9ELNS1_11target_archE1100ELNS1_3gpuE3ELNS1_3repE0EEENS1_30default_config_static_selectorELNS0_4arch9wavefront6targetE0EEEvT1_
	.p2align	8
	.type	_ZN7rocprim17ROCPRIM_400000_NS6detail17trampoline_kernelINS0_14default_configENS1_33run_length_encode_config_selectorIhjNS0_4plusIjEEEEZZNS1_33reduce_by_key_impl_wrapped_configILNS1_25lookback_scan_determinismE0ES3_S7_PKhNS0_17constant_iteratorIjlEEPhPlSF_S6_NS0_8equal_toIhEEEE10hipError_tPvRmT2_T3_mT4_T5_T6_T7_T8_P12ihipStream_tbENKUlT_T0_E_clISt17integral_constantIbLb0EESZ_EEDaSU_SV_EUlSU_E_NS1_11comp_targetILNS1_3genE9ELNS1_11target_archE1100ELNS1_3gpuE3ELNS1_3repE0EEENS1_30default_config_static_selectorELNS0_4arch9wavefront6targetE0EEEvT1_,@function
_ZN7rocprim17ROCPRIM_400000_NS6detail17trampoline_kernelINS0_14default_configENS1_33run_length_encode_config_selectorIhjNS0_4plusIjEEEEZZNS1_33reduce_by_key_impl_wrapped_configILNS1_25lookback_scan_determinismE0ES3_S7_PKhNS0_17constant_iteratorIjlEEPhPlSF_S6_NS0_8equal_toIhEEEE10hipError_tPvRmT2_T3_mT4_T5_T6_T7_T8_P12ihipStream_tbENKUlT_T0_E_clISt17integral_constantIbLb0EESZ_EEDaSU_SV_EUlSU_E_NS1_11comp_targetILNS1_3genE9ELNS1_11target_archE1100ELNS1_3gpuE3ELNS1_3repE0EEENS1_30default_config_static_selectorELNS0_4arch9wavefront6targetE0EEEvT1_: ; @_ZN7rocprim17ROCPRIM_400000_NS6detail17trampoline_kernelINS0_14default_configENS1_33run_length_encode_config_selectorIhjNS0_4plusIjEEEEZZNS1_33reduce_by_key_impl_wrapped_configILNS1_25lookback_scan_determinismE0ES3_S7_PKhNS0_17constant_iteratorIjlEEPhPlSF_S6_NS0_8equal_toIhEEEE10hipError_tPvRmT2_T3_mT4_T5_T6_T7_T8_P12ihipStream_tbENKUlT_T0_E_clISt17integral_constantIbLb0EESZ_EEDaSU_SV_EUlSU_E_NS1_11comp_targetILNS1_3genE9ELNS1_11target_archE1100ELNS1_3gpuE3ELNS1_3repE0EEENS1_30default_config_static_selectorELNS0_4arch9wavefront6targetE0EEEvT1_
; %bb.0:
	.section	.rodata,"a",@progbits
	.p2align	6, 0x0
	.amdhsa_kernel _ZN7rocprim17ROCPRIM_400000_NS6detail17trampoline_kernelINS0_14default_configENS1_33run_length_encode_config_selectorIhjNS0_4plusIjEEEEZZNS1_33reduce_by_key_impl_wrapped_configILNS1_25lookback_scan_determinismE0ES3_S7_PKhNS0_17constant_iteratorIjlEEPhPlSF_S6_NS0_8equal_toIhEEEE10hipError_tPvRmT2_T3_mT4_T5_T6_T7_T8_P12ihipStream_tbENKUlT_T0_E_clISt17integral_constantIbLb0EESZ_EEDaSU_SV_EUlSU_E_NS1_11comp_targetILNS1_3genE9ELNS1_11target_archE1100ELNS1_3gpuE3ELNS1_3repE0EEENS1_30default_config_static_selectorELNS0_4arch9wavefront6targetE0EEEvT1_
		.amdhsa_group_segment_fixed_size 0
		.amdhsa_private_segment_fixed_size 0
		.amdhsa_kernarg_size 128
		.amdhsa_user_sgpr_count 2
		.amdhsa_user_sgpr_dispatch_ptr 0
		.amdhsa_user_sgpr_queue_ptr 0
		.amdhsa_user_sgpr_kernarg_segment_ptr 1
		.amdhsa_user_sgpr_dispatch_id 0
		.amdhsa_user_sgpr_kernarg_preload_length 0
		.amdhsa_user_sgpr_kernarg_preload_offset 0
		.amdhsa_user_sgpr_private_segment_size 0
		.amdhsa_wavefront_size32 1
		.amdhsa_uses_dynamic_stack 0
		.amdhsa_enable_private_segment 0
		.amdhsa_system_sgpr_workgroup_id_x 1
		.amdhsa_system_sgpr_workgroup_id_y 0
		.amdhsa_system_sgpr_workgroup_id_z 0
		.amdhsa_system_sgpr_workgroup_info 0
		.amdhsa_system_vgpr_workitem_id 0
		.amdhsa_next_free_vgpr 1
		.amdhsa_next_free_sgpr 1
		.amdhsa_named_barrier_count 0
		.amdhsa_reserve_vcc 0
		.amdhsa_float_round_mode_32 0
		.amdhsa_float_round_mode_16_64 0
		.amdhsa_float_denorm_mode_32 3
		.amdhsa_float_denorm_mode_16_64 3
		.amdhsa_fp16_overflow 0
		.amdhsa_memory_ordered 1
		.amdhsa_forward_progress 1
		.amdhsa_inst_pref_size 0
		.amdhsa_round_robin_scheduling 0
		.amdhsa_exception_fp_ieee_invalid_op 0
		.amdhsa_exception_fp_denorm_src 0
		.amdhsa_exception_fp_ieee_div_zero 0
		.amdhsa_exception_fp_ieee_overflow 0
		.amdhsa_exception_fp_ieee_underflow 0
		.amdhsa_exception_fp_ieee_inexact 0
		.amdhsa_exception_int_div_zero 0
	.end_amdhsa_kernel
	.section	.text._ZN7rocprim17ROCPRIM_400000_NS6detail17trampoline_kernelINS0_14default_configENS1_33run_length_encode_config_selectorIhjNS0_4plusIjEEEEZZNS1_33reduce_by_key_impl_wrapped_configILNS1_25lookback_scan_determinismE0ES3_S7_PKhNS0_17constant_iteratorIjlEEPhPlSF_S6_NS0_8equal_toIhEEEE10hipError_tPvRmT2_T3_mT4_T5_T6_T7_T8_P12ihipStream_tbENKUlT_T0_E_clISt17integral_constantIbLb0EESZ_EEDaSU_SV_EUlSU_E_NS1_11comp_targetILNS1_3genE9ELNS1_11target_archE1100ELNS1_3gpuE3ELNS1_3repE0EEENS1_30default_config_static_selectorELNS0_4arch9wavefront6targetE0EEEvT1_,"axG",@progbits,_ZN7rocprim17ROCPRIM_400000_NS6detail17trampoline_kernelINS0_14default_configENS1_33run_length_encode_config_selectorIhjNS0_4plusIjEEEEZZNS1_33reduce_by_key_impl_wrapped_configILNS1_25lookback_scan_determinismE0ES3_S7_PKhNS0_17constant_iteratorIjlEEPhPlSF_S6_NS0_8equal_toIhEEEE10hipError_tPvRmT2_T3_mT4_T5_T6_T7_T8_P12ihipStream_tbENKUlT_T0_E_clISt17integral_constantIbLb0EESZ_EEDaSU_SV_EUlSU_E_NS1_11comp_targetILNS1_3genE9ELNS1_11target_archE1100ELNS1_3gpuE3ELNS1_3repE0EEENS1_30default_config_static_selectorELNS0_4arch9wavefront6targetE0EEEvT1_,comdat
.Lfunc_end173:
	.size	_ZN7rocprim17ROCPRIM_400000_NS6detail17trampoline_kernelINS0_14default_configENS1_33run_length_encode_config_selectorIhjNS0_4plusIjEEEEZZNS1_33reduce_by_key_impl_wrapped_configILNS1_25lookback_scan_determinismE0ES3_S7_PKhNS0_17constant_iteratorIjlEEPhPlSF_S6_NS0_8equal_toIhEEEE10hipError_tPvRmT2_T3_mT4_T5_T6_T7_T8_P12ihipStream_tbENKUlT_T0_E_clISt17integral_constantIbLb0EESZ_EEDaSU_SV_EUlSU_E_NS1_11comp_targetILNS1_3genE9ELNS1_11target_archE1100ELNS1_3gpuE3ELNS1_3repE0EEENS1_30default_config_static_selectorELNS0_4arch9wavefront6targetE0EEEvT1_, .Lfunc_end173-_ZN7rocprim17ROCPRIM_400000_NS6detail17trampoline_kernelINS0_14default_configENS1_33run_length_encode_config_selectorIhjNS0_4plusIjEEEEZZNS1_33reduce_by_key_impl_wrapped_configILNS1_25lookback_scan_determinismE0ES3_S7_PKhNS0_17constant_iteratorIjlEEPhPlSF_S6_NS0_8equal_toIhEEEE10hipError_tPvRmT2_T3_mT4_T5_T6_T7_T8_P12ihipStream_tbENKUlT_T0_E_clISt17integral_constantIbLb0EESZ_EEDaSU_SV_EUlSU_E_NS1_11comp_targetILNS1_3genE9ELNS1_11target_archE1100ELNS1_3gpuE3ELNS1_3repE0EEENS1_30default_config_static_selectorELNS0_4arch9wavefront6targetE0EEEvT1_
                                        ; -- End function
	.set _ZN7rocprim17ROCPRIM_400000_NS6detail17trampoline_kernelINS0_14default_configENS1_33run_length_encode_config_selectorIhjNS0_4plusIjEEEEZZNS1_33reduce_by_key_impl_wrapped_configILNS1_25lookback_scan_determinismE0ES3_S7_PKhNS0_17constant_iteratorIjlEEPhPlSF_S6_NS0_8equal_toIhEEEE10hipError_tPvRmT2_T3_mT4_T5_T6_T7_T8_P12ihipStream_tbENKUlT_T0_E_clISt17integral_constantIbLb0EESZ_EEDaSU_SV_EUlSU_E_NS1_11comp_targetILNS1_3genE9ELNS1_11target_archE1100ELNS1_3gpuE3ELNS1_3repE0EEENS1_30default_config_static_selectorELNS0_4arch9wavefront6targetE0EEEvT1_.num_vgpr, 0
	.set _ZN7rocprim17ROCPRIM_400000_NS6detail17trampoline_kernelINS0_14default_configENS1_33run_length_encode_config_selectorIhjNS0_4plusIjEEEEZZNS1_33reduce_by_key_impl_wrapped_configILNS1_25lookback_scan_determinismE0ES3_S7_PKhNS0_17constant_iteratorIjlEEPhPlSF_S6_NS0_8equal_toIhEEEE10hipError_tPvRmT2_T3_mT4_T5_T6_T7_T8_P12ihipStream_tbENKUlT_T0_E_clISt17integral_constantIbLb0EESZ_EEDaSU_SV_EUlSU_E_NS1_11comp_targetILNS1_3genE9ELNS1_11target_archE1100ELNS1_3gpuE3ELNS1_3repE0EEENS1_30default_config_static_selectorELNS0_4arch9wavefront6targetE0EEEvT1_.num_agpr, 0
	.set _ZN7rocprim17ROCPRIM_400000_NS6detail17trampoline_kernelINS0_14default_configENS1_33run_length_encode_config_selectorIhjNS0_4plusIjEEEEZZNS1_33reduce_by_key_impl_wrapped_configILNS1_25lookback_scan_determinismE0ES3_S7_PKhNS0_17constant_iteratorIjlEEPhPlSF_S6_NS0_8equal_toIhEEEE10hipError_tPvRmT2_T3_mT4_T5_T6_T7_T8_P12ihipStream_tbENKUlT_T0_E_clISt17integral_constantIbLb0EESZ_EEDaSU_SV_EUlSU_E_NS1_11comp_targetILNS1_3genE9ELNS1_11target_archE1100ELNS1_3gpuE3ELNS1_3repE0EEENS1_30default_config_static_selectorELNS0_4arch9wavefront6targetE0EEEvT1_.numbered_sgpr, 0
	.set _ZN7rocprim17ROCPRIM_400000_NS6detail17trampoline_kernelINS0_14default_configENS1_33run_length_encode_config_selectorIhjNS0_4plusIjEEEEZZNS1_33reduce_by_key_impl_wrapped_configILNS1_25lookback_scan_determinismE0ES3_S7_PKhNS0_17constant_iteratorIjlEEPhPlSF_S6_NS0_8equal_toIhEEEE10hipError_tPvRmT2_T3_mT4_T5_T6_T7_T8_P12ihipStream_tbENKUlT_T0_E_clISt17integral_constantIbLb0EESZ_EEDaSU_SV_EUlSU_E_NS1_11comp_targetILNS1_3genE9ELNS1_11target_archE1100ELNS1_3gpuE3ELNS1_3repE0EEENS1_30default_config_static_selectorELNS0_4arch9wavefront6targetE0EEEvT1_.num_named_barrier, 0
	.set _ZN7rocprim17ROCPRIM_400000_NS6detail17trampoline_kernelINS0_14default_configENS1_33run_length_encode_config_selectorIhjNS0_4plusIjEEEEZZNS1_33reduce_by_key_impl_wrapped_configILNS1_25lookback_scan_determinismE0ES3_S7_PKhNS0_17constant_iteratorIjlEEPhPlSF_S6_NS0_8equal_toIhEEEE10hipError_tPvRmT2_T3_mT4_T5_T6_T7_T8_P12ihipStream_tbENKUlT_T0_E_clISt17integral_constantIbLb0EESZ_EEDaSU_SV_EUlSU_E_NS1_11comp_targetILNS1_3genE9ELNS1_11target_archE1100ELNS1_3gpuE3ELNS1_3repE0EEENS1_30default_config_static_selectorELNS0_4arch9wavefront6targetE0EEEvT1_.private_seg_size, 0
	.set _ZN7rocprim17ROCPRIM_400000_NS6detail17trampoline_kernelINS0_14default_configENS1_33run_length_encode_config_selectorIhjNS0_4plusIjEEEEZZNS1_33reduce_by_key_impl_wrapped_configILNS1_25lookback_scan_determinismE0ES3_S7_PKhNS0_17constant_iteratorIjlEEPhPlSF_S6_NS0_8equal_toIhEEEE10hipError_tPvRmT2_T3_mT4_T5_T6_T7_T8_P12ihipStream_tbENKUlT_T0_E_clISt17integral_constantIbLb0EESZ_EEDaSU_SV_EUlSU_E_NS1_11comp_targetILNS1_3genE9ELNS1_11target_archE1100ELNS1_3gpuE3ELNS1_3repE0EEENS1_30default_config_static_selectorELNS0_4arch9wavefront6targetE0EEEvT1_.uses_vcc, 0
	.set _ZN7rocprim17ROCPRIM_400000_NS6detail17trampoline_kernelINS0_14default_configENS1_33run_length_encode_config_selectorIhjNS0_4plusIjEEEEZZNS1_33reduce_by_key_impl_wrapped_configILNS1_25lookback_scan_determinismE0ES3_S7_PKhNS0_17constant_iteratorIjlEEPhPlSF_S6_NS0_8equal_toIhEEEE10hipError_tPvRmT2_T3_mT4_T5_T6_T7_T8_P12ihipStream_tbENKUlT_T0_E_clISt17integral_constantIbLb0EESZ_EEDaSU_SV_EUlSU_E_NS1_11comp_targetILNS1_3genE9ELNS1_11target_archE1100ELNS1_3gpuE3ELNS1_3repE0EEENS1_30default_config_static_selectorELNS0_4arch9wavefront6targetE0EEEvT1_.uses_flat_scratch, 0
	.set _ZN7rocprim17ROCPRIM_400000_NS6detail17trampoline_kernelINS0_14default_configENS1_33run_length_encode_config_selectorIhjNS0_4plusIjEEEEZZNS1_33reduce_by_key_impl_wrapped_configILNS1_25lookback_scan_determinismE0ES3_S7_PKhNS0_17constant_iteratorIjlEEPhPlSF_S6_NS0_8equal_toIhEEEE10hipError_tPvRmT2_T3_mT4_T5_T6_T7_T8_P12ihipStream_tbENKUlT_T0_E_clISt17integral_constantIbLb0EESZ_EEDaSU_SV_EUlSU_E_NS1_11comp_targetILNS1_3genE9ELNS1_11target_archE1100ELNS1_3gpuE3ELNS1_3repE0EEENS1_30default_config_static_selectorELNS0_4arch9wavefront6targetE0EEEvT1_.has_dyn_sized_stack, 0
	.set _ZN7rocprim17ROCPRIM_400000_NS6detail17trampoline_kernelINS0_14default_configENS1_33run_length_encode_config_selectorIhjNS0_4plusIjEEEEZZNS1_33reduce_by_key_impl_wrapped_configILNS1_25lookback_scan_determinismE0ES3_S7_PKhNS0_17constant_iteratorIjlEEPhPlSF_S6_NS0_8equal_toIhEEEE10hipError_tPvRmT2_T3_mT4_T5_T6_T7_T8_P12ihipStream_tbENKUlT_T0_E_clISt17integral_constantIbLb0EESZ_EEDaSU_SV_EUlSU_E_NS1_11comp_targetILNS1_3genE9ELNS1_11target_archE1100ELNS1_3gpuE3ELNS1_3repE0EEENS1_30default_config_static_selectorELNS0_4arch9wavefront6targetE0EEEvT1_.has_recursion, 0
	.set _ZN7rocprim17ROCPRIM_400000_NS6detail17trampoline_kernelINS0_14default_configENS1_33run_length_encode_config_selectorIhjNS0_4plusIjEEEEZZNS1_33reduce_by_key_impl_wrapped_configILNS1_25lookback_scan_determinismE0ES3_S7_PKhNS0_17constant_iteratorIjlEEPhPlSF_S6_NS0_8equal_toIhEEEE10hipError_tPvRmT2_T3_mT4_T5_T6_T7_T8_P12ihipStream_tbENKUlT_T0_E_clISt17integral_constantIbLb0EESZ_EEDaSU_SV_EUlSU_E_NS1_11comp_targetILNS1_3genE9ELNS1_11target_archE1100ELNS1_3gpuE3ELNS1_3repE0EEENS1_30default_config_static_selectorELNS0_4arch9wavefront6targetE0EEEvT1_.has_indirect_call, 0
	.section	.AMDGPU.csdata,"",@progbits
; Kernel info:
; codeLenInByte = 0
; TotalNumSgprs: 0
; NumVgprs: 0
; ScratchSize: 0
; MemoryBound: 0
; FloatMode: 240
; IeeeMode: 1
; LDSByteSize: 0 bytes/workgroup (compile time only)
; SGPRBlocks: 0
; VGPRBlocks: 0
; NumSGPRsForWavesPerEU: 1
; NumVGPRsForWavesPerEU: 1
; NamedBarCnt: 0
; Occupancy: 16
; WaveLimiterHint : 0
; COMPUTE_PGM_RSRC2:SCRATCH_EN: 0
; COMPUTE_PGM_RSRC2:USER_SGPR: 2
; COMPUTE_PGM_RSRC2:TRAP_HANDLER: 0
; COMPUTE_PGM_RSRC2:TGID_X_EN: 1
; COMPUTE_PGM_RSRC2:TGID_Y_EN: 0
; COMPUTE_PGM_RSRC2:TGID_Z_EN: 0
; COMPUTE_PGM_RSRC2:TIDIG_COMP_CNT: 0
	.section	.text._ZN7rocprim17ROCPRIM_400000_NS6detail17trampoline_kernelINS0_14default_configENS1_33run_length_encode_config_selectorIhjNS0_4plusIjEEEEZZNS1_33reduce_by_key_impl_wrapped_configILNS1_25lookback_scan_determinismE0ES3_S7_PKhNS0_17constant_iteratorIjlEEPhPlSF_S6_NS0_8equal_toIhEEEE10hipError_tPvRmT2_T3_mT4_T5_T6_T7_T8_P12ihipStream_tbENKUlT_T0_E_clISt17integral_constantIbLb0EESZ_EEDaSU_SV_EUlSU_E_NS1_11comp_targetILNS1_3genE8ELNS1_11target_archE1030ELNS1_3gpuE2ELNS1_3repE0EEENS1_30default_config_static_selectorELNS0_4arch9wavefront6targetE0EEEvT1_,"axG",@progbits,_ZN7rocprim17ROCPRIM_400000_NS6detail17trampoline_kernelINS0_14default_configENS1_33run_length_encode_config_selectorIhjNS0_4plusIjEEEEZZNS1_33reduce_by_key_impl_wrapped_configILNS1_25lookback_scan_determinismE0ES3_S7_PKhNS0_17constant_iteratorIjlEEPhPlSF_S6_NS0_8equal_toIhEEEE10hipError_tPvRmT2_T3_mT4_T5_T6_T7_T8_P12ihipStream_tbENKUlT_T0_E_clISt17integral_constantIbLb0EESZ_EEDaSU_SV_EUlSU_E_NS1_11comp_targetILNS1_3genE8ELNS1_11target_archE1030ELNS1_3gpuE2ELNS1_3repE0EEENS1_30default_config_static_selectorELNS0_4arch9wavefront6targetE0EEEvT1_,comdat
	.protected	_ZN7rocprim17ROCPRIM_400000_NS6detail17trampoline_kernelINS0_14default_configENS1_33run_length_encode_config_selectorIhjNS0_4plusIjEEEEZZNS1_33reduce_by_key_impl_wrapped_configILNS1_25lookback_scan_determinismE0ES3_S7_PKhNS0_17constant_iteratorIjlEEPhPlSF_S6_NS0_8equal_toIhEEEE10hipError_tPvRmT2_T3_mT4_T5_T6_T7_T8_P12ihipStream_tbENKUlT_T0_E_clISt17integral_constantIbLb0EESZ_EEDaSU_SV_EUlSU_E_NS1_11comp_targetILNS1_3genE8ELNS1_11target_archE1030ELNS1_3gpuE2ELNS1_3repE0EEENS1_30default_config_static_selectorELNS0_4arch9wavefront6targetE0EEEvT1_ ; -- Begin function _ZN7rocprim17ROCPRIM_400000_NS6detail17trampoline_kernelINS0_14default_configENS1_33run_length_encode_config_selectorIhjNS0_4plusIjEEEEZZNS1_33reduce_by_key_impl_wrapped_configILNS1_25lookback_scan_determinismE0ES3_S7_PKhNS0_17constant_iteratorIjlEEPhPlSF_S6_NS0_8equal_toIhEEEE10hipError_tPvRmT2_T3_mT4_T5_T6_T7_T8_P12ihipStream_tbENKUlT_T0_E_clISt17integral_constantIbLb0EESZ_EEDaSU_SV_EUlSU_E_NS1_11comp_targetILNS1_3genE8ELNS1_11target_archE1030ELNS1_3gpuE2ELNS1_3repE0EEENS1_30default_config_static_selectorELNS0_4arch9wavefront6targetE0EEEvT1_
	.globl	_ZN7rocprim17ROCPRIM_400000_NS6detail17trampoline_kernelINS0_14default_configENS1_33run_length_encode_config_selectorIhjNS0_4plusIjEEEEZZNS1_33reduce_by_key_impl_wrapped_configILNS1_25lookback_scan_determinismE0ES3_S7_PKhNS0_17constant_iteratorIjlEEPhPlSF_S6_NS0_8equal_toIhEEEE10hipError_tPvRmT2_T3_mT4_T5_T6_T7_T8_P12ihipStream_tbENKUlT_T0_E_clISt17integral_constantIbLb0EESZ_EEDaSU_SV_EUlSU_E_NS1_11comp_targetILNS1_3genE8ELNS1_11target_archE1030ELNS1_3gpuE2ELNS1_3repE0EEENS1_30default_config_static_selectorELNS0_4arch9wavefront6targetE0EEEvT1_
	.p2align	8
	.type	_ZN7rocprim17ROCPRIM_400000_NS6detail17trampoline_kernelINS0_14default_configENS1_33run_length_encode_config_selectorIhjNS0_4plusIjEEEEZZNS1_33reduce_by_key_impl_wrapped_configILNS1_25lookback_scan_determinismE0ES3_S7_PKhNS0_17constant_iteratorIjlEEPhPlSF_S6_NS0_8equal_toIhEEEE10hipError_tPvRmT2_T3_mT4_T5_T6_T7_T8_P12ihipStream_tbENKUlT_T0_E_clISt17integral_constantIbLb0EESZ_EEDaSU_SV_EUlSU_E_NS1_11comp_targetILNS1_3genE8ELNS1_11target_archE1030ELNS1_3gpuE2ELNS1_3repE0EEENS1_30default_config_static_selectorELNS0_4arch9wavefront6targetE0EEEvT1_,@function
_ZN7rocprim17ROCPRIM_400000_NS6detail17trampoline_kernelINS0_14default_configENS1_33run_length_encode_config_selectorIhjNS0_4plusIjEEEEZZNS1_33reduce_by_key_impl_wrapped_configILNS1_25lookback_scan_determinismE0ES3_S7_PKhNS0_17constant_iteratorIjlEEPhPlSF_S6_NS0_8equal_toIhEEEE10hipError_tPvRmT2_T3_mT4_T5_T6_T7_T8_P12ihipStream_tbENKUlT_T0_E_clISt17integral_constantIbLb0EESZ_EEDaSU_SV_EUlSU_E_NS1_11comp_targetILNS1_3genE8ELNS1_11target_archE1030ELNS1_3gpuE2ELNS1_3repE0EEENS1_30default_config_static_selectorELNS0_4arch9wavefront6targetE0EEEvT1_: ; @_ZN7rocprim17ROCPRIM_400000_NS6detail17trampoline_kernelINS0_14default_configENS1_33run_length_encode_config_selectorIhjNS0_4plusIjEEEEZZNS1_33reduce_by_key_impl_wrapped_configILNS1_25lookback_scan_determinismE0ES3_S7_PKhNS0_17constant_iteratorIjlEEPhPlSF_S6_NS0_8equal_toIhEEEE10hipError_tPvRmT2_T3_mT4_T5_T6_T7_T8_P12ihipStream_tbENKUlT_T0_E_clISt17integral_constantIbLb0EESZ_EEDaSU_SV_EUlSU_E_NS1_11comp_targetILNS1_3genE8ELNS1_11target_archE1030ELNS1_3gpuE2ELNS1_3repE0EEENS1_30default_config_static_selectorELNS0_4arch9wavefront6targetE0EEEvT1_
; %bb.0:
	.section	.rodata,"a",@progbits
	.p2align	6, 0x0
	.amdhsa_kernel _ZN7rocprim17ROCPRIM_400000_NS6detail17trampoline_kernelINS0_14default_configENS1_33run_length_encode_config_selectorIhjNS0_4plusIjEEEEZZNS1_33reduce_by_key_impl_wrapped_configILNS1_25lookback_scan_determinismE0ES3_S7_PKhNS0_17constant_iteratorIjlEEPhPlSF_S6_NS0_8equal_toIhEEEE10hipError_tPvRmT2_T3_mT4_T5_T6_T7_T8_P12ihipStream_tbENKUlT_T0_E_clISt17integral_constantIbLb0EESZ_EEDaSU_SV_EUlSU_E_NS1_11comp_targetILNS1_3genE8ELNS1_11target_archE1030ELNS1_3gpuE2ELNS1_3repE0EEENS1_30default_config_static_selectorELNS0_4arch9wavefront6targetE0EEEvT1_
		.amdhsa_group_segment_fixed_size 0
		.amdhsa_private_segment_fixed_size 0
		.amdhsa_kernarg_size 128
		.amdhsa_user_sgpr_count 2
		.amdhsa_user_sgpr_dispatch_ptr 0
		.amdhsa_user_sgpr_queue_ptr 0
		.amdhsa_user_sgpr_kernarg_segment_ptr 1
		.amdhsa_user_sgpr_dispatch_id 0
		.amdhsa_user_sgpr_kernarg_preload_length 0
		.amdhsa_user_sgpr_kernarg_preload_offset 0
		.amdhsa_user_sgpr_private_segment_size 0
		.amdhsa_wavefront_size32 1
		.amdhsa_uses_dynamic_stack 0
		.amdhsa_enable_private_segment 0
		.amdhsa_system_sgpr_workgroup_id_x 1
		.amdhsa_system_sgpr_workgroup_id_y 0
		.amdhsa_system_sgpr_workgroup_id_z 0
		.amdhsa_system_sgpr_workgroup_info 0
		.amdhsa_system_vgpr_workitem_id 0
		.amdhsa_next_free_vgpr 1
		.amdhsa_next_free_sgpr 1
		.amdhsa_named_barrier_count 0
		.amdhsa_reserve_vcc 0
		.amdhsa_float_round_mode_32 0
		.amdhsa_float_round_mode_16_64 0
		.amdhsa_float_denorm_mode_32 3
		.amdhsa_float_denorm_mode_16_64 3
		.amdhsa_fp16_overflow 0
		.amdhsa_memory_ordered 1
		.amdhsa_forward_progress 1
		.amdhsa_inst_pref_size 0
		.amdhsa_round_robin_scheduling 0
		.amdhsa_exception_fp_ieee_invalid_op 0
		.amdhsa_exception_fp_denorm_src 0
		.amdhsa_exception_fp_ieee_div_zero 0
		.amdhsa_exception_fp_ieee_overflow 0
		.amdhsa_exception_fp_ieee_underflow 0
		.amdhsa_exception_fp_ieee_inexact 0
		.amdhsa_exception_int_div_zero 0
	.end_amdhsa_kernel
	.section	.text._ZN7rocprim17ROCPRIM_400000_NS6detail17trampoline_kernelINS0_14default_configENS1_33run_length_encode_config_selectorIhjNS0_4plusIjEEEEZZNS1_33reduce_by_key_impl_wrapped_configILNS1_25lookback_scan_determinismE0ES3_S7_PKhNS0_17constant_iteratorIjlEEPhPlSF_S6_NS0_8equal_toIhEEEE10hipError_tPvRmT2_T3_mT4_T5_T6_T7_T8_P12ihipStream_tbENKUlT_T0_E_clISt17integral_constantIbLb0EESZ_EEDaSU_SV_EUlSU_E_NS1_11comp_targetILNS1_3genE8ELNS1_11target_archE1030ELNS1_3gpuE2ELNS1_3repE0EEENS1_30default_config_static_selectorELNS0_4arch9wavefront6targetE0EEEvT1_,"axG",@progbits,_ZN7rocprim17ROCPRIM_400000_NS6detail17trampoline_kernelINS0_14default_configENS1_33run_length_encode_config_selectorIhjNS0_4plusIjEEEEZZNS1_33reduce_by_key_impl_wrapped_configILNS1_25lookback_scan_determinismE0ES3_S7_PKhNS0_17constant_iteratorIjlEEPhPlSF_S6_NS0_8equal_toIhEEEE10hipError_tPvRmT2_T3_mT4_T5_T6_T7_T8_P12ihipStream_tbENKUlT_T0_E_clISt17integral_constantIbLb0EESZ_EEDaSU_SV_EUlSU_E_NS1_11comp_targetILNS1_3genE8ELNS1_11target_archE1030ELNS1_3gpuE2ELNS1_3repE0EEENS1_30default_config_static_selectorELNS0_4arch9wavefront6targetE0EEEvT1_,comdat
.Lfunc_end174:
	.size	_ZN7rocprim17ROCPRIM_400000_NS6detail17trampoline_kernelINS0_14default_configENS1_33run_length_encode_config_selectorIhjNS0_4plusIjEEEEZZNS1_33reduce_by_key_impl_wrapped_configILNS1_25lookback_scan_determinismE0ES3_S7_PKhNS0_17constant_iteratorIjlEEPhPlSF_S6_NS0_8equal_toIhEEEE10hipError_tPvRmT2_T3_mT4_T5_T6_T7_T8_P12ihipStream_tbENKUlT_T0_E_clISt17integral_constantIbLb0EESZ_EEDaSU_SV_EUlSU_E_NS1_11comp_targetILNS1_3genE8ELNS1_11target_archE1030ELNS1_3gpuE2ELNS1_3repE0EEENS1_30default_config_static_selectorELNS0_4arch9wavefront6targetE0EEEvT1_, .Lfunc_end174-_ZN7rocprim17ROCPRIM_400000_NS6detail17trampoline_kernelINS0_14default_configENS1_33run_length_encode_config_selectorIhjNS0_4plusIjEEEEZZNS1_33reduce_by_key_impl_wrapped_configILNS1_25lookback_scan_determinismE0ES3_S7_PKhNS0_17constant_iteratorIjlEEPhPlSF_S6_NS0_8equal_toIhEEEE10hipError_tPvRmT2_T3_mT4_T5_T6_T7_T8_P12ihipStream_tbENKUlT_T0_E_clISt17integral_constantIbLb0EESZ_EEDaSU_SV_EUlSU_E_NS1_11comp_targetILNS1_3genE8ELNS1_11target_archE1030ELNS1_3gpuE2ELNS1_3repE0EEENS1_30default_config_static_selectorELNS0_4arch9wavefront6targetE0EEEvT1_
                                        ; -- End function
	.set _ZN7rocprim17ROCPRIM_400000_NS6detail17trampoline_kernelINS0_14default_configENS1_33run_length_encode_config_selectorIhjNS0_4plusIjEEEEZZNS1_33reduce_by_key_impl_wrapped_configILNS1_25lookback_scan_determinismE0ES3_S7_PKhNS0_17constant_iteratorIjlEEPhPlSF_S6_NS0_8equal_toIhEEEE10hipError_tPvRmT2_T3_mT4_T5_T6_T7_T8_P12ihipStream_tbENKUlT_T0_E_clISt17integral_constantIbLb0EESZ_EEDaSU_SV_EUlSU_E_NS1_11comp_targetILNS1_3genE8ELNS1_11target_archE1030ELNS1_3gpuE2ELNS1_3repE0EEENS1_30default_config_static_selectorELNS0_4arch9wavefront6targetE0EEEvT1_.num_vgpr, 0
	.set _ZN7rocprim17ROCPRIM_400000_NS6detail17trampoline_kernelINS0_14default_configENS1_33run_length_encode_config_selectorIhjNS0_4plusIjEEEEZZNS1_33reduce_by_key_impl_wrapped_configILNS1_25lookback_scan_determinismE0ES3_S7_PKhNS0_17constant_iteratorIjlEEPhPlSF_S6_NS0_8equal_toIhEEEE10hipError_tPvRmT2_T3_mT4_T5_T6_T7_T8_P12ihipStream_tbENKUlT_T0_E_clISt17integral_constantIbLb0EESZ_EEDaSU_SV_EUlSU_E_NS1_11comp_targetILNS1_3genE8ELNS1_11target_archE1030ELNS1_3gpuE2ELNS1_3repE0EEENS1_30default_config_static_selectorELNS0_4arch9wavefront6targetE0EEEvT1_.num_agpr, 0
	.set _ZN7rocprim17ROCPRIM_400000_NS6detail17trampoline_kernelINS0_14default_configENS1_33run_length_encode_config_selectorIhjNS0_4plusIjEEEEZZNS1_33reduce_by_key_impl_wrapped_configILNS1_25lookback_scan_determinismE0ES3_S7_PKhNS0_17constant_iteratorIjlEEPhPlSF_S6_NS0_8equal_toIhEEEE10hipError_tPvRmT2_T3_mT4_T5_T6_T7_T8_P12ihipStream_tbENKUlT_T0_E_clISt17integral_constantIbLb0EESZ_EEDaSU_SV_EUlSU_E_NS1_11comp_targetILNS1_3genE8ELNS1_11target_archE1030ELNS1_3gpuE2ELNS1_3repE0EEENS1_30default_config_static_selectorELNS0_4arch9wavefront6targetE0EEEvT1_.numbered_sgpr, 0
	.set _ZN7rocprim17ROCPRIM_400000_NS6detail17trampoline_kernelINS0_14default_configENS1_33run_length_encode_config_selectorIhjNS0_4plusIjEEEEZZNS1_33reduce_by_key_impl_wrapped_configILNS1_25lookback_scan_determinismE0ES3_S7_PKhNS0_17constant_iteratorIjlEEPhPlSF_S6_NS0_8equal_toIhEEEE10hipError_tPvRmT2_T3_mT4_T5_T6_T7_T8_P12ihipStream_tbENKUlT_T0_E_clISt17integral_constantIbLb0EESZ_EEDaSU_SV_EUlSU_E_NS1_11comp_targetILNS1_3genE8ELNS1_11target_archE1030ELNS1_3gpuE2ELNS1_3repE0EEENS1_30default_config_static_selectorELNS0_4arch9wavefront6targetE0EEEvT1_.num_named_barrier, 0
	.set _ZN7rocprim17ROCPRIM_400000_NS6detail17trampoline_kernelINS0_14default_configENS1_33run_length_encode_config_selectorIhjNS0_4plusIjEEEEZZNS1_33reduce_by_key_impl_wrapped_configILNS1_25lookback_scan_determinismE0ES3_S7_PKhNS0_17constant_iteratorIjlEEPhPlSF_S6_NS0_8equal_toIhEEEE10hipError_tPvRmT2_T3_mT4_T5_T6_T7_T8_P12ihipStream_tbENKUlT_T0_E_clISt17integral_constantIbLb0EESZ_EEDaSU_SV_EUlSU_E_NS1_11comp_targetILNS1_3genE8ELNS1_11target_archE1030ELNS1_3gpuE2ELNS1_3repE0EEENS1_30default_config_static_selectorELNS0_4arch9wavefront6targetE0EEEvT1_.private_seg_size, 0
	.set _ZN7rocprim17ROCPRIM_400000_NS6detail17trampoline_kernelINS0_14default_configENS1_33run_length_encode_config_selectorIhjNS0_4plusIjEEEEZZNS1_33reduce_by_key_impl_wrapped_configILNS1_25lookback_scan_determinismE0ES3_S7_PKhNS0_17constant_iteratorIjlEEPhPlSF_S6_NS0_8equal_toIhEEEE10hipError_tPvRmT2_T3_mT4_T5_T6_T7_T8_P12ihipStream_tbENKUlT_T0_E_clISt17integral_constantIbLb0EESZ_EEDaSU_SV_EUlSU_E_NS1_11comp_targetILNS1_3genE8ELNS1_11target_archE1030ELNS1_3gpuE2ELNS1_3repE0EEENS1_30default_config_static_selectorELNS0_4arch9wavefront6targetE0EEEvT1_.uses_vcc, 0
	.set _ZN7rocprim17ROCPRIM_400000_NS6detail17trampoline_kernelINS0_14default_configENS1_33run_length_encode_config_selectorIhjNS0_4plusIjEEEEZZNS1_33reduce_by_key_impl_wrapped_configILNS1_25lookback_scan_determinismE0ES3_S7_PKhNS0_17constant_iteratorIjlEEPhPlSF_S6_NS0_8equal_toIhEEEE10hipError_tPvRmT2_T3_mT4_T5_T6_T7_T8_P12ihipStream_tbENKUlT_T0_E_clISt17integral_constantIbLb0EESZ_EEDaSU_SV_EUlSU_E_NS1_11comp_targetILNS1_3genE8ELNS1_11target_archE1030ELNS1_3gpuE2ELNS1_3repE0EEENS1_30default_config_static_selectorELNS0_4arch9wavefront6targetE0EEEvT1_.uses_flat_scratch, 0
	.set _ZN7rocprim17ROCPRIM_400000_NS6detail17trampoline_kernelINS0_14default_configENS1_33run_length_encode_config_selectorIhjNS0_4plusIjEEEEZZNS1_33reduce_by_key_impl_wrapped_configILNS1_25lookback_scan_determinismE0ES3_S7_PKhNS0_17constant_iteratorIjlEEPhPlSF_S6_NS0_8equal_toIhEEEE10hipError_tPvRmT2_T3_mT4_T5_T6_T7_T8_P12ihipStream_tbENKUlT_T0_E_clISt17integral_constantIbLb0EESZ_EEDaSU_SV_EUlSU_E_NS1_11comp_targetILNS1_3genE8ELNS1_11target_archE1030ELNS1_3gpuE2ELNS1_3repE0EEENS1_30default_config_static_selectorELNS0_4arch9wavefront6targetE0EEEvT1_.has_dyn_sized_stack, 0
	.set _ZN7rocprim17ROCPRIM_400000_NS6detail17trampoline_kernelINS0_14default_configENS1_33run_length_encode_config_selectorIhjNS0_4plusIjEEEEZZNS1_33reduce_by_key_impl_wrapped_configILNS1_25lookback_scan_determinismE0ES3_S7_PKhNS0_17constant_iteratorIjlEEPhPlSF_S6_NS0_8equal_toIhEEEE10hipError_tPvRmT2_T3_mT4_T5_T6_T7_T8_P12ihipStream_tbENKUlT_T0_E_clISt17integral_constantIbLb0EESZ_EEDaSU_SV_EUlSU_E_NS1_11comp_targetILNS1_3genE8ELNS1_11target_archE1030ELNS1_3gpuE2ELNS1_3repE0EEENS1_30default_config_static_selectorELNS0_4arch9wavefront6targetE0EEEvT1_.has_recursion, 0
	.set _ZN7rocprim17ROCPRIM_400000_NS6detail17trampoline_kernelINS0_14default_configENS1_33run_length_encode_config_selectorIhjNS0_4plusIjEEEEZZNS1_33reduce_by_key_impl_wrapped_configILNS1_25lookback_scan_determinismE0ES3_S7_PKhNS0_17constant_iteratorIjlEEPhPlSF_S6_NS0_8equal_toIhEEEE10hipError_tPvRmT2_T3_mT4_T5_T6_T7_T8_P12ihipStream_tbENKUlT_T0_E_clISt17integral_constantIbLb0EESZ_EEDaSU_SV_EUlSU_E_NS1_11comp_targetILNS1_3genE8ELNS1_11target_archE1030ELNS1_3gpuE2ELNS1_3repE0EEENS1_30default_config_static_selectorELNS0_4arch9wavefront6targetE0EEEvT1_.has_indirect_call, 0
	.section	.AMDGPU.csdata,"",@progbits
; Kernel info:
; codeLenInByte = 0
; TotalNumSgprs: 0
; NumVgprs: 0
; ScratchSize: 0
; MemoryBound: 0
; FloatMode: 240
; IeeeMode: 1
; LDSByteSize: 0 bytes/workgroup (compile time only)
; SGPRBlocks: 0
; VGPRBlocks: 0
; NumSGPRsForWavesPerEU: 1
; NumVGPRsForWavesPerEU: 1
; NamedBarCnt: 0
; Occupancy: 16
; WaveLimiterHint : 0
; COMPUTE_PGM_RSRC2:SCRATCH_EN: 0
; COMPUTE_PGM_RSRC2:USER_SGPR: 2
; COMPUTE_PGM_RSRC2:TRAP_HANDLER: 0
; COMPUTE_PGM_RSRC2:TGID_X_EN: 1
; COMPUTE_PGM_RSRC2:TGID_Y_EN: 0
; COMPUTE_PGM_RSRC2:TGID_Z_EN: 0
; COMPUTE_PGM_RSRC2:TIDIG_COMP_CNT: 0
	.section	.text._ZN7rocprim17ROCPRIM_400000_NS6detail17trampoline_kernelINS0_14default_configENS1_33run_length_encode_config_selectorIhjNS0_4plusIjEEEEZZNS1_33reduce_by_key_impl_wrapped_configILNS1_25lookback_scan_determinismE0ES3_S7_PKhNS0_17constant_iteratorIjlEEPhPlSF_S6_NS0_8equal_toIhEEEE10hipError_tPvRmT2_T3_mT4_T5_T6_T7_T8_P12ihipStream_tbENKUlT_T0_E_clISt17integral_constantIbLb1EESZ_EEDaSU_SV_EUlSU_E_NS1_11comp_targetILNS1_3genE0ELNS1_11target_archE4294967295ELNS1_3gpuE0ELNS1_3repE0EEENS1_30default_config_static_selectorELNS0_4arch9wavefront6targetE0EEEvT1_,"axG",@progbits,_ZN7rocprim17ROCPRIM_400000_NS6detail17trampoline_kernelINS0_14default_configENS1_33run_length_encode_config_selectorIhjNS0_4plusIjEEEEZZNS1_33reduce_by_key_impl_wrapped_configILNS1_25lookback_scan_determinismE0ES3_S7_PKhNS0_17constant_iteratorIjlEEPhPlSF_S6_NS0_8equal_toIhEEEE10hipError_tPvRmT2_T3_mT4_T5_T6_T7_T8_P12ihipStream_tbENKUlT_T0_E_clISt17integral_constantIbLb1EESZ_EEDaSU_SV_EUlSU_E_NS1_11comp_targetILNS1_3genE0ELNS1_11target_archE4294967295ELNS1_3gpuE0ELNS1_3repE0EEENS1_30default_config_static_selectorELNS0_4arch9wavefront6targetE0EEEvT1_,comdat
	.protected	_ZN7rocprim17ROCPRIM_400000_NS6detail17trampoline_kernelINS0_14default_configENS1_33run_length_encode_config_selectorIhjNS0_4plusIjEEEEZZNS1_33reduce_by_key_impl_wrapped_configILNS1_25lookback_scan_determinismE0ES3_S7_PKhNS0_17constant_iteratorIjlEEPhPlSF_S6_NS0_8equal_toIhEEEE10hipError_tPvRmT2_T3_mT4_T5_T6_T7_T8_P12ihipStream_tbENKUlT_T0_E_clISt17integral_constantIbLb1EESZ_EEDaSU_SV_EUlSU_E_NS1_11comp_targetILNS1_3genE0ELNS1_11target_archE4294967295ELNS1_3gpuE0ELNS1_3repE0EEENS1_30default_config_static_selectorELNS0_4arch9wavefront6targetE0EEEvT1_ ; -- Begin function _ZN7rocprim17ROCPRIM_400000_NS6detail17trampoline_kernelINS0_14default_configENS1_33run_length_encode_config_selectorIhjNS0_4plusIjEEEEZZNS1_33reduce_by_key_impl_wrapped_configILNS1_25lookback_scan_determinismE0ES3_S7_PKhNS0_17constant_iteratorIjlEEPhPlSF_S6_NS0_8equal_toIhEEEE10hipError_tPvRmT2_T3_mT4_T5_T6_T7_T8_P12ihipStream_tbENKUlT_T0_E_clISt17integral_constantIbLb1EESZ_EEDaSU_SV_EUlSU_E_NS1_11comp_targetILNS1_3genE0ELNS1_11target_archE4294967295ELNS1_3gpuE0ELNS1_3repE0EEENS1_30default_config_static_selectorELNS0_4arch9wavefront6targetE0EEEvT1_
	.globl	_ZN7rocprim17ROCPRIM_400000_NS6detail17trampoline_kernelINS0_14default_configENS1_33run_length_encode_config_selectorIhjNS0_4plusIjEEEEZZNS1_33reduce_by_key_impl_wrapped_configILNS1_25lookback_scan_determinismE0ES3_S7_PKhNS0_17constant_iteratorIjlEEPhPlSF_S6_NS0_8equal_toIhEEEE10hipError_tPvRmT2_T3_mT4_T5_T6_T7_T8_P12ihipStream_tbENKUlT_T0_E_clISt17integral_constantIbLb1EESZ_EEDaSU_SV_EUlSU_E_NS1_11comp_targetILNS1_3genE0ELNS1_11target_archE4294967295ELNS1_3gpuE0ELNS1_3repE0EEENS1_30default_config_static_selectorELNS0_4arch9wavefront6targetE0EEEvT1_
	.p2align	8
	.type	_ZN7rocprim17ROCPRIM_400000_NS6detail17trampoline_kernelINS0_14default_configENS1_33run_length_encode_config_selectorIhjNS0_4plusIjEEEEZZNS1_33reduce_by_key_impl_wrapped_configILNS1_25lookback_scan_determinismE0ES3_S7_PKhNS0_17constant_iteratorIjlEEPhPlSF_S6_NS0_8equal_toIhEEEE10hipError_tPvRmT2_T3_mT4_T5_T6_T7_T8_P12ihipStream_tbENKUlT_T0_E_clISt17integral_constantIbLb1EESZ_EEDaSU_SV_EUlSU_E_NS1_11comp_targetILNS1_3genE0ELNS1_11target_archE4294967295ELNS1_3gpuE0ELNS1_3repE0EEENS1_30default_config_static_selectorELNS0_4arch9wavefront6targetE0EEEvT1_,@function
_ZN7rocprim17ROCPRIM_400000_NS6detail17trampoline_kernelINS0_14default_configENS1_33run_length_encode_config_selectorIhjNS0_4plusIjEEEEZZNS1_33reduce_by_key_impl_wrapped_configILNS1_25lookback_scan_determinismE0ES3_S7_PKhNS0_17constant_iteratorIjlEEPhPlSF_S6_NS0_8equal_toIhEEEE10hipError_tPvRmT2_T3_mT4_T5_T6_T7_T8_P12ihipStream_tbENKUlT_T0_E_clISt17integral_constantIbLb1EESZ_EEDaSU_SV_EUlSU_E_NS1_11comp_targetILNS1_3genE0ELNS1_11target_archE4294967295ELNS1_3gpuE0ELNS1_3repE0EEENS1_30default_config_static_selectorELNS0_4arch9wavefront6targetE0EEEvT1_: ; @_ZN7rocprim17ROCPRIM_400000_NS6detail17trampoline_kernelINS0_14default_configENS1_33run_length_encode_config_selectorIhjNS0_4plusIjEEEEZZNS1_33reduce_by_key_impl_wrapped_configILNS1_25lookback_scan_determinismE0ES3_S7_PKhNS0_17constant_iteratorIjlEEPhPlSF_S6_NS0_8equal_toIhEEEE10hipError_tPvRmT2_T3_mT4_T5_T6_T7_T8_P12ihipStream_tbENKUlT_T0_E_clISt17integral_constantIbLb1EESZ_EEDaSU_SV_EUlSU_E_NS1_11comp_targetILNS1_3genE0ELNS1_11target_archE4294967295ELNS1_3gpuE0ELNS1_3repE0EEENS1_30default_config_static_selectorELNS0_4arch9wavefront6targetE0EEEvT1_
; %bb.0:
	s_endpgm
	.section	.rodata,"a",@progbits
	.p2align	6, 0x0
	.amdhsa_kernel _ZN7rocprim17ROCPRIM_400000_NS6detail17trampoline_kernelINS0_14default_configENS1_33run_length_encode_config_selectorIhjNS0_4plusIjEEEEZZNS1_33reduce_by_key_impl_wrapped_configILNS1_25lookback_scan_determinismE0ES3_S7_PKhNS0_17constant_iteratorIjlEEPhPlSF_S6_NS0_8equal_toIhEEEE10hipError_tPvRmT2_T3_mT4_T5_T6_T7_T8_P12ihipStream_tbENKUlT_T0_E_clISt17integral_constantIbLb1EESZ_EEDaSU_SV_EUlSU_E_NS1_11comp_targetILNS1_3genE0ELNS1_11target_archE4294967295ELNS1_3gpuE0ELNS1_3repE0EEENS1_30default_config_static_selectorELNS0_4arch9wavefront6targetE0EEEvT1_
		.amdhsa_group_segment_fixed_size 0
		.amdhsa_private_segment_fixed_size 0
		.amdhsa_kernarg_size 128
		.amdhsa_user_sgpr_count 2
		.amdhsa_user_sgpr_dispatch_ptr 0
		.amdhsa_user_sgpr_queue_ptr 0
		.amdhsa_user_sgpr_kernarg_segment_ptr 1
		.amdhsa_user_sgpr_dispatch_id 0
		.amdhsa_user_sgpr_kernarg_preload_length 0
		.amdhsa_user_sgpr_kernarg_preload_offset 0
		.amdhsa_user_sgpr_private_segment_size 0
		.amdhsa_wavefront_size32 1
		.amdhsa_uses_dynamic_stack 0
		.amdhsa_enable_private_segment 0
		.amdhsa_system_sgpr_workgroup_id_x 1
		.amdhsa_system_sgpr_workgroup_id_y 0
		.amdhsa_system_sgpr_workgroup_id_z 0
		.amdhsa_system_sgpr_workgroup_info 0
		.amdhsa_system_vgpr_workitem_id 0
		.amdhsa_next_free_vgpr 1
		.amdhsa_next_free_sgpr 1
		.amdhsa_named_barrier_count 0
		.amdhsa_reserve_vcc 0
		.amdhsa_float_round_mode_32 0
		.amdhsa_float_round_mode_16_64 0
		.amdhsa_float_denorm_mode_32 3
		.amdhsa_float_denorm_mode_16_64 3
		.amdhsa_fp16_overflow 0
		.amdhsa_memory_ordered 1
		.amdhsa_forward_progress 1
		.amdhsa_inst_pref_size 1
		.amdhsa_round_robin_scheduling 0
		.amdhsa_exception_fp_ieee_invalid_op 0
		.amdhsa_exception_fp_denorm_src 0
		.amdhsa_exception_fp_ieee_div_zero 0
		.amdhsa_exception_fp_ieee_overflow 0
		.amdhsa_exception_fp_ieee_underflow 0
		.amdhsa_exception_fp_ieee_inexact 0
		.amdhsa_exception_int_div_zero 0
	.end_amdhsa_kernel
	.section	.text._ZN7rocprim17ROCPRIM_400000_NS6detail17trampoline_kernelINS0_14default_configENS1_33run_length_encode_config_selectorIhjNS0_4plusIjEEEEZZNS1_33reduce_by_key_impl_wrapped_configILNS1_25lookback_scan_determinismE0ES3_S7_PKhNS0_17constant_iteratorIjlEEPhPlSF_S6_NS0_8equal_toIhEEEE10hipError_tPvRmT2_T3_mT4_T5_T6_T7_T8_P12ihipStream_tbENKUlT_T0_E_clISt17integral_constantIbLb1EESZ_EEDaSU_SV_EUlSU_E_NS1_11comp_targetILNS1_3genE0ELNS1_11target_archE4294967295ELNS1_3gpuE0ELNS1_3repE0EEENS1_30default_config_static_selectorELNS0_4arch9wavefront6targetE0EEEvT1_,"axG",@progbits,_ZN7rocprim17ROCPRIM_400000_NS6detail17trampoline_kernelINS0_14default_configENS1_33run_length_encode_config_selectorIhjNS0_4plusIjEEEEZZNS1_33reduce_by_key_impl_wrapped_configILNS1_25lookback_scan_determinismE0ES3_S7_PKhNS0_17constant_iteratorIjlEEPhPlSF_S6_NS0_8equal_toIhEEEE10hipError_tPvRmT2_T3_mT4_T5_T6_T7_T8_P12ihipStream_tbENKUlT_T0_E_clISt17integral_constantIbLb1EESZ_EEDaSU_SV_EUlSU_E_NS1_11comp_targetILNS1_3genE0ELNS1_11target_archE4294967295ELNS1_3gpuE0ELNS1_3repE0EEENS1_30default_config_static_selectorELNS0_4arch9wavefront6targetE0EEEvT1_,comdat
.Lfunc_end175:
	.size	_ZN7rocprim17ROCPRIM_400000_NS6detail17trampoline_kernelINS0_14default_configENS1_33run_length_encode_config_selectorIhjNS0_4plusIjEEEEZZNS1_33reduce_by_key_impl_wrapped_configILNS1_25lookback_scan_determinismE0ES3_S7_PKhNS0_17constant_iteratorIjlEEPhPlSF_S6_NS0_8equal_toIhEEEE10hipError_tPvRmT2_T3_mT4_T5_T6_T7_T8_P12ihipStream_tbENKUlT_T0_E_clISt17integral_constantIbLb1EESZ_EEDaSU_SV_EUlSU_E_NS1_11comp_targetILNS1_3genE0ELNS1_11target_archE4294967295ELNS1_3gpuE0ELNS1_3repE0EEENS1_30default_config_static_selectorELNS0_4arch9wavefront6targetE0EEEvT1_, .Lfunc_end175-_ZN7rocprim17ROCPRIM_400000_NS6detail17trampoline_kernelINS0_14default_configENS1_33run_length_encode_config_selectorIhjNS0_4plusIjEEEEZZNS1_33reduce_by_key_impl_wrapped_configILNS1_25lookback_scan_determinismE0ES3_S7_PKhNS0_17constant_iteratorIjlEEPhPlSF_S6_NS0_8equal_toIhEEEE10hipError_tPvRmT2_T3_mT4_T5_T6_T7_T8_P12ihipStream_tbENKUlT_T0_E_clISt17integral_constantIbLb1EESZ_EEDaSU_SV_EUlSU_E_NS1_11comp_targetILNS1_3genE0ELNS1_11target_archE4294967295ELNS1_3gpuE0ELNS1_3repE0EEENS1_30default_config_static_selectorELNS0_4arch9wavefront6targetE0EEEvT1_
                                        ; -- End function
	.set _ZN7rocprim17ROCPRIM_400000_NS6detail17trampoline_kernelINS0_14default_configENS1_33run_length_encode_config_selectorIhjNS0_4plusIjEEEEZZNS1_33reduce_by_key_impl_wrapped_configILNS1_25lookback_scan_determinismE0ES3_S7_PKhNS0_17constant_iteratorIjlEEPhPlSF_S6_NS0_8equal_toIhEEEE10hipError_tPvRmT2_T3_mT4_T5_T6_T7_T8_P12ihipStream_tbENKUlT_T0_E_clISt17integral_constantIbLb1EESZ_EEDaSU_SV_EUlSU_E_NS1_11comp_targetILNS1_3genE0ELNS1_11target_archE4294967295ELNS1_3gpuE0ELNS1_3repE0EEENS1_30default_config_static_selectorELNS0_4arch9wavefront6targetE0EEEvT1_.num_vgpr, 0
	.set _ZN7rocprim17ROCPRIM_400000_NS6detail17trampoline_kernelINS0_14default_configENS1_33run_length_encode_config_selectorIhjNS0_4plusIjEEEEZZNS1_33reduce_by_key_impl_wrapped_configILNS1_25lookback_scan_determinismE0ES3_S7_PKhNS0_17constant_iteratorIjlEEPhPlSF_S6_NS0_8equal_toIhEEEE10hipError_tPvRmT2_T3_mT4_T5_T6_T7_T8_P12ihipStream_tbENKUlT_T0_E_clISt17integral_constantIbLb1EESZ_EEDaSU_SV_EUlSU_E_NS1_11comp_targetILNS1_3genE0ELNS1_11target_archE4294967295ELNS1_3gpuE0ELNS1_3repE0EEENS1_30default_config_static_selectorELNS0_4arch9wavefront6targetE0EEEvT1_.num_agpr, 0
	.set _ZN7rocprim17ROCPRIM_400000_NS6detail17trampoline_kernelINS0_14default_configENS1_33run_length_encode_config_selectorIhjNS0_4plusIjEEEEZZNS1_33reduce_by_key_impl_wrapped_configILNS1_25lookback_scan_determinismE0ES3_S7_PKhNS0_17constant_iteratorIjlEEPhPlSF_S6_NS0_8equal_toIhEEEE10hipError_tPvRmT2_T3_mT4_T5_T6_T7_T8_P12ihipStream_tbENKUlT_T0_E_clISt17integral_constantIbLb1EESZ_EEDaSU_SV_EUlSU_E_NS1_11comp_targetILNS1_3genE0ELNS1_11target_archE4294967295ELNS1_3gpuE0ELNS1_3repE0EEENS1_30default_config_static_selectorELNS0_4arch9wavefront6targetE0EEEvT1_.numbered_sgpr, 0
	.set _ZN7rocprim17ROCPRIM_400000_NS6detail17trampoline_kernelINS0_14default_configENS1_33run_length_encode_config_selectorIhjNS0_4plusIjEEEEZZNS1_33reduce_by_key_impl_wrapped_configILNS1_25lookback_scan_determinismE0ES3_S7_PKhNS0_17constant_iteratorIjlEEPhPlSF_S6_NS0_8equal_toIhEEEE10hipError_tPvRmT2_T3_mT4_T5_T6_T7_T8_P12ihipStream_tbENKUlT_T0_E_clISt17integral_constantIbLb1EESZ_EEDaSU_SV_EUlSU_E_NS1_11comp_targetILNS1_3genE0ELNS1_11target_archE4294967295ELNS1_3gpuE0ELNS1_3repE0EEENS1_30default_config_static_selectorELNS0_4arch9wavefront6targetE0EEEvT1_.num_named_barrier, 0
	.set _ZN7rocprim17ROCPRIM_400000_NS6detail17trampoline_kernelINS0_14default_configENS1_33run_length_encode_config_selectorIhjNS0_4plusIjEEEEZZNS1_33reduce_by_key_impl_wrapped_configILNS1_25lookback_scan_determinismE0ES3_S7_PKhNS0_17constant_iteratorIjlEEPhPlSF_S6_NS0_8equal_toIhEEEE10hipError_tPvRmT2_T3_mT4_T5_T6_T7_T8_P12ihipStream_tbENKUlT_T0_E_clISt17integral_constantIbLb1EESZ_EEDaSU_SV_EUlSU_E_NS1_11comp_targetILNS1_3genE0ELNS1_11target_archE4294967295ELNS1_3gpuE0ELNS1_3repE0EEENS1_30default_config_static_selectorELNS0_4arch9wavefront6targetE0EEEvT1_.private_seg_size, 0
	.set _ZN7rocprim17ROCPRIM_400000_NS6detail17trampoline_kernelINS0_14default_configENS1_33run_length_encode_config_selectorIhjNS0_4plusIjEEEEZZNS1_33reduce_by_key_impl_wrapped_configILNS1_25lookback_scan_determinismE0ES3_S7_PKhNS0_17constant_iteratorIjlEEPhPlSF_S6_NS0_8equal_toIhEEEE10hipError_tPvRmT2_T3_mT4_T5_T6_T7_T8_P12ihipStream_tbENKUlT_T0_E_clISt17integral_constantIbLb1EESZ_EEDaSU_SV_EUlSU_E_NS1_11comp_targetILNS1_3genE0ELNS1_11target_archE4294967295ELNS1_3gpuE0ELNS1_3repE0EEENS1_30default_config_static_selectorELNS0_4arch9wavefront6targetE0EEEvT1_.uses_vcc, 0
	.set _ZN7rocprim17ROCPRIM_400000_NS6detail17trampoline_kernelINS0_14default_configENS1_33run_length_encode_config_selectorIhjNS0_4plusIjEEEEZZNS1_33reduce_by_key_impl_wrapped_configILNS1_25lookback_scan_determinismE0ES3_S7_PKhNS0_17constant_iteratorIjlEEPhPlSF_S6_NS0_8equal_toIhEEEE10hipError_tPvRmT2_T3_mT4_T5_T6_T7_T8_P12ihipStream_tbENKUlT_T0_E_clISt17integral_constantIbLb1EESZ_EEDaSU_SV_EUlSU_E_NS1_11comp_targetILNS1_3genE0ELNS1_11target_archE4294967295ELNS1_3gpuE0ELNS1_3repE0EEENS1_30default_config_static_selectorELNS0_4arch9wavefront6targetE0EEEvT1_.uses_flat_scratch, 0
	.set _ZN7rocprim17ROCPRIM_400000_NS6detail17trampoline_kernelINS0_14default_configENS1_33run_length_encode_config_selectorIhjNS0_4plusIjEEEEZZNS1_33reduce_by_key_impl_wrapped_configILNS1_25lookback_scan_determinismE0ES3_S7_PKhNS0_17constant_iteratorIjlEEPhPlSF_S6_NS0_8equal_toIhEEEE10hipError_tPvRmT2_T3_mT4_T5_T6_T7_T8_P12ihipStream_tbENKUlT_T0_E_clISt17integral_constantIbLb1EESZ_EEDaSU_SV_EUlSU_E_NS1_11comp_targetILNS1_3genE0ELNS1_11target_archE4294967295ELNS1_3gpuE0ELNS1_3repE0EEENS1_30default_config_static_selectorELNS0_4arch9wavefront6targetE0EEEvT1_.has_dyn_sized_stack, 0
	.set _ZN7rocprim17ROCPRIM_400000_NS6detail17trampoline_kernelINS0_14default_configENS1_33run_length_encode_config_selectorIhjNS0_4plusIjEEEEZZNS1_33reduce_by_key_impl_wrapped_configILNS1_25lookback_scan_determinismE0ES3_S7_PKhNS0_17constant_iteratorIjlEEPhPlSF_S6_NS0_8equal_toIhEEEE10hipError_tPvRmT2_T3_mT4_T5_T6_T7_T8_P12ihipStream_tbENKUlT_T0_E_clISt17integral_constantIbLb1EESZ_EEDaSU_SV_EUlSU_E_NS1_11comp_targetILNS1_3genE0ELNS1_11target_archE4294967295ELNS1_3gpuE0ELNS1_3repE0EEENS1_30default_config_static_selectorELNS0_4arch9wavefront6targetE0EEEvT1_.has_recursion, 0
	.set _ZN7rocprim17ROCPRIM_400000_NS6detail17trampoline_kernelINS0_14default_configENS1_33run_length_encode_config_selectorIhjNS0_4plusIjEEEEZZNS1_33reduce_by_key_impl_wrapped_configILNS1_25lookback_scan_determinismE0ES3_S7_PKhNS0_17constant_iteratorIjlEEPhPlSF_S6_NS0_8equal_toIhEEEE10hipError_tPvRmT2_T3_mT4_T5_T6_T7_T8_P12ihipStream_tbENKUlT_T0_E_clISt17integral_constantIbLb1EESZ_EEDaSU_SV_EUlSU_E_NS1_11comp_targetILNS1_3genE0ELNS1_11target_archE4294967295ELNS1_3gpuE0ELNS1_3repE0EEENS1_30default_config_static_selectorELNS0_4arch9wavefront6targetE0EEEvT1_.has_indirect_call, 0
	.section	.AMDGPU.csdata,"",@progbits
; Kernel info:
; codeLenInByte = 4
; TotalNumSgprs: 0
; NumVgprs: 0
; ScratchSize: 0
; MemoryBound: 0
; FloatMode: 240
; IeeeMode: 1
; LDSByteSize: 0 bytes/workgroup (compile time only)
; SGPRBlocks: 0
; VGPRBlocks: 0
; NumSGPRsForWavesPerEU: 1
; NumVGPRsForWavesPerEU: 1
; NamedBarCnt: 0
; Occupancy: 16
; WaveLimiterHint : 0
; COMPUTE_PGM_RSRC2:SCRATCH_EN: 0
; COMPUTE_PGM_RSRC2:USER_SGPR: 2
; COMPUTE_PGM_RSRC2:TRAP_HANDLER: 0
; COMPUTE_PGM_RSRC2:TGID_X_EN: 1
; COMPUTE_PGM_RSRC2:TGID_Y_EN: 0
; COMPUTE_PGM_RSRC2:TGID_Z_EN: 0
; COMPUTE_PGM_RSRC2:TIDIG_COMP_CNT: 0
	.section	.text._ZN7rocprim17ROCPRIM_400000_NS6detail17trampoline_kernelINS0_14default_configENS1_33run_length_encode_config_selectorIhjNS0_4plusIjEEEEZZNS1_33reduce_by_key_impl_wrapped_configILNS1_25lookback_scan_determinismE0ES3_S7_PKhNS0_17constant_iteratorIjlEEPhPlSF_S6_NS0_8equal_toIhEEEE10hipError_tPvRmT2_T3_mT4_T5_T6_T7_T8_P12ihipStream_tbENKUlT_T0_E_clISt17integral_constantIbLb1EESZ_EEDaSU_SV_EUlSU_E_NS1_11comp_targetILNS1_3genE5ELNS1_11target_archE942ELNS1_3gpuE9ELNS1_3repE0EEENS1_30default_config_static_selectorELNS0_4arch9wavefront6targetE0EEEvT1_,"axG",@progbits,_ZN7rocprim17ROCPRIM_400000_NS6detail17trampoline_kernelINS0_14default_configENS1_33run_length_encode_config_selectorIhjNS0_4plusIjEEEEZZNS1_33reduce_by_key_impl_wrapped_configILNS1_25lookback_scan_determinismE0ES3_S7_PKhNS0_17constant_iteratorIjlEEPhPlSF_S6_NS0_8equal_toIhEEEE10hipError_tPvRmT2_T3_mT4_T5_T6_T7_T8_P12ihipStream_tbENKUlT_T0_E_clISt17integral_constantIbLb1EESZ_EEDaSU_SV_EUlSU_E_NS1_11comp_targetILNS1_3genE5ELNS1_11target_archE942ELNS1_3gpuE9ELNS1_3repE0EEENS1_30default_config_static_selectorELNS0_4arch9wavefront6targetE0EEEvT1_,comdat
	.protected	_ZN7rocprim17ROCPRIM_400000_NS6detail17trampoline_kernelINS0_14default_configENS1_33run_length_encode_config_selectorIhjNS0_4plusIjEEEEZZNS1_33reduce_by_key_impl_wrapped_configILNS1_25lookback_scan_determinismE0ES3_S7_PKhNS0_17constant_iteratorIjlEEPhPlSF_S6_NS0_8equal_toIhEEEE10hipError_tPvRmT2_T3_mT4_T5_T6_T7_T8_P12ihipStream_tbENKUlT_T0_E_clISt17integral_constantIbLb1EESZ_EEDaSU_SV_EUlSU_E_NS1_11comp_targetILNS1_3genE5ELNS1_11target_archE942ELNS1_3gpuE9ELNS1_3repE0EEENS1_30default_config_static_selectorELNS0_4arch9wavefront6targetE0EEEvT1_ ; -- Begin function _ZN7rocprim17ROCPRIM_400000_NS6detail17trampoline_kernelINS0_14default_configENS1_33run_length_encode_config_selectorIhjNS0_4plusIjEEEEZZNS1_33reduce_by_key_impl_wrapped_configILNS1_25lookback_scan_determinismE0ES3_S7_PKhNS0_17constant_iteratorIjlEEPhPlSF_S6_NS0_8equal_toIhEEEE10hipError_tPvRmT2_T3_mT4_T5_T6_T7_T8_P12ihipStream_tbENKUlT_T0_E_clISt17integral_constantIbLb1EESZ_EEDaSU_SV_EUlSU_E_NS1_11comp_targetILNS1_3genE5ELNS1_11target_archE942ELNS1_3gpuE9ELNS1_3repE0EEENS1_30default_config_static_selectorELNS0_4arch9wavefront6targetE0EEEvT1_
	.globl	_ZN7rocprim17ROCPRIM_400000_NS6detail17trampoline_kernelINS0_14default_configENS1_33run_length_encode_config_selectorIhjNS0_4plusIjEEEEZZNS1_33reduce_by_key_impl_wrapped_configILNS1_25lookback_scan_determinismE0ES3_S7_PKhNS0_17constant_iteratorIjlEEPhPlSF_S6_NS0_8equal_toIhEEEE10hipError_tPvRmT2_T3_mT4_T5_T6_T7_T8_P12ihipStream_tbENKUlT_T0_E_clISt17integral_constantIbLb1EESZ_EEDaSU_SV_EUlSU_E_NS1_11comp_targetILNS1_3genE5ELNS1_11target_archE942ELNS1_3gpuE9ELNS1_3repE0EEENS1_30default_config_static_selectorELNS0_4arch9wavefront6targetE0EEEvT1_
	.p2align	8
	.type	_ZN7rocprim17ROCPRIM_400000_NS6detail17trampoline_kernelINS0_14default_configENS1_33run_length_encode_config_selectorIhjNS0_4plusIjEEEEZZNS1_33reduce_by_key_impl_wrapped_configILNS1_25lookback_scan_determinismE0ES3_S7_PKhNS0_17constant_iteratorIjlEEPhPlSF_S6_NS0_8equal_toIhEEEE10hipError_tPvRmT2_T3_mT4_T5_T6_T7_T8_P12ihipStream_tbENKUlT_T0_E_clISt17integral_constantIbLb1EESZ_EEDaSU_SV_EUlSU_E_NS1_11comp_targetILNS1_3genE5ELNS1_11target_archE942ELNS1_3gpuE9ELNS1_3repE0EEENS1_30default_config_static_selectorELNS0_4arch9wavefront6targetE0EEEvT1_,@function
_ZN7rocprim17ROCPRIM_400000_NS6detail17trampoline_kernelINS0_14default_configENS1_33run_length_encode_config_selectorIhjNS0_4plusIjEEEEZZNS1_33reduce_by_key_impl_wrapped_configILNS1_25lookback_scan_determinismE0ES3_S7_PKhNS0_17constant_iteratorIjlEEPhPlSF_S6_NS0_8equal_toIhEEEE10hipError_tPvRmT2_T3_mT4_T5_T6_T7_T8_P12ihipStream_tbENKUlT_T0_E_clISt17integral_constantIbLb1EESZ_EEDaSU_SV_EUlSU_E_NS1_11comp_targetILNS1_3genE5ELNS1_11target_archE942ELNS1_3gpuE9ELNS1_3repE0EEENS1_30default_config_static_selectorELNS0_4arch9wavefront6targetE0EEEvT1_: ; @_ZN7rocprim17ROCPRIM_400000_NS6detail17trampoline_kernelINS0_14default_configENS1_33run_length_encode_config_selectorIhjNS0_4plusIjEEEEZZNS1_33reduce_by_key_impl_wrapped_configILNS1_25lookback_scan_determinismE0ES3_S7_PKhNS0_17constant_iteratorIjlEEPhPlSF_S6_NS0_8equal_toIhEEEE10hipError_tPvRmT2_T3_mT4_T5_T6_T7_T8_P12ihipStream_tbENKUlT_T0_E_clISt17integral_constantIbLb1EESZ_EEDaSU_SV_EUlSU_E_NS1_11comp_targetILNS1_3genE5ELNS1_11target_archE942ELNS1_3gpuE9ELNS1_3repE0EEENS1_30default_config_static_selectorELNS0_4arch9wavefront6targetE0EEEvT1_
; %bb.0:
	.section	.rodata,"a",@progbits
	.p2align	6, 0x0
	.amdhsa_kernel _ZN7rocprim17ROCPRIM_400000_NS6detail17trampoline_kernelINS0_14default_configENS1_33run_length_encode_config_selectorIhjNS0_4plusIjEEEEZZNS1_33reduce_by_key_impl_wrapped_configILNS1_25lookback_scan_determinismE0ES3_S7_PKhNS0_17constant_iteratorIjlEEPhPlSF_S6_NS0_8equal_toIhEEEE10hipError_tPvRmT2_T3_mT4_T5_T6_T7_T8_P12ihipStream_tbENKUlT_T0_E_clISt17integral_constantIbLb1EESZ_EEDaSU_SV_EUlSU_E_NS1_11comp_targetILNS1_3genE5ELNS1_11target_archE942ELNS1_3gpuE9ELNS1_3repE0EEENS1_30default_config_static_selectorELNS0_4arch9wavefront6targetE0EEEvT1_
		.amdhsa_group_segment_fixed_size 0
		.amdhsa_private_segment_fixed_size 0
		.amdhsa_kernarg_size 128
		.amdhsa_user_sgpr_count 2
		.amdhsa_user_sgpr_dispatch_ptr 0
		.amdhsa_user_sgpr_queue_ptr 0
		.amdhsa_user_sgpr_kernarg_segment_ptr 1
		.amdhsa_user_sgpr_dispatch_id 0
		.amdhsa_user_sgpr_kernarg_preload_length 0
		.amdhsa_user_sgpr_kernarg_preload_offset 0
		.amdhsa_user_sgpr_private_segment_size 0
		.amdhsa_wavefront_size32 1
		.amdhsa_uses_dynamic_stack 0
		.amdhsa_enable_private_segment 0
		.amdhsa_system_sgpr_workgroup_id_x 1
		.amdhsa_system_sgpr_workgroup_id_y 0
		.amdhsa_system_sgpr_workgroup_id_z 0
		.amdhsa_system_sgpr_workgroup_info 0
		.amdhsa_system_vgpr_workitem_id 0
		.amdhsa_next_free_vgpr 1
		.amdhsa_next_free_sgpr 1
		.amdhsa_named_barrier_count 0
		.amdhsa_reserve_vcc 0
		.amdhsa_float_round_mode_32 0
		.amdhsa_float_round_mode_16_64 0
		.amdhsa_float_denorm_mode_32 3
		.amdhsa_float_denorm_mode_16_64 3
		.amdhsa_fp16_overflow 0
		.amdhsa_memory_ordered 1
		.amdhsa_forward_progress 1
		.amdhsa_inst_pref_size 0
		.amdhsa_round_robin_scheduling 0
		.amdhsa_exception_fp_ieee_invalid_op 0
		.amdhsa_exception_fp_denorm_src 0
		.amdhsa_exception_fp_ieee_div_zero 0
		.amdhsa_exception_fp_ieee_overflow 0
		.amdhsa_exception_fp_ieee_underflow 0
		.amdhsa_exception_fp_ieee_inexact 0
		.amdhsa_exception_int_div_zero 0
	.end_amdhsa_kernel
	.section	.text._ZN7rocprim17ROCPRIM_400000_NS6detail17trampoline_kernelINS0_14default_configENS1_33run_length_encode_config_selectorIhjNS0_4plusIjEEEEZZNS1_33reduce_by_key_impl_wrapped_configILNS1_25lookback_scan_determinismE0ES3_S7_PKhNS0_17constant_iteratorIjlEEPhPlSF_S6_NS0_8equal_toIhEEEE10hipError_tPvRmT2_T3_mT4_T5_T6_T7_T8_P12ihipStream_tbENKUlT_T0_E_clISt17integral_constantIbLb1EESZ_EEDaSU_SV_EUlSU_E_NS1_11comp_targetILNS1_3genE5ELNS1_11target_archE942ELNS1_3gpuE9ELNS1_3repE0EEENS1_30default_config_static_selectorELNS0_4arch9wavefront6targetE0EEEvT1_,"axG",@progbits,_ZN7rocprim17ROCPRIM_400000_NS6detail17trampoline_kernelINS0_14default_configENS1_33run_length_encode_config_selectorIhjNS0_4plusIjEEEEZZNS1_33reduce_by_key_impl_wrapped_configILNS1_25lookback_scan_determinismE0ES3_S7_PKhNS0_17constant_iteratorIjlEEPhPlSF_S6_NS0_8equal_toIhEEEE10hipError_tPvRmT2_T3_mT4_T5_T6_T7_T8_P12ihipStream_tbENKUlT_T0_E_clISt17integral_constantIbLb1EESZ_EEDaSU_SV_EUlSU_E_NS1_11comp_targetILNS1_3genE5ELNS1_11target_archE942ELNS1_3gpuE9ELNS1_3repE0EEENS1_30default_config_static_selectorELNS0_4arch9wavefront6targetE0EEEvT1_,comdat
.Lfunc_end176:
	.size	_ZN7rocprim17ROCPRIM_400000_NS6detail17trampoline_kernelINS0_14default_configENS1_33run_length_encode_config_selectorIhjNS0_4plusIjEEEEZZNS1_33reduce_by_key_impl_wrapped_configILNS1_25lookback_scan_determinismE0ES3_S7_PKhNS0_17constant_iteratorIjlEEPhPlSF_S6_NS0_8equal_toIhEEEE10hipError_tPvRmT2_T3_mT4_T5_T6_T7_T8_P12ihipStream_tbENKUlT_T0_E_clISt17integral_constantIbLb1EESZ_EEDaSU_SV_EUlSU_E_NS1_11comp_targetILNS1_3genE5ELNS1_11target_archE942ELNS1_3gpuE9ELNS1_3repE0EEENS1_30default_config_static_selectorELNS0_4arch9wavefront6targetE0EEEvT1_, .Lfunc_end176-_ZN7rocprim17ROCPRIM_400000_NS6detail17trampoline_kernelINS0_14default_configENS1_33run_length_encode_config_selectorIhjNS0_4plusIjEEEEZZNS1_33reduce_by_key_impl_wrapped_configILNS1_25lookback_scan_determinismE0ES3_S7_PKhNS0_17constant_iteratorIjlEEPhPlSF_S6_NS0_8equal_toIhEEEE10hipError_tPvRmT2_T3_mT4_T5_T6_T7_T8_P12ihipStream_tbENKUlT_T0_E_clISt17integral_constantIbLb1EESZ_EEDaSU_SV_EUlSU_E_NS1_11comp_targetILNS1_3genE5ELNS1_11target_archE942ELNS1_3gpuE9ELNS1_3repE0EEENS1_30default_config_static_selectorELNS0_4arch9wavefront6targetE0EEEvT1_
                                        ; -- End function
	.set _ZN7rocprim17ROCPRIM_400000_NS6detail17trampoline_kernelINS0_14default_configENS1_33run_length_encode_config_selectorIhjNS0_4plusIjEEEEZZNS1_33reduce_by_key_impl_wrapped_configILNS1_25lookback_scan_determinismE0ES3_S7_PKhNS0_17constant_iteratorIjlEEPhPlSF_S6_NS0_8equal_toIhEEEE10hipError_tPvRmT2_T3_mT4_T5_T6_T7_T8_P12ihipStream_tbENKUlT_T0_E_clISt17integral_constantIbLb1EESZ_EEDaSU_SV_EUlSU_E_NS1_11comp_targetILNS1_3genE5ELNS1_11target_archE942ELNS1_3gpuE9ELNS1_3repE0EEENS1_30default_config_static_selectorELNS0_4arch9wavefront6targetE0EEEvT1_.num_vgpr, 0
	.set _ZN7rocprim17ROCPRIM_400000_NS6detail17trampoline_kernelINS0_14default_configENS1_33run_length_encode_config_selectorIhjNS0_4plusIjEEEEZZNS1_33reduce_by_key_impl_wrapped_configILNS1_25lookback_scan_determinismE0ES3_S7_PKhNS0_17constant_iteratorIjlEEPhPlSF_S6_NS0_8equal_toIhEEEE10hipError_tPvRmT2_T3_mT4_T5_T6_T7_T8_P12ihipStream_tbENKUlT_T0_E_clISt17integral_constantIbLb1EESZ_EEDaSU_SV_EUlSU_E_NS1_11comp_targetILNS1_3genE5ELNS1_11target_archE942ELNS1_3gpuE9ELNS1_3repE0EEENS1_30default_config_static_selectorELNS0_4arch9wavefront6targetE0EEEvT1_.num_agpr, 0
	.set _ZN7rocprim17ROCPRIM_400000_NS6detail17trampoline_kernelINS0_14default_configENS1_33run_length_encode_config_selectorIhjNS0_4plusIjEEEEZZNS1_33reduce_by_key_impl_wrapped_configILNS1_25lookback_scan_determinismE0ES3_S7_PKhNS0_17constant_iteratorIjlEEPhPlSF_S6_NS0_8equal_toIhEEEE10hipError_tPvRmT2_T3_mT4_T5_T6_T7_T8_P12ihipStream_tbENKUlT_T0_E_clISt17integral_constantIbLb1EESZ_EEDaSU_SV_EUlSU_E_NS1_11comp_targetILNS1_3genE5ELNS1_11target_archE942ELNS1_3gpuE9ELNS1_3repE0EEENS1_30default_config_static_selectorELNS0_4arch9wavefront6targetE0EEEvT1_.numbered_sgpr, 0
	.set _ZN7rocprim17ROCPRIM_400000_NS6detail17trampoline_kernelINS0_14default_configENS1_33run_length_encode_config_selectorIhjNS0_4plusIjEEEEZZNS1_33reduce_by_key_impl_wrapped_configILNS1_25lookback_scan_determinismE0ES3_S7_PKhNS0_17constant_iteratorIjlEEPhPlSF_S6_NS0_8equal_toIhEEEE10hipError_tPvRmT2_T3_mT4_T5_T6_T7_T8_P12ihipStream_tbENKUlT_T0_E_clISt17integral_constantIbLb1EESZ_EEDaSU_SV_EUlSU_E_NS1_11comp_targetILNS1_3genE5ELNS1_11target_archE942ELNS1_3gpuE9ELNS1_3repE0EEENS1_30default_config_static_selectorELNS0_4arch9wavefront6targetE0EEEvT1_.num_named_barrier, 0
	.set _ZN7rocprim17ROCPRIM_400000_NS6detail17trampoline_kernelINS0_14default_configENS1_33run_length_encode_config_selectorIhjNS0_4plusIjEEEEZZNS1_33reduce_by_key_impl_wrapped_configILNS1_25lookback_scan_determinismE0ES3_S7_PKhNS0_17constant_iteratorIjlEEPhPlSF_S6_NS0_8equal_toIhEEEE10hipError_tPvRmT2_T3_mT4_T5_T6_T7_T8_P12ihipStream_tbENKUlT_T0_E_clISt17integral_constantIbLb1EESZ_EEDaSU_SV_EUlSU_E_NS1_11comp_targetILNS1_3genE5ELNS1_11target_archE942ELNS1_3gpuE9ELNS1_3repE0EEENS1_30default_config_static_selectorELNS0_4arch9wavefront6targetE0EEEvT1_.private_seg_size, 0
	.set _ZN7rocprim17ROCPRIM_400000_NS6detail17trampoline_kernelINS0_14default_configENS1_33run_length_encode_config_selectorIhjNS0_4plusIjEEEEZZNS1_33reduce_by_key_impl_wrapped_configILNS1_25lookback_scan_determinismE0ES3_S7_PKhNS0_17constant_iteratorIjlEEPhPlSF_S6_NS0_8equal_toIhEEEE10hipError_tPvRmT2_T3_mT4_T5_T6_T7_T8_P12ihipStream_tbENKUlT_T0_E_clISt17integral_constantIbLb1EESZ_EEDaSU_SV_EUlSU_E_NS1_11comp_targetILNS1_3genE5ELNS1_11target_archE942ELNS1_3gpuE9ELNS1_3repE0EEENS1_30default_config_static_selectorELNS0_4arch9wavefront6targetE0EEEvT1_.uses_vcc, 0
	.set _ZN7rocprim17ROCPRIM_400000_NS6detail17trampoline_kernelINS0_14default_configENS1_33run_length_encode_config_selectorIhjNS0_4plusIjEEEEZZNS1_33reduce_by_key_impl_wrapped_configILNS1_25lookback_scan_determinismE0ES3_S7_PKhNS0_17constant_iteratorIjlEEPhPlSF_S6_NS0_8equal_toIhEEEE10hipError_tPvRmT2_T3_mT4_T5_T6_T7_T8_P12ihipStream_tbENKUlT_T0_E_clISt17integral_constantIbLb1EESZ_EEDaSU_SV_EUlSU_E_NS1_11comp_targetILNS1_3genE5ELNS1_11target_archE942ELNS1_3gpuE9ELNS1_3repE0EEENS1_30default_config_static_selectorELNS0_4arch9wavefront6targetE0EEEvT1_.uses_flat_scratch, 0
	.set _ZN7rocprim17ROCPRIM_400000_NS6detail17trampoline_kernelINS0_14default_configENS1_33run_length_encode_config_selectorIhjNS0_4plusIjEEEEZZNS1_33reduce_by_key_impl_wrapped_configILNS1_25lookback_scan_determinismE0ES3_S7_PKhNS0_17constant_iteratorIjlEEPhPlSF_S6_NS0_8equal_toIhEEEE10hipError_tPvRmT2_T3_mT4_T5_T6_T7_T8_P12ihipStream_tbENKUlT_T0_E_clISt17integral_constantIbLb1EESZ_EEDaSU_SV_EUlSU_E_NS1_11comp_targetILNS1_3genE5ELNS1_11target_archE942ELNS1_3gpuE9ELNS1_3repE0EEENS1_30default_config_static_selectorELNS0_4arch9wavefront6targetE0EEEvT1_.has_dyn_sized_stack, 0
	.set _ZN7rocprim17ROCPRIM_400000_NS6detail17trampoline_kernelINS0_14default_configENS1_33run_length_encode_config_selectorIhjNS0_4plusIjEEEEZZNS1_33reduce_by_key_impl_wrapped_configILNS1_25lookback_scan_determinismE0ES3_S7_PKhNS0_17constant_iteratorIjlEEPhPlSF_S6_NS0_8equal_toIhEEEE10hipError_tPvRmT2_T3_mT4_T5_T6_T7_T8_P12ihipStream_tbENKUlT_T0_E_clISt17integral_constantIbLb1EESZ_EEDaSU_SV_EUlSU_E_NS1_11comp_targetILNS1_3genE5ELNS1_11target_archE942ELNS1_3gpuE9ELNS1_3repE0EEENS1_30default_config_static_selectorELNS0_4arch9wavefront6targetE0EEEvT1_.has_recursion, 0
	.set _ZN7rocprim17ROCPRIM_400000_NS6detail17trampoline_kernelINS0_14default_configENS1_33run_length_encode_config_selectorIhjNS0_4plusIjEEEEZZNS1_33reduce_by_key_impl_wrapped_configILNS1_25lookback_scan_determinismE0ES3_S7_PKhNS0_17constant_iteratorIjlEEPhPlSF_S6_NS0_8equal_toIhEEEE10hipError_tPvRmT2_T3_mT4_T5_T6_T7_T8_P12ihipStream_tbENKUlT_T0_E_clISt17integral_constantIbLb1EESZ_EEDaSU_SV_EUlSU_E_NS1_11comp_targetILNS1_3genE5ELNS1_11target_archE942ELNS1_3gpuE9ELNS1_3repE0EEENS1_30default_config_static_selectorELNS0_4arch9wavefront6targetE0EEEvT1_.has_indirect_call, 0
	.section	.AMDGPU.csdata,"",@progbits
; Kernel info:
; codeLenInByte = 0
; TotalNumSgprs: 0
; NumVgprs: 0
; ScratchSize: 0
; MemoryBound: 0
; FloatMode: 240
; IeeeMode: 1
; LDSByteSize: 0 bytes/workgroup (compile time only)
; SGPRBlocks: 0
; VGPRBlocks: 0
; NumSGPRsForWavesPerEU: 1
; NumVGPRsForWavesPerEU: 1
; NamedBarCnt: 0
; Occupancy: 16
; WaveLimiterHint : 0
; COMPUTE_PGM_RSRC2:SCRATCH_EN: 0
; COMPUTE_PGM_RSRC2:USER_SGPR: 2
; COMPUTE_PGM_RSRC2:TRAP_HANDLER: 0
; COMPUTE_PGM_RSRC2:TGID_X_EN: 1
; COMPUTE_PGM_RSRC2:TGID_Y_EN: 0
; COMPUTE_PGM_RSRC2:TGID_Z_EN: 0
; COMPUTE_PGM_RSRC2:TIDIG_COMP_CNT: 0
	.section	.text._ZN7rocprim17ROCPRIM_400000_NS6detail17trampoline_kernelINS0_14default_configENS1_33run_length_encode_config_selectorIhjNS0_4plusIjEEEEZZNS1_33reduce_by_key_impl_wrapped_configILNS1_25lookback_scan_determinismE0ES3_S7_PKhNS0_17constant_iteratorIjlEEPhPlSF_S6_NS0_8equal_toIhEEEE10hipError_tPvRmT2_T3_mT4_T5_T6_T7_T8_P12ihipStream_tbENKUlT_T0_E_clISt17integral_constantIbLb1EESZ_EEDaSU_SV_EUlSU_E_NS1_11comp_targetILNS1_3genE4ELNS1_11target_archE910ELNS1_3gpuE8ELNS1_3repE0EEENS1_30default_config_static_selectorELNS0_4arch9wavefront6targetE0EEEvT1_,"axG",@progbits,_ZN7rocprim17ROCPRIM_400000_NS6detail17trampoline_kernelINS0_14default_configENS1_33run_length_encode_config_selectorIhjNS0_4plusIjEEEEZZNS1_33reduce_by_key_impl_wrapped_configILNS1_25lookback_scan_determinismE0ES3_S7_PKhNS0_17constant_iteratorIjlEEPhPlSF_S6_NS0_8equal_toIhEEEE10hipError_tPvRmT2_T3_mT4_T5_T6_T7_T8_P12ihipStream_tbENKUlT_T0_E_clISt17integral_constantIbLb1EESZ_EEDaSU_SV_EUlSU_E_NS1_11comp_targetILNS1_3genE4ELNS1_11target_archE910ELNS1_3gpuE8ELNS1_3repE0EEENS1_30default_config_static_selectorELNS0_4arch9wavefront6targetE0EEEvT1_,comdat
	.protected	_ZN7rocprim17ROCPRIM_400000_NS6detail17trampoline_kernelINS0_14default_configENS1_33run_length_encode_config_selectorIhjNS0_4plusIjEEEEZZNS1_33reduce_by_key_impl_wrapped_configILNS1_25lookback_scan_determinismE0ES3_S7_PKhNS0_17constant_iteratorIjlEEPhPlSF_S6_NS0_8equal_toIhEEEE10hipError_tPvRmT2_T3_mT4_T5_T6_T7_T8_P12ihipStream_tbENKUlT_T0_E_clISt17integral_constantIbLb1EESZ_EEDaSU_SV_EUlSU_E_NS1_11comp_targetILNS1_3genE4ELNS1_11target_archE910ELNS1_3gpuE8ELNS1_3repE0EEENS1_30default_config_static_selectorELNS0_4arch9wavefront6targetE0EEEvT1_ ; -- Begin function _ZN7rocprim17ROCPRIM_400000_NS6detail17trampoline_kernelINS0_14default_configENS1_33run_length_encode_config_selectorIhjNS0_4plusIjEEEEZZNS1_33reduce_by_key_impl_wrapped_configILNS1_25lookback_scan_determinismE0ES3_S7_PKhNS0_17constant_iteratorIjlEEPhPlSF_S6_NS0_8equal_toIhEEEE10hipError_tPvRmT2_T3_mT4_T5_T6_T7_T8_P12ihipStream_tbENKUlT_T0_E_clISt17integral_constantIbLb1EESZ_EEDaSU_SV_EUlSU_E_NS1_11comp_targetILNS1_3genE4ELNS1_11target_archE910ELNS1_3gpuE8ELNS1_3repE0EEENS1_30default_config_static_selectorELNS0_4arch9wavefront6targetE0EEEvT1_
	.globl	_ZN7rocprim17ROCPRIM_400000_NS6detail17trampoline_kernelINS0_14default_configENS1_33run_length_encode_config_selectorIhjNS0_4plusIjEEEEZZNS1_33reduce_by_key_impl_wrapped_configILNS1_25lookback_scan_determinismE0ES3_S7_PKhNS0_17constant_iteratorIjlEEPhPlSF_S6_NS0_8equal_toIhEEEE10hipError_tPvRmT2_T3_mT4_T5_T6_T7_T8_P12ihipStream_tbENKUlT_T0_E_clISt17integral_constantIbLb1EESZ_EEDaSU_SV_EUlSU_E_NS1_11comp_targetILNS1_3genE4ELNS1_11target_archE910ELNS1_3gpuE8ELNS1_3repE0EEENS1_30default_config_static_selectorELNS0_4arch9wavefront6targetE0EEEvT1_
	.p2align	8
	.type	_ZN7rocprim17ROCPRIM_400000_NS6detail17trampoline_kernelINS0_14default_configENS1_33run_length_encode_config_selectorIhjNS0_4plusIjEEEEZZNS1_33reduce_by_key_impl_wrapped_configILNS1_25lookback_scan_determinismE0ES3_S7_PKhNS0_17constant_iteratorIjlEEPhPlSF_S6_NS0_8equal_toIhEEEE10hipError_tPvRmT2_T3_mT4_T5_T6_T7_T8_P12ihipStream_tbENKUlT_T0_E_clISt17integral_constantIbLb1EESZ_EEDaSU_SV_EUlSU_E_NS1_11comp_targetILNS1_3genE4ELNS1_11target_archE910ELNS1_3gpuE8ELNS1_3repE0EEENS1_30default_config_static_selectorELNS0_4arch9wavefront6targetE0EEEvT1_,@function
_ZN7rocprim17ROCPRIM_400000_NS6detail17trampoline_kernelINS0_14default_configENS1_33run_length_encode_config_selectorIhjNS0_4plusIjEEEEZZNS1_33reduce_by_key_impl_wrapped_configILNS1_25lookback_scan_determinismE0ES3_S7_PKhNS0_17constant_iteratorIjlEEPhPlSF_S6_NS0_8equal_toIhEEEE10hipError_tPvRmT2_T3_mT4_T5_T6_T7_T8_P12ihipStream_tbENKUlT_T0_E_clISt17integral_constantIbLb1EESZ_EEDaSU_SV_EUlSU_E_NS1_11comp_targetILNS1_3genE4ELNS1_11target_archE910ELNS1_3gpuE8ELNS1_3repE0EEENS1_30default_config_static_selectorELNS0_4arch9wavefront6targetE0EEEvT1_: ; @_ZN7rocprim17ROCPRIM_400000_NS6detail17trampoline_kernelINS0_14default_configENS1_33run_length_encode_config_selectorIhjNS0_4plusIjEEEEZZNS1_33reduce_by_key_impl_wrapped_configILNS1_25lookback_scan_determinismE0ES3_S7_PKhNS0_17constant_iteratorIjlEEPhPlSF_S6_NS0_8equal_toIhEEEE10hipError_tPvRmT2_T3_mT4_T5_T6_T7_T8_P12ihipStream_tbENKUlT_T0_E_clISt17integral_constantIbLb1EESZ_EEDaSU_SV_EUlSU_E_NS1_11comp_targetILNS1_3genE4ELNS1_11target_archE910ELNS1_3gpuE8ELNS1_3repE0EEENS1_30default_config_static_selectorELNS0_4arch9wavefront6targetE0EEEvT1_
; %bb.0:
	.section	.rodata,"a",@progbits
	.p2align	6, 0x0
	.amdhsa_kernel _ZN7rocprim17ROCPRIM_400000_NS6detail17trampoline_kernelINS0_14default_configENS1_33run_length_encode_config_selectorIhjNS0_4plusIjEEEEZZNS1_33reduce_by_key_impl_wrapped_configILNS1_25lookback_scan_determinismE0ES3_S7_PKhNS0_17constant_iteratorIjlEEPhPlSF_S6_NS0_8equal_toIhEEEE10hipError_tPvRmT2_T3_mT4_T5_T6_T7_T8_P12ihipStream_tbENKUlT_T0_E_clISt17integral_constantIbLb1EESZ_EEDaSU_SV_EUlSU_E_NS1_11comp_targetILNS1_3genE4ELNS1_11target_archE910ELNS1_3gpuE8ELNS1_3repE0EEENS1_30default_config_static_selectorELNS0_4arch9wavefront6targetE0EEEvT1_
		.amdhsa_group_segment_fixed_size 0
		.amdhsa_private_segment_fixed_size 0
		.amdhsa_kernarg_size 128
		.amdhsa_user_sgpr_count 2
		.amdhsa_user_sgpr_dispatch_ptr 0
		.amdhsa_user_sgpr_queue_ptr 0
		.amdhsa_user_sgpr_kernarg_segment_ptr 1
		.amdhsa_user_sgpr_dispatch_id 0
		.amdhsa_user_sgpr_kernarg_preload_length 0
		.amdhsa_user_sgpr_kernarg_preload_offset 0
		.amdhsa_user_sgpr_private_segment_size 0
		.amdhsa_wavefront_size32 1
		.amdhsa_uses_dynamic_stack 0
		.amdhsa_enable_private_segment 0
		.amdhsa_system_sgpr_workgroup_id_x 1
		.amdhsa_system_sgpr_workgroup_id_y 0
		.amdhsa_system_sgpr_workgroup_id_z 0
		.amdhsa_system_sgpr_workgroup_info 0
		.amdhsa_system_vgpr_workitem_id 0
		.amdhsa_next_free_vgpr 1
		.amdhsa_next_free_sgpr 1
		.amdhsa_named_barrier_count 0
		.amdhsa_reserve_vcc 0
		.amdhsa_float_round_mode_32 0
		.amdhsa_float_round_mode_16_64 0
		.amdhsa_float_denorm_mode_32 3
		.amdhsa_float_denorm_mode_16_64 3
		.amdhsa_fp16_overflow 0
		.amdhsa_memory_ordered 1
		.amdhsa_forward_progress 1
		.amdhsa_inst_pref_size 0
		.amdhsa_round_robin_scheduling 0
		.amdhsa_exception_fp_ieee_invalid_op 0
		.amdhsa_exception_fp_denorm_src 0
		.amdhsa_exception_fp_ieee_div_zero 0
		.amdhsa_exception_fp_ieee_overflow 0
		.amdhsa_exception_fp_ieee_underflow 0
		.amdhsa_exception_fp_ieee_inexact 0
		.amdhsa_exception_int_div_zero 0
	.end_amdhsa_kernel
	.section	.text._ZN7rocprim17ROCPRIM_400000_NS6detail17trampoline_kernelINS0_14default_configENS1_33run_length_encode_config_selectorIhjNS0_4plusIjEEEEZZNS1_33reduce_by_key_impl_wrapped_configILNS1_25lookback_scan_determinismE0ES3_S7_PKhNS0_17constant_iteratorIjlEEPhPlSF_S6_NS0_8equal_toIhEEEE10hipError_tPvRmT2_T3_mT4_T5_T6_T7_T8_P12ihipStream_tbENKUlT_T0_E_clISt17integral_constantIbLb1EESZ_EEDaSU_SV_EUlSU_E_NS1_11comp_targetILNS1_3genE4ELNS1_11target_archE910ELNS1_3gpuE8ELNS1_3repE0EEENS1_30default_config_static_selectorELNS0_4arch9wavefront6targetE0EEEvT1_,"axG",@progbits,_ZN7rocprim17ROCPRIM_400000_NS6detail17trampoline_kernelINS0_14default_configENS1_33run_length_encode_config_selectorIhjNS0_4plusIjEEEEZZNS1_33reduce_by_key_impl_wrapped_configILNS1_25lookback_scan_determinismE0ES3_S7_PKhNS0_17constant_iteratorIjlEEPhPlSF_S6_NS0_8equal_toIhEEEE10hipError_tPvRmT2_T3_mT4_T5_T6_T7_T8_P12ihipStream_tbENKUlT_T0_E_clISt17integral_constantIbLb1EESZ_EEDaSU_SV_EUlSU_E_NS1_11comp_targetILNS1_3genE4ELNS1_11target_archE910ELNS1_3gpuE8ELNS1_3repE0EEENS1_30default_config_static_selectorELNS0_4arch9wavefront6targetE0EEEvT1_,comdat
.Lfunc_end177:
	.size	_ZN7rocprim17ROCPRIM_400000_NS6detail17trampoline_kernelINS0_14default_configENS1_33run_length_encode_config_selectorIhjNS0_4plusIjEEEEZZNS1_33reduce_by_key_impl_wrapped_configILNS1_25lookback_scan_determinismE0ES3_S7_PKhNS0_17constant_iteratorIjlEEPhPlSF_S6_NS0_8equal_toIhEEEE10hipError_tPvRmT2_T3_mT4_T5_T6_T7_T8_P12ihipStream_tbENKUlT_T0_E_clISt17integral_constantIbLb1EESZ_EEDaSU_SV_EUlSU_E_NS1_11comp_targetILNS1_3genE4ELNS1_11target_archE910ELNS1_3gpuE8ELNS1_3repE0EEENS1_30default_config_static_selectorELNS0_4arch9wavefront6targetE0EEEvT1_, .Lfunc_end177-_ZN7rocprim17ROCPRIM_400000_NS6detail17trampoline_kernelINS0_14default_configENS1_33run_length_encode_config_selectorIhjNS0_4plusIjEEEEZZNS1_33reduce_by_key_impl_wrapped_configILNS1_25lookback_scan_determinismE0ES3_S7_PKhNS0_17constant_iteratorIjlEEPhPlSF_S6_NS0_8equal_toIhEEEE10hipError_tPvRmT2_T3_mT4_T5_T6_T7_T8_P12ihipStream_tbENKUlT_T0_E_clISt17integral_constantIbLb1EESZ_EEDaSU_SV_EUlSU_E_NS1_11comp_targetILNS1_3genE4ELNS1_11target_archE910ELNS1_3gpuE8ELNS1_3repE0EEENS1_30default_config_static_selectorELNS0_4arch9wavefront6targetE0EEEvT1_
                                        ; -- End function
	.set _ZN7rocprim17ROCPRIM_400000_NS6detail17trampoline_kernelINS0_14default_configENS1_33run_length_encode_config_selectorIhjNS0_4plusIjEEEEZZNS1_33reduce_by_key_impl_wrapped_configILNS1_25lookback_scan_determinismE0ES3_S7_PKhNS0_17constant_iteratorIjlEEPhPlSF_S6_NS0_8equal_toIhEEEE10hipError_tPvRmT2_T3_mT4_T5_T6_T7_T8_P12ihipStream_tbENKUlT_T0_E_clISt17integral_constantIbLb1EESZ_EEDaSU_SV_EUlSU_E_NS1_11comp_targetILNS1_3genE4ELNS1_11target_archE910ELNS1_3gpuE8ELNS1_3repE0EEENS1_30default_config_static_selectorELNS0_4arch9wavefront6targetE0EEEvT1_.num_vgpr, 0
	.set _ZN7rocprim17ROCPRIM_400000_NS6detail17trampoline_kernelINS0_14default_configENS1_33run_length_encode_config_selectorIhjNS0_4plusIjEEEEZZNS1_33reduce_by_key_impl_wrapped_configILNS1_25lookback_scan_determinismE0ES3_S7_PKhNS0_17constant_iteratorIjlEEPhPlSF_S6_NS0_8equal_toIhEEEE10hipError_tPvRmT2_T3_mT4_T5_T6_T7_T8_P12ihipStream_tbENKUlT_T0_E_clISt17integral_constantIbLb1EESZ_EEDaSU_SV_EUlSU_E_NS1_11comp_targetILNS1_3genE4ELNS1_11target_archE910ELNS1_3gpuE8ELNS1_3repE0EEENS1_30default_config_static_selectorELNS0_4arch9wavefront6targetE0EEEvT1_.num_agpr, 0
	.set _ZN7rocprim17ROCPRIM_400000_NS6detail17trampoline_kernelINS0_14default_configENS1_33run_length_encode_config_selectorIhjNS0_4plusIjEEEEZZNS1_33reduce_by_key_impl_wrapped_configILNS1_25lookback_scan_determinismE0ES3_S7_PKhNS0_17constant_iteratorIjlEEPhPlSF_S6_NS0_8equal_toIhEEEE10hipError_tPvRmT2_T3_mT4_T5_T6_T7_T8_P12ihipStream_tbENKUlT_T0_E_clISt17integral_constantIbLb1EESZ_EEDaSU_SV_EUlSU_E_NS1_11comp_targetILNS1_3genE4ELNS1_11target_archE910ELNS1_3gpuE8ELNS1_3repE0EEENS1_30default_config_static_selectorELNS0_4arch9wavefront6targetE0EEEvT1_.numbered_sgpr, 0
	.set _ZN7rocprim17ROCPRIM_400000_NS6detail17trampoline_kernelINS0_14default_configENS1_33run_length_encode_config_selectorIhjNS0_4plusIjEEEEZZNS1_33reduce_by_key_impl_wrapped_configILNS1_25lookback_scan_determinismE0ES3_S7_PKhNS0_17constant_iteratorIjlEEPhPlSF_S6_NS0_8equal_toIhEEEE10hipError_tPvRmT2_T3_mT4_T5_T6_T7_T8_P12ihipStream_tbENKUlT_T0_E_clISt17integral_constantIbLb1EESZ_EEDaSU_SV_EUlSU_E_NS1_11comp_targetILNS1_3genE4ELNS1_11target_archE910ELNS1_3gpuE8ELNS1_3repE0EEENS1_30default_config_static_selectorELNS0_4arch9wavefront6targetE0EEEvT1_.num_named_barrier, 0
	.set _ZN7rocprim17ROCPRIM_400000_NS6detail17trampoline_kernelINS0_14default_configENS1_33run_length_encode_config_selectorIhjNS0_4plusIjEEEEZZNS1_33reduce_by_key_impl_wrapped_configILNS1_25lookback_scan_determinismE0ES3_S7_PKhNS0_17constant_iteratorIjlEEPhPlSF_S6_NS0_8equal_toIhEEEE10hipError_tPvRmT2_T3_mT4_T5_T6_T7_T8_P12ihipStream_tbENKUlT_T0_E_clISt17integral_constantIbLb1EESZ_EEDaSU_SV_EUlSU_E_NS1_11comp_targetILNS1_3genE4ELNS1_11target_archE910ELNS1_3gpuE8ELNS1_3repE0EEENS1_30default_config_static_selectorELNS0_4arch9wavefront6targetE0EEEvT1_.private_seg_size, 0
	.set _ZN7rocprim17ROCPRIM_400000_NS6detail17trampoline_kernelINS0_14default_configENS1_33run_length_encode_config_selectorIhjNS0_4plusIjEEEEZZNS1_33reduce_by_key_impl_wrapped_configILNS1_25lookback_scan_determinismE0ES3_S7_PKhNS0_17constant_iteratorIjlEEPhPlSF_S6_NS0_8equal_toIhEEEE10hipError_tPvRmT2_T3_mT4_T5_T6_T7_T8_P12ihipStream_tbENKUlT_T0_E_clISt17integral_constantIbLb1EESZ_EEDaSU_SV_EUlSU_E_NS1_11comp_targetILNS1_3genE4ELNS1_11target_archE910ELNS1_3gpuE8ELNS1_3repE0EEENS1_30default_config_static_selectorELNS0_4arch9wavefront6targetE0EEEvT1_.uses_vcc, 0
	.set _ZN7rocprim17ROCPRIM_400000_NS6detail17trampoline_kernelINS0_14default_configENS1_33run_length_encode_config_selectorIhjNS0_4plusIjEEEEZZNS1_33reduce_by_key_impl_wrapped_configILNS1_25lookback_scan_determinismE0ES3_S7_PKhNS0_17constant_iteratorIjlEEPhPlSF_S6_NS0_8equal_toIhEEEE10hipError_tPvRmT2_T3_mT4_T5_T6_T7_T8_P12ihipStream_tbENKUlT_T0_E_clISt17integral_constantIbLb1EESZ_EEDaSU_SV_EUlSU_E_NS1_11comp_targetILNS1_3genE4ELNS1_11target_archE910ELNS1_3gpuE8ELNS1_3repE0EEENS1_30default_config_static_selectorELNS0_4arch9wavefront6targetE0EEEvT1_.uses_flat_scratch, 0
	.set _ZN7rocprim17ROCPRIM_400000_NS6detail17trampoline_kernelINS0_14default_configENS1_33run_length_encode_config_selectorIhjNS0_4plusIjEEEEZZNS1_33reduce_by_key_impl_wrapped_configILNS1_25lookback_scan_determinismE0ES3_S7_PKhNS0_17constant_iteratorIjlEEPhPlSF_S6_NS0_8equal_toIhEEEE10hipError_tPvRmT2_T3_mT4_T5_T6_T7_T8_P12ihipStream_tbENKUlT_T0_E_clISt17integral_constantIbLb1EESZ_EEDaSU_SV_EUlSU_E_NS1_11comp_targetILNS1_3genE4ELNS1_11target_archE910ELNS1_3gpuE8ELNS1_3repE0EEENS1_30default_config_static_selectorELNS0_4arch9wavefront6targetE0EEEvT1_.has_dyn_sized_stack, 0
	.set _ZN7rocprim17ROCPRIM_400000_NS6detail17trampoline_kernelINS0_14default_configENS1_33run_length_encode_config_selectorIhjNS0_4plusIjEEEEZZNS1_33reduce_by_key_impl_wrapped_configILNS1_25lookback_scan_determinismE0ES3_S7_PKhNS0_17constant_iteratorIjlEEPhPlSF_S6_NS0_8equal_toIhEEEE10hipError_tPvRmT2_T3_mT4_T5_T6_T7_T8_P12ihipStream_tbENKUlT_T0_E_clISt17integral_constantIbLb1EESZ_EEDaSU_SV_EUlSU_E_NS1_11comp_targetILNS1_3genE4ELNS1_11target_archE910ELNS1_3gpuE8ELNS1_3repE0EEENS1_30default_config_static_selectorELNS0_4arch9wavefront6targetE0EEEvT1_.has_recursion, 0
	.set _ZN7rocprim17ROCPRIM_400000_NS6detail17trampoline_kernelINS0_14default_configENS1_33run_length_encode_config_selectorIhjNS0_4plusIjEEEEZZNS1_33reduce_by_key_impl_wrapped_configILNS1_25lookback_scan_determinismE0ES3_S7_PKhNS0_17constant_iteratorIjlEEPhPlSF_S6_NS0_8equal_toIhEEEE10hipError_tPvRmT2_T3_mT4_T5_T6_T7_T8_P12ihipStream_tbENKUlT_T0_E_clISt17integral_constantIbLb1EESZ_EEDaSU_SV_EUlSU_E_NS1_11comp_targetILNS1_3genE4ELNS1_11target_archE910ELNS1_3gpuE8ELNS1_3repE0EEENS1_30default_config_static_selectorELNS0_4arch9wavefront6targetE0EEEvT1_.has_indirect_call, 0
	.section	.AMDGPU.csdata,"",@progbits
; Kernel info:
; codeLenInByte = 0
; TotalNumSgprs: 0
; NumVgprs: 0
; ScratchSize: 0
; MemoryBound: 0
; FloatMode: 240
; IeeeMode: 1
; LDSByteSize: 0 bytes/workgroup (compile time only)
; SGPRBlocks: 0
; VGPRBlocks: 0
; NumSGPRsForWavesPerEU: 1
; NumVGPRsForWavesPerEU: 1
; NamedBarCnt: 0
; Occupancy: 16
; WaveLimiterHint : 0
; COMPUTE_PGM_RSRC2:SCRATCH_EN: 0
; COMPUTE_PGM_RSRC2:USER_SGPR: 2
; COMPUTE_PGM_RSRC2:TRAP_HANDLER: 0
; COMPUTE_PGM_RSRC2:TGID_X_EN: 1
; COMPUTE_PGM_RSRC2:TGID_Y_EN: 0
; COMPUTE_PGM_RSRC2:TGID_Z_EN: 0
; COMPUTE_PGM_RSRC2:TIDIG_COMP_CNT: 0
	.section	.text._ZN7rocprim17ROCPRIM_400000_NS6detail17trampoline_kernelINS0_14default_configENS1_33run_length_encode_config_selectorIhjNS0_4plusIjEEEEZZNS1_33reduce_by_key_impl_wrapped_configILNS1_25lookback_scan_determinismE0ES3_S7_PKhNS0_17constant_iteratorIjlEEPhPlSF_S6_NS0_8equal_toIhEEEE10hipError_tPvRmT2_T3_mT4_T5_T6_T7_T8_P12ihipStream_tbENKUlT_T0_E_clISt17integral_constantIbLb1EESZ_EEDaSU_SV_EUlSU_E_NS1_11comp_targetILNS1_3genE3ELNS1_11target_archE908ELNS1_3gpuE7ELNS1_3repE0EEENS1_30default_config_static_selectorELNS0_4arch9wavefront6targetE0EEEvT1_,"axG",@progbits,_ZN7rocprim17ROCPRIM_400000_NS6detail17trampoline_kernelINS0_14default_configENS1_33run_length_encode_config_selectorIhjNS0_4plusIjEEEEZZNS1_33reduce_by_key_impl_wrapped_configILNS1_25lookback_scan_determinismE0ES3_S7_PKhNS0_17constant_iteratorIjlEEPhPlSF_S6_NS0_8equal_toIhEEEE10hipError_tPvRmT2_T3_mT4_T5_T6_T7_T8_P12ihipStream_tbENKUlT_T0_E_clISt17integral_constantIbLb1EESZ_EEDaSU_SV_EUlSU_E_NS1_11comp_targetILNS1_3genE3ELNS1_11target_archE908ELNS1_3gpuE7ELNS1_3repE0EEENS1_30default_config_static_selectorELNS0_4arch9wavefront6targetE0EEEvT1_,comdat
	.protected	_ZN7rocprim17ROCPRIM_400000_NS6detail17trampoline_kernelINS0_14default_configENS1_33run_length_encode_config_selectorIhjNS0_4plusIjEEEEZZNS1_33reduce_by_key_impl_wrapped_configILNS1_25lookback_scan_determinismE0ES3_S7_PKhNS0_17constant_iteratorIjlEEPhPlSF_S6_NS0_8equal_toIhEEEE10hipError_tPvRmT2_T3_mT4_T5_T6_T7_T8_P12ihipStream_tbENKUlT_T0_E_clISt17integral_constantIbLb1EESZ_EEDaSU_SV_EUlSU_E_NS1_11comp_targetILNS1_3genE3ELNS1_11target_archE908ELNS1_3gpuE7ELNS1_3repE0EEENS1_30default_config_static_selectorELNS0_4arch9wavefront6targetE0EEEvT1_ ; -- Begin function _ZN7rocprim17ROCPRIM_400000_NS6detail17trampoline_kernelINS0_14default_configENS1_33run_length_encode_config_selectorIhjNS0_4plusIjEEEEZZNS1_33reduce_by_key_impl_wrapped_configILNS1_25lookback_scan_determinismE0ES3_S7_PKhNS0_17constant_iteratorIjlEEPhPlSF_S6_NS0_8equal_toIhEEEE10hipError_tPvRmT2_T3_mT4_T5_T6_T7_T8_P12ihipStream_tbENKUlT_T0_E_clISt17integral_constantIbLb1EESZ_EEDaSU_SV_EUlSU_E_NS1_11comp_targetILNS1_3genE3ELNS1_11target_archE908ELNS1_3gpuE7ELNS1_3repE0EEENS1_30default_config_static_selectorELNS0_4arch9wavefront6targetE0EEEvT1_
	.globl	_ZN7rocprim17ROCPRIM_400000_NS6detail17trampoline_kernelINS0_14default_configENS1_33run_length_encode_config_selectorIhjNS0_4plusIjEEEEZZNS1_33reduce_by_key_impl_wrapped_configILNS1_25lookback_scan_determinismE0ES3_S7_PKhNS0_17constant_iteratorIjlEEPhPlSF_S6_NS0_8equal_toIhEEEE10hipError_tPvRmT2_T3_mT4_T5_T6_T7_T8_P12ihipStream_tbENKUlT_T0_E_clISt17integral_constantIbLb1EESZ_EEDaSU_SV_EUlSU_E_NS1_11comp_targetILNS1_3genE3ELNS1_11target_archE908ELNS1_3gpuE7ELNS1_3repE0EEENS1_30default_config_static_selectorELNS0_4arch9wavefront6targetE0EEEvT1_
	.p2align	8
	.type	_ZN7rocprim17ROCPRIM_400000_NS6detail17trampoline_kernelINS0_14default_configENS1_33run_length_encode_config_selectorIhjNS0_4plusIjEEEEZZNS1_33reduce_by_key_impl_wrapped_configILNS1_25lookback_scan_determinismE0ES3_S7_PKhNS0_17constant_iteratorIjlEEPhPlSF_S6_NS0_8equal_toIhEEEE10hipError_tPvRmT2_T3_mT4_T5_T6_T7_T8_P12ihipStream_tbENKUlT_T0_E_clISt17integral_constantIbLb1EESZ_EEDaSU_SV_EUlSU_E_NS1_11comp_targetILNS1_3genE3ELNS1_11target_archE908ELNS1_3gpuE7ELNS1_3repE0EEENS1_30default_config_static_selectorELNS0_4arch9wavefront6targetE0EEEvT1_,@function
_ZN7rocprim17ROCPRIM_400000_NS6detail17trampoline_kernelINS0_14default_configENS1_33run_length_encode_config_selectorIhjNS0_4plusIjEEEEZZNS1_33reduce_by_key_impl_wrapped_configILNS1_25lookback_scan_determinismE0ES3_S7_PKhNS0_17constant_iteratorIjlEEPhPlSF_S6_NS0_8equal_toIhEEEE10hipError_tPvRmT2_T3_mT4_T5_T6_T7_T8_P12ihipStream_tbENKUlT_T0_E_clISt17integral_constantIbLb1EESZ_EEDaSU_SV_EUlSU_E_NS1_11comp_targetILNS1_3genE3ELNS1_11target_archE908ELNS1_3gpuE7ELNS1_3repE0EEENS1_30default_config_static_selectorELNS0_4arch9wavefront6targetE0EEEvT1_: ; @_ZN7rocprim17ROCPRIM_400000_NS6detail17trampoline_kernelINS0_14default_configENS1_33run_length_encode_config_selectorIhjNS0_4plusIjEEEEZZNS1_33reduce_by_key_impl_wrapped_configILNS1_25lookback_scan_determinismE0ES3_S7_PKhNS0_17constant_iteratorIjlEEPhPlSF_S6_NS0_8equal_toIhEEEE10hipError_tPvRmT2_T3_mT4_T5_T6_T7_T8_P12ihipStream_tbENKUlT_T0_E_clISt17integral_constantIbLb1EESZ_EEDaSU_SV_EUlSU_E_NS1_11comp_targetILNS1_3genE3ELNS1_11target_archE908ELNS1_3gpuE7ELNS1_3repE0EEENS1_30default_config_static_selectorELNS0_4arch9wavefront6targetE0EEEvT1_
; %bb.0:
	.section	.rodata,"a",@progbits
	.p2align	6, 0x0
	.amdhsa_kernel _ZN7rocprim17ROCPRIM_400000_NS6detail17trampoline_kernelINS0_14default_configENS1_33run_length_encode_config_selectorIhjNS0_4plusIjEEEEZZNS1_33reduce_by_key_impl_wrapped_configILNS1_25lookback_scan_determinismE0ES3_S7_PKhNS0_17constant_iteratorIjlEEPhPlSF_S6_NS0_8equal_toIhEEEE10hipError_tPvRmT2_T3_mT4_T5_T6_T7_T8_P12ihipStream_tbENKUlT_T0_E_clISt17integral_constantIbLb1EESZ_EEDaSU_SV_EUlSU_E_NS1_11comp_targetILNS1_3genE3ELNS1_11target_archE908ELNS1_3gpuE7ELNS1_3repE0EEENS1_30default_config_static_selectorELNS0_4arch9wavefront6targetE0EEEvT1_
		.amdhsa_group_segment_fixed_size 0
		.amdhsa_private_segment_fixed_size 0
		.amdhsa_kernarg_size 128
		.amdhsa_user_sgpr_count 2
		.amdhsa_user_sgpr_dispatch_ptr 0
		.amdhsa_user_sgpr_queue_ptr 0
		.amdhsa_user_sgpr_kernarg_segment_ptr 1
		.amdhsa_user_sgpr_dispatch_id 0
		.amdhsa_user_sgpr_kernarg_preload_length 0
		.amdhsa_user_sgpr_kernarg_preload_offset 0
		.amdhsa_user_sgpr_private_segment_size 0
		.amdhsa_wavefront_size32 1
		.amdhsa_uses_dynamic_stack 0
		.amdhsa_enable_private_segment 0
		.amdhsa_system_sgpr_workgroup_id_x 1
		.amdhsa_system_sgpr_workgroup_id_y 0
		.amdhsa_system_sgpr_workgroup_id_z 0
		.amdhsa_system_sgpr_workgroup_info 0
		.amdhsa_system_vgpr_workitem_id 0
		.amdhsa_next_free_vgpr 1
		.amdhsa_next_free_sgpr 1
		.amdhsa_named_barrier_count 0
		.amdhsa_reserve_vcc 0
		.amdhsa_float_round_mode_32 0
		.amdhsa_float_round_mode_16_64 0
		.amdhsa_float_denorm_mode_32 3
		.amdhsa_float_denorm_mode_16_64 3
		.amdhsa_fp16_overflow 0
		.amdhsa_memory_ordered 1
		.amdhsa_forward_progress 1
		.amdhsa_inst_pref_size 0
		.amdhsa_round_robin_scheduling 0
		.amdhsa_exception_fp_ieee_invalid_op 0
		.amdhsa_exception_fp_denorm_src 0
		.amdhsa_exception_fp_ieee_div_zero 0
		.amdhsa_exception_fp_ieee_overflow 0
		.amdhsa_exception_fp_ieee_underflow 0
		.amdhsa_exception_fp_ieee_inexact 0
		.amdhsa_exception_int_div_zero 0
	.end_amdhsa_kernel
	.section	.text._ZN7rocprim17ROCPRIM_400000_NS6detail17trampoline_kernelINS0_14default_configENS1_33run_length_encode_config_selectorIhjNS0_4plusIjEEEEZZNS1_33reduce_by_key_impl_wrapped_configILNS1_25lookback_scan_determinismE0ES3_S7_PKhNS0_17constant_iteratorIjlEEPhPlSF_S6_NS0_8equal_toIhEEEE10hipError_tPvRmT2_T3_mT4_T5_T6_T7_T8_P12ihipStream_tbENKUlT_T0_E_clISt17integral_constantIbLb1EESZ_EEDaSU_SV_EUlSU_E_NS1_11comp_targetILNS1_3genE3ELNS1_11target_archE908ELNS1_3gpuE7ELNS1_3repE0EEENS1_30default_config_static_selectorELNS0_4arch9wavefront6targetE0EEEvT1_,"axG",@progbits,_ZN7rocprim17ROCPRIM_400000_NS6detail17trampoline_kernelINS0_14default_configENS1_33run_length_encode_config_selectorIhjNS0_4plusIjEEEEZZNS1_33reduce_by_key_impl_wrapped_configILNS1_25lookback_scan_determinismE0ES3_S7_PKhNS0_17constant_iteratorIjlEEPhPlSF_S6_NS0_8equal_toIhEEEE10hipError_tPvRmT2_T3_mT4_T5_T6_T7_T8_P12ihipStream_tbENKUlT_T0_E_clISt17integral_constantIbLb1EESZ_EEDaSU_SV_EUlSU_E_NS1_11comp_targetILNS1_3genE3ELNS1_11target_archE908ELNS1_3gpuE7ELNS1_3repE0EEENS1_30default_config_static_selectorELNS0_4arch9wavefront6targetE0EEEvT1_,comdat
.Lfunc_end178:
	.size	_ZN7rocprim17ROCPRIM_400000_NS6detail17trampoline_kernelINS0_14default_configENS1_33run_length_encode_config_selectorIhjNS0_4plusIjEEEEZZNS1_33reduce_by_key_impl_wrapped_configILNS1_25lookback_scan_determinismE0ES3_S7_PKhNS0_17constant_iteratorIjlEEPhPlSF_S6_NS0_8equal_toIhEEEE10hipError_tPvRmT2_T3_mT4_T5_T6_T7_T8_P12ihipStream_tbENKUlT_T0_E_clISt17integral_constantIbLb1EESZ_EEDaSU_SV_EUlSU_E_NS1_11comp_targetILNS1_3genE3ELNS1_11target_archE908ELNS1_3gpuE7ELNS1_3repE0EEENS1_30default_config_static_selectorELNS0_4arch9wavefront6targetE0EEEvT1_, .Lfunc_end178-_ZN7rocprim17ROCPRIM_400000_NS6detail17trampoline_kernelINS0_14default_configENS1_33run_length_encode_config_selectorIhjNS0_4plusIjEEEEZZNS1_33reduce_by_key_impl_wrapped_configILNS1_25lookback_scan_determinismE0ES3_S7_PKhNS0_17constant_iteratorIjlEEPhPlSF_S6_NS0_8equal_toIhEEEE10hipError_tPvRmT2_T3_mT4_T5_T6_T7_T8_P12ihipStream_tbENKUlT_T0_E_clISt17integral_constantIbLb1EESZ_EEDaSU_SV_EUlSU_E_NS1_11comp_targetILNS1_3genE3ELNS1_11target_archE908ELNS1_3gpuE7ELNS1_3repE0EEENS1_30default_config_static_selectorELNS0_4arch9wavefront6targetE0EEEvT1_
                                        ; -- End function
	.set _ZN7rocprim17ROCPRIM_400000_NS6detail17trampoline_kernelINS0_14default_configENS1_33run_length_encode_config_selectorIhjNS0_4plusIjEEEEZZNS1_33reduce_by_key_impl_wrapped_configILNS1_25lookback_scan_determinismE0ES3_S7_PKhNS0_17constant_iteratorIjlEEPhPlSF_S6_NS0_8equal_toIhEEEE10hipError_tPvRmT2_T3_mT4_T5_T6_T7_T8_P12ihipStream_tbENKUlT_T0_E_clISt17integral_constantIbLb1EESZ_EEDaSU_SV_EUlSU_E_NS1_11comp_targetILNS1_3genE3ELNS1_11target_archE908ELNS1_3gpuE7ELNS1_3repE0EEENS1_30default_config_static_selectorELNS0_4arch9wavefront6targetE0EEEvT1_.num_vgpr, 0
	.set _ZN7rocprim17ROCPRIM_400000_NS6detail17trampoline_kernelINS0_14default_configENS1_33run_length_encode_config_selectorIhjNS0_4plusIjEEEEZZNS1_33reduce_by_key_impl_wrapped_configILNS1_25lookback_scan_determinismE0ES3_S7_PKhNS0_17constant_iteratorIjlEEPhPlSF_S6_NS0_8equal_toIhEEEE10hipError_tPvRmT2_T3_mT4_T5_T6_T7_T8_P12ihipStream_tbENKUlT_T0_E_clISt17integral_constantIbLb1EESZ_EEDaSU_SV_EUlSU_E_NS1_11comp_targetILNS1_3genE3ELNS1_11target_archE908ELNS1_3gpuE7ELNS1_3repE0EEENS1_30default_config_static_selectorELNS0_4arch9wavefront6targetE0EEEvT1_.num_agpr, 0
	.set _ZN7rocprim17ROCPRIM_400000_NS6detail17trampoline_kernelINS0_14default_configENS1_33run_length_encode_config_selectorIhjNS0_4plusIjEEEEZZNS1_33reduce_by_key_impl_wrapped_configILNS1_25lookback_scan_determinismE0ES3_S7_PKhNS0_17constant_iteratorIjlEEPhPlSF_S6_NS0_8equal_toIhEEEE10hipError_tPvRmT2_T3_mT4_T5_T6_T7_T8_P12ihipStream_tbENKUlT_T0_E_clISt17integral_constantIbLb1EESZ_EEDaSU_SV_EUlSU_E_NS1_11comp_targetILNS1_3genE3ELNS1_11target_archE908ELNS1_3gpuE7ELNS1_3repE0EEENS1_30default_config_static_selectorELNS0_4arch9wavefront6targetE0EEEvT1_.numbered_sgpr, 0
	.set _ZN7rocprim17ROCPRIM_400000_NS6detail17trampoline_kernelINS0_14default_configENS1_33run_length_encode_config_selectorIhjNS0_4plusIjEEEEZZNS1_33reduce_by_key_impl_wrapped_configILNS1_25lookback_scan_determinismE0ES3_S7_PKhNS0_17constant_iteratorIjlEEPhPlSF_S6_NS0_8equal_toIhEEEE10hipError_tPvRmT2_T3_mT4_T5_T6_T7_T8_P12ihipStream_tbENKUlT_T0_E_clISt17integral_constantIbLb1EESZ_EEDaSU_SV_EUlSU_E_NS1_11comp_targetILNS1_3genE3ELNS1_11target_archE908ELNS1_3gpuE7ELNS1_3repE0EEENS1_30default_config_static_selectorELNS0_4arch9wavefront6targetE0EEEvT1_.num_named_barrier, 0
	.set _ZN7rocprim17ROCPRIM_400000_NS6detail17trampoline_kernelINS0_14default_configENS1_33run_length_encode_config_selectorIhjNS0_4plusIjEEEEZZNS1_33reduce_by_key_impl_wrapped_configILNS1_25lookback_scan_determinismE0ES3_S7_PKhNS0_17constant_iteratorIjlEEPhPlSF_S6_NS0_8equal_toIhEEEE10hipError_tPvRmT2_T3_mT4_T5_T6_T7_T8_P12ihipStream_tbENKUlT_T0_E_clISt17integral_constantIbLb1EESZ_EEDaSU_SV_EUlSU_E_NS1_11comp_targetILNS1_3genE3ELNS1_11target_archE908ELNS1_3gpuE7ELNS1_3repE0EEENS1_30default_config_static_selectorELNS0_4arch9wavefront6targetE0EEEvT1_.private_seg_size, 0
	.set _ZN7rocprim17ROCPRIM_400000_NS6detail17trampoline_kernelINS0_14default_configENS1_33run_length_encode_config_selectorIhjNS0_4plusIjEEEEZZNS1_33reduce_by_key_impl_wrapped_configILNS1_25lookback_scan_determinismE0ES3_S7_PKhNS0_17constant_iteratorIjlEEPhPlSF_S6_NS0_8equal_toIhEEEE10hipError_tPvRmT2_T3_mT4_T5_T6_T7_T8_P12ihipStream_tbENKUlT_T0_E_clISt17integral_constantIbLb1EESZ_EEDaSU_SV_EUlSU_E_NS1_11comp_targetILNS1_3genE3ELNS1_11target_archE908ELNS1_3gpuE7ELNS1_3repE0EEENS1_30default_config_static_selectorELNS0_4arch9wavefront6targetE0EEEvT1_.uses_vcc, 0
	.set _ZN7rocprim17ROCPRIM_400000_NS6detail17trampoline_kernelINS0_14default_configENS1_33run_length_encode_config_selectorIhjNS0_4plusIjEEEEZZNS1_33reduce_by_key_impl_wrapped_configILNS1_25lookback_scan_determinismE0ES3_S7_PKhNS0_17constant_iteratorIjlEEPhPlSF_S6_NS0_8equal_toIhEEEE10hipError_tPvRmT2_T3_mT4_T5_T6_T7_T8_P12ihipStream_tbENKUlT_T0_E_clISt17integral_constantIbLb1EESZ_EEDaSU_SV_EUlSU_E_NS1_11comp_targetILNS1_3genE3ELNS1_11target_archE908ELNS1_3gpuE7ELNS1_3repE0EEENS1_30default_config_static_selectorELNS0_4arch9wavefront6targetE0EEEvT1_.uses_flat_scratch, 0
	.set _ZN7rocprim17ROCPRIM_400000_NS6detail17trampoline_kernelINS0_14default_configENS1_33run_length_encode_config_selectorIhjNS0_4plusIjEEEEZZNS1_33reduce_by_key_impl_wrapped_configILNS1_25lookback_scan_determinismE0ES3_S7_PKhNS0_17constant_iteratorIjlEEPhPlSF_S6_NS0_8equal_toIhEEEE10hipError_tPvRmT2_T3_mT4_T5_T6_T7_T8_P12ihipStream_tbENKUlT_T0_E_clISt17integral_constantIbLb1EESZ_EEDaSU_SV_EUlSU_E_NS1_11comp_targetILNS1_3genE3ELNS1_11target_archE908ELNS1_3gpuE7ELNS1_3repE0EEENS1_30default_config_static_selectorELNS0_4arch9wavefront6targetE0EEEvT1_.has_dyn_sized_stack, 0
	.set _ZN7rocprim17ROCPRIM_400000_NS6detail17trampoline_kernelINS0_14default_configENS1_33run_length_encode_config_selectorIhjNS0_4plusIjEEEEZZNS1_33reduce_by_key_impl_wrapped_configILNS1_25lookback_scan_determinismE0ES3_S7_PKhNS0_17constant_iteratorIjlEEPhPlSF_S6_NS0_8equal_toIhEEEE10hipError_tPvRmT2_T3_mT4_T5_T6_T7_T8_P12ihipStream_tbENKUlT_T0_E_clISt17integral_constantIbLb1EESZ_EEDaSU_SV_EUlSU_E_NS1_11comp_targetILNS1_3genE3ELNS1_11target_archE908ELNS1_3gpuE7ELNS1_3repE0EEENS1_30default_config_static_selectorELNS0_4arch9wavefront6targetE0EEEvT1_.has_recursion, 0
	.set _ZN7rocprim17ROCPRIM_400000_NS6detail17trampoline_kernelINS0_14default_configENS1_33run_length_encode_config_selectorIhjNS0_4plusIjEEEEZZNS1_33reduce_by_key_impl_wrapped_configILNS1_25lookback_scan_determinismE0ES3_S7_PKhNS0_17constant_iteratorIjlEEPhPlSF_S6_NS0_8equal_toIhEEEE10hipError_tPvRmT2_T3_mT4_T5_T6_T7_T8_P12ihipStream_tbENKUlT_T0_E_clISt17integral_constantIbLb1EESZ_EEDaSU_SV_EUlSU_E_NS1_11comp_targetILNS1_3genE3ELNS1_11target_archE908ELNS1_3gpuE7ELNS1_3repE0EEENS1_30default_config_static_selectorELNS0_4arch9wavefront6targetE0EEEvT1_.has_indirect_call, 0
	.section	.AMDGPU.csdata,"",@progbits
; Kernel info:
; codeLenInByte = 0
; TotalNumSgprs: 0
; NumVgprs: 0
; ScratchSize: 0
; MemoryBound: 0
; FloatMode: 240
; IeeeMode: 1
; LDSByteSize: 0 bytes/workgroup (compile time only)
; SGPRBlocks: 0
; VGPRBlocks: 0
; NumSGPRsForWavesPerEU: 1
; NumVGPRsForWavesPerEU: 1
; NamedBarCnt: 0
; Occupancy: 16
; WaveLimiterHint : 0
; COMPUTE_PGM_RSRC2:SCRATCH_EN: 0
; COMPUTE_PGM_RSRC2:USER_SGPR: 2
; COMPUTE_PGM_RSRC2:TRAP_HANDLER: 0
; COMPUTE_PGM_RSRC2:TGID_X_EN: 1
; COMPUTE_PGM_RSRC2:TGID_Y_EN: 0
; COMPUTE_PGM_RSRC2:TGID_Z_EN: 0
; COMPUTE_PGM_RSRC2:TIDIG_COMP_CNT: 0
	.section	.text._ZN7rocprim17ROCPRIM_400000_NS6detail17trampoline_kernelINS0_14default_configENS1_33run_length_encode_config_selectorIhjNS0_4plusIjEEEEZZNS1_33reduce_by_key_impl_wrapped_configILNS1_25lookback_scan_determinismE0ES3_S7_PKhNS0_17constant_iteratorIjlEEPhPlSF_S6_NS0_8equal_toIhEEEE10hipError_tPvRmT2_T3_mT4_T5_T6_T7_T8_P12ihipStream_tbENKUlT_T0_E_clISt17integral_constantIbLb1EESZ_EEDaSU_SV_EUlSU_E_NS1_11comp_targetILNS1_3genE2ELNS1_11target_archE906ELNS1_3gpuE6ELNS1_3repE0EEENS1_30default_config_static_selectorELNS0_4arch9wavefront6targetE0EEEvT1_,"axG",@progbits,_ZN7rocprim17ROCPRIM_400000_NS6detail17trampoline_kernelINS0_14default_configENS1_33run_length_encode_config_selectorIhjNS0_4plusIjEEEEZZNS1_33reduce_by_key_impl_wrapped_configILNS1_25lookback_scan_determinismE0ES3_S7_PKhNS0_17constant_iteratorIjlEEPhPlSF_S6_NS0_8equal_toIhEEEE10hipError_tPvRmT2_T3_mT4_T5_T6_T7_T8_P12ihipStream_tbENKUlT_T0_E_clISt17integral_constantIbLb1EESZ_EEDaSU_SV_EUlSU_E_NS1_11comp_targetILNS1_3genE2ELNS1_11target_archE906ELNS1_3gpuE6ELNS1_3repE0EEENS1_30default_config_static_selectorELNS0_4arch9wavefront6targetE0EEEvT1_,comdat
	.protected	_ZN7rocprim17ROCPRIM_400000_NS6detail17trampoline_kernelINS0_14default_configENS1_33run_length_encode_config_selectorIhjNS0_4plusIjEEEEZZNS1_33reduce_by_key_impl_wrapped_configILNS1_25lookback_scan_determinismE0ES3_S7_PKhNS0_17constant_iteratorIjlEEPhPlSF_S6_NS0_8equal_toIhEEEE10hipError_tPvRmT2_T3_mT4_T5_T6_T7_T8_P12ihipStream_tbENKUlT_T0_E_clISt17integral_constantIbLb1EESZ_EEDaSU_SV_EUlSU_E_NS1_11comp_targetILNS1_3genE2ELNS1_11target_archE906ELNS1_3gpuE6ELNS1_3repE0EEENS1_30default_config_static_selectorELNS0_4arch9wavefront6targetE0EEEvT1_ ; -- Begin function _ZN7rocprim17ROCPRIM_400000_NS6detail17trampoline_kernelINS0_14default_configENS1_33run_length_encode_config_selectorIhjNS0_4plusIjEEEEZZNS1_33reduce_by_key_impl_wrapped_configILNS1_25lookback_scan_determinismE0ES3_S7_PKhNS0_17constant_iteratorIjlEEPhPlSF_S6_NS0_8equal_toIhEEEE10hipError_tPvRmT2_T3_mT4_T5_T6_T7_T8_P12ihipStream_tbENKUlT_T0_E_clISt17integral_constantIbLb1EESZ_EEDaSU_SV_EUlSU_E_NS1_11comp_targetILNS1_3genE2ELNS1_11target_archE906ELNS1_3gpuE6ELNS1_3repE0EEENS1_30default_config_static_selectorELNS0_4arch9wavefront6targetE0EEEvT1_
	.globl	_ZN7rocprim17ROCPRIM_400000_NS6detail17trampoline_kernelINS0_14default_configENS1_33run_length_encode_config_selectorIhjNS0_4plusIjEEEEZZNS1_33reduce_by_key_impl_wrapped_configILNS1_25lookback_scan_determinismE0ES3_S7_PKhNS0_17constant_iteratorIjlEEPhPlSF_S6_NS0_8equal_toIhEEEE10hipError_tPvRmT2_T3_mT4_T5_T6_T7_T8_P12ihipStream_tbENKUlT_T0_E_clISt17integral_constantIbLb1EESZ_EEDaSU_SV_EUlSU_E_NS1_11comp_targetILNS1_3genE2ELNS1_11target_archE906ELNS1_3gpuE6ELNS1_3repE0EEENS1_30default_config_static_selectorELNS0_4arch9wavefront6targetE0EEEvT1_
	.p2align	8
	.type	_ZN7rocprim17ROCPRIM_400000_NS6detail17trampoline_kernelINS0_14default_configENS1_33run_length_encode_config_selectorIhjNS0_4plusIjEEEEZZNS1_33reduce_by_key_impl_wrapped_configILNS1_25lookback_scan_determinismE0ES3_S7_PKhNS0_17constant_iteratorIjlEEPhPlSF_S6_NS0_8equal_toIhEEEE10hipError_tPvRmT2_T3_mT4_T5_T6_T7_T8_P12ihipStream_tbENKUlT_T0_E_clISt17integral_constantIbLb1EESZ_EEDaSU_SV_EUlSU_E_NS1_11comp_targetILNS1_3genE2ELNS1_11target_archE906ELNS1_3gpuE6ELNS1_3repE0EEENS1_30default_config_static_selectorELNS0_4arch9wavefront6targetE0EEEvT1_,@function
_ZN7rocprim17ROCPRIM_400000_NS6detail17trampoline_kernelINS0_14default_configENS1_33run_length_encode_config_selectorIhjNS0_4plusIjEEEEZZNS1_33reduce_by_key_impl_wrapped_configILNS1_25lookback_scan_determinismE0ES3_S7_PKhNS0_17constant_iteratorIjlEEPhPlSF_S6_NS0_8equal_toIhEEEE10hipError_tPvRmT2_T3_mT4_T5_T6_T7_T8_P12ihipStream_tbENKUlT_T0_E_clISt17integral_constantIbLb1EESZ_EEDaSU_SV_EUlSU_E_NS1_11comp_targetILNS1_3genE2ELNS1_11target_archE906ELNS1_3gpuE6ELNS1_3repE0EEENS1_30default_config_static_selectorELNS0_4arch9wavefront6targetE0EEEvT1_: ; @_ZN7rocprim17ROCPRIM_400000_NS6detail17trampoline_kernelINS0_14default_configENS1_33run_length_encode_config_selectorIhjNS0_4plusIjEEEEZZNS1_33reduce_by_key_impl_wrapped_configILNS1_25lookback_scan_determinismE0ES3_S7_PKhNS0_17constant_iteratorIjlEEPhPlSF_S6_NS0_8equal_toIhEEEE10hipError_tPvRmT2_T3_mT4_T5_T6_T7_T8_P12ihipStream_tbENKUlT_T0_E_clISt17integral_constantIbLb1EESZ_EEDaSU_SV_EUlSU_E_NS1_11comp_targetILNS1_3genE2ELNS1_11target_archE906ELNS1_3gpuE6ELNS1_3repE0EEENS1_30default_config_static_selectorELNS0_4arch9wavefront6targetE0EEEvT1_
; %bb.0:
	.section	.rodata,"a",@progbits
	.p2align	6, 0x0
	.amdhsa_kernel _ZN7rocprim17ROCPRIM_400000_NS6detail17trampoline_kernelINS0_14default_configENS1_33run_length_encode_config_selectorIhjNS0_4plusIjEEEEZZNS1_33reduce_by_key_impl_wrapped_configILNS1_25lookback_scan_determinismE0ES3_S7_PKhNS0_17constant_iteratorIjlEEPhPlSF_S6_NS0_8equal_toIhEEEE10hipError_tPvRmT2_T3_mT4_T5_T6_T7_T8_P12ihipStream_tbENKUlT_T0_E_clISt17integral_constantIbLb1EESZ_EEDaSU_SV_EUlSU_E_NS1_11comp_targetILNS1_3genE2ELNS1_11target_archE906ELNS1_3gpuE6ELNS1_3repE0EEENS1_30default_config_static_selectorELNS0_4arch9wavefront6targetE0EEEvT1_
		.amdhsa_group_segment_fixed_size 0
		.amdhsa_private_segment_fixed_size 0
		.amdhsa_kernarg_size 128
		.amdhsa_user_sgpr_count 2
		.amdhsa_user_sgpr_dispatch_ptr 0
		.amdhsa_user_sgpr_queue_ptr 0
		.amdhsa_user_sgpr_kernarg_segment_ptr 1
		.amdhsa_user_sgpr_dispatch_id 0
		.amdhsa_user_sgpr_kernarg_preload_length 0
		.amdhsa_user_sgpr_kernarg_preload_offset 0
		.amdhsa_user_sgpr_private_segment_size 0
		.amdhsa_wavefront_size32 1
		.amdhsa_uses_dynamic_stack 0
		.amdhsa_enable_private_segment 0
		.amdhsa_system_sgpr_workgroup_id_x 1
		.amdhsa_system_sgpr_workgroup_id_y 0
		.amdhsa_system_sgpr_workgroup_id_z 0
		.amdhsa_system_sgpr_workgroup_info 0
		.amdhsa_system_vgpr_workitem_id 0
		.amdhsa_next_free_vgpr 1
		.amdhsa_next_free_sgpr 1
		.amdhsa_named_barrier_count 0
		.amdhsa_reserve_vcc 0
		.amdhsa_float_round_mode_32 0
		.amdhsa_float_round_mode_16_64 0
		.amdhsa_float_denorm_mode_32 3
		.amdhsa_float_denorm_mode_16_64 3
		.amdhsa_fp16_overflow 0
		.amdhsa_memory_ordered 1
		.amdhsa_forward_progress 1
		.amdhsa_inst_pref_size 0
		.amdhsa_round_robin_scheduling 0
		.amdhsa_exception_fp_ieee_invalid_op 0
		.amdhsa_exception_fp_denorm_src 0
		.amdhsa_exception_fp_ieee_div_zero 0
		.amdhsa_exception_fp_ieee_overflow 0
		.amdhsa_exception_fp_ieee_underflow 0
		.amdhsa_exception_fp_ieee_inexact 0
		.amdhsa_exception_int_div_zero 0
	.end_amdhsa_kernel
	.section	.text._ZN7rocprim17ROCPRIM_400000_NS6detail17trampoline_kernelINS0_14default_configENS1_33run_length_encode_config_selectorIhjNS0_4plusIjEEEEZZNS1_33reduce_by_key_impl_wrapped_configILNS1_25lookback_scan_determinismE0ES3_S7_PKhNS0_17constant_iteratorIjlEEPhPlSF_S6_NS0_8equal_toIhEEEE10hipError_tPvRmT2_T3_mT4_T5_T6_T7_T8_P12ihipStream_tbENKUlT_T0_E_clISt17integral_constantIbLb1EESZ_EEDaSU_SV_EUlSU_E_NS1_11comp_targetILNS1_3genE2ELNS1_11target_archE906ELNS1_3gpuE6ELNS1_3repE0EEENS1_30default_config_static_selectorELNS0_4arch9wavefront6targetE0EEEvT1_,"axG",@progbits,_ZN7rocprim17ROCPRIM_400000_NS6detail17trampoline_kernelINS0_14default_configENS1_33run_length_encode_config_selectorIhjNS0_4plusIjEEEEZZNS1_33reduce_by_key_impl_wrapped_configILNS1_25lookback_scan_determinismE0ES3_S7_PKhNS0_17constant_iteratorIjlEEPhPlSF_S6_NS0_8equal_toIhEEEE10hipError_tPvRmT2_T3_mT4_T5_T6_T7_T8_P12ihipStream_tbENKUlT_T0_E_clISt17integral_constantIbLb1EESZ_EEDaSU_SV_EUlSU_E_NS1_11comp_targetILNS1_3genE2ELNS1_11target_archE906ELNS1_3gpuE6ELNS1_3repE0EEENS1_30default_config_static_selectorELNS0_4arch9wavefront6targetE0EEEvT1_,comdat
.Lfunc_end179:
	.size	_ZN7rocprim17ROCPRIM_400000_NS6detail17trampoline_kernelINS0_14default_configENS1_33run_length_encode_config_selectorIhjNS0_4plusIjEEEEZZNS1_33reduce_by_key_impl_wrapped_configILNS1_25lookback_scan_determinismE0ES3_S7_PKhNS0_17constant_iteratorIjlEEPhPlSF_S6_NS0_8equal_toIhEEEE10hipError_tPvRmT2_T3_mT4_T5_T6_T7_T8_P12ihipStream_tbENKUlT_T0_E_clISt17integral_constantIbLb1EESZ_EEDaSU_SV_EUlSU_E_NS1_11comp_targetILNS1_3genE2ELNS1_11target_archE906ELNS1_3gpuE6ELNS1_3repE0EEENS1_30default_config_static_selectorELNS0_4arch9wavefront6targetE0EEEvT1_, .Lfunc_end179-_ZN7rocprim17ROCPRIM_400000_NS6detail17trampoline_kernelINS0_14default_configENS1_33run_length_encode_config_selectorIhjNS0_4plusIjEEEEZZNS1_33reduce_by_key_impl_wrapped_configILNS1_25lookback_scan_determinismE0ES3_S7_PKhNS0_17constant_iteratorIjlEEPhPlSF_S6_NS0_8equal_toIhEEEE10hipError_tPvRmT2_T3_mT4_T5_T6_T7_T8_P12ihipStream_tbENKUlT_T0_E_clISt17integral_constantIbLb1EESZ_EEDaSU_SV_EUlSU_E_NS1_11comp_targetILNS1_3genE2ELNS1_11target_archE906ELNS1_3gpuE6ELNS1_3repE0EEENS1_30default_config_static_selectorELNS0_4arch9wavefront6targetE0EEEvT1_
                                        ; -- End function
	.set _ZN7rocprim17ROCPRIM_400000_NS6detail17trampoline_kernelINS0_14default_configENS1_33run_length_encode_config_selectorIhjNS0_4plusIjEEEEZZNS1_33reduce_by_key_impl_wrapped_configILNS1_25lookback_scan_determinismE0ES3_S7_PKhNS0_17constant_iteratorIjlEEPhPlSF_S6_NS0_8equal_toIhEEEE10hipError_tPvRmT2_T3_mT4_T5_T6_T7_T8_P12ihipStream_tbENKUlT_T0_E_clISt17integral_constantIbLb1EESZ_EEDaSU_SV_EUlSU_E_NS1_11comp_targetILNS1_3genE2ELNS1_11target_archE906ELNS1_3gpuE6ELNS1_3repE0EEENS1_30default_config_static_selectorELNS0_4arch9wavefront6targetE0EEEvT1_.num_vgpr, 0
	.set _ZN7rocprim17ROCPRIM_400000_NS6detail17trampoline_kernelINS0_14default_configENS1_33run_length_encode_config_selectorIhjNS0_4plusIjEEEEZZNS1_33reduce_by_key_impl_wrapped_configILNS1_25lookback_scan_determinismE0ES3_S7_PKhNS0_17constant_iteratorIjlEEPhPlSF_S6_NS0_8equal_toIhEEEE10hipError_tPvRmT2_T3_mT4_T5_T6_T7_T8_P12ihipStream_tbENKUlT_T0_E_clISt17integral_constantIbLb1EESZ_EEDaSU_SV_EUlSU_E_NS1_11comp_targetILNS1_3genE2ELNS1_11target_archE906ELNS1_3gpuE6ELNS1_3repE0EEENS1_30default_config_static_selectorELNS0_4arch9wavefront6targetE0EEEvT1_.num_agpr, 0
	.set _ZN7rocprim17ROCPRIM_400000_NS6detail17trampoline_kernelINS0_14default_configENS1_33run_length_encode_config_selectorIhjNS0_4plusIjEEEEZZNS1_33reduce_by_key_impl_wrapped_configILNS1_25lookback_scan_determinismE0ES3_S7_PKhNS0_17constant_iteratorIjlEEPhPlSF_S6_NS0_8equal_toIhEEEE10hipError_tPvRmT2_T3_mT4_T5_T6_T7_T8_P12ihipStream_tbENKUlT_T0_E_clISt17integral_constantIbLb1EESZ_EEDaSU_SV_EUlSU_E_NS1_11comp_targetILNS1_3genE2ELNS1_11target_archE906ELNS1_3gpuE6ELNS1_3repE0EEENS1_30default_config_static_selectorELNS0_4arch9wavefront6targetE0EEEvT1_.numbered_sgpr, 0
	.set _ZN7rocprim17ROCPRIM_400000_NS6detail17trampoline_kernelINS0_14default_configENS1_33run_length_encode_config_selectorIhjNS0_4plusIjEEEEZZNS1_33reduce_by_key_impl_wrapped_configILNS1_25lookback_scan_determinismE0ES3_S7_PKhNS0_17constant_iteratorIjlEEPhPlSF_S6_NS0_8equal_toIhEEEE10hipError_tPvRmT2_T3_mT4_T5_T6_T7_T8_P12ihipStream_tbENKUlT_T0_E_clISt17integral_constantIbLb1EESZ_EEDaSU_SV_EUlSU_E_NS1_11comp_targetILNS1_3genE2ELNS1_11target_archE906ELNS1_3gpuE6ELNS1_3repE0EEENS1_30default_config_static_selectorELNS0_4arch9wavefront6targetE0EEEvT1_.num_named_barrier, 0
	.set _ZN7rocprim17ROCPRIM_400000_NS6detail17trampoline_kernelINS0_14default_configENS1_33run_length_encode_config_selectorIhjNS0_4plusIjEEEEZZNS1_33reduce_by_key_impl_wrapped_configILNS1_25lookback_scan_determinismE0ES3_S7_PKhNS0_17constant_iteratorIjlEEPhPlSF_S6_NS0_8equal_toIhEEEE10hipError_tPvRmT2_T3_mT4_T5_T6_T7_T8_P12ihipStream_tbENKUlT_T0_E_clISt17integral_constantIbLb1EESZ_EEDaSU_SV_EUlSU_E_NS1_11comp_targetILNS1_3genE2ELNS1_11target_archE906ELNS1_3gpuE6ELNS1_3repE0EEENS1_30default_config_static_selectorELNS0_4arch9wavefront6targetE0EEEvT1_.private_seg_size, 0
	.set _ZN7rocprim17ROCPRIM_400000_NS6detail17trampoline_kernelINS0_14default_configENS1_33run_length_encode_config_selectorIhjNS0_4plusIjEEEEZZNS1_33reduce_by_key_impl_wrapped_configILNS1_25lookback_scan_determinismE0ES3_S7_PKhNS0_17constant_iteratorIjlEEPhPlSF_S6_NS0_8equal_toIhEEEE10hipError_tPvRmT2_T3_mT4_T5_T6_T7_T8_P12ihipStream_tbENKUlT_T0_E_clISt17integral_constantIbLb1EESZ_EEDaSU_SV_EUlSU_E_NS1_11comp_targetILNS1_3genE2ELNS1_11target_archE906ELNS1_3gpuE6ELNS1_3repE0EEENS1_30default_config_static_selectorELNS0_4arch9wavefront6targetE0EEEvT1_.uses_vcc, 0
	.set _ZN7rocprim17ROCPRIM_400000_NS6detail17trampoline_kernelINS0_14default_configENS1_33run_length_encode_config_selectorIhjNS0_4plusIjEEEEZZNS1_33reduce_by_key_impl_wrapped_configILNS1_25lookback_scan_determinismE0ES3_S7_PKhNS0_17constant_iteratorIjlEEPhPlSF_S6_NS0_8equal_toIhEEEE10hipError_tPvRmT2_T3_mT4_T5_T6_T7_T8_P12ihipStream_tbENKUlT_T0_E_clISt17integral_constantIbLb1EESZ_EEDaSU_SV_EUlSU_E_NS1_11comp_targetILNS1_3genE2ELNS1_11target_archE906ELNS1_3gpuE6ELNS1_3repE0EEENS1_30default_config_static_selectorELNS0_4arch9wavefront6targetE0EEEvT1_.uses_flat_scratch, 0
	.set _ZN7rocprim17ROCPRIM_400000_NS6detail17trampoline_kernelINS0_14default_configENS1_33run_length_encode_config_selectorIhjNS0_4plusIjEEEEZZNS1_33reduce_by_key_impl_wrapped_configILNS1_25lookback_scan_determinismE0ES3_S7_PKhNS0_17constant_iteratorIjlEEPhPlSF_S6_NS0_8equal_toIhEEEE10hipError_tPvRmT2_T3_mT4_T5_T6_T7_T8_P12ihipStream_tbENKUlT_T0_E_clISt17integral_constantIbLb1EESZ_EEDaSU_SV_EUlSU_E_NS1_11comp_targetILNS1_3genE2ELNS1_11target_archE906ELNS1_3gpuE6ELNS1_3repE0EEENS1_30default_config_static_selectorELNS0_4arch9wavefront6targetE0EEEvT1_.has_dyn_sized_stack, 0
	.set _ZN7rocprim17ROCPRIM_400000_NS6detail17trampoline_kernelINS0_14default_configENS1_33run_length_encode_config_selectorIhjNS0_4plusIjEEEEZZNS1_33reduce_by_key_impl_wrapped_configILNS1_25lookback_scan_determinismE0ES3_S7_PKhNS0_17constant_iteratorIjlEEPhPlSF_S6_NS0_8equal_toIhEEEE10hipError_tPvRmT2_T3_mT4_T5_T6_T7_T8_P12ihipStream_tbENKUlT_T0_E_clISt17integral_constantIbLb1EESZ_EEDaSU_SV_EUlSU_E_NS1_11comp_targetILNS1_3genE2ELNS1_11target_archE906ELNS1_3gpuE6ELNS1_3repE0EEENS1_30default_config_static_selectorELNS0_4arch9wavefront6targetE0EEEvT1_.has_recursion, 0
	.set _ZN7rocprim17ROCPRIM_400000_NS6detail17trampoline_kernelINS0_14default_configENS1_33run_length_encode_config_selectorIhjNS0_4plusIjEEEEZZNS1_33reduce_by_key_impl_wrapped_configILNS1_25lookback_scan_determinismE0ES3_S7_PKhNS0_17constant_iteratorIjlEEPhPlSF_S6_NS0_8equal_toIhEEEE10hipError_tPvRmT2_T3_mT4_T5_T6_T7_T8_P12ihipStream_tbENKUlT_T0_E_clISt17integral_constantIbLb1EESZ_EEDaSU_SV_EUlSU_E_NS1_11comp_targetILNS1_3genE2ELNS1_11target_archE906ELNS1_3gpuE6ELNS1_3repE0EEENS1_30default_config_static_selectorELNS0_4arch9wavefront6targetE0EEEvT1_.has_indirect_call, 0
	.section	.AMDGPU.csdata,"",@progbits
; Kernel info:
; codeLenInByte = 0
; TotalNumSgprs: 0
; NumVgprs: 0
; ScratchSize: 0
; MemoryBound: 0
; FloatMode: 240
; IeeeMode: 1
; LDSByteSize: 0 bytes/workgroup (compile time only)
; SGPRBlocks: 0
; VGPRBlocks: 0
; NumSGPRsForWavesPerEU: 1
; NumVGPRsForWavesPerEU: 1
; NamedBarCnt: 0
; Occupancy: 16
; WaveLimiterHint : 0
; COMPUTE_PGM_RSRC2:SCRATCH_EN: 0
; COMPUTE_PGM_RSRC2:USER_SGPR: 2
; COMPUTE_PGM_RSRC2:TRAP_HANDLER: 0
; COMPUTE_PGM_RSRC2:TGID_X_EN: 1
; COMPUTE_PGM_RSRC2:TGID_Y_EN: 0
; COMPUTE_PGM_RSRC2:TGID_Z_EN: 0
; COMPUTE_PGM_RSRC2:TIDIG_COMP_CNT: 0
	.section	.text._ZN7rocprim17ROCPRIM_400000_NS6detail17trampoline_kernelINS0_14default_configENS1_33run_length_encode_config_selectorIhjNS0_4plusIjEEEEZZNS1_33reduce_by_key_impl_wrapped_configILNS1_25lookback_scan_determinismE0ES3_S7_PKhNS0_17constant_iteratorIjlEEPhPlSF_S6_NS0_8equal_toIhEEEE10hipError_tPvRmT2_T3_mT4_T5_T6_T7_T8_P12ihipStream_tbENKUlT_T0_E_clISt17integral_constantIbLb1EESZ_EEDaSU_SV_EUlSU_E_NS1_11comp_targetILNS1_3genE10ELNS1_11target_archE1201ELNS1_3gpuE5ELNS1_3repE0EEENS1_30default_config_static_selectorELNS0_4arch9wavefront6targetE0EEEvT1_,"axG",@progbits,_ZN7rocprim17ROCPRIM_400000_NS6detail17trampoline_kernelINS0_14default_configENS1_33run_length_encode_config_selectorIhjNS0_4plusIjEEEEZZNS1_33reduce_by_key_impl_wrapped_configILNS1_25lookback_scan_determinismE0ES3_S7_PKhNS0_17constant_iteratorIjlEEPhPlSF_S6_NS0_8equal_toIhEEEE10hipError_tPvRmT2_T3_mT4_T5_T6_T7_T8_P12ihipStream_tbENKUlT_T0_E_clISt17integral_constantIbLb1EESZ_EEDaSU_SV_EUlSU_E_NS1_11comp_targetILNS1_3genE10ELNS1_11target_archE1201ELNS1_3gpuE5ELNS1_3repE0EEENS1_30default_config_static_selectorELNS0_4arch9wavefront6targetE0EEEvT1_,comdat
	.protected	_ZN7rocprim17ROCPRIM_400000_NS6detail17trampoline_kernelINS0_14default_configENS1_33run_length_encode_config_selectorIhjNS0_4plusIjEEEEZZNS1_33reduce_by_key_impl_wrapped_configILNS1_25lookback_scan_determinismE0ES3_S7_PKhNS0_17constant_iteratorIjlEEPhPlSF_S6_NS0_8equal_toIhEEEE10hipError_tPvRmT2_T3_mT4_T5_T6_T7_T8_P12ihipStream_tbENKUlT_T0_E_clISt17integral_constantIbLb1EESZ_EEDaSU_SV_EUlSU_E_NS1_11comp_targetILNS1_3genE10ELNS1_11target_archE1201ELNS1_3gpuE5ELNS1_3repE0EEENS1_30default_config_static_selectorELNS0_4arch9wavefront6targetE0EEEvT1_ ; -- Begin function _ZN7rocprim17ROCPRIM_400000_NS6detail17trampoline_kernelINS0_14default_configENS1_33run_length_encode_config_selectorIhjNS0_4plusIjEEEEZZNS1_33reduce_by_key_impl_wrapped_configILNS1_25lookback_scan_determinismE0ES3_S7_PKhNS0_17constant_iteratorIjlEEPhPlSF_S6_NS0_8equal_toIhEEEE10hipError_tPvRmT2_T3_mT4_T5_T6_T7_T8_P12ihipStream_tbENKUlT_T0_E_clISt17integral_constantIbLb1EESZ_EEDaSU_SV_EUlSU_E_NS1_11comp_targetILNS1_3genE10ELNS1_11target_archE1201ELNS1_3gpuE5ELNS1_3repE0EEENS1_30default_config_static_selectorELNS0_4arch9wavefront6targetE0EEEvT1_
	.globl	_ZN7rocprim17ROCPRIM_400000_NS6detail17trampoline_kernelINS0_14default_configENS1_33run_length_encode_config_selectorIhjNS0_4plusIjEEEEZZNS1_33reduce_by_key_impl_wrapped_configILNS1_25lookback_scan_determinismE0ES3_S7_PKhNS0_17constant_iteratorIjlEEPhPlSF_S6_NS0_8equal_toIhEEEE10hipError_tPvRmT2_T3_mT4_T5_T6_T7_T8_P12ihipStream_tbENKUlT_T0_E_clISt17integral_constantIbLb1EESZ_EEDaSU_SV_EUlSU_E_NS1_11comp_targetILNS1_3genE10ELNS1_11target_archE1201ELNS1_3gpuE5ELNS1_3repE0EEENS1_30default_config_static_selectorELNS0_4arch9wavefront6targetE0EEEvT1_
	.p2align	8
	.type	_ZN7rocprim17ROCPRIM_400000_NS6detail17trampoline_kernelINS0_14default_configENS1_33run_length_encode_config_selectorIhjNS0_4plusIjEEEEZZNS1_33reduce_by_key_impl_wrapped_configILNS1_25lookback_scan_determinismE0ES3_S7_PKhNS0_17constant_iteratorIjlEEPhPlSF_S6_NS0_8equal_toIhEEEE10hipError_tPvRmT2_T3_mT4_T5_T6_T7_T8_P12ihipStream_tbENKUlT_T0_E_clISt17integral_constantIbLb1EESZ_EEDaSU_SV_EUlSU_E_NS1_11comp_targetILNS1_3genE10ELNS1_11target_archE1201ELNS1_3gpuE5ELNS1_3repE0EEENS1_30default_config_static_selectorELNS0_4arch9wavefront6targetE0EEEvT1_,@function
_ZN7rocprim17ROCPRIM_400000_NS6detail17trampoline_kernelINS0_14default_configENS1_33run_length_encode_config_selectorIhjNS0_4plusIjEEEEZZNS1_33reduce_by_key_impl_wrapped_configILNS1_25lookback_scan_determinismE0ES3_S7_PKhNS0_17constant_iteratorIjlEEPhPlSF_S6_NS0_8equal_toIhEEEE10hipError_tPvRmT2_T3_mT4_T5_T6_T7_T8_P12ihipStream_tbENKUlT_T0_E_clISt17integral_constantIbLb1EESZ_EEDaSU_SV_EUlSU_E_NS1_11comp_targetILNS1_3genE10ELNS1_11target_archE1201ELNS1_3gpuE5ELNS1_3repE0EEENS1_30default_config_static_selectorELNS0_4arch9wavefront6targetE0EEEvT1_: ; @_ZN7rocprim17ROCPRIM_400000_NS6detail17trampoline_kernelINS0_14default_configENS1_33run_length_encode_config_selectorIhjNS0_4plusIjEEEEZZNS1_33reduce_by_key_impl_wrapped_configILNS1_25lookback_scan_determinismE0ES3_S7_PKhNS0_17constant_iteratorIjlEEPhPlSF_S6_NS0_8equal_toIhEEEE10hipError_tPvRmT2_T3_mT4_T5_T6_T7_T8_P12ihipStream_tbENKUlT_T0_E_clISt17integral_constantIbLb1EESZ_EEDaSU_SV_EUlSU_E_NS1_11comp_targetILNS1_3genE10ELNS1_11target_archE1201ELNS1_3gpuE5ELNS1_3repE0EEENS1_30default_config_static_selectorELNS0_4arch9wavefront6targetE0EEEvT1_
; %bb.0:
	.section	.rodata,"a",@progbits
	.p2align	6, 0x0
	.amdhsa_kernel _ZN7rocprim17ROCPRIM_400000_NS6detail17trampoline_kernelINS0_14default_configENS1_33run_length_encode_config_selectorIhjNS0_4plusIjEEEEZZNS1_33reduce_by_key_impl_wrapped_configILNS1_25lookback_scan_determinismE0ES3_S7_PKhNS0_17constant_iteratorIjlEEPhPlSF_S6_NS0_8equal_toIhEEEE10hipError_tPvRmT2_T3_mT4_T5_T6_T7_T8_P12ihipStream_tbENKUlT_T0_E_clISt17integral_constantIbLb1EESZ_EEDaSU_SV_EUlSU_E_NS1_11comp_targetILNS1_3genE10ELNS1_11target_archE1201ELNS1_3gpuE5ELNS1_3repE0EEENS1_30default_config_static_selectorELNS0_4arch9wavefront6targetE0EEEvT1_
		.amdhsa_group_segment_fixed_size 0
		.amdhsa_private_segment_fixed_size 0
		.amdhsa_kernarg_size 128
		.amdhsa_user_sgpr_count 2
		.amdhsa_user_sgpr_dispatch_ptr 0
		.amdhsa_user_sgpr_queue_ptr 0
		.amdhsa_user_sgpr_kernarg_segment_ptr 1
		.amdhsa_user_sgpr_dispatch_id 0
		.amdhsa_user_sgpr_kernarg_preload_length 0
		.amdhsa_user_sgpr_kernarg_preload_offset 0
		.amdhsa_user_sgpr_private_segment_size 0
		.amdhsa_wavefront_size32 1
		.amdhsa_uses_dynamic_stack 0
		.amdhsa_enable_private_segment 0
		.amdhsa_system_sgpr_workgroup_id_x 1
		.amdhsa_system_sgpr_workgroup_id_y 0
		.amdhsa_system_sgpr_workgroup_id_z 0
		.amdhsa_system_sgpr_workgroup_info 0
		.amdhsa_system_vgpr_workitem_id 0
		.amdhsa_next_free_vgpr 1
		.amdhsa_next_free_sgpr 1
		.amdhsa_named_barrier_count 0
		.amdhsa_reserve_vcc 0
		.amdhsa_float_round_mode_32 0
		.amdhsa_float_round_mode_16_64 0
		.amdhsa_float_denorm_mode_32 3
		.amdhsa_float_denorm_mode_16_64 3
		.amdhsa_fp16_overflow 0
		.amdhsa_memory_ordered 1
		.amdhsa_forward_progress 1
		.amdhsa_inst_pref_size 0
		.amdhsa_round_robin_scheduling 0
		.amdhsa_exception_fp_ieee_invalid_op 0
		.amdhsa_exception_fp_denorm_src 0
		.amdhsa_exception_fp_ieee_div_zero 0
		.amdhsa_exception_fp_ieee_overflow 0
		.amdhsa_exception_fp_ieee_underflow 0
		.amdhsa_exception_fp_ieee_inexact 0
		.amdhsa_exception_int_div_zero 0
	.end_amdhsa_kernel
	.section	.text._ZN7rocprim17ROCPRIM_400000_NS6detail17trampoline_kernelINS0_14default_configENS1_33run_length_encode_config_selectorIhjNS0_4plusIjEEEEZZNS1_33reduce_by_key_impl_wrapped_configILNS1_25lookback_scan_determinismE0ES3_S7_PKhNS0_17constant_iteratorIjlEEPhPlSF_S6_NS0_8equal_toIhEEEE10hipError_tPvRmT2_T3_mT4_T5_T6_T7_T8_P12ihipStream_tbENKUlT_T0_E_clISt17integral_constantIbLb1EESZ_EEDaSU_SV_EUlSU_E_NS1_11comp_targetILNS1_3genE10ELNS1_11target_archE1201ELNS1_3gpuE5ELNS1_3repE0EEENS1_30default_config_static_selectorELNS0_4arch9wavefront6targetE0EEEvT1_,"axG",@progbits,_ZN7rocprim17ROCPRIM_400000_NS6detail17trampoline_kernelINS0_14default_configENS1_33run_length_encode_config_selectorIhjNS0_4plusIjEEEEZZNS1_33reduce_by_key_impl_wrapped_configILNS1_25lookback_scan_determinismE0ES3_S7_PKhNS0_17constant_iteratorIjlEEPhPlSF_S6_NS0_8equal_toIhEEEE10hipError_tPvRmT2_T3_mT4_T5_T6_T7_T8_P12ihipStream_tbENKUlT_T0_E_clISt17integral_constantIbLb1EESZ_EEDaSU_SV_EUlSU_E_NS1_11comp_targetILNS1_3genE10ELNS1_11target_archE1201ELNS1_3gpuE5ELNS1_3repE0EEENS1_30default_config_static_selectorELNS0_4arch9wavefront6targetE0EEEvT1_,comdat
.Lfunc_end180:
	.size	_ZN7rocprim17ROCPRIM_400000_NS6detail17trampoline_kernelINS0_14default_configENS1_33run_length_encode_config_selectorIhjNS0_4plusIjEEEEZZNS1_33reduce_by_key_impl_wrapped_configILNS1_25lookback_scan_determinismE0ES3_S7_PKhNS0_17constant_iteratorIjlEEPhPlSF_S6_NS0_8equal_toIhEEEE10hipError_tPvRmT2_T3_mT4_T5_T6_T7_T8_P12ihipStream_tbENKUlT_T0_E_clISt17integral_constantIbLb1EESZ_EEDaSU_SV_EUlSU_E_NS1_11comp_targetILNS1_3genE10ELNS1_11target_archE1201ELNS1_3gpuE5ELNS1_3repE0EEENS1_30default_config_static_selectorELNS0_4arch9wavefront6targetE0EEEvT1_, .Lfunc_end180-_ZN7rocprim17ROCPRIM_400000_NS6detail17trampoline_kernelINS0_14default_configENS1_33run_length_encode_config_selectorIhjNS0_4plusIjEEEEZZNS1_33reduce_by_key_impl_wrapped_configILNS1_25lookback_scan_determinismE0ES3_S7_PKhNS0_17constant_iteratorIjlEEPhPlSF_S6_NS0_8equal_toIhEEEE10hipError_tPvRmT2_T3_mT4_T5_T6_T7_T8_P12ihipStream_tbENKUlT_T0_E_clISt17integral_constantIbLb1EESZ_EEDaSU_SV_EUlSU_E_NS1_11comp_targetILNS1_3genE10ELNS1_11target_archE1201ELNS1_3gpuE5ELNS1_3repE0EEENS1_30default_config_static_selectorELNS0_4arch9wavefront6targetE0EEEvT1_
                                        ; -- End function
	.set _ZN7rocprim17ROCPRIM_400000_NS6detail17trampoline_kernelINS0_14default_configENS1_33run_length_encode_config_selectorIhjNS0_4plusIjEEEEZZNS1_33reduce_by_key_impl_wrapped_configILNS1_25lookback_scan_determinismE0ES3_S7_PKhNS0_17constant_iteratorIjlEEPhPlSF_S6_NS0_8equal_toIhEEEE10hipError_tPvRmT2_T3_mT4_T5_T6_T7_T8_P12ihipStream_tbENKUlT_T0_E_clISt17integral_constantIbLb1EESZ_EEDaSU_SV_EUlSU_E_NS1_11comp_targetILNS1_3genE10ELNS1_11target_archE1201ELNS1_3gpuE5ELNS1_3repE0EEENS1_30default_config_static_selectorELNS0_4arch9wavefront6targetE0EEEvT1_.num_vgpr, 0
	.set _ZN7rocprim17ROCPRIM_400000_NS6detail17trampoline_kernelINS0_14default_configENS1_33run_length_encode_config_selectorIhjNS0_4plusIjEEEEZZNS1_33reduce_by_key_impl_wrapped_configILNS1_25lookback_scan_determinismE0ES3_S7_PKhNS0_17constant_iteratorIjlEEPhPlSF_S6_NS0_8equal_toIhEEEE10hipError_tPvRmT2_T3_mT4_T5_T6_T7_T8_P12ihipStream_tbENKUlT_T0_E_clISt17integral_constantIbLb1EESZ_EEDaSU_SV_EUlSU_E_NS1_11comp_targetILNS1_3genE10ELNS1_11target_archE1201ELNS1_3gpuE5ELNS1_3repE0EEENS1_30default_config_static_selectorELNS0_4arch9wavefront6targetE0EEEvT1_.num_agpr, 0
	.set _ZN7rocprim17ROCPRIM_400000_NS6detail17trampoline_kernelINS0_14default_configENS1_33run_length_encode_config_selectorIhjNS0_4plusIjEEEEZZNS1_33reduce_by_key_impl_wrapped_configILNS1_25lookback_scan_determinismE0ES3_S7_PKhNS0_17constant_iteratorIjlEEPhPlSF_S6_NS0_8equal_toIhEEEE10hipError_tPvRmT2_T3_mT4_T5_T6_T7_T8_P12ihipStream_tbENKUlT_T0_E_clISt17integral_constantIbLb1EESZ_EEDaSU_SV_EUlSU_E_NS1_11comp_targetILNS1_3genE10ELNS1_11target_archE1201ELNS1_3gpuE5ELNS1_3repE0EEENS1_30default_config_static_selectorELNS0_4arch9wavefront6targetE0EEEvT1_.numbered_sgpr, 0
	.set _ZN7rocprim17ROCPRIM_400000_NS6detail17trampoline_kernelINS0_14default_configENS1_33run_length_encode_config_selectorIhjNS0_4plusIjEEEEZZNS1_33reduce_by_key_impl_wrapped_configILNS1_25lookback_scan_determinismE0ES3_S7_PKhNS0_17constant_iteratorIjlEEPhPlSF_S6_NS0_8equal_toIhEEEE10hipError_tPvRmT2_T3_mT4_T5_T6_T7_T8_P12ihipStream_tbENKUlT_T0_E_clISt17integral_constantIbLb1EESZ_EEDaSU_SV_EUlSU_E_NS1_11comp_targetILNS1_3genE10ELNS1_11target_archE1201ELNS1_3gpuE5ELNS1_3repE0EEENS1_30default_config_static_selectorELNS0_4arch9wavefront6targetE0EEEvT1_.num_named_barrier, 0
	.set _ZN7rocprim17ROCPRIM_400000_NS6detail17trampoline_kernelINS0_14default_configENS1_33run_length_encode_config_selectorIhjNS0_4plusIjEEEEZZNS1_33reduce_by_key_impl_wrapped_configILNS1_25lookback_scan_determinismE0ES3_S7_PKhNS0_17constant_iteratorIjlEEPhPlSF_S6_NS0_8equal_toIhEEEE10hipError_tPvRmT2_T3_mT4_T5_T6_T7_T8_P12ihipStream_tbENKUlT_T0_E_clISt17integral_constantIbLb1EESZ_EEDaSU_SV_EUlSU_E_NS1_11comp_targetILNS1_3genE10ELNS1_11target_archE1201ELNS1_3gpuE5ELNS1_3repE0EEENS1_30default_config_static_selectorELNS0_4arch9wavefront6targetE0EEEvT1_.private_seg_size, 0
	.set _ZN7rocprim17ROCPRIM_400000_NS6detail17trampoline_kernelINS0_14default_configENS1_33run_length_encode_config_selectorIhjNS0_4plusIjEEEEZZNS1_33reduce_by_key_impl_wrapped_configILNS1_25lookback_scan_determinismE0ES3_S7_PKhNS0_17constant_iteratorIjlEEPhPlSF_S6_NS0_8equal_toIhEEEE10hipError_tPvRmT2_T3_mT4_T5_T6_T7_T8_P12ihipStream_tbENKUlT_T0_E_clISt17integral_constantIbLb1EESZ_EEDaSU_SV_EUlSU_E_NS1_11comp_targetILNS1_3genE10ELNS1_11target_archE1201ELNS1_3gpuE5ELNS1_3repE0EEENS1_30default_config_static_selectorELNS0_4arch9wavefront6targetE0EEEvT1_.uses_vcc, 0
	.set _ZN7rocprim17ROCPRIM_400000_NS6detail17trampoline_kernelINS0_14default_configENS1_33run_length_encode_config_selectorIhjNS0_4plusIjEEEEZZNS1_33reduce_by_key_impl_wrapped_configILNS1_25lookback_scan_determinismE0ES3_S7_PKhNS0_17constant_iteratorIjlEEPhPlSF_S6_NS0_8equal_toIhEEEE10hipError_tPvRmT2_T3_mT4_T5_T6_T7_T8_P12ihipStream_tbENKUlT_T0_E_clISt17integral_constantIbLb1EESZ_EEDaSU_SV_EUlSU_E_NS1_11comp_targetILNS1_3genE10ELNS1_11target_archE1201ELNS1_3gpuE5ELNS1_3repE0EEENS1_30default_config_static_selectorELNS0_4arch9wavefront6targetE0EEEvT1_.uses_flat_scratch, 0
	.set _ZN7rocprim17ROCPRIM_400000_NS6detail17trampoline_kernelINS0_14default_configENS1_33run_length_encode_config_selectorIhjNS0_4plusIjEEEEZZNS1_33reduce_by_key_impl_wrapped_configILNS1_25lookback_scan_determinismE0ES3_S7_PKhNS0_17constant_iteratorIjlEEPhPlSF_S6_NS0_8equal_toIhEEEE10hipError_tPvRmT2_T3_mT4_T5_T6_T7_T8_P12ihipStream_tbENKUlT_T0_E_clISt17integral_constantIbLb1EESZ_EEDaSU_SV_EUlSU_E_NS1_11comp_targetILNS1_3genE10ELNS1_11target_archE1201ELNS1_3gpuE5ELNS1_3repE0EEENS1_30default_config_static_selectorELNS0_4arch9wavefront6targetE0EEEvT1_.has_dyn_sized_stack, 0
	.set _ZN7rocprim17ROCPRIM_400000_NS6detail17trampoline_kernelINS0_14default_configENS1_33run_length_encode_config_selectorIhjNS0_4plusIjEEEEZZNS1_33reduce_by_key_impl_wrapped_configILNS1_25lookback_scan_determinismE0ES3_S7_PKhNS0_17constant_iteratorIjlEEPhPlSF_S6_NS0_8equal_toIhEEEE10hipError_tPvRmT2_T3_mT4_T5_T6_T7_T8_P12ihipStream_tbENKUlT_T0_E_clISt17integral_constantIbLb1EESZ_EEDaSU_SV_EUlSU_E_NS1_11comp_targetILNS1_3genE10ELNS1_11target_archE1201ELNS1_3gpuE5ELNS1_3repE0EEENS1_30default_config_static_selectorELNS0_4arch9wavefront6targetE0EEEvT1_.has_recursion, 0
	.set _ZN7rocprim17ROCPRIM_400000_NS6detail17trampoline_kernelINS0_14default_configENS1_33run_length_encode_config_selectorIhjNS0_4plusIjEEEEZZNS1_33reduce_by_key_impl_wrapped_configILNS1_25lookback_scan_determinismE0ES3_S7_PKhNS0_17constant_iteratorIjlEEPhPlSF_S6_NS0_8equal_toIhEEEE10hipError_tPvRmT2_T3_mT4_T5_T6_T7_T8_P12ihipStream_tbENKUlT_T0_E_clISt17integral_constantIbLb1EESZ_EEDaSU_SV_EUlSU_E_NS1_11comp_targetILNS1_3genE10ELNS1_11target_archE1201ELNS1_3gpuE5ELNS1_3repE0EEENS1_30default_config_static_selectorELNS0_4arch9wavefront6targetE0EEEvT1_.has_indirect_call, 0
	.section	.AMDGPU.csdata,"",@progbits
; Kernel info:
; codeLenInByte = 0
; TotalNumSgprs: 0
; NumVgprs: 0
; ScratchSize: 0
; MemoryBound: 0
; FloatMode: 240
; IeeeMode: 1
; LDSByteSize: 0 bytes/workgroup (compile time only)
; SGPRBlocks: 0
; VGPRBlocks: 0
; NumSGPRsForWavesPerEU: 1
; NumVGPRsForWavesPerEU: 1
; NamedBarCnt: 0
; Occupancy: 16
; WaveLimiterHint : 0
; COMPUTE_PGM_RSRC2:SCRATCH_EN: 0
; COMPUTE_PGM_RSRC2:USER_SGPR: 2
; COMPUTE_PGM_RSRC2:TRAP_HANDLER: 0
; COMPUTE_PGM_RSRC2:TGID_X_EN: 1
; COMPUTE_PGM_RSRC2:TGID_Y_EN: 0
; COMPUTE_PGM_RSRC2:TGID_Z_EN: 0
; COMPUTE_PGM_RSRC2:TIDIG_COMP_CNT: 0
	.section	.text._ZN7rocprim17ROCPRIM_400000_NS6detail17trampoline_kernelINS0_14default_configENS1_33run_length_encode_config_selectorIhjNS0_4plusIjEEEEZZNS1_33reduce_by_key_impl_wrapped_configILNS1_25lookback_scan_determinismE0ES3_S7_PKhNS0_17constant_iteratorIjlEEPhPlSF_S6_NS0_8equal_toIhEEEE10hipError_tPvRmT2_T3_mT4_T5_T6_T7_T8_P12ihipStream_tbENKUlT_T0_E_clISt17integral_constantIbLb1EESZ_EEDaSU_SV_EUlSU_E_NS1_11comp_targetILNS1_3genE10ELNS1_11target_archE1200ELNS1_3gpuE4ELNS1_3repE0EEENS1_30default_config_static_selectorELNS0_4arch9wavefront6targetE0EEEvT1_,"axG",@progbits,_ZN7rocprim17ROCPRIM_400000_NS6detail17trampoline_kernelINS0_14default_configENS1_33run_length_encode_config_selectorIhjNS0_4plusIjEEEEZZNS1_33reduce_by_key_impl_wrapped_configILNS1_25lookback_scan_determinismE0ES3_S7_PKhNS0_17constant_iteratorIjlEEPhPlSF_S6_NS0_8equal_toIhEEEE10hipError_tPvRmT2_T3_mT4_T5_T6_T7_T8_P12ihipStream_tbENKUlT_T0_E_clISt17integral_constantIbLb1EESZ_EEDaSU_SV_EUlSU_E_NS1_11comp_targetILNS1_3genE10ELNS1_11target_archE1200ELNS1_3gpuE4ELNS1_3repE0EEENS1_30default_config_static_selectorELNS0_4arch9wavefront6targetE0EEEvT1_,comdat
	.protected	_ZN7rocprim17ROCPRIM_400000_NS6detail17trampoline_kernelINS0_14default_configENS1_33run_length_encode_config_selectorIhjNS0_4plusIjEEEEZZNS1_33reduce_by_key_impl_wrapped_configILNS1_25lookback_scan_determinismE0ES3_S7_PKhNS0_17constant_iteratorIjlEEPhPlSF_S6_NS0_8equal_toIhEEEE10hipError_tPvRmT2_T3_mT4_T5_T6_T7_T8_P12ihipStream_tbENKUlT_T0_E_clISt17integral_constantIbLb1EESZ_EEDaSU_SV_EUlSU_E_NS1_11comp_targetILNS1_3genE10ELNS1_11target_archE1200ELNS1_3gpuE4ELNS1_3repE0EEENS1_30default_config_static_selectorELNS0_4arch9wavefront6targetE0EEEvT1_ ; -- Begin function _ZN7rocprim17ROCPRIM_400000_NS6detail17trampoline_kernelINS0_14default_configENS1_33run_length_encode_config_selectorIhjNS0_4plusIjEEEEZZNS1_33reduce_by_key_impl_wrapped_configILNS1_25lookback_scan_determinismE0ES3_S7_PKhNS0_17constant_iteratorIjlEEPhPlSF_S6_NS0_8equal_toIhEEEE10hipError_tPvRmT2_T3_mT4_T5_T6_T7_T8_P12ihipStream_tbENKUlT_T0_E_clISt17integral_constantIbLb1EESZ_EEDaSU_SV_EUlSU_E_NS1_11comp_targetILNS1_3genE10ELNS1_11target_archE1200ELNS1_3gpuE4ELNS1_3repE0EEENS1_30default_config_static_selectorELNS0_4arch9wavefront6targetE0EEEvT1_
	.globl	_ZN7rocprim17ROCPRIM_400000_NS6detail17trampoline_kernelINS0_14default_configENS1_33run_length_encode_config_selectorIhjNS0_4plusIjEEEEZZNS1_33reduce_by_key_impl_wrapped_configILNS1_25lookback_scan_determinismE0ES3_S7_PKhNS0_17constant_iteratorIjlEEPhPlSF_S6_NS0_8equal_toIhEEEE10hipError_tPvRmT2_T3_mT4_T5_T6_T7_T8_P12ihipStream_tbENKUlT_T0_E_clISt17integral_constantIbLb1EESZ_EEDaSU_SV_EUlSU_E_NS1_11comp_targetILNS1_3genE10ELNS1_11target_archE1200ELNS1_3gpuE4ELNS1_3repE0EEENS1_30default_config_static_selectorELNS0_4arch9wavefront6targetE0EEEvT1_
	.p2align	8
	.type	_ZN7rocprim17ROCPRIM_400000_NS6detail17trampoline_kernelINS0_14default_configENS1_33run_length_encode_config_selectorIhjNS0_4plusIjEEEEZZNS1_33reduce_by_key_impl_wrapped_configILNS1_25lookback_scan_determinismE0ES3_S7_PKhNS0_17constant_iteratorIjlEEPhPlSF_S6_NS0_8equal_toIhEEEE10hipError_tPvRmT2_T3_mT4_T5_T6_T7_T8_P12ihipStream_tbENKUlT_T0_E_clISt17integral_constantIbLb1EESZ_EEDaSU_SV_EUlSU_E_NS1_11comp_targetILNS1_3genE10ELNS1_11target_archE1200ELNS1_3gpuE4ELNS1_3repE0EEENS1_30default_config_static_selectorELNS0_4arch9wavefront6targetE0EEEvT1_,@function
_ZN7rocprim17ROCPRIM_400000_NS6detail17trampoline_kernelINS0_14default_configENS1_33run_length_encode_config_selectorIhjNS0_4plusIjEEEEZZNS1_33reduce_by_key_impl_wrapped_configILNS1_25lookback_scan_determinismE0ES3_S7_PKhNS0_17constant_iteratorIjlEEPhPlSF_S6_NS0_8equal_toIhEEEE10hipError_tPvRmT2_T3_mT4_T5_T6_T7_T8_P12ihipStream_tbENKUlT_T0_E_clISt17integral_constantIbLb1EESZ_EEDaSU_SV_EUlSU_E_NS1_11comp_targetILNS1_3genE10ELNS1_11target_archE1200ELNS1_3gpuE4ELNS1_3repE0EEENS1_30default_config_static_selectorELNS0_4arch9wavefront6targetE0EEEvT1_: ; @_ZN7rocprim17ROCPRIM_400000_NS6detail17trampoline_kernelINS0_14default_configENS1_33run_length_encode_config_selectorIhjNS0_4plusIjEEEEZZNS1_33reduce_by_key_impl_wrapped_configILNS1_25lookback_scan_determinismE0ES3_S7_PKhNS0_17constant_iteratorIjlEEPhPlSF_S6_NS0_8equal_toIhEEEE10hipError_tPvRmT2_T3_mT4_T5_T6_T7_T8_P12ihipStream_tbENKUlT_T0_E_clISt17integral_constantIbLb1EESZ_EEDaSU_SV_EUlSU_E_NS1_11comp_targetILNS1_3genE10ELNS1_11target_archE1200ELNS1_3gpuE4ELNS1_3repE0EEENS1_30default_config_static_selectorELNS0_4arch9wavefront6targetE0EEEvT1_
; %bb.0:
	.section	.rodata,"a",@progbits
	.p2align	6, 0x0
	.amdhsa_kernel _ZN7rocprim17ROCPRIM_400000_NS6detail17trampoline_kernelINS0_14default_configENS1_33run_length_encode_config_selectorIhjNS0_4plusIjEEEEZZNS1_33reduce_by_key_impl_wrapped_configILNS1_25lookback_scan_determinismE0ES3_S7_PKhNS0_17constant_iteratorIjlEEPhPlSF_S6_NS0_8equal_toIhEEEE10hipError_tPvRmT2_T3_mT4_T5_T6_T7_T8_P12ihipStream_tbENKUlT_T0_E_clISt17integral_constantIbLb1EESZ_EEDaSU_SV_EUlSU_E_NS1_11comp_targetILNS1_3genE10ELNS1_11target_archE1200ELNS1_3gpuE4ELNS1_3repE0EEENS1_30default_config_static_selectorELNS0_4arch9wavefront6targetE0EEEvT1_
		.amdhsa_group_segment_fixed_size 0
		.amdhsa_private_segment_fixed_size 0
		.amdhsa_kernarg_size 128
		.amdhsa_user_sgpr_count 2
		.amdhsa_user_sgpr_dispatch_ptr 0
		.amdhsa_user_sgpr_queue_ptr 0
		.amdhsa_user_sgpr_kernarg_segment_ptr 1
		.amdhsa_user_sgpr_dispatch_id 0
		.amdhsa_user_sgpr_kernarg_preload_length 0
		.amdhsa_user_sgpr_kernarg_preload_offset 0
		.amdhsa_user_sgpr_private_segment_size 0
		.amdhsa_wavefront_size32 1
		.amdhsa_uses_dynamic_stack 0
		.amdhsa_enable_private_segment 0
		.amdhsa_system_sgpr_workgroup_id_x 1
		.amdhsa_system_sgpr_workgroup_id_y 0
		.amdhsa_system_sgpr_workgroup_id_z 0
		.amdhsa_system_sgpr_workgroup_info 0
		.amdhsa_system_vgpr_workitem_id 0
		.amdhsa_next_free_vgpr 1
		.amdhsa_next_free_sgpr 1
		.amdhsa_named_barrier_count 0
		.amdhsa_reserve_vcc 0
		.amdhsa_float_round_mode_32 0
		.amdhsa_float_round_mode_16_64 0
		.amdhsa_float_denorm_mode_32 3
		.amdhsa_float_denorm_mode_16_64 3
		.amdhsa_fp16_overflow 0
		.amdhsa_memory_ordered 1
		.amdhsa_forward_progress 1
		.amdhsa_inst_pref_size 0
		.amdhsa_round_robin_scheduling 0
		.amdhsa_exception_fp_ieee_invalid_op 0
		.amdhsa_exception_fp_denorm_src 0
		.amdhsa_exception_fp_ieee_div_zero 0
		.amdhsa_exception_fp_ieee_overflow 0
		.amdhsa_exception_fp_ieee_underflow 0
		.amdhsa_exception_fp_ieee_inexact 0
		.amdhsa_exception_int_div_zero 0
	.end_amdhsa_kernel
	.section	.text._ZN7rocprim17ROCPRIM_400000_NS6detail17trampoline_kernelINS0_14default_configENS1_33run_length_encode_config_selectorIhjNS0_4plusIjEEEEZZNS1_33reduce_by_key_impl_wrapped_configILNS1_25lookback_scan_determinismE0ES3_S7_PKhNS0_17constant_iteratorIjlEEPhPlSF_S6_NS0_8equal_toIhEEEE10hipError_tPvRmT2_T3_mT4_T5_T6_T7_T8_P12ihipStream_tbENKUlT_T0_E_clISt17integral_constantIbLb1EESZ_EEDaSU_SV_EUlSU_E_NS1_11comp_targetILNS1_3genE10ELNS1_11target_archE1200ELNS1_3gpuE4ELNS1_3repE0EEENS1_30default_config_static_selectorELNS0_4arch9wavefront6targetE0EEEvT1_,"axG",@progbits,_ZN7rocprim17ROCPRIM_400000_NS6detail17trampoline_kernelINS0_14default_configENS1_33run_length_encode_config_selectorIhjNS0_4plusIjEEEEZZNS1_33reduce_by_key_impl_wrapped_configILNS1_25lookback_scan_determinismE0ES3_S7_PKhNS0_17constant_iteratorIjlEEPhPlSF_S6_NS0_8equal_toIhEEEE10hipError_tPvRmT2_T3_mT4_T5_T6_T7_T8_P12ihipStream_tbENKUlT_T0_E_clISt17integral_constantIbLb1EESZ_EEDaSU_SV_EUlSU_E_NS1_11comp_targetILNS1_3genE10ELNS1_11target_archE1200ELNS1_3gpuE4ELNS1_3repE0EEENS1_30default_config_static_selectorELNS0_4arch9wavefront6targetE0EEEvT1_,comdat
.Lfunc_end181:
	.size	_ZN7rocprim17ROCPRIM_400000_NS6detail17trampoline_kernelINS0_14default_configENS1_33run_length_encode_config_selectorIhjNS0_4plusIjEEEEZZNS1_33reduce_by_key_impl_wrapped_configILNS1_25lookback_scan_determinismE0ES3_S7_PKhNS0_17constant_iteratorIjlEEPhPlSF_S6_NS0_8equal_toIhEEEE10hipError_tPvRmT2_T3_mT4_T5_T6_T7_T8_P12ihipStream_tbENKUlT_T0_E_clISt17integral_constantIbLb1EESZ_EEDaSU_SV_EUlSU_E_NS1_11comp_targetILNS1_3genE10ELNS1_11target_archE1200ELNS1_3gpuE4ELNS1_3repE0EEENS1_30default_config_static_selectorELNS0_4arch9wavefront6targetE0EEEvT1_, .Lfunc_end181-_ZN7rocprim17ROCPRIM_400000_NS6detail17trampoline_kernelINS0_14default_configENS1_33run_length_encode_config_selectorIhjNS0_4plusIjEEEEZZNS1_33reduce_by_key_impl_wrapped_configILNS1_25lookback_scan_determinismE0ES3_S7_PKhNS0_17constant_iteratorIjlEEPhPlSF_S6_NS0_8equal_toIhEEEE10hipError_tPvRmT2_T3_mT4_T5_T6_T7_T8_P12ihipStream_tbENKUlT_T0_E_clISt17integral_constantIbLb1EESZ_EEDaSU_SV_EUlSU_E_NS1_11comp_targetILNS1_3genE10ELNS1_11target_archE1200ELNS1_3gpuE4ELNS1_3repE0EEENS1_30default_config_static_selectorELNS0_4arch9wavefront6targetE0EEEvT1_
                                        ; -- End function
	.set _ZN7rocprim17ROCPRIM_400000_NS6detail17trampoline_kernelINS0_14default_configENS1_33run_length_encode_config_selectorIhjNS0_4plusIjEEEEZZNS1_33reduce_by_key_impl_wrapped_configILNS1_25lookback_scan_determinismE0ES3_S7_PKhNS0_17constant_iteratorIjlEEPhPlSF_S6_NS0_8equal_toIhEEEE10hipError_tPvRmT2_T3_mT4_T5_T6_T7_T8_P12ihipStream_tbENKUlT_T0_E_clISt17integral_constantIbLb1EESZ_EEDaSU_SV_EUlSU_E_NS1_11comp_targetILNS1_3genE10ELNS1_11target_archE1200ELNS1_3gpuE4ELNS1_3repE0EEENS1_30default_config_static_selectorELNS0_4arch9wavefront6targetE0EEEvT1_.num_vgpr, 0
	.set _ZN7rocprim17ROCPRIM_400000_NS6detail17trampoline_kernelINS0_14default_configENS1_33run_length_encode_config_selectorIhjNS0_4plusIjEEEEZZNS1_33reduce_by_key_impl_wrapped_configILNS1_25lookback_scan_determinismE0ES3_S7_PKhNS0_17constant_iteratorIjlEEPhPlSF_S6_NS0_8equal_toIhEEEE10hipError_tPvRmT2_T3_mT4_T5_T6_T7_T8_P12ihipStream_tbENKUlT_T0_E_clISt17integral_constantIbLb1EESZ_EEDaSU_SV_EUlSU_E_NS1_11comp_targetILNS1_3genE10ELNS1_11target_archE1200ELNS1_3gpuE4ELNS1_3repE0EEENS1_30default_config_static_selectorELNS0_4arch9wavefront6targetE0EEEvT1_.num_agpr, 0
	.set _ZN7rocprim17ROCPRIM_400000_NS6detail17trampoline_kernelINS0_14default_configENS1_33run_length_encode_config_selectorIhjNS0_4plusIjEEEEZZNS1_33reduce_by_key_impl_wrapped_configILNS1_25lookback_scan_determinismE0ES3_S7_PKhNS0_17constant_iteratorIjlEEPhPlSF_S6_NS0_8equal_toIhEEEE10hipError_tPvRmT2_T3_mT4_T5_T6_T7_T8_P12ihipStream_tbENKUlT_T0_E_clISt17integral_constantIbLb1EESZ_EEDaSU_SV_EUlSU_E_NS1_11comp_targetILNS1_3genE10ELNS1_11target_archE1200ELNS1_3gpuE4ELNS1_3repE0EEENS1_30default_config_static_selectorELNS0_4arch9wavefront6targetE0EEEvT1_.numbered_sgpr, 0
	.set _ZN7rocprim17ROCPRIM_400000_NS6detail17trampoline_kernelINS0_14default_configENS1_33run_length_encode_config_selectorIhjNS0_4plusIjEEEEZZNS1_33reduce_by_key_impl_wrapped_configILNS1_25lookback_scan_determinismE0ES3_S7_PKhNS0_17constant_iteratorIjlEEPhPlSF_S6_NS0_8equal_toIhEEEE10hipError_tPvRmT2_T3_mT4_T5_T6_T7_T8_P12ihipStream_tbENKUlT_T0_E_clISt17integral_constantIbLb1EESZ_EEDaSU_SV_EUlSU_E_NS1_11comp_targetILNS1_3genE10ELNS1_11target_archE1200ELNS1_3gpuE4ELNS1_3repE0EEENS1_30default_config_static_selectorELNS0_4arch9wavefront6targetE0EEEvT1_.num_named_barrier, 0
	.set _ZN7rocprim17ROCPRIM_400000_NS6detail17trampoline_kernelINS0_14default_configENS1_33run_length_encode_config_selectorIhjNS0_4plusIjEEEEZZNS1_33reduce_by_key_impl_wrapped_configILNS1_25lookback_scan_determinismE0ES3_S7_PKhNS0_17constant_iteratorIjlEEPhPlSF_S6_NS0_8equal_toIhEEEE10hipError_tPvRmT2_T3_mT4_T5_T6_T7_T8_P12ihipStream_tbENKUlT_T0_E_clISt17integral_constantIbLb1EESZ_EEDaSU_SV_EUlSU_E_NS1_11comp_targetILNS1_3genE10ELNS1_11target_archE1200ELNS1_3gpuE4ELNS1_3repE0EEENS1_30default_config_static_selectorELNS0_4arch9wavefront6targetE0EEEvT1_.private_seg_size, 0
	.set _ZN7rocprim17ROCPRIM_400000_NS6detail17trampoline_kernelINS0_14default_configENS1_33run_length_encode_config_selectorIhjNS0_4plusIjEEEEZZNS1_33reduce_by_key_impl_wrapped_configILNS1_25lookback_scan_determinismE0ES3_S7_PKhNS0_17constant_iteratorIjlEEPhPlSF_S6_NS0_8equal_toIhEEEE10hipError_tPvRmT2_T3_mT4_T5_T6_T7_T8_P12ihipStream_tbENKUlT_T0_E_clISt17integral_constantIbLb1EESZ_EEDaSU_SV_EUlSU_E_NS1_11comp_targetILNS1_3genE10ELNS1_11target_archE1200ELNS1_3gpuE4ELNS1_3repE0EEENS1_30default_config_static_selectorELNS0_4arch9wavefront6targetE0EEEvT1_.uses_vcc, 0
	.set _ZN7rocprim17ROCPRIM_400000_NS6detail17trampoline_kernelINS0_14default_configENS1_33run_length_encode_config_selectorIhjNS0_4plusIjEEEEZZNS1_33reduce_by_key_impl_wrapped_configILNS1_25lookback_scan_determinismE0ES3_S7_PKhNS0_17constant_iteratorIjlEEPhPlSF_S6_NS0_8equal_toIhEEEE10hipError_tPvRmT2_T3_mT4_T5_T6_T7_T8_P12ihipStream_tbENKUlT_T0_E_clISt17integral_constantIbLb1EESZ_EEDaSU_SV_EUlSU_E_NS1_11comp_targetILNS1_3genE10ELNS1_11target_archE1200ELNS1_3gpuE4ELNS1_3repE0EEENS1_30default_config_static_selectorELNS0_4arch9wavefront6targetE0EEEvT1_.uses_flat_scratch, 0
	.set _ZN7rocprim17ROCPRIM_400000_NS6detail17trampoline_kernelINS0_14default_configENS1_33run_length_encode_config_selectorIhjNS0_4plusIjEEEEZZNS1_33reduce_by_key_impl_wrapped_configILNS1_25lookback_scan_determinismE0ES3_S7_PKhNS0_17constant_iteratorIjlEEPhPlSF_S6_NS0_8equal_toIhEEEE10hipError_tPvRmT2_T3_mT4_T5_T6_T7_T8_P12ihipStream_tbENKUlT_T0_E_clISt17integral_constantIbLb1EESZ_EEDaSU_SV_EUlSU_E_NS1_11comp_targetILNS1_3genE10ELNS1_11target_archE1200ELNS1_3gpuE4ELNS1_3repE0EEENS1_30default_config_static_selectorELNS0_4arch9wavefront6targetE0EEEvT1_.has_dyn_sized_stack, 0
	.set _ZN7rocprim17ROCPRIM_400000_NS6detail17trampoline_kernelINS0_14default_configENS1_33run_length_encode_config_selectorIhjNS0_4plusIjEEEEZZNS1_33reduce_by_key_impl_wrapped_configILNS1_25lookback_scan_determinismE0ES3_S7_PKhNS0_17constant_iteratorIjlEEPhPlSF_S6_NS0_8equal_toIhEEEE10hipError_tPvRmT2_T3_mT4_T5_T6_T7_T8_P12ihipStream_tbENKUlT_T0_E_clISt17integral_constantIbLb1EESZ_EEDaSU_SV_EUlSU_E_NS1_11comp_targetILNS1_3genE10ELNS1_11target_archE1200ELNS1_3gpuE4ELNS1_3repE0EEENS1_30default_config_static_selectorELNS0_4arch9wavefront6targetE0EEEvT1_.has_recursion, 0
	.set _ZN7rocprim17ROCPRIM_400000_NS6detail17trampoline_kernelINS0_14default_configENS1_33run_length_encode_config_selectorIhjNS0_4plusIjEEEEZZNS1_33reduce_by_key_impl_wrapped_configILNS1_25lookback_scan_determinismE0ES3_S7_PKhNS0_17constant_iteratorIjlEEPhPlSF_S6_NS0_8equal_toIhEEEE10hipError_tPvRmT2_T3_mT4_T5_T6_T7_T8_P12ihipStream_tbENKUlT_T0_E_clISt17integral_constantIbLb1EESZ_EEDaSU_SV_EUlSU_E_NS1_11comp_targetILNS1_3genE10ELNS1_11target_archE1200ELNS1_3gpuE4ELNS1_3repE0EEENS1_30default_config_static_selectorELNS0_4arch9wavefront6targetE0EEEvT1_.has_indirect_call, 0
	.section	.AMDGPU.csdata,"",@progbits
; Kernel info:
; codeLenInByte = 0
; TotalNumSgprs: 0
; NumVgprs: 0
; ScratchSize: 0
; MemoryBound: 0
; FloatMode: 240
; IeeeMode: 1
; LDSByteSize: 0 bytes/workgroup (compile time only)
; SGPRBlocks: 0
; VGPRBlocks: 0
; NumSGPRsForWavesPerEU: 1
; NumVGPRsForWavesPerEU: 1
; NamedBarCnt: 0
; Occupancy: 16
; WaveLimiterHint : 0
; COMPUTE_PGM_RSRC2:SCRATCH_EN: 0
; COMPUTE_PGM_RSRC2:USER_SGPR: 2
; COMPUTE_PGM_RSRC2:TRAP_HANDLER: 0
; COMPUTE_PGM_RSRC2:TGID_X_EN: 1
; COMPUTE_PGM_RSRC2:TGID_Y_EN: 0
; COMPUTE_PGM_RSRC2:TGID_Z_EN: 0
; COMPUTE_PGM_RSRC2:TIDIG_COMP_CNT: 0
	.section	.text._ZN7rocprim17ROCPRIM_400000_NS6detail17trampoline_kernelINS0_14default_configENS1_33run_length_encode_config_selectorIhjNS0_4plusIjEEEEZZNS1_33reduce_by_key_impl_wrapped_configILNS1_25lookback_scan_determinismE0ES3_S7_PKhNS0_17constant_iteratorIjlEEPhPlSF_S6_NS0_8equal_toIhEEEE10hipError_tPvRmT2_T3_mT4_T5_T6_T7_T8_P12ihipStream_tbENKUlT_T0_E_clISt17integral_constantIbLb1EESZ_EEDaSU_SV_EUlSU_E_NS1_11comp_targetILNS1_3genE9ELNS1_11target_archE1100ELNS1_3gpuE3ELNS1_3repE0EEENS1_30default_config_static_selectorELNS0_4arch9wavefront6targetE0EEEvT1_,"axG",@progbits,_ZN7rocprim17ROCPRIM_400000_NS6detail17trampoline_kernelINS0_14default_configENS1_33run_length_encode_config_selectorIhjNS0_4plusIjEEEEZZNS1_33reduce_by_key_impl_wrapped_configILNS1_25lookback_scan_determinismE0ES3_S7_PKhNS0_17constant_iteratorIjlEEPhPlSF_S6_NS0_8equal_toIhEEEE10hipError_tPvRmT2_T3_mT4_T5_T6_T7_T8_P12ihipStream_tbENKUlT_T0_E_clISt17integral_constantIbLb1EESZ_EEDaSU_SV_EUlSU_E_NS1_11comp_targetILNS1_3genE9ELNS1_11target_archE1100ELNS1_3gpuE3ELNS1_3repE0EEENS1_30default_config_static_selectorELNS0_4arch9wavefront6targetE0EEEvT1_,comdat
	.protected	_ZN7rocprim17ROCPRIM_400000_NS6detail17trampoline_kernelINS0_14default_configENS1_33run_length_encode_config_selectorIhjNS0_4plusIjEEEEZZNS1_33reduce_by_key_impl_wrapped_configILNS1_25lookback_scan_determinismE0ES3_S7_PKhNS0_17constant_iteratorIjlEEPhPlSF_S6_NS0_8equal_toIhEEEE10hipError_tPvRmT2_T3_mT4_T5_T6_T7_T8_P12ihipStream_tbENKUlT_T0_E_clISt17integral_constantIbLb1EESZ_EEDaSU_SV_EUlSU_E_NS1_11comp_targetILNS1_3genE9ELNS1_11target_archE1100ELNS1_3gpuE3ELNS1_3repE0EEENS1_30default_config_static_selectorELNS0_4arch9wavefront6targetE0EEEvT1_ ; -- Begin function _ZN7rocprim17ROCPRIM_400000_NS6detail17trampoline_kernelINS0_14default_configENS1_33run_length_encode_config_selectorIhjNS0_4plusIjEEEEZZNS1_33reduce_by_key_impl_wrapped_configILNS1_25lookback_scan_determinismE0ES3_S7_PKhNS0_17constant_iteratorIjlEEPhPlSF_S6_NS0_8equal_toIhEEEE10hipError_tPvRmT2_T3_mT4_T5_T6_T7_T8_P12ihipStream_tbENKUlT_T0_E_clISt17integral_constantIbLb1EESZ_EEDaSU_SV_EUlSU_E_NS1_11comp_targetILNS1_3genE9ELNS1_11target_archE1100ELNS1_3gpuE3ELNS1_3repE0EEENS1_30default_config_static_selectorELNS0_4arch9wavefront6targetE0EEEvT1_
	.globl	_ZN7rocprim17ROCPRIM_400000_NS6detail17trampoline_kernelINS0_14default_configENS1_33run_length_encode_config_selectorIhjNS0_4plusIjEEEEZZNS1_33reduce_by_key_impl_wrapped_configILNS1_25lookback_scan_determinismE0ES3_S7_PKhNS0_17constant_iteratorIjlEEPhPlSF_S6_NS0_8equal_toIhEEEE10hipError_tPvRmT2_T3_mT4_T5_T6_T7_T8_P12ihipStream_tbENKUlT_T0_E_clISt17integral_constantIbLb1EESZ_EEDaSU_SV_EUlSU_E_NS1_11comp_targetILNS1_3genE9ELNS1_11target_archE1100ELNS1_3gpuE3ELNS1_3repE0EEENS1_30default_config_static_selectorELNS0_4arch9wavefront6targetE0EEEvT1_
	.p2align	8
	.type	_ZN7rocprim17ROCPRIM_400000_NS6detail17trampoline_kernelINS0_14default_configENS1_33run_length_encode_config_selectorIhjNS0_4plusIjEEEEZZNS1_33reduce_by_key_impl_wrapped_configILNS1_25lookback_scan_determinismE0ES3_S7_PKhNS0_17constant_iteratorIjlEEPhPlSF_S6_NS0_8equal_toIhEEEE10hipError_tPvRmT2_T3_mT4_T5_T6_T7_T8_P12ihipStream_tbENKUlT_T0_E_clISt17integral_constantIbLb1EESZ_EEDaSU_SV_EUlSU_E_NS1_11comp_targetILNS1_3genE9ELNS1_11target_archE1100ELNS1_3gpuE3ELNS1_3repE0EEENS1_30default_config_static_selectorELNS0_4arch9wavefront6targetE0EEEvT1_,@function
_ZN7rocprim17ROCPRIM_400000_NS6detail17trampoline_kernelINS0_14default_configENS1_33run_length_encode_config_selectorIhjNS0_4plusIjEEEEZZNS1_33reduce_by_key_impl_wrapped_configILNS1_25lookback_scan_determinismE0ES3_S7_PKhNS0_17constant_iteratorIjlEEPhPlSF_S6_NS0_8equal_toIhEEEE10hipError_tPvRmT2_T3_mT4_T5_T6_T7_T8_P12ihipStream_tbENKUlT_T0_E_clISt17integral_constantIbLb1EESZ_EEDaSU_SV_EUlSU_E_NS1_11comp_targetILNS1_3genE9ELNS1_11target_archE1100ELNS1_3gpuE3ELNS1_3repE0EEENS1_30default_config_static_selectorELNS0_4arch9wavefront6targetE0EEEvT1_: ; @_ZN7rocprim17ROCPRIM_400000_NS6detail17trampoline_kernelINS0_14default_configENS1_33run_length_encode_config_selectorIhjNS0_4plusIjEEEEZZNS1_33reduce_by_key_impl_wrapped_configILNS1_25lookback_scan_determinismE0ES3_S7_PKhNS0_17constant_iteratorIjlEEPhPlSF_S6_NS0_8equal_toIhEEEE10hipError_tPvRmT2_T3_mT4_T5_T6_T7_T8_P12ihipStream_tbENKUlT_T0_E_clISt17integral_constantIbLb1EESZ_EEDaSU_SV_EUlSU_E_NS1_11comp_targetILNS1_3genE9ELNS1_11target_archE1100ELNS1_3gpuE3ELNS1_3repE0EEENS1_30default_config_static_selectorELNS0_4arch9wavefront6targetE0EEEvT1_
; %bb.0:
	.section	.rodata,"a",@progbits
	.p2align	6, 0x0
	.amdhsa_kernel _ZN7rocprim17ROCPRIM_400000_NS6detail17trampoline_kernelINS0_14default_configENS1_33run_length_encode_config_selectorIhjNS0_4plusIjEEEEZZNS1_33reduce_by_key_impl_wrapped_configILNS1_25lookback_scan_determinismE0ES3_S7_PKhNS0_17constant_iteratorIjlEEPhPlSF_S6_NS0_8equal_toIhEEEE10hipError_tPvRmT2_T3_mT4_T5_T6_T7_T8_P12ihipStream_tbENKUlT_T0_E_clISt17integral_constantIbLb1EESZ_EEDaSU_SV_EUlSU_E_NS1_11comp_targetILNS1_3genE9ELNS1_11target_archE1100ELNS1_3gpuE3ELNS1_3repE0EEENS1_30default_config_static_selectorELNS0_4arch9wavefront6targetE0EEEvT1_
		.amdhsa_group_segment_fixed_size 0
		.amdhsa_private_segment_fixed_size 0
		.amdhsa_kernarg_size 128
		.amdhsa_user_sgpr_count 2
		.amdhsa_user_sgpr_dispatch_ptr 0
		.amdhsa_user_sgpr_queue_ptr 0
		.amdhsa_user_sgpr_kernarg_segment_ptr 1
		.amdhsa_user_sgpr_dispatch_id 0
		.amdhsa_user_sgpr_kernarg_preload_length 0
		.amdhsa_user_sgpr_kernarg_preload_offset 0
		.amdhsa_user_sgpr_private_segment_size 0
		.amdhsa_wavefront_size32 1
		.amdhsa_uses_dynamic_stack 0
		.amdhsa_enable_private_segment 0
		.amdhsa_system_sgpr_workgroup_id_x 1
		.amdhsa_system_sgpr_workgroup_id_y 0
		.amdhsa_system_sgpr_workgroup_id_z 0
		.amdhsa_system_sgpr_workgroup_info 0
		.amdhsa_system_vgpr_workitem_id 0
		.amdhsa_next_free_vgpr 1
		.amdhsa_next_free_sgpr 1
		.amdhsa_named_barrier_count 0
		.amdhsa_reserve_vcc 0
		.amdhsa_float_round_mode_32 0
		.amdhsa_float_round_mode_16_64 0
		.amdhsa_float_denorm_mode_32 3
		.amdhsa_float_denorm_mode_16_64 3
		.amdhsa_fp16_overflow 0
		.amdhsa_memory_ordered 1
		.amdhsa_forward_progress 1
		.amdhsa_inst_pref_size 0
		.amdhsa_round_robin_scheduling 0
		.amdhsa_exception_fp_ieee_invalid_op 0
		.amdhsa_exception_fp_denorm_src 0
		.amdhsa_exception_fp_ieee_div_zero 0
		.amdhsa_exception_fp_ieee_overflow 0
		.amdhsa_exception_fp_ieee_underflow 0
		.amdhsa_exception_fp_ieee_inexact 0
		.amdhsa_exception_int_div_zero 0
	.end_amdhsa_kernel
	.section	.text._ZN7rocprim17ROCPRIM_400000_NS6detail17trampoline_kernelINS0_14default_configENS1_33run_length_encode_config_selectorIhjNS0_4plusIjEEEEZZNS1_33reduce_by_key_impl_wrapped_configILNS1_25lookback_scan_determinismE0ES3_S7_PKhNS0_17constant_iteratorIjlEEPhPlSF_S6_NS0_8equal_toIhEEEE10hipError_tPvRmT2_T3_mT4_T5_T6_T7_T8_P12ihipStream_tbENKUlT_T0_E_clISt17integral_constantIbLb1EESZ_EEDaSU_SV_EUlSU_E_NS1_11comp_targetILNS1_3genE9ELNS1_11target_archE1100ELNS1_3gpuE3ELNS1_3repE0EEENS1_30default_config_static_selectorELNS0_4arch9wavefront6targetE0EEEvT1_,"axG",@progbits,_ZN7rocprim17ROCPRIM_400000_NS6detail17trampoline_kernelINS0_14default_configENS1_33run_length_encode_config_selectorIhjNS0_4plusIjEEEEZZNS1_33reduce_by_key_impl_wrapped_configILNS1_25lookback_scan_determinismE0ES3_S7_PKhNS0_17constant_iteratorIjlEEPhPlSF_S6_NS0_8equal_toIhEEEE10hipError_tPvRmT2_T3_mT4_T5_T6_T7_T8_P12ihipStream_tbENKUlT_T0_E_clISt17integral_constantIbLb1EESZ_EEDaSU_SV_EUlSU_E_NS1_11comp_targetILNS1_3genE9ELNS1_11target_archE1100ELNS1_3gpuE3ELNS1_3repE0EEENS1_30default_config_static_selectorELNS0_4arch9wavefront6targetE0EEEvT1_,comdat
.Lfunc_end182:
	.size	_ZN7rocprim17ROCPRIM_400000_NS6detail17trampoline_kernelINS0_14default_configENS1_33run_length_encode_config_selectorIhjNS0_4plusIjEEEEZZNS1_33reduce_by_key_impl_wrapped_configILNS1_25lookback_scan_determinismE0ES3_S7_PKhNS0_17constant_iteratorIjlEEPhPlSF_S6_NS0_8equal_toIhEEEE10hipError_tPvRmT2_T3_mT4_T5_T6_T7_T8_P12ihipStream_tbENKUlT_T0_E_clISt17integral_constantIbLb1EESZ_EEDaSU_SV_EUlSU_E_NS1_11comp_targetILNS1_3genE9ELNS1_11target_archE1100ELNS1_3gpuE3ELNS1_3repE0EEENS1_30default_config_static_selectorELNS0_4arch9wavefront6targetE0EEEvT1_, .Lfunc_end182-_ZN7rocprim17ROCPRIM_400000_NS6detail17trampoline_kernelINS0_14default_configENS1_33run_length_encode_config_selectorIhjNS0_4plusIjEEEEZZNS1_33reduce_by_key_impl_wrapped_configILNS1_25lookback_scan_determinismE0ES3_S7_PKhNS0_17constant_iteratorIjlEEPhPlSF_S6_NS0_8equal_toIhEEEE10hipError_tPvRmT2_T3_mT4_T5_T6_T7_T8_P12ihipStream_tbENKUlT_T0_E_clISt17integral_constantIbLb1EESZ_EEDaSU_SV_EUlSU_E_NS1_11comp_targetILNS1_3genE9ELNS1_11target_archE1100ELNS1_3gpuE3ELNS1_3repE0EEENS1_30default_config_static_selectorELNS0_4arch9wavefront6targetE0EEEvT1_
                                        ; -- End function
	.set _ZN7rocprim17ROCPRIM_400000_NS6detail17trampoline_kernelINS0_14default_configENS1_33run_length_encode_config_selectorIhjNS0_4plusIjEEEEZZNS1_33reduce_by_key_impl_wrapped_configILNS1_25lookback_scan_determinismE0ES3_S7_PKhNS0_17constant_iteratorIjlEEPhPlSF_S6_NS0_8equal_toIhEEEE10hipError_tPvRmT2_T3_mT4_T5_T6_T7_T8_P12ihipStream_tbENKUlT_T0_E_clISt17integral_constantIbLb1EESZ_EEDaSU_SV_EUlSU_E_NS1_11comp_targetILNS1_3genE9ELNS1_11target_archE1100ELNS1_3gpuE3ELNS1_3repE0EEENS1_30default_config_static_selectorELNS0_4arch9wavefront6targetE0EEEvT1_.num_vgpr, 0
	.set _ZN7rocprim17ROCPRIM_400000_NS6detail17trampoline_kernelINS0_14default_configENS1_33run_length_encode_config_selectorIhjNS0_4plusIjEEEEZZNS1_33reduce_by_key_impl_wrapped_configILNS1_25lookback_scan_determinismE0ES3_S7_PKhNS0_17constant_iteratorIjlEEPhPlSF_S6_NS0_8equal_toIhEEEE10hipError_tPvRmT2_T3_mT4_T5_T6_T7_T8_P12ihipStream_tbENKUlT_T0_E_clISt17integral_constantIbLb1EESZ_EEDaSU_SV_EUlSU_E_NS1_11comp_targetILNS1_3genE9ELNS1_11target_archE1100ELNS1_3gpuE3ELNS1_3repE0EEENS1_30default_config_static_selectorELNS0_4arch9wavefront6targetE0EEEvT1_.num_agpr, 0
	.set _ZN7rocprim17ROCPRIM_400000_NS6detail17trampoline_kernelINS0_14default_configENS1_33run_length_encode_config_selectorIhjNS0_4plusIjEEEEZZNS1_33reduce_by_key_impl_wrapped_configILNS1_25lookback_scan_determinismE0ES3_S7_PKhNS0_17constant_iteratorIjlEEPhPlSF_S6_NS0_8equal_toIhEEEE10hipError_tPvRmT2_T3_mT4_T5_T6_T7_T8_P12ihipStream_tbENKUlT_T0_E_clISt17integral_constantIbLb1EESZ_EEDaSU_SV_EUlSU_E_NS1_11comp_targetILNS1_3genE9ELNS1_11target_archE1100ELNS1_3gpuE3ELNS1_3repE0EEENS1_30default_config_static_selectorELNS0_4arch9wavefront6targetE0EEEvT1_.numbered_sgpr, 0
	.set _ZN7rocprim17ROCPRIM_400000_NS6detail17trampoline_kernelINS0_14default_configENS1_33run_length_encode_config_selectorIhjNS0_4plusIjEEEEZZNS1_33reduce_by_key_impl_wrapped_configILNS1_25lookback_scan_determinismE0ES3_S7_PKhNS0_17constant_iteratorIjlEEPhPlSF_S6_NS0_8equal_toIhEEEE10hipError_tPvRmT2_T3_mT4_T5_T6_T7_T8_P12ihipStream_tbENKUlT_T0_E_clISt17integral_constantIbLb1EESZ_EEDaSU_SV_EUlSU_E_NS1_11comp_targetILNS1_3genE9ELNS1_11target_archE1100ELNS1_3gpuE3ELNS1_3repE0EEENS1_30default_config_static_selectorELNS0_4arch9wavefront6targetE0EEEvT1_.num_named_barrier, 0
	.set _ZN7rocprim17ROCPRIM_400000_NS6detail17trampoline_kernelINS0_14default_configENS1_33run_length_encode_config_selectorIhjNS0_4plusIjEEEEZZNS1_33reduce_by_key_impl_wrapped_configILNS1_25lookback_scan_determinismE0ES3_S7_PKhNS0_17constant_iteratorIjlEEPhPlSF_S6_NS0_8equal_toIhEEEE10hipError_tPvRmT2_T3_mT4_T5_T6_T7_T8_P12ihipStream_tbENKUlT_T0_E_clISt17integral_constantIbLb1EESZ_EEDaSU_SV_EUlSU_E_NS1_11comp_targetILNS1_3genE9ELNS1_11target_archE1100ELNS1_3gpuE3ELNS1_3repE0EEENS1_30default_config_static_selectorELNS0_4arch9wavefront6targetE0EEEvT1_.private_seg_size, 0
	.set _ZN7rocprim17ROCPRIM_400000_NS6detail17trampoline_kernelINS0_14default_configENS1_33run_length_encode_config_selectorIhjNS0_4plusIjEEEEZZNS1_33reduce_by_key_impl_wrapped_configILNS1_25lookback_scan_determinismE0ES3_S7_PKhNS0_17constant_iteratorIjlEEPhPlSF_S6_NS0_8equal_toIhEEEE10hipError_tPvRmT2_T3_mT4_T5_T6_T7_T8_P12ihipStream_tbENKUlT_T0_E_clISt17integral_constantIbLb1EESZ_EEDaSU_SV_EUlSU_E_NS1_11comp_targetILNS1_3genE9ELNS1_11target_archE1100ELNS1_3gpuE3ELNS1_3repE0EEENS1_30default_config_static_selectorELNS0_4arch9wavefront6targetE0EEEvT1_.uses_vcc, 0
	.set _ZN7rocprim17ROCPRIM_400000_NS6detail17trampoline_kernelINS0_14default_configENS1_33run_length_encode_config_selectorIhjNS0_4plusIjEEEEZZNS1_33reduce_by_key_impl_wrapped_configILNS1_25lookback_scan_determinismE0ES3_S7_PKhNS0_17constant_iteratorIjlEEPhPlSF_S6_NS0_8equal_toIhEEEE10hipError_tPvRmT2_T3_mT4_T5_T6_T7_T8_P12ihipStream_tbENKUlT_T0_E_clISt17integral_constantIbLb1EESZ_EEDaSU_SV_EUlSU_E_NS1_11comp_targetILNS1_3genE9ELNS1_11target_archE1100ELNS1_3gpuE3ELNS1_3repE0EEENS1_30default_config_static_selectorELNS0_4arch9wavefront6targetE0EEEvT1_.uses_flat_scratch, 0
	.set _ZN7rocprim17ROCPRIM_400000_NS6detail17trampoline_kernelINS0_14default_configENS1_33run_length_encode_config_selectorIhjNS0_4plusIjEEEEZZNS1_33reduce_by_key_impl_wrapped_configILNS1_25lookback_scan_determinismE0ES3_S7_PKhNS0_17constant_iteratorIjlEEPhPlSF_S6_NS0_8equal_toIhEEEE10hipError_tPvRmT2_T3_mT4_T5_T6_T7_T8_P12ihipStream_tbENKUlT_T0_E_clISt17integral_constantIbLb1EESZ_EEDaSU_SV_EUlSU_E_NS1_11comp_targetILNS1_3genE9ELNS1_11target_archE1100ELNS1_3gpuE3ELNS1_3repE0EEENS1_30default_config_static_selectorELNS0_4arch9wavefront6targetE0EEEvT1_.has_dyn_sized_stack, 0
	.set _ZN7rocprim17ROCPRIM_400000_NS6detail17trampoline_kernelINS0_14default_configENS1_33run_length_encode_config_selectorIhjNS0_4plusIjEEEEZZNS1_33reduce_by_key_impl_wrapped_configILNS1_25lookback_scan_determinismE0ES3_S7_PKhNS0_17constant_iteratorIjlEEPhPlSF_S6_NS0_8equal_toIhEEEE10hipError_tPvRmT2_T3_mT4_T5_T6_T7_T8_P12ihipStream_tbENKUlT_T0_E_clISt17integral_constantIbLb1EESZ_EEDaSU_SV_EUlSU_E_NS1_11comp_targetILNS1_3genE9ELNS1_11target_archE1100ELNS1_3gpuE3ELNS1_3repE0EEENS1_30default_config_static_selectorELNS0_4arch9wavefront6targetE0EEEvT1_.has_recursion, 0
	.set _ZN7rocprim17ROCPRIM_400000_NS6detail17trampoline_kernelINS0_14default_configENS1_33run_length_encode_config_selectorIhjNS0_4plusIjEEEEZZNS1_33reduce_by_key_impl_wrapped_configILNS1_25lookback_scan_determinismE0ES3_S7_PKhNS0_17constant_iteratorIjlEEPhPlSF_S6_NS0_8equal_toIhEEEE10hipError_tPvRmT2_T3_mT4_T5_T6_T7_T8_P12ihipStream_tbENKUlT_T0_E_clISt17integral_constantIbLb1EESZ_EEDaSU_SV_EUlSU_E_NS1_11comp_targetILNS1_3genE9ELNS1_11target_archE1100ELNS1_3gpuE3ELNS1_3repE0EEENS1_30default_config_static_selectorELNS0_4arch9wavefront6targetE0EEEvT1_.has_indirect_call, 0
	.section	.AMDGPU.csdata,"",@progbits
; Kernel info:
; codeLenInByte = 0
; TotalNumSgprs: 0
; NumVgprs: 0
; ScratchSize: 0
; MemoryBound: 0
; FloatMode: 240
; IeeeMode: 1
; LDSByteSize: 0 bytes/workgroup (compile time only)
; SGPRBlocks: 0
; VGPRBlocks: 0
; NumSGPRsForWavesPerEU: 1
; NumVGPRsForWavesPerEU: 1
; NamedBarCnt: 0
; Occupancy: 16
; WaveLimiterHint : 0
; COMPUTE_PGM_RSRC2:SCRATCH_EN: 0
; COMPUTE_PGM_RSRC2:USER_SGPR: 2
; COMPUTE_PGM_RSRC2:TRAP_HANDLER: 0
; COMPUTE_PGM_RSRC2:TGID_X_EN: 1
; COMPUTE_PGM_RSRC2:TGID_Y_EN: 0
; COMPUTE_PGM_RSRC2:TGID_Z_EN: 0
; COMPUTE_PGM_RSRC2:TIDIG_COMP_CNT: 0
	.section	.text._ZN7rocprim17ROCPRIM_400000_NS6detail17trampoline_kernelINS0_14default_configENS1_33run_length_encode_config_selectorIhjNS0_4plusIjEEEEZZNS1_33reduce_by_key_impl_wrapped_configILNS1_25lookback_scan_determinismE0ES3_S7_PKhNS0_17constant_iteratorIjlEEPhPlSF_S6_NS0_8equal_toIhEEEE10hipError_tPvRmT2_T3_mT4_T5_T6_T7_T8_P12ihipStream_tbENKUlT_T0_E_clISt17integral_constantIbLb1EESZ_EEDaSU_SV_EUlSU_E_NS1_11comp_targetILNS1_3genE8ELNS1_11target_archE1030ELNS1_3gpuE2ELNS1_3repE0EEENS1_30default_config_static_selectorELNS0_4arch9wavefront6targetE0EEEvT1_,"axG",@progbits,_ZN7rocprim17ROCPRIM_400000_NS6detail17trampoline_kernelINS0_14default_configENS1_33run_length_encode_config_selectorIhjNS0_4plusIjEEEEZZNS1_33reduce_by_key_impl_wrapped_configILNS1_25lookback_scan_determinismE0ES3_S7_PKhNS0_17constant_iteratorIjlEEPhPlSF_S6_NS0_8equal_toIhEEEE10hipError_tPvRmT2_T3_mT4_T5_T6_T7_T8_P12ihipStream_tbENKUlT_T0_E_clISt17integral_constantIbLb1EESZ_EEDaSU_SV_EUlSU_E_NS1_11comp_targetILNS1_3genE8ELNS1_11target_archE1030ELNS1_3gpuE2ELNS1_3repE0EEENS1_30default_config_static_selectorELNS0_4arch9wavefront6targetE0EEEvT1_,comdat
	.protected	_ZN7rocprim17ROCPRIM_400000_NS6detail17trampoline_kernelINS0_14default_configENS1_33run_length_encode_config_selectorIhjNS0_4plusIjEEEEZZNS1_33reduce_by_key_impl_wrapped_configILNS1_25lookback_scan_determinismE0ES3_S7_PKhNS0_17constant_iteratorIjlEEPhPlSF_S6_NS0_8equal_toIhEEEE10hipError_tPvRmT2_T3_mT4_T5_T6_T7_T8_P12ihipStream_tbENKUlT_T0_E_clISt17integral_constantIbLb1EESZ_EEDaSU_SV_EUlSU_E_NS1_11comp_targetILNS1_3genE8ELNS1_11target_archE1030ELNS1_3gpuE2ELNS1_3repE0EEENS1_30default_config_static_selectorELNS0_4arch9wavefront6targetE0EEEvT1_ ; -- Begin function _ZN7rocprim17ROCPRIM_400000_NS6detail17trampoline_kernelINS0_14default_configENS1_33run_length_encode_config_selectorIhjNS0_4plusIjEEEEZZNS1_33reduce_by_key_impl_wrapped_configILNS1_25lookback_scan_determinismE0ES3_S7_PKhNS0_17constant_iteratorIjlEEPhPlSF_S6_NS0_8equal_toIhEEEE10hipError_tPvRmT2_T3_mT4_T5_T6_T7_T8_P12ihipStream_tbENKUlT_T0_E_clISt17integral_constantIbLb1EESZ_EEDaSU_SV_EUlSU_E_NS1_11comp_targetILNS1_3genE8ELNS1_11target_archE1030ELNS1_3gpuE2ELNS1_3repE0EEENS1_30default_config_static_selectorELNS0_4arch9wavefront6targetE0EEEvT1_
	.globl	_ZN7rocprim17ROCPRIM_400000_NS6detail17trampoline_kernelINS0_14default_configENS1_33run_length_encode_config_selectorIhjNS0_4plusIjEEEEZZNS1_33reduce_by_key_impl_wrapped_configILNS1_25lookback_scan_determinismE0ES3_S7_PKhNS0_17constant_iteratorIjlEEPhPlSF_S6_NS0_8equal_toIhEEEE10hipError_tPvRmT2_T3_mT4_T5_T6_T7_T8_P12ihipStream_tbENKUlT_T0_E_clISt17integral_constantIbLb1EESZ_EEDaSU_SV_EUlSU_E_NS1_11comp_targetILNS1_3genE8ELNS1_11target_archE1030ELNS1_3gpuE2ELNS1_3repE0EEENS1_30default_config_static_selectorELNS0_4arch9wavefront6targetE0EEEvT1_
	.p2align	8
	.type	_ZN7rocprim17ROCPRIM_400000_NS6detail17trampoline_kernelINS0_14default_configENS1_33run_length_encode_config_selectorIhjNS0_4plusIjEEEEZZNS1_33reduce_by_key_impl_wrapped_configILNS1_25lookback_scan_determinismE0ES3_S7_PKhNS0_17constant_iteratorIjlEEPhPlSF_S6_NS0_8equal_toIhEEEE10hipError_tPvRmT2_T3_mT4_T5_T6_T7_T8_P12ihipStream_tbENKUlT_T0_E_clISt17integral_constantIbLb1EESZ_EEDaSU_SV_EUlSU_E_NS1_11comp_targetILNS1_3genE8ELNS1_11target_archE1030ELNS1_3gpuE2ELNS1_3repE0EEENS1_30default_config_static_selectorELNS0_4arch9wavefront6targetE0EEEvT1_,@function
_ZN7rocprim17ROCPRIM_400000_NS6detail17trampoline_kernelINS0_14default_configENS1_33run_length_encode_config_selectorIhjNS0_4plusIjEEEEZZNS1_33reduce_by_key_impl_wrapped_configILNS1_25lookback_scan_determinismE0ES3_S7_PKhNS0_17constant_iteratorIjlEEPhPlSF_S6_NS0_8equal_toIhEEEE10hipError_tPvRmT2_T3_mT4_T5_T6_T7_T8_P12ihipStream_tbENKUlT_T0_E_clISt17integral_constantIbLb1EESZ_EEDaSU_SV_EUlSU_E_NS1_11comp_targetILNS1_3genE8ELNS1_11target_archE1030ELNS1_3gpuE2ELNS1_3repE0EEENS1_30default_config_static_selectorELNS0_4arch9wavefront6targetE0EEEvT1_: ; @_ZN7rocprim17ROCPRIM_400000_NS6detail17trampoline_kernelINS0_14default_configENS1_33run_length_encode_config_selectorIhjNS0_4plusIjEEEEZZNS1_33reduce_by_key_impl_wrapped_configILNS1_25lookback_scan_determinismE0ES3_S7_PKhNS0_17constant_iteratorIjlEEPhPlSF_S6_NS0_8equal_toIhEEEE10hipError_tPvRmT2_T3_mT4_T5_T6_T7_T8_P12ihipStream_tbENKUlT_T0_E_clISt17integral_constantIbLb1EESZ_EEDaSU_SV_EUlSU_E_NS1_11comp_targetILNS1_3genE8ELNS1_11target_archE1030ELNS1_3gpuE2ELNS1_3repE0EEENS1_30default_config_static_selectorELNS0_4arch9wavefront6targetE0EEEvT1_
; %bb.0:
	.section	.rodata,"a",@progbits
	.p2align	6, 0x0
	.amdhsa_kernel _ZN7rocprim17ROCPRIM_400000_NS6detail17trampoline_kernelINS0_14default_configENS1_33run_length_encode_config_selectorIhjNS0_4plusIjEEEEZZNS1_33reduce_by_key_impl_wrapped_configILNS1_25lookback_scan_determinismE0ES3_S7_PKhNS0_17constant_iteratorIjlEEPhPlSF_S6_NS0_8equal_toIhEEEE10hipError_tPvRmT2_T3_mT4_T5_T6_T7_T8_P12ihipStream_tbENKUlT_T0_E_clISt17integral_constantIbLb1EESZ_EEDaSU_SV_EUlSU_E_NS1_11comp_targetILNS1_3genE8ELNS1_11target_archE1030ELNS1_3gpuE2ELNS1_3repE0EEENS1_30default_config_static_selectorELNS0_4arch9wavefront6targetE0EEEvT1_
		.amdhsa_group_segment_fixed_size 0
		.amdhsa_private_segment_fixed_size 0
		.amdhsa_kernarg_size 128
		.amdhsa_user_sgpr_count 2
		.amdhsa_user_sgpr_dispatch_ptr 0
		.amdhsa_user_sgpr_queue_ptr 0
		.amdhsa_user_sgpr_kernarg_segment_ptr 1
		.amdhsa_user_sgpr_dispatch_id 0
		.amdhsa_user_sgpr_kernarg_preload_length 0
		.amdhsa_user_sgpr_kernarg_preload_offset 0
		.amdhsa_user_sgpr_private_segment_size 0
		.amdhsa_wavefront_size32 1
		.amdhsa_uses_dynamic_stack 0
		.amdhsa_enable_private_segment 0
		.amdhsa_system_sgpr_workgroup_id_x 1
		.amdhsa_system_sgpr_workgroup_id_y 0
		.amdhsa_system_sgpr_workgroup_id_z 0
		.amdhsa_system_sgpr_workgroup_info 0
		.amdhsa_system_vgpr_workitem_id 0
		.amdhsa_next_free_vgpr 1
		.amdhsa_next_free_sgpr 1
		.amdhsa_named_barrier_count 0
		.amdhsa_reserve_vcc 0
		.amdhsa_float_round_mode_32 0
		.amdhsa_float_round_mode_16_64 0
		.amdhsa_float_denorm_mode_32 3
		.amdhsa_float_denorm_mode_16_64 3
		.amdhsa_fp16_overflow 0
		.amdhsa_memory_ordered 1
		.amdhsa_forward_progress 1
		.amdhsa_inst_pref_size 0
		.amdhsa_round_robin_scheduling 0
		.amdhsa_exception_fp_ieee_invalid_op 0
		.amdhsa_exception_fp_denorm_src 0
		.amdhsa_exception_fp_ieee_div_zero 0
		.amdhsa_exception_fp_ieee_overflow 0
		.amdhsa_exception_fp_ieee_underflow 0
		.amdhsa_exception_fp_ieee_inexact 0
		.amdhsa_exception_int_div_zero 0
	.end_amdhsa_kernel
	.section	.text._ZN7rocprim17ROCPRIM_400000_NS6detail17trampoline_kernelINS0_14default_configENS1_33run_length_encode_config_selectorIhjNS0_4plusIjEEEEZZNS1_33reduce_by_key_impl_wrapped_configILNS1_25lookback_scan_determinismE0ES3_S7_PKhNS0_17constant_iteratorIjlEEPhPlSF_S6_NS0_8equal_toIhEEEE10hipError_tPvRmT2_T3_mT4_T5_T6_T7_T8_P12ihipStream_tbENKUlT_T0_E_clISt17integral_constantIbLb1EESZ_EEDaSU_SV_EUlSU_E_NS1_11comp_targetILNS1_3genE8ELNS1_11target_archE1030ELNS1_3gpuE2ELNS1_3repE0EEENS1_30default_config_static_selectorELNS0_4arch9wavefront6targetE0EEEvT1_,"axG",@progbits,_ZN7rocprim17ROCPRIM_400000_NS6detail17trampoline_kernelINS0_14default_configENS1_33run_length_encode_config_selectorIhjNS0_4plusIjEEEEZZNS1_33reduce_by_key_impl_wrapped_configILNS1_25lookback_scan_determinismE0ES3_S7_PKhNS0_17constant_iteratorIjlEEPhPlSF_S6_NS0_8equal_toIhEEEE10hipError_tPvRmT2_T3_mT4_T5_T6_T7_T8_P12ihipStream_tbENKUlT_T0_E_clISt17integral_constantIbLb1EESZ_EEDaSU_SV_EUlSU_E_NS1_11comp_targetILNS1_3genE8ELNS1_11target_archE1030ELNS1_3gpuE2ELNS1_3repE0EEENS1_30default_config_static_selectorELNS0_4arch9wavefront6targetE0EEEvT1_,comdat
.Lfunc_end183:
	.size	_ZN7rocprim17ROCPRIM_400000_NS6detail17trampoline_kernelINS0_14default_configENS1_33run_length_encode_config_selectorIhjNS0_4plusIjEEEEZZNS1_33reduce_by_key_impl_wrapped_configILNS1_25lookback_scan_determinismE0ES3_S7_PKhNS0_17constant_iteratorIjlEEPhPlSF_S6_NS0_8equal_toIhEEEE10hipError_tPvRmT2_T3_mT4_T5_T6_T7_T8_P12ihipStream_tbENKUlT_T0_E_clISt17integral_constantIbLb1EESZ_EEDaSU_SV_EUlSU_E_NS1_11comp_targetILNS1_3genE8ELNS1_11target_archE1030ELNS1_3gpuE2ELNS1_3repE0EEENS1_30default_config_static_selectorELNS0_4arch9wavefront6targetE0EEEvT1_, .Lfunc_end183-_ZN7rocprim17ROCPRIM_400000_NS6detail17trampoline_kernelINS0_14default_configENS1_33run_length_encode_config_selectorIhjNS0_4plusIjEEEEZZNS1_33reduce_by_key_impl_wrapped_configILNS1_25lookback_scan_determinismE0ES3_S7_PKhNS0_17constant_iteratorIjlEEPhPlSF_S6_NS0_8equal_toIhEEEE10hipError_tPvRmT2_T3_mT4_T5_T6_T7_T8_P12ihipStream_tbENKUlT_T0_E_clISt17integral_constantIbLb1EESZ_EEDaSU_SV_EUlSU_E_NS1_11comp_targetILNS1_3genE8ELNS1_11target_archE1030ELNS1_3gpuE2ELNS1_3repE0EEENS1_30default_config_static_selectorELNS0_4arch9wavefront6targetE0EEEvT1_
                                        ; -- End function
	.set _ZN7rocprim17ROCPRIM_400000_NS6detail17trampoline_kernelINS0_14default_configENS1_33run_length_encode_config_selectorIhjNS0_4plusIjEEEEZZNS1_33reduce_by_key_impl_wrapped_configILNS1_25lookback_scan_determinismE0ES3_S7_PKhNS0_17constant_iteratorIjlEEPhPlSF_S6_NS0_8equal_toIhEEEE10hipError_tPvRmT2_T3_mT4_T5_T6_T7_T8_P12ihipStream_tbENKUlT_T0_E_clISt17integral_constantIbLb1EESZ_EEDaSU_SV_EUlSU_E_NS1_11comp_targetILNS1_3genE8ELNS1_11target_archE1030ELNS1_3gpuE2ELNS1_3repE0EEENS1_30default_config_static_selectorELNS0_4arch9wavefront6targetE0EEEvT1_.num_vgpr, 0
	.set _ZN7rocprim17ROCPRIM_400000_NS6detail17trampoline_kernelINS0_14default_configENS1_33run_length_encode_config_selectorIhjNS0_4plusIjEEEEZZNS1_33reduce_by_key_impl_wrapped_configILNS1_25lookback_scan_determinismE0ES3_S7_PKhNS0_17constant_iteratorIjlEEPhPlSF_S6_NS0_8equal_toIhEEEE10hipError_tPvRmT2_T3_mT4_T5_T6_T7_T8_P12ihipStream_tbENKUlT_T0_E_clISt17integral_constantIbLb1EESZ_EEDaSU_SV_EUlSU_E_NS1_11comp_targetILNS1_3genE8ELNS1_11target_archE1030ELNS1_3gpuE2ELNS1_3repE0EEENS1_30default_config_static_selectorELNS0_4arch9wavefront6targetE0EEEvT1_.num_agpr, 0
	.set _ZN7rocprim17ROCPRIM_400000_NS6detail17trampoline_kernelINS0_14default_configENS1_33run_length_encode_config_selectorIhjNS0_4plusIjEEEEZZNS1_33reduce_by_key_impl_wrapped_configILNS1_25lookback_scan_determinismE0ES3_S7_PKhNS0_17constant_iteratorIjlEEPhPlSF_S6_NS0_8equal_toIhEEEE10hipError_tPvRmT2_T3_mT4_T5_T6_T7_T8_P12ihipStream_tbENKUlT_T0_E_clISt17integral_constantIbLb1EESZ_EEDaSU_SV_EUlSU_E_NS1_11comp_targetILNS1_3genE8ELNS1_11target_archE1030ELNS1_3gpuE2ELNS1_3repE0EEENS1_30default_config_static_selectorELNS0_4arch9wavefront6targetE0EEEvT1_.numbered_sgpr, 0
	.set _ZN7rocprim17ROCPRIM_400000_NS6detail17trampoline_kernelINS0_14default_configENS1_33run_length_encode_config_selectorIhjNS0_4plusIjEEEEZZNS1_33reduce_by_key_impl_wrapped_configILNS1_25lookback_scan_determinismE0ES3_S7_PKhNS0_17constant_iteratorIjlEEPhPlSF_S6_NS0_8equal_toIhEEEE10hipError_tPvRmT2_T3_mT4_T5_T6_T7_T8_P12ihipStream_tbENKUlT_T0_E_clISt17integral_constantIbLb1EESZ_EEDaSU_SV_EUlSU_E_NS1_11comp_targetILNS1_3genE8ELNS1_11target_archE1030ELNS1_3gpuE2ELNS1_3repE0EEENS1_30default_config_static_selectorELNS0_4arch9wavefront6targetE0EEEvT1_.num_named_barrier, 0
	.set _ZN7rocprim17ROCPRIM_400000_NS6detail17trampoline_kernelINS0_14default_configENS1_33run_length_encode_config_selectorIhjNS0_4plusIjEEEEZZNS1_33reduce_by_key_impl_wrapped_configILNS1_25lookback_scan_determinismE0ES3_S7_PKhNS0_17constant_iteratorIjlEEPhPlSF_S6_NS0_8equal_toIhEEEE10hipError_tPvRmT2_T3_mT4_T5_T6_T7_T8_P12ihipStream_tbENKUlT_T0_E_clISt17integral_constantIbLb1EESZ_EEDaSU_SV_EUlSU_E_NS1_11comp_targetILNS1_3genE8ELNS1_11target_archE1030ELNS1_3gpuE2ELNS1_3repE0EEENS1_30default_config_static_selectorELNS0_4arch9wavefront6targetE0EEEvT1_.private_seg_size, 0
	.set _ZN7rocprim17ROCPRIM_400000_NS6detail17trampoline_kernelINS0_14default_configENS1_33run_length_encode_config_selectorIhjNS0_4plusIjEEEEZZNS1_33reduce_by_key_impl_wrapped_configILNS1_25lookback_scan_determinismE0ES3_S7_PKhNS0_17constant_iteratorIjlEEPhPlSF_S6_NS0_8equal_toIhEEEE10hipError_tPvRmT2_T3_mT4_T5_T6_T7_T8_P12ihipStream_tbENKUlT_T0_E_clISt17integral_constantIbLb1EESZ_EEDaSU_SV_EUlSU_E_NS1_11comp_targetILNS1_3genE8ELNS1_11target_archE1030ELNS1_3gpuE2ELNS1_3repE0EEENS1_30default_config_static_selectorELNS0_4arch9wavefront6targetE0EEEvT1_.uses_vcc, 0
	.set _ZN7rocprim17ROCPRIM_400000_NS6detail17trampoline_kernelINS0_14default_configENS1_33run_length_encode_config_selectorIhjNS0_4plusIjEEEEZZNS1_33reduce_by_key_impl_wrapped_configILNS1_25lookback_scan_determinismE0ES3_S7_PKhNS0_17constant_iteratorIjlEEPhPlSF_S6_NS0_8equal_toIhEEEE10hipError_tPvRmT2_T3_mT4_T5_T6_T7_T8_P12ihipStream_tbENKUlT_T0_E_clISt17integral_constantIbLb1EESZ_EEDaSU_SV_EUlSU_E_NS1_11comp_targetILNS1_3genE8ELNS1_11target_archE1030ELNS1_3gpuE2ELNS1_3repE0EEENS1_30default_config_static_selectorELNS0_4arch9wavefront6targetE0EEEvT1_.uses_flat_scratch, 0
	.set _ZN7rocprim17ROCPRIM_400000_NS6detail17trampoline_kernelINS0_14default_configENS1_33run_length_encode_config_selectorIhjNS0_4plusIjEEEEZZNS1_33reduce_by_key_impl_wrapped_configILNS1_25lookback_scan_determinismE0ES3_S7_PKhNS0_17constant_iteratorIjlEEPhPlSF_S6_NS0_8equal_toIhEEEE10hipError_tPvRmT2_T3_mT4_T5_T6_T7_T8_P12ihipStream_tbENKUlT_T0_E_clISt17integral_constantIbLb1EESZ_EEDaSU_SV_EUlSU_E_NS1_11comp_targetILNS1_3genE8ELNS1_11target_archE1030ELNS1_3gpuE2ELNS1_3repE0EEENS1_30default_config_static_selectorELNS0_4arch9wavefront6targetE0EEEvT1_.has_dyn_sized_stack, 0
	.set _ZN7rocprim17ROCPRIM_400000_NS6detail17trampoline_kernelINS0_14default_configENS1_33run_length_encode_config_selectorIhjNS0_4plusIjEEEEZZNS1_33reduce_by_key_impl_wrapped_configILNS1_25lookback_scan_determinismE0ES3_S7_PKhNS0_17constant_iteratorIjlEEPhPlSF_S6_NS0_8equal_toIhEEEE10hipError_tPvRmT2_T3_mT4_T5_T6_T7_T8_P12ihipStream_tbENKUlT_T0_E_clISt17integral_constantIbLb1EESZ_EEDaSU_SV_EUlSU_E_NS1_11comp_targetILNS1_3genE8ELNS1_11target_archE1030ELNS1_3gpuE2ELNS1_3repE0EEENS1_30default_config_static_selectorELNS0_4arch9wavefront6targetE0EEEvT1_.has_recursion, 0
	.set _ZN7rocprim17ROCPRIM_400000_NS6detail17trampoline_kernelINS0_14default_configENS1_33run_length_encode_config_selectorIhjNS0_4plusIjEEEEZZNS1_33reduce_by_key_impl_wrapped_configILNS1_25lookback_scan_determinismE0ES3_S7_PKhNS0_17constant_iteratorIjlEEPhPlSF_S6_NS0_8equal_toIhEEEE10hipError_tPvRmT2_T3_mT4_T5_T6_T7_T8_P12ihipStream_tbENKUlT_T0_E_clISt17integral_constantIbLb1EESZ_EEDaSU_SV_EUlSU_E_NS1_11comp_targetILNS1_3genE8ELNS1_11target_archE1030ELNS1_3gpuE2ELNS1_3repE0EEENS1_30default_config_static_selectorELNS0_4arch9wavefront6targetE0EEEvT1_.has_indirect_call, 0
	.section	.AMDGPU.csdata,"",@progbits
; Kernel info:
; codeLenInByte = 0
; TotalNumSgprs: 0
; NumVgprs: 0
; ScratchSize: 0
; MemoryBound: 0
; FloatMode: 240
; IeeeMode: 1
; LDSByteSize: 0 bytes/workgroup (compile time only)
; SGPRBlocks: 0
; VGPRBlocks: 0
; NumSGPRsForWavesPerEU: 1
; NumVGPRsForWavesPerEU: 1
; NamedBarCnt: 0
; Occupancy: 16
; WaveLimiterHint : 0
; COMPUTE_PGM_RSRC2:SCRATCH_EN: 0
; COMPUTE_PGM_RSRC2:USER_SGPR: 2
; COMPUTE_PGM_RSRC2:TRAP_HANDLER: 0
; COMPUTE_PGM_RSRC2:TGID_X_EN: 1
; COMPUTE_PGM_RSRC2:TGID_Y_EN: 0
; COMPUTE_PGM_RSRC2:TGID_Z_EN: 0
; COMPUTE_PGM_RSRC2:TIDIG_COMP_CNT: 0
	.section	.text._ZN7rocprim17ROCPRIM_400000_NS6detail17trampoline_kernelINS0_14default_configENS1_33run_length_encode_config_selectorIhjNS0_4plusIjEEEEZZNS1_33reduce_by_key_impl_wrapped_configILNS1_25lookback_scan_determinismE0ES3_S7_PKhNS0_17constant_iteratorIjlEEPhPlSF_S6_NS0_8equal_toIhEEEE10hipError_tPvRmT2_T3_mT4_T5_T6_T7_T8_P12ihipStream_tbENKUlT_T0_E_clISt17integral_constantIbLb1EESY_IbLb0EEEEDaSU_SV_EUlSU_E_NS1_11comp_targetILNS1_3genE0ELNS1_11target_archE4294967295ELNS1_3gpuE0ELNS1_3repE0EEENS1_30default_config_static_selectorELNS0_4arch9wavefront6targetE0EEEvT1_,"axG",@progbits,_ZN7rocprim17ROCPRIM_400000_NS6detail17trampoline_kernelINS0_14default_configENS1_33run_length_encode_config_selectorIhjNS0_4plusIjEEEEZZNS1_33reduce_by_key_impl_wrapped_configILNS1_25lookback_scan_determinismE0ES3_S7_PKhNS0_17constant_iteratorIjlEEPhPlSF_S6_NS0_8equal_toIhEEEE10hipError_tPvRmT2_T3_mT4_T5_T6_T7_T8_P12ihipStream_tbENKUlT_T0_E_clISt17integral_constantIbLb1EESY_IbLb0EEEEDaSU_SV_EUlSU_E_NS1_11comp_targetILNS1_3genE0ELNS1_11target_archE4294967295ELNS1_3gpuE0ELNS1_3repE0EEENS1_30default_config_static_selectorELNS0_4arch9wavefront6targetE0EEEvT1_,comdat
	.protected	_ZN7rocprim17ROCPRIM_400000_NS6detail17trampoline_kernelINS0_14default_configENS1_33run_length_encode_config_selectorIhjNS0_4plusIjEEEEZZNS1_33reduce_by_key_impl_wrapped_configILNS1_25lookback_scan_determinismE0ES3_S7_PKhNS0_17constant_iteratorIjlEEPhPlSF_S6_NS0_8equal_toIhEEEE10hipError_tPvRmT2_T3_mT4_T5_T6_T7_T8_P12ihipStream_tbENKUlT_T0_E_clISt17integral_constantIbLb1EESY_IbLb0EEEEDaSU_SV_EUlSU_E_NS1_11comp_targetILNS1_3genE0ELNS1_11target_archE4294967295ELNS1_3gpuE0ELNS1_3repE0EEENS1_30default_config_static_selectorELNS0_4arch9wavefront6targetE0EEEvT1_ ; -- Begin function _ZN7rocprim17ROCPRIM_400000_NS6detail17trampoline_kernelINS0_14default_configENS1_33run_length_encode_config_selectorIhjNS0_4plusIjEEEEZZNS1_33reduce_by_key_impl_wrapped_configILNS1_25lookback_scan_determinismE0ES3_S7_PKhNS0_17constant_iteratorIjlEEPhPlSF_S6_NS0_8equal_toIhEEEE10hipError_tPvRmT2_T3_mT4_T5_T6_T7_T8_P12ihipStream_tbENKUlT_T0_E_clISt17integral_constantIbLb1EESY_IbLb0EEEEDaSU_SV_EUlSU_E_NS1_11comp_targetILNS1_3genE0ELNS1_11target_archE4294967295ELNS1_3gpuE0ELNS1_3repE0EEENS1_30default_config_static_selectorELNS0_4arch9wavefront6targetE0EEEvT1_
	.globl	_ZN7rocprim17ROCPRIM_400000_NS6detail17trampoline_kernelINS0_14default_configENS1_33run_length_encode_config_selectorIhjNS0_4plusIjEEEEZZNS1_33reduce_by_key_impl_wrapped_configILNS1_25lookback_scan_determinismE0ES3_S7_PKhNS0_17constant_iteratorIjlEEPhPlSF_S6_NS0_8equal_toIhEEEE10hipError_tPvRmT2_T3_mT4_T5_T6_T7_T8_P12ihipStream_tbENKUlT_T0_E_clISt17integral_constantIbLb1EESY_IbLb0EEEEDaSU_SV_EUlSU_E_NS1_11comp_targetILNS1_3genE0ELNS1_11target_archE4294967295ELNS1_3gpuE0ELNS1_3repE0EEENS1_30default_config_static_selectorELNS0_4arch9wavefront6targetE0EEEvT1_
	.p2align	8
	.type	_ZN7rocprim17ROCPRIM_400000_NS6detail17trampoline_kernelINS0_14default_configENS1_33run_length_encode_config_selectorIhjNS0_4plusIjEEEEZZNS1_33reduce_by_key_impl_wrapped_configILNS1_25lookback_scan_determinismE0ES3_S7_PKhNS0_17constant_iteratorIjlEEPhPlSF_S6_NS0_8equal_toIhEEEE10hipError_tPvRmT2_T3_mT4_T5_T6_T7_T8_P12ihipStream_tbENKUlT_T0_E_clISt17integral_constantIbLb1EESY_IbLb0EEEEDaSU_SV_EUlSU_E_NS1_11comp_targetILNS1_3genE0ELNS1_11target_archE4294967295ELNS1_3gpuE0ELNS1_3repE0EEENS1_30default_config_static_selectorELNS0_4arch9wavefront6targetE0EEEvT1_,@function
_ZN7rocprim17ROCPRIM_400000_NS6detail17trampoline_kernelINS0_14default_configENS1_33run_length_encode_config_selectorIhjNS0_4plusIjEEEEZZNS1_33reduce_by_key_impl_wrapped_configILNS1_25lookback_scan_determinismE0ES3_S7_PKhNS0_17constant_iteratorIjlEEPhPlSF_S6_NS0_8equal_toIhEEEE10hipError_tPvRmT2_T3_mT4_T5_T6_T7_T8_P12ihipStream_tbENKUlT_T0_E_clISt17integral_constantIbLb1EESY_IbLb0EEEEDaSU_SV_EUlSU_E_NS1_11comp_targetILNS1_3genE0ELNS1_11target_archE4294967295ELNS1_3gpuE0ELNS1_3repE0EEENS1_30default_config_static_selectorELNS0_4arch9wavefront6targetE0EEEvT1_: ; @_ZN7rocprim17ROCPRIM_400000_NS6detail17trampoline_kernelINS0_14default_configENS1_33run_length_encode_config_selectorIhjNS0_4plusIjEEEEZZNS1_33reduce_by_key_impl_wrapped_configILNS1_25lookback_scan_determinismE0ES3_S7_PKhNS0_17constant_iteratorIjlEEPhPlSF_S6_NS0_8equal_toIhEEEE10hipError_tPvRmT2_T3_mT4_T5_T6_T7_T8_P12ihipStream_tbENKUlT_T0_E_clISt17integral_constantIbLb1EESY_IbLb0EEEEDaSU_SV_EUlSU_E_NS1_11comp_targetILNS1_3genE0ELNS1_11target_archE4294967295ELNS1_3gpuE0ELNS1_3repE0EEENS1_30default_config_static_selectorELNS0_4arch9wavefront6targetE0EEEvT1_
; %bb.0:
	s_endpgm
	.section	.rodata,"a",@progbits
	.p2align	6, 0x0
	.amdhsa_kernel _ZN7rocprim17ROCPRIM_400000_NS6detail17trampoline_kernelINS0_14default_configENS1_33run_length_encode_config_selectorIhjNS0_4plusIjEEEEZZNS1_33reduce_by_key_impl_wrapped_configILNS1_25lookback_scan_determinismE0ES3_S7_PKhNS0_17constant_iteratorIjlEEPhPlSF_S6_NS0_8equal_toIhEEEE10hipError_tPvRmT2_T3_mT4_T5_T6_T7_T8_P12ihipStream_tbENKUlT_T0_E_clISt17integral_constantIbLb1EESY_IbLb0EEEEDaSU_SV_EUlSU_E_NS1_11comp_targetILNS1_3genE0ELNS1_11target_archE4294967295ELNS1_3gpuE0ELNS1_3repE0EEENS1_30default_config_static_selectorELNS0_4arch9wavefront6targetE0EEEvT1_
		.amdhsa_group_segment_fixed_size 0
		.amdhsa_private_segment_fixed_size 0
		.amdhsa_kernarg_size 128
		.amdhsa_user_sgpr_count 2
		.amdhsa_user_sgpr_dispatch_ptr 0
		.amdhsa_user_sgpr_queue_ptr 0
		.amdhsa_user_sgpr_kernarg_segment_ptr 1
		.amdhsa_user_sgpr_dispatch_id 0
		.amdhsa_user_sgpr_kernarg_preload_length 0
		.amdhsa_user_sgpr_kernarg_preload_offset 0
		.amdhsa_user_sgpr_private_segment_size 0
		.amdhsa_wavefront_size32 1
		.amdhsa_uses_dynamic_stack 0
		.amdhsa_enable_private_segment 0
		.amdhsa_system_sgpr_workgroup_id_x 1
		.amdhsa_system_sgpr_workgroup_id_y 0
		.amdhsa_system_sgpr_workgroup_id_z 0
		.amdhsa_system_sgpr_workgroup_info 0
		.amdhsa_system_vgpr_workitem_id 0
		.amdhsa_next_free_vgpr 1
		.amdhsa_next_free_sgpr 1
		.amdhsa_named_barrier_count 0
		.amdhsa_reserve_vcc 0
		.amdhsa_float_round_mode_32 0
		.amdhsa_float_round_mode_16_64 0
		.amdhsa_float_denorm_mode_32 3
		.amdhsa_float_denorm_mode_16_64 3
		.amdhsa_fp16_overflow 0
		.amdhsa_memory_ordered 1
		.amdhsa_forward_progress 1
		.amdhsa_inst_pref_size 1
		.amdhsa_round_robin_scheduling 0
		.amdhsa_exception_fp_ieee_invalid_op 0
		.amdhsa_exception_fp_denorm_src 0
		.amdhsa_exception_fp_ieee_div_zero 0
		.amdhsa_exception_fp_ieee_overflow 0
		.amdhsa_exception_fp_ieee_underflow 0
		.amdhsa_exception_fp_ieee_inexact 0
		.amdhsa_exception_int_div_zero 0
	.end_amdhsa_kernel
	.section	.text._ZN7rocprim17ROCPRIM_400000_NS6detail17trampoline_kernelINS0_14default_configENS1_33run_length_encode_config_selectorIhjNS0_4plusIjEEEEZZNS1_33reduce_by_key_impl_wrapped_configILNS1_25lookback_scan_determinismE0ES3_S7_PKhNS0_17constant_iteratorIjlEEPhPlSF_S6_NS0_8equal_toIhEEEE10hipError_tPvRmT2_T3_mT4_T5_T6_T7_T8_P12ihipStream_tbENKUlT_T0_E_clISt17integral_constantIbLb1EESY_IbLb0EEEEDaSU_SV_EUlSU_E_NS1_11comp_targetILNS1_3genE0ELNS1_11target_archE4294967295ELNS1_3gpuE0ELNS1_3repE0EEENS1_30default_config_static_selectorELNS0_4arch9wavefront6targetE0EEEvT1_,"axG",@progbits,_ZN7rocprim17ROCPRIM_400000_NS6detail17trampoline_kernelINS0_14default_configENS1_33run_length_encode_config_selectorIhjNS0_4plusIjEEEEZZNS1_33reduce_by_key_impl_wrapped_configILNS1_25lookback_scan_determinismE0ES3_S7_PKhNS0_17constant_iteratorIjlEEPhPlSF_S6_NS0_8equal_toIhEEEE10hipError_tPvRmT2_T3_mT4_T5_T6_T7_T8_P12ihipStream_tbENKUlT_T0_E_clISt17integral_constantIbLb1EESY_IbLb0EEEEDaSU_SV_EUlSU_E_NS1_11comp_targetILNS1_3genE0ELNS1_11target_archE4294967295ELNS1_3gpuE0ELNS1_3repE0EEENS1_30default_config_static_selectorELNS0_4arch9wavefront6targetE0EEEvT1_,comdat
.Lfunc_end184:
	.size	_ZN7rocprim17ROCPRIM_400000_NS6detail17trampoline_kernelINS0_14default_configENS1_33run_length_encode_config_selectorIhjNS0_4plusIjEEEEZZNS1_33reduce_by_key_impl_wrapped_configILNS1_25lookback_scan_determinismE0ES3_S7_PKhNS0_17constant_iteratorIjlEEPhPlSF_S6_NS0_8equal_toIhEEEE10hipError_tPvRmT2_T3_mT4_T5_T6_T7_T8_P12ihipStream_tbENKUlT_T0_E_clISt17integral_constantIbLb1EESY_IbLb0EEEEDaSU_SV_EUlSU_E_NS1_11comp_targetILNS1_3genE0ELNS1_11target_archE4294967295ELNS1_3gpuE0ELNS1_3repE0EEENS1_30default_config_static_selectorELNS0_4arch9wavefront6targetE0EEEvT1_, .Lfunc_end184-_ZN7rocprim17ROCPRIM_400000_NS6detail17trampoline_kernelINS0_14default_configENS1_33run_length_encode_config_selectorIhjNS0_4plusIjEEEEZZNS1_33reduce_by_key_impl_wrapped_configILNS1_25lookback_scan_determinismE0ES3_S7_PKhNS0_17constant_iteratorIjlEEPhPlSF_S6_NS0_8equal_toIhEEEE10hipError_tPvRmT2_T3_mT4_T5_T6_T7_T8_P12ihipStream_tbENKUlT_T0_E_clISt17integral_constantIbLb1EESY_IbLb0EEEEDaSU_SV_EUlSU_E_NS1_11comp_targetILNS1_3genE0ELNS1_11target_archE4294967295ELNS1_3gpuE0ELNS1_3repE0EEENS1_30default_config_static_selectorELNS0_4arch9wavefront6targetE0EEEvT1_
                                        ; -- End function
	.set _ZN7rocprim17ROCPRIM_400000_NS6detail17trampoline_kernelINS0_14default_configENS1_33run_length_encode_config_selectorIhjNS0_4plusIjEEEEZZNS1_33reduce_by_key_impl_wrapped_configILNS1_25lookback_scan_determinismE0ES3_S7_PKhNS0_17constant_iteratorIjlEEPhPlSF_S6_NS0_8equal_toIhEEEE10hipError_tPvRmT2_T3_mT4_T5_T6_T7_T8_P12ihipStream_tbENKUlT_T0_E_clISt17integral_constantIbLb1EESY_IbLb0EEEEDaSU_SV_EUlSU_E_NS1_11comp_targetILNS1_3genE0ELNS1_11target_archE4294967295ELNS1_3gpuE0ELNS1_3repE0EEENS1_30default_config_static_selectorELNS0_4arch9wavefront6targetE0EEEvT1_.num_vgpr, 0
	.set _ZN7rocprim17ROCPRIM_400000_NS6detail17trampoline_kernelINS0_14default_configENS1_33run_length_encode_config_selectorIhjNS0_4plusIjEEEEZZNS1_33reduce_by_key_impl_wrapped_configILNS1_25lookback_scan_determinismE0ES3_S7_PKhNS0_17constant_iteratorIjlEEPhPlSF_S6_NS0_8equal_toIhEEEE10hipError_tPvRmT2_T3_mT4_T5_T6_T7_T8_P12ihipStream_tbENKUlT_T0_E_clISt17integral_constantIbLb1EESY_IbLb0EEEEDaSU_SV_EUlSU_E_NS1_11comp_targetILNS1_3genE0ELNS1_11target_archE4294967295ELNS1_3gpuE0ELNS1_3repE0EEENS1_30default_config_static_selectorELNS0_4arch9wavefront6targetE0EEEvT1_.num_agpr, 0
	.set _ZN7rocprim17ROCPRIM_400000_NS6detail17trampoline_kernelINS0_14default_configENS1_33run_length_encode_config_selectorIhjNS0_4plusIjEEEEZZNS1_33reduce_by_key_impl_wrapped_configILNS1_25lookback_scan_determinismE0ES3_S7_PKhNS0_17constant_iteratorIjlEEPhPlSF_S6_NS0_8equal_toIhEEEE10hipError_tPvRmT2_T3_mT4_T5_T6_T7_T8_P12ihipStream_tbENKUlT_T0_E_clISt17integral_constantIbLb1EESY_IbLb0EEEEDaSU_SV_EUlSU_E_NS1_11comp_targetILNS1_3genE0ELNS1_11target_archE4294967295ELNS1_3gpuE0ELNS1_3repE0EEENS1_30default_config_static_selectorELNS0_4arch9wavefront6targetE0EEEvT1_.numbered_sgpr, 0
	.set _ZN7rocprim17ROCPRIM_400000_NS6detail17trampoline_kernelINS0_14default_configENS1_33run_length_encode_config_selectorIhjNS0_4plusIjEEEEZZNS1_33reduce_by_key_impl_wrapped_configILNS1_25lookback_scan_determinismE0ES3_S7_PKhNS0_17constant_iteratorIjlEEPhPlSF_S6_NS0_8equal_toIhEEEE10hipError_tPvRmT2_T3_mT4_T5_T6_T7_T8_P12ihipStream_tbENKUlT_T0_E_clISt17integral_constantIbLb1EESY_IbLb0EEEEDaSU_SV_EUlSU_E_NS1_11comp_targetILNS1_3genE0ELNS1_11target_archE4294967295ELNS1_3gpuE0ELNS1_3repE0EEENS1_30default_config_static_selectorELNS0_4arch9wavefront6targetE0EEEvT1_.num_named_barrier, 0
	.set _ZN7rocprim17ROCPRIM_400000_NS6detail17trampoline_kernelINS0_14default_configENS1_33run_length_encode_config_selectorIhjNS0_4plusIjEEEEZZNS1_33reduce_by_key_impl_wrapped_configILNS1_25lookback_scan_determinismE0ES3_S7_PKhNS0_17constant_iteratorIjlEEPhPlSF_S6_NS0_8equal_toIhEEEE10hipError_tPvRmT2_T3_mT4_T5_T6_T7_T8_P12ihipStream_tbENKUlT_T0_E_clISt17integral_constantIbLb1EESY_IbLb0EEEEDaSU_SV_EUlSU_E_NS1_11comp_targetILNS1_3genE0ELNS1_11target_archE4294967295ELNS1_3gpuE0ELNS1_3repE0EEENS1_30default_config_static_selectorELNS0_4arch9wavefront6targetE0EEEvT1_.private_seg_size, 0
	.set _ZN7rocprim17ROCPRIM_400000_NS6detail17trampoline_kernelINS0_14default_configENS1_33run_length_encode_config_selectorIhjNS0_4plusIjEEEEZZNS1_33reduce_by_key_impl_wrapped_configILNS1_25lookback_scan_determinismE0ES3_S7_PKhNS0_17constant_iteratorIjlEEPhPlSF_S6_NS0_8equal_toIhEEEE10hipError_tPvRmT2_T3_mT4_T5_T6_T7_T8_P12ihipStream_tbENKUlT_T0_E_clISt17integral_constantIbLb1EESY_IbLb0EEEEDaSU_SV_EUlSU_E_NS1_11comp_targetILNS1_3genE0ELNS1_11target_archE4294967295ELNS1_3gpuE0ELNS1_3repE0EEENS1_30default_config_static_selectorELNS0_4arch9wavefront6targetE0EEEvT1_.uses_vcc, 0
	.set _ZN7rocprim17ROCPRIM_400000_NS6detail17trampoline_kernelINS0_14default_configENS1_33run_length_encode_config_selectorIhjNS0_4plusIjEEEEZZNS1_33reduce_by_key_impl_wrapped_configILNS1_25lookback_scan_determinismE0ES3_S7_PKhNS0_17constant_iteratorIjlEEPhPlSF_S6_NS0_8equal_toIhEEEE10hipError_tPvRmT2_T3_mT4_T5_T6_T7_T8_P12ihipStream_tbENKUlT_T0_E_clISt17integral_constantIbLb1EESY_IbLb0EEEEDaSU_SV_EUlSU_E_NS1_11comp_targetILNS1_3genE0ELNS1_11target_archE4294967295ELNS1_3gpuE0ELNS1_3repE0EEENS1_30default_config_static_selectorELNS0_4arch9wavefront6targetE0EEEvT1_.uses_flat_scratch, 0
	.set _ZN7rocprim17ROCPRIM_400000_NS6detail17trampoline_kernelINS0_14default_configENS1_33run_length_encode_config_selectorIhjNS0_4plusIjEEEEZZNS1_33reduce_by_key_impl_wrapped_configILNS1_25lookback_scan_determinismE0ES3_S7_PKhNS0_17constant_iteratorIjlEEPhPlSF_S6_NS0_8equal_toIhEEEE10hipError_tPvRmT2_T3_mT4_T5_T6_T7_T8_P12ihipStream_tbENKUlT_T0_E_clISt17integral_constantIbLb1EESY_IbLb0EEEEDaSU_SV_EUlSU_E_NS1_11comp_targetILNS1_3genE0ELNS1_11target_archE4294967295ELNS1_3gpuE0ELNS1_3repE0EEENS1_30default_config_static_selectorELNS0_4arch9wavefront6targetE0EEEvT1_.has_dyn_sized_stack, 0
	.set _ZN7rocprim17ROCPRIM_400000_NS6detail17trampoline_kernelINS0_14default_configENS1_33run_length_encode_config_selectorIhjNS0_4plusIjEEEEZZNS1_33reduce_by_key_impl_wrapped_configILNS1_25lookback_scan_determinismE0ES3_S7_PKhNS0_17constant_iteratorIjlEEPhPlSF_S6_NS0_8equal_toIhEEEE10hipError_tPvRmT2_T3_mT4_T5_T6_T7_T8_P12ihipStream_tbENKUlT_T0_E_clISt17integral_constantIbLb1EESY_IbLb0EEEEDaSU_SV_EUlSU_E_NS1_11comp_targetILNS1_3genE0ELNS1_11target_archE4294967295ELNS1_3gpuE0ELNS1_3repE0EEENS1_30default_config_static_selectorELNS0_4arch9wavefront6targetE0EEEvT1_.has_recursion, 0
	.set _ZN7rocprim17ROCPRIM_400000_NS6detail17trampoline_kernelINS0_14default_configENS1_33run_length_encode_config_selectorIhjNS0_4plusIjEEEEZZNS1_33reduce_by_key_impl_wrapped_configILNS1_25lookback_scan_determinismE0ES3_S7_PKhNS0_17constant_iteratorIjlEEPhPlSF_S6_NS0_8equal_toIhEEEE10hipError_tPvRmT2_T3_mT4_T5_T6_T7_T8_P12ihipStream_tbENKUlT_T0_E_clISt17integral_constantIbLb1EESY_IbLb0EEEEDaSU_SV_EUlSU_E_NS1_11comp_targetILNS1_3genE0ELNS1_11target_archE4294967295ELNS1_3gpuE0ELNS1_3repE0EEENS1_30default_config_static_selectorELNS0_4arch9wavefront6targetE0EEEvT1_.has_indirect_call, 0
	.section	.AMDGPU.csdata,"",@progbits
; Kernel info:
; codeLenInByte = 4
; TotalNumSgprs: 0
; NumVgprs: 0
; ScratchSize: 0
; MemoryBound: 0
; FloatMode: 240
; IeeeMode: 1
; LDSByteSize: 0 bytes/workgroup (compile time only)
; SGPRBlocks: 0
; VGPRBlocks: 0
; NumSGPRsForWavesPerEU: 1
; NumVGPRsForWavesPerEU: 1
; NamedBarCnt: 0
; Occupancy: 16
; WaveLimiterHint : 0
; COMPUTE_PGM_RSRC2:SCRATCH_EN: 0
; COMPUTE_PGM_RSRC2:USER_SGPR: 2
; COMPUTE_PGM_RSRC2:TRAP_HANDLER: 0
; COMPUTE_PGM_RSRC2:TGID_X_EN: 1
; COMPUTE_PGM_RSRC2:TGID_Y_EN: 0
; COMPUTE_PGM_RSRC2:TGID_Z_EN: 0
; COMPUTE_PGM_RSRC2:TIDIG_COMP_CNT: 0
	.section	.text._ZN7rocprim17ROCPRIM_400000_NS6detail17trampoline_kernelINS0_14default_configENS1_33run_length_encode_config_selectorIhjNS0_4plusIjEEEEZZNS1_33reduce_by_key_impl_wrapped_configILNS1_25lookback_scan_determinismE0ES3_S7_PKhNS0_17constant_iteratorIjlEEPhPlSF_S6_NS0_8equal_toIhEEEE10hipError_tPvRmT2_T3_mT4_T5_T6_T7_T8_P12ihipStream_tbENKUlT_T0_E_clISt17integral_constantIbLb1EESY_IbLb0EEEEDaSU_SV_EUlSU_E_NS1_11comp_targetILNS1_3genE5ELNS1_11target_archE942ELNS1_3gpuE9ELNS1_3repE0EEENS1_30default_config_static_selectorELNS0_4arch9wavefront6targetE0EEEvT1_,"axG",@progbits,_ZN7rocprim17ROCPRIM_400000_NS6detail17trampoline_kernelINS0_14default_configENS1_33run_length_encode_config_selectorIhjNS0_4plusIjEEEEZZNS1_33reduce_by_key_impl_wrapped_configILNS1_25lookback_scan_determinismE0ES3_S7_PKhNS0_17constant_iteratorIjlEEPhPlSF_S6_NS0_8equal_toIhEEEE10hipError_tPvRmT2_T3_mT4_T5_T6_T7_T8_P12ihipStream_tbENKUlT_T0_E_clISt17integral_constantIbLb1EESY_IbLb0EEEEDaSU_SV_EUlSU_E_NS1_11comp_targetILNS1_3genE5ELNS1_11target_archE942ELNS1_3gpuE9ELNS1_3repE0EEENS1_30default_config_static_selectorELNS0_4arch9wavefront6targetE0EEEvT1_,comdat
	.protected	_ZN7rocprim17ROCPRIM_400000_NS6detail17trampoline_kernelINS0_14default_configENS1_33run_length_encode_config_selectorIhjNS0_4plusIjEEEEZZNS1_33reduce_by_key_impl_wrapped_configILNS1_25lookback_scan_determinismE0ES3_S7_PKhNS0_17constant_iteratorIjlEEPhPlSF_S6_NS0_8equal_toIhEEEE10hipError_tPvRmT2_T3_mT4_T5_T6_T7_T8_P12ihipStream_tbENKUlT_T0_E_clISt17integral_constantIbLb1EESY_IbLb0EEEEDaSU_SV_EUlSU_E_NS1_11comp_targetILNS1_3genE5ELNS1_11target_archE942ELNS1_3gpuE9ELNS1_3repE0EEENS1_30default_config_static_selectorELNS0_4arch9wavefront6targetE0EEEvT1_ ; -- Begin function _ZN7rocprim17ROCPRIM_400000_NS6detail17trampoline_kernelINS0_14default_configENS1_33run_length_encode_config_selectorIhjNS0_4plusIjEEEEZZNS1_33reduce_by_key_impl_wrapped_configILNS1_25lookback_scan_determinismE0ES3_S7_PKhNS0_17constant_iteratorIjlEEPhPlSF_S6_NS0_8equal_toIhEEEE10hipError_tPvRmT2_T3_mT4_T5_T6_T7_T8_P12ihipStream_tbENKUlT_T0_E_clISt17integral_constantIbLb1EESY_IbLb0EEEEDaSU_SV_EUlSU_E_NS1_11comp_targetILNS1_3genE5ELNS1_11target_archE942ELNS1_3gpuE9ELNS1_3repE0EEENS1_30default_config_static_selectorELNS0_4arch9wavefront6targetE0EEEvT1_
	.globl	_ZN7rocprim17ROCPRIM_400000_NS6detail17trampoline_kernelINS0_14default_configENS1_33run_length_encode_config_selectorIhjNS0_4plusIjEEEEZZNS1_33reduce_by_key_impl_wrapped_configILNS1_25lookback_scan_determinismE0ES3_S7_PKhNS0_17constant_iteratorIjlEEPhPlSF_S6_NS0_8equal_toIhEEEE10hipError_tPvRmT2_T3_mT4_T5_T6_T7_T8_P12ihipStream_tbENKUlT_T0_E_clISt17integral_constantIbLb1EESY_IbLb0EEEEDaSU_SV_EUlSU_E_NS1_11comp_targetILNS1_3genE5ELNS1_11target_archE942ELNS1_3gpuE9ELNS1_3repE0EEENS1_30default_config_static_selectorELNS0_4arch9wavefront6targetE0EEEvT1_
	.p2align	8
	.type	_ZN7rocprim17ROCPRIM_400000_NS6detail17trampoline_kernelINS0_14default_configENS1_33run_length_encode_config_selectorIhjNS0_4plusIjEEEEZZNS1_33reduce_by_key_impl_wrapped_configILNS1_25lookback_scan_determinismE0ES3_S7_PKhNS0_17constant_iteratorIjlEEPhPlSF_S6_NS0_8equal_toIhEEEE10hipError_tPvRmT2_T3_mT4_T5_T6_T7_T8_P12ihipStream_tbENKUlT_T0_E_clISt17integral_constantIbLb1EESY_IbLb0EEEEDaSU_SV_EUlSU_E_NS1_11comp_targetILNS1_3genE5ELNS1_11target_archE942ELNS1_3gpuE9ELNS1_3repE0EEENS1_30default_config_static_selectorELNS0_4arch9wavefront6targetE0EEEvT1_,@function
_ZN7rocprim17ROCPRIM_400000_NS6detail17trampoline_kernelINS0_14default_configENS1_33run_length_encode_config_selectorIhjNS0_4plusIjEEEEZZNS1_33reduce_by_key_impl_wrapped_configILNS1_25lookback_scan_determinismE0ES3_S7_PKhNS0_17constant_iteratorIjlEEPhPlSF_S6_NS0_8equal_toIhEEEE10hipError_tPvRmT2_T3_mT4_T5_T6_T7_T8_P12ihipStream_tbENKUlT_T0_E_clISt17integral_constantIbLb1EESY_IbLb0EEEEDaSU_SV_EUlSU_E_NS1_11comp_targetILNS1_3genE5ELNS1_11target_archE942ELNS1_3gpuE9ELNS1_3repE0EEENS1_30default_config_static_selectorELNS0_4arch9wavefront6targetE0EEEvT1_: ; @_ZN7rocprim17ROCPRIM_400000_NS6detail17trampoline_kernelINS0_14default_configENS1_33run_length_encode_config_selectorIhjNS0_4plusIjEEEEZZNS1_33reduce_by_key_impl_wrapped_configILNS1_25lookback_scan_determinismE0ES3_S7_PKhNS0_17constant_iteratorIjlEEPhPlSF_S6_NS0_8equal_toIhEEEE10hipError_tPvRmT2_T3_mT4_T5_T6_T7_T8_P12ihipStream_tbENKUlT_T0_E_clISt17integral_constantIbLb1EESY_IbLb0EEEEDaSU_SV_EUlSU_E_NS1_11comp_targetILNS1_3genE5ELNS1_11target_archE942ELNS1_3gpuE9ELNS1_3repE0EEENS1_30default_config_static_selectorELNS0_4arch9wavefront6targetE0EEEvT1_
; %bb.0:
	.section	.rodata,"a",@progbits
	.p2align	6, 0x0
	.amdhsa_kernel _ZN7rocprim17ROCPRIM_400000_NS6detail17trampoline_kernelINS0_14default_configENS1_33run_length_encode_config_selectorIhjNS0_4plusIjEEEEZZNS1_33reduce_by_key_impl_wrapped_configILNS1_25lookback_scan_determinismE0ES3_S7_PKhNS0_17constant_iteratorIjlEEPhPlSF_S6_NS0_8equal_toIhEEEE10hipError_tPvRmT2_T3_mT4_T5_T6_T7_T8_P12ihipStream_tbENKUlT_T0_E_clISt17integral_constantIbLb1EESY_IbLb0EEEEDaSU_SV_EUlSU_E_NS1_11comp_targetILNS1_3genE5ELNS1_11target_archE942ELNS1_3gpuE9ELNS1_3repE0EEENS1_30default_config_static_selectorELNS0_4arch9wavefront6targetE0EEEvT1_
		.amdhsa_group_segment_fixed_size 0
		.amdhsa_private_segment_fixed_size 0
		.amdhsa_kernarg_size 128
		.amdhsa_user_sgpr_count 2
		.amdhsa_user_sgpr_dispatch_ptr 0
		.amdhsa_user_sgpr_queue_ptr 0
		.amdhsa_user_sgpr_kernarg_segment_ptr 1
		.amdhsa_user_sgpr_dispatch_id 0
		.amdhsa_user_sgpr_kernarg_preload_length 0
		.amdhsa_user_sgpr_kernarg_preload_offset 0
		.amdhsa_user_sgpr_private_segment_size 0
		.amdhsa_wavefront_size32 1
		.amdhsa_uses_dynamic_stack 0
		.amdhsa_enable_private_segment 0
		.amdhsa_system_sgpr_workgroup_id_x 1
		.amdhsa_system_sgpr_workgroup_id_y 0
		.amdhsa_system_sgpr_workgroup_id_z 0
		.amdhsa_system_sgpr_workgroup_info 0
		.amdhsa_system_vgpr_workitem_id 0
		.amdhsa_next_free_vgpr 1
		.amdhsa_next_free_sgpr 1
		.amdhsa_named_barrier_count 0
		.amdhsa_reserve_vcc 0
		.amdhsa_float_round_mode_32 0
		.amdhsa_float_round_mode_16_64 0
		.amdhsa_float_denorm_mode_32 3
		.amdhsa_float_denorm_mode_16_64 3
		.amdhsa_fp16_overflow 0
		.amdhsa_memory_ordered 1
		.amdhsa_forward_progress 1
		.amdhsa_inst_pref_size 0
		.amdhsa_round_robin_scheduling 0
		.amdhsa_exception_fp_ieee_invalid_op 0
		.amdhsa_exception_fp_denorm_src 0
		.amdhsa_exception_fp_ieee_div_zero 0
		.amdhsa_exception_fp_ieee_overflow 0
		.amdhsa_exception_fp_ieee_underflow 0
		.amdhsa_exception_fp_ieee_inexact 0
		.amdhsa_exception_int_div_zero 0
	.end_amdhsa_kernel
	.section	.text._ZN7rocprim17ROCPRIM_400000_NS6detail17trampoline_kernelINS0_14default_configENS1_33run_length_encode_config_selectorIhjNS0_4plusIjEEEEZZNS1_33reduce_by_key_impl_wrapped_configILNS1_25lookback_scan_determinismE0ES3_S7_PKhNS0_17constant_iteratorIjlEEPhPlSF_S6_NS0_8equal_toIhEEEE10hipError_tPvRmT2_T3_mT4_T5_T6_T7_T8_P12ihipStream_tbENKUlT_T0_E_clISt17integral_constantIbLb1EESY_IbLb0EEEEDaSU_SV_EUlSU_E_NS1_11comp_targetILNS1_3genE5ELNS1_11target_archE942ELNS1_3gpuE9ELNS1_3repE0EEENS1_30default_config_static_selectorELNS0_4arch9wavefront6targetE0EEEvT1_,"axG",@progbits,_ZN7rocprim17ROCPRIM_400000_NS6detail17trampoline_kernelINS0_14default_configENS1_33run_length_encode_config_selectorIhjNS0_4plusIjEEEEZZNS1_33reduce_by_key_impl_wrapped_configILNS1_25lookback_scan_determinismE0ES3_S7_PKhNS0_17constant_iteratorIjlEEPhPlSF_S6_NS0_8equal_toIhEEEE10hipError_tPvRmT2_T3_mT4_T5_T6_T7_T8_P12ihipStream_tbENKUlT_T0_E_clISt17integral_constantIbLb1EESY_IbLb0EEEEDaSU_SV_EUlSU_E_NS1_11comp_targetILNS1_3genE5ELNS1_11target_archE942ELNS1_3gpuE9ELNS1_3repE0EEENS1_30default_config_static_selectorELNS0_4arch9wavefront6targetE0EEEvT1_,comdat
.Lfunc_end185:
	.size	_ZN7rocprim17ROCPRIM_400000_NS6detail17trampoline_kernelINS0_14default_configENS1_33run_length_encode_config_selectorIhjNS0_4plusIjEEEEZZNS1_33reduce_by_key_impl_wrapped_configILNS1_25lookback_scan_determinismE0ES3_S7_PKhNS0_17constant_iteratorIjlEEPhPlSF_S6_NS0_8equal_toIhEEEE10hipError_tPvRmT2_T3_mT4_T5_T6_T7_T8_P12ihipStream_tbENKUlT_T0_E_clISt17integral_constantIbLb1EESY_IbLb0EEEEDaSU_SV_EUlSU_E_NS1_11comp_targetILNS1_3genE5ELNS1_11target_archE942ELNS1_3gpuE9ELNS1_3repE0EEENS1_30default_config_static_selectorELNS0_4arch9wavefront6targetE0EEEvT1_, .Lfunc_end185-_ZN7rocprim17ROCPRIM_400000_NS6detail17trampoline_kernelINS0_14default_configENS1_33run_length_encode_config_selectorIhjNS0_4plusIjEEEEZZNS1_33reduce_by_key_impl_wrapped_configILNS1_25lookback_scan_determinismE0ES3_S7_PKhNS0_17constant_iteratorIjlEEPhPlSF_S6_NS0_8equal_toIhEEEE10hipError_tPvRmT2_T3_mT4_T5_T6_T7_T8_P12ihipStream_tbENKUlT_T0_E_clISt17integral_constantIbLb1EESY_IbLb0EEEEDaSU_SV_EUlSU_E_NS1_11comp_targetILNS1_3genE5ELNS1_11target_archE942ELNS1_3gpuE9ELNS1_3repE0EEENS1_30default_config_static_selectorELNS0_4arch9wavefront6targetE0EEEvT1_
                                        ; -- End function
	.set _ZN7rocprim17ROCPRIM_400000_NS6detail17trampoline_kernelINS0_14default_configENS1_33run_length_encode_config_selectorIhjNS0_4plusIjEEEEZZNS1_33reduce_by_key_impl_wrapped_configILNS1_25lookback_scan_determinismE0ES3_S7_PKhNS0_17constant_iteratorIjlEEPhPlSF_S6_NS0_8equal_toIhEEEE10hipError_tPvRmT2_T3_mT4_T5_T6_T7_T8_P12ihipStream_tbENKUlT_T0_E_clISt17integral_constantIbLb1EESY_IbLb0EEEEDaSU_SV_EUlSU_E_NS1_11comp_targetILNS1_3genE5ELNS1_11target_archE942ELNS1_3gpuE9ELNS1_3repE0EEENS1_30default_config_static_selectorELNS0_4arch9wavefront6targetE0EEEvT1_.num_vgpr, 0
	.set _ZN7rocprim17ROCPRIM_400000_NS6detail17trampoline_kernelINS0_14default_configENS1_33run_length_encode_config_selectorIhjNS0_4plusIjEEEEZZNS1_33reduce_by_key_impl_wrapped_configILNS1_25lookback_scan_determinismE0ES3_S7_PKhNS0_17constant_iteratorIjlEEPhPlSF_S6_NS0_8equal_toIhEEEE10hipError_tPvRmT2_T3_mT4_T5_T6_T7_T8_P12ihipStream_tbENKUlT_T0_E_clISt17integral_constantIbLb1EESY_IbLb0EEEEDaSU_SV_EUlSU_E_NS1_11comp_targetILNS1_3genE5ELNS1_11target_archE942ELNS1_3gpuE9ELNS1_3repE0EEENS1_30default_config_static_selectorELNS0_4arch9wavefront6targetE0EEEvT1_.num_agpr, 0
	.set _ZN7rocprim17ROCPRIM_400000_NS6detail17trampoline_kernelINS0_14default_configENS1_33run_length_encode_config_selectorIhjNS0_4plusIjEEEEZZNS1_33reduce_by_key_impl_wrapped_configILNS1_25lookback_scan_determinismE0ES3_S7_PKhNS0_17constant_iteratorIjlEEPhPlSF_S6_NS0_8equal_toIhEEEE10hipError_tPvRmT2_T3_mT4_T5_T6_T7_T8_P12ihipStream_tbENKUlT_T0_E_clISt17integral_constantIbLb1EESY_IbLb0EEEEDaSU_SV_EUlSU_E_NS1_11comp_targetILNS1_3genE5ELNS1_11target_archE942ELNS1_3gpuE9ELNS1_3repE0EEENS1_30default_config_static_selectorELNS0_4arch9wavefront6targetE0EEEvT1_.numbered_sgpr, 0
	.set _ZN7rocprim17ROCPRIM_400000_NS6detail17trampoline_kernelINS0_14default_configENS1_33run_length_encode_config_selectorIhjNS0_4plusIjEEEEZZNS1_33reduce_by_key_impl_wrapped_configILNS1_25lookback_scan_determinismE0ES3_S7_PKhNS0_17constant_iteratorIjlEEPhPlSF_S6_NS0_8equal_toIhEEEE10hipError_tPvRmT2_T3_mT4_T5_T6_T7_T8_P12ihipStream_tbENKUlT_T0_E_clISt17integral_constantIbLb1EESY_IbLb0EEEEDaSU_SV_EUlSU_E_NS1_11comp_targetILNS1_3genE5ELNS1_11target_archE942ELNS1_3gpuE9ELNS1_3repE0EEENS1_30default_config_static_selectorELNS0_4arch9wavefront6targetE0EEEvT1_.num_named_barrier, 0
	.set _ZN7rocprim17ROCPRIM_400000_NS6detail17trampoline_kernelINS0_14default_configENS1_33run_length_encode_config_selectorIhjNS0_4plusIjEEEEZZNS1_33reduce_by_key_impl_wrapped_configILNS1_25lookback_scan_determinismE0ES3_S7_PKhNS0_17constant_iteratorIjlEEPhPlSF_S6_NS0_8equal_toIhEEEE10hipError_tPvRmT2_T3_mT4_T5_T6_T7_T8_P12ihipStream_tbENKUlT_T0_E_clISt17integral_constantIbLb1EESY_IbLb0EEEEDaSU_SV_EUlSU_E_NS1_11comp_targetILNS1_3genE5ELNS1_11target_archE942ELNS1_3gpuE9ELNS1_3repE0EEENS1_30default_config_static_selectorELNS0_4arch9wavefront6targetE0EEEvT1_.private_seg_size, 0
	.set _ZN7rocprim17ROCPRIM_400000_NS6detail17trampoline_kernelINS0_14default_configENS1_33run_length_encode_config_selectorIhjNS0_4plusIjEEEEZZNS1_33reduce_by_key_impl_wrapped_configILNS1_25lookback_scan_determinismE0ES3_S7_PKhNS0_17constant_iteratorIjlEEPhPlSF_S6_NS0_8equal_toIhEEEE10hipError_tPvRmT2_T3_mT4_T5_T6_T7_T8_P12ihipStream_tbENKUlT_T0_E_clISt17integral_constantIbLb1EESY_IbLb0EEEEDaSU_SV_EUlSU_E_NS1_11comp_targetILNS1_3genE5ELNS1_11target_archE942ELNS1_3gpuE9ELNS1_3repE0EEENS1_30default_config_static_selectorELNS0_4arch9wavefront6targetE0EEEvT1_.uses_vcc, 0
	.set _ZN7rocprim17ROCPRIM_400000_NS6detail17trampoline_kernelINS0_14default_configENS1_33run_length_encode_config_selectorIhjNS0_4plusIjEEEEZZNS1_33reduce_by_key_impl_wrapped_configILNS1_25lookback_scan_determinismE0ES3_S7_PKhNS0_17constant_iteratorIjlEEPhPlSF_S6_NS0_8equal_toIhEEEE10hipError_tPvRmT2_T3_mT4_T5_T6_T7_T8_P12ihipStream_tbENKUlT_T0_E_clISt17integral_constantIbLb1EESY_IbLb0EEEEDaSU_SV_EUlSU_E_NS1_11comp_targetILNS1_3genE5ELNS1_11target_archE942ELNS1_3gpuE9ELNS1_3repE0EEENS1_30default_config_static_selectorELNS0_4arch9wavefront6targetE0EEEvT1_.uses_flat_scratch, 0
	.set _ZN7rocprim17ROCPRIM_400000_NS6detail17trampoline_kernelINS0_14default_configENS1_33run_length_encode_config_selectorIhjNS0_4plusIjEEEEZZNS1_33reduce_by_key_impl_wrapped_configILNS1_25lookback_scan_determinismE0ES3_S7_PKhNS0_17constant_iteratorIjlEEPhPlSF_S6_NS0_8equal_toIhEEEE10hipError_tPvRmT2_T3_mT4_T5_T6_T7_T8_P12ihipStream_tbENKUlT_T0_E_clISt17integral_constantIbLb1EESY_IbLb0EEEEDaSU_SV_EUlSU_E_NS1_11comp_targetILNS1_3genE5ELNS1_11target_archE942ELNS1_3gpuE9ELNS1_3repE0EEENS1_30default_config_static_selectorELNS0_4arch9wavefront6targetE0EEEvT1_.has_dyn_sized_stack, 0
	.set _ZN7rocprim17ROCPRIM_400000_NS6detail17trampoline_kernelINS0_14default_configENS1_33run_length_encode_config_selectorIhjNS0_4plusIjEEEEZZNS1_33reduce_by_key_impl_wrapped_configILNS1_25lookback_scan_determinismE0ES3_S7_PKhNS0_17constant_iteratorIjlEEPhPlSF_S6_NS0_8equal_toIhEEEE10hipError_tPvRmT2_T3_mT4_T5_T6_T7_T8_P12ihipStream_tbENKUlT_T0_E_clISt17integral_constantIbLb1EESY_IbLb0EEEEDaSU_SV_EUlSU_E_NS1_11comp_targetILNS1_3genE5ELNS1_11target_archE942ELNS1_3gpuE9ELNS1_3repE0EEENS1_30default_config_static_selectorELNS0_4arch9wavefront6targetE0EEEvT1_.has_recursion, 0
	.set _ZN7rocprim17ROCPRIM_400000_NS6detail17trampoline_kernelINS0_14default_configENS1_33run_length_encode_config_selectorIhjNS0_4plusIjEEEEZZNS1_33reduce_by_key_impl_wrapped_configILNS1_25lookback_scan_determinismE0ES3_S7_PKhNS0_17constant_iteratorIjlEEPhPlSF_S6_NS0_8equal_toIhEEEE10hipError_tPvRmT2_T3_mT4_T5_T6_T7_T8_P12ihipStream_tbENKUlT_T0_E_clISt17integral_constantIbLb1EESY_IbLb0EEEEDaSU_SV_EUlSU_E_NS1_11comp_targetILNS1_3genE5ELNS1_11target_archE942ELNS1_3gpuE9ELNS1_3repE0EEENS1_30default_config_static_selectorELNS0_4arch9wavefront6targetE0EEEvT1_.has_indirect_call, 0
	.section	.AMDGPU.csdata,"",@progbits
; Kernel info:
; codeLenInByte = 0
; TotalNumSgprs: 0
; NumVgprs: 0
; ScratchSize: 0
; MemoryBound: 0
; FloatMode: 240
; IeeeMode: 1
; LDSByteSize: 0 bytes/workgroup (compile time only)
; SGPRBlocks: 0
; VGPRBlocks: 0
; NumSGPRsForWavesPerEU: 1
; NumVGPRsForWavesPerEU: 1
; NamedBarCnt: 0
; Occupancy: 16
; WaveLimiterHint : 0
; COMPUTE_PGM_RSRC2:SCRATCH_EN: 0
; COMPUTE_PGM_RSRC2:USER_SGPR: 2
; COMPUTE_PGM_RSRC2:TRAP_HANDLER: 0
; COMPUTE_PGM_RSRC2:TGID_X_EN: 1
; COMPUTE_PGM_RSRC2:TGID_Y_EN: 0
; COMPUTE_PGM_RSRC2:TGID_Z_EN: 0
; COMPUTE_PGM_RSRC2:TIDIG_COMP_CNT: 0
	.section	.text._ZN7rocprim17ROCPRIM_400000_NS6detail17trampoline_kernelINS0_14default_configENS1_33run_length_encode_config_selectorIhjNS0_4plusIjEEEEZZNS1_33reduce_by_key_impl_wrapped_configILNS1_25lookback_scan_determinismE0ES3_S7_PKhNS0_17constant_iteratorIjlEEPhPlSF_S6_NS0_8equal_toIhEEEE10hipError_tPvRmT2_T3_mT4_T5_T6_T7_T8_P12ihipStream_tbENKUlT_T0_E_clISt17integral_constantIbLb1EESY_IbLb0EEEEDaSU_SV_EUlSU_E_NS1_11comp_targetILNS1_3genE4ELNS1_11target_archE910ELNS1_3gpuE8ELNS1_3repE0EEENS1_30default_config_static_selectorELNS0_4arch9wavefront6targetE0EEEvT1_,"axG",@progbits,_ZN7rocprim17ROCPRIM_400000_NS6detail17trampoline_kernelINS0_14default_configENS1_33run_length_encode_config_selectorIhjNS0_4plusIjEEEEZZNS1_33reduce_by_key_impl_wrapped_configILNS1_25lookback_scan_determinismE0ES3_S7_PKhNS0_17constant_iteratorIjlEEPhPlSF_S6_NS0_8equal_toIhEEEE10hipError_tPvRmT2_T3_mT4_T5_T6_T7_T8_P12ihipStream_tbENKUlT_T0_E_clISt17integral_constantIbLb1EESY_IbLb0EEEEDaSU_SV_EUlSU_E_NS1_11comp_targetILNS1_3genE4ELNS1_11target_archE910ELNS1_3gpuE8ELNS1_3repE0EEENS1_30default_config_static_selectorELNS0_4arch9wavefront6targetE0EEEvT1_,comdat
	.protected	_ZN7rocprim17ROCPRIM_400000_NS6detail17trampoline_kernelINS0_14default_configENS1_33run_length_encode_config_selectorIhjNS0_4plusIjEEEEZZNS1_33reduce_by_key_impl_wrapped_configILNS1_25lookback_scan_determinismE0ES3_S7_PKhNS0_17constant_iteratorIjlEEPhPlSF_S6_NS0_8equal_toIhEEEE10hipError_tPvRmT2_T3_mT4_T5_T6_T7_T8_P12ihipStream_tbENKUlT_T0_E_clISt17integral_constantIbLb1EESY_IbLb0EEEEDaSU_SV_EUlSU_E_NS1_11comp_targetILNS1_3genE4ELNS1_11target_archE910ELNS1_3gpuE8ELNS1_3repE0EEENS1_30default_config_static_selectorELNS0_4arch9wavefront6targetE0EEEvT1_ ; -- Begin function _ZN7rocprim17ROCPRIM_400000_NS6detail17trampoline_kernelINS0_14default_configENS1_33run_length_encode_config_selectorIhjNS0_4plusIjEEEEZZNS1_33reduce_by_key_impl_wrapped_configILNS1_25lookback_scan_determinismE0ES3_S7_PKhNS0_17constant_iteratorIjlEEPhPlSF_S6_NS0_8equal_toIhEEEE10hipError_tPvRmT2_T3_mT4_T5_T6_T7_T8_P12ihipStream_tbENKUlT_T0_E_clISt17integral_constantIbLb1EESY_IbLb0EEEEDaSU_SV_EUlSU_E_NS1_11comp_targetILNS1_3genE4ELNS1_11target_archE910ELNS1_3gpuE8ELNS1_3repE0EEENS1_30default_config_static_selectorELNS0_4arch9wavefront6targetE0EEEvT1_
	.globl	_ZN7rocprim17ROCPRIM_400000_NS6detail17trampoline_kernelINS0_14default_configENS1_33run_length_encode_config_selectorIhjNS0_4plusIjEEEEZZNS1_33reduce_by_key_impl_wrapped_configILNS1_25lookback_scan_determinismE0ES3_S7_PKhNS0_17constant_iteratorIjlEEPhPlSF_S6_NS0_8equal_toIhEEEE10hipError_tPvRmT2_T3_mT4_T5_T6_T7_T8_P12ihipStream_tbENKUlT_T0_E_clISt17integral_constantIbLb1EESY_IbLb0EEEEDaSU_SV_EUlSU_E_NS1_11comp_targetILNS1_3genE4ELNS1_11target_archE910ELNS1_3gpuE8ELNS1_3repE0EEENS1_30default_config_static_selectorELNS0_4arch9wavefront6targetE0EEEvT1_
	.p2align	8
	.type	_ZN7rocprim17ROCPRIM_400000_NS6detail17trampoline_kernelINS0_14default_configENS1_33run_length_encode_config_selectorIhjNS0_4plusIjEEEEZZNS1_33reduce_by_key_impl_wrapped_configILNS1_25lookback_scan_determinismE0ES3_S7_PKhNS0_17constant_iteratorIjlEEPhPlSF_S6_NS0_8equal_toIhEEEE10hipError_tPvRmT2_T3_mT4_T5_T6_T7_T8_P12ihipStream_tbENKUlT_T0_E_clISt17integral_constantIbLb1EESY_IbLb0EEEEDaSU_SV_EUlSU_E_NS1_11comp_targetILNS1_3genE4ELNS1_11target_archE910ELNS1_3gpuE8ELNS1_3repE0EEENS1_30default_config_static_selectorELNS0_4arch9wavefront6targetE0EEEvT1_,@function
_ZN7rocprim17ROCPRIM_400000_NS6detail17trampoline_kernelINS0_14default_configENS1_33run_length_encode_config_selectorIhjNS0_4plusIjEEEEZZNS1_33reduce_by_key_impl_wrapped_configILNS1_25lookback_scan_determinismE0ES3_S7_PKhNS0_17constant_iteratorIjlEEPhPlSF_S6_NS0_8equal_toIhEEEE10hipError_tPvRmT2_T3_mT4_T5_T6_T7_T8_P12ihipStream_tbENKUlT_T0_E_clISt17integral_constantIbLb1EESY_IbLb0EEEEDaSU_SV_EUlSU_E_NS1_11comp_targetILNS1_3genE4ELNS1_11target_archE910ELNS1_3gpuE8ELNS1_3repE0EEENS1_30default_config_static_selectorELNS0_4arch9wavefront6targetE0EEEvT1_: ; @_ZN7rocprim17ROCPRIM_400000_NS6detail17trampoline_kernelINS0_14default_configENS1_33run_length_encode_config_selectorIhjNS0_4plusIjEEEEZZNS1_33reduce_by_key_impl_wrapped_configILNS1_25lookback_scan_determinismE0ES3_S7_PKhNS0_17constant_iteratorIjlEEPhPlSF_S6_NS0_8equal_toIhEEEE10hipError_tPvRmT2_T3_mT4_T5_T6_T7_T8_P12ihipStream_tbENKUlT_T0_E_clISt17integral_constantIbLb1EESY_IbLb0EEEEDaSU_SV_EUlSU_E_NS1_11comp_targetILNS1_3genE4ELNS1_11target_archE910ELNS1_3gpuE8ELNS1_3repE0EEENS1_30default_config_static_selectorELNS0_4arch9wavefront6targetE0EEEvT1_
; %bb.0:
	.section	.rodata,"a",@progbits
	.p2align	6, 0x0
	.amdhsa_kernel _ZN7rocprim17ROCPRIM_400000_NS6detail17trampoline_kernelINS0_14default_configENS1_33run_length_encode_config_selectorIhjNS0_4plusIjEEEEZZNS1_33reduce_by_key_impl_wrapped_configILNS1_25lookback_scan_determinismE0ES3_S7_PKhNS0_17constant_iteratorIjlEEPhPlSF_S6_NS0_8equal_toIhEEEE10hipError_tPvRmT2_T3_mT4_T5_T6_T7_T8_P12ihipStream_tbENKUlT_T0_E_clISt17integral_constantIbLb1EESY_IbLb0EEEEDaSU_SV_EUlSU_E_NS1_11comp_targetILNS1_3genE4ELNS1_11target_archE910ELNS1_3gpuE8ELNS1_3repE0EEENS1_30default_config_static_selectorELNS0_4arch9wavefront6targetE0EEEvT1_
		.amdhsa_group_segment_fixed_size 0
		.amdhsa_private_segment_fixed_size 0
		.amdhsa_kernarg_size 128
		.amdhsa_user_sgpr_count 2
		.amdhsa_user_sgpr_dispatch_ptr 0
		.amdhsa_user_sgpr_queue_ptr 0
		.amdhsa_user_sgpr_kernarg_segment_ptr 1
		.amdhsa_user_sgpr_dispatch_id 0
		.amdhsa_user_sgpr_kernarg_preload_length 0
		.amdhsa_user_sgpr_kernarg_preload_offset 0
		.amdhsa_user_sgpr_private_segment_size 0
		.amdhsa_wavefront_size32 1
		.amdhsa_uses_dynamic_stack 0
		.amdhsa_enable_private_segment 0
		.amdhsa_system_sgpr_workgroup_id_x 1
		.amdhsa_system_sgpr_workgroup_id_y 0
		.amdhsa_system_sgpr_workgroup_id_z 0
		.amdhsa_system_sgpr_workgroup_info 0
		.amdhsa_system_vgpr_workitem_id 0
		.amdhsa_next_free_vgpr 1
		.amdhsa_next_free_sgpr 1
		.amdhsa_named_barrier_count 0
		.amdhsa_reserve_vcc 0
		.amdhsa_float_round_mode_32 0
		.amdhsa_float_round_mode_16_64 0
		.amdhsa_float_denorm_mode_32 3
		.amdhsa_float_denorm_mode_16_64 3
		.amdhsa_fp16_overflow 0
		.amdhsa_memory_ordered 1
		.amdhsa_forward_progress 1
		.amdhsa_inst_pref_size 0
		.amdhsa_round_robin_scheduling 0
		.amdhsa_exception_fp_ieee_invalid_op 0
		.amdhsa_exception_fp_denorm_src 0
		.amdhsa_exception_fp_ieee_div_zero 0
		.amdhsa_exception_fp_ieee_overflow 0
		.amdhsa_exception_fp_ieee_underflow 0
		.amdhsa_exception_fp_ieee_inexact 0
		.amdhsa_exception_int_div_zero 0
	.end_amdhsa_kernel
	.section	.text._ZN7rocprim17ROCPRIM_400000_NS6detail17trampoline_kernelINS0_14default_configENS1_33run_length_encode_config_selectorIhjNS0_4plusIjEEEEZZNS1_33reduce_by_key_impl_wrapped_configILNS1_25lookback_scan_determinismE0ES3_S7_PKhNS0_17constant_iteratorIjlEEPhPlSF_S6_NS0_8equal_toIhEEEE10hipError_tPvRmT2_T3_mT4_T5_T6_T7_T8_P12ihipStream_tbENKUlT_T0_E_clISt17integral_constantIbLb1EESY_IbLb0EEEEDaSU_SV_EUlSU_E_NS1_11comp_targetILNS1_3genE4ELNS1_11target_archE910ELNS1_3gpuE8ELNS1_3repE0EEENS1_30default_config_static_selectorELNS0_4arch9wavefront6targetE0EEEvT1_,"axG",@progbits,_ZN7rocprim17ROCPRIM_400000_NS6detail17trampoline_kernelINS0_14default_configENS1_33run_length_encode_config_selectorIhjNS0_4plusIjEEEEZZNS1_33reduce_by_key_impl_wrapped_configILNS1_25lookback_scan_determinismE0ES3_S7_PKhNS0_17constant_iteratorIjlEEPhPlSF_S6_NS0_8equal_toIhEEEE10hipError_tPvRmT2_T3_mT4_T5_T6_T7_T8_P12ihipStream_tbENKUlT_T0_E_clISt17integral_constantIbLb1EESY_IbLb0EEEEDaSU_SV_EUlSU_E_NS1_11comp_targetILNS1_3genE4ELNS1_11target_archE910ELNS1_3gpuE8ELNS1_3repE0EEENS1_30default_config_static_selectorELNS0_4arch9wavefront6targetE0EEEvT1_,comdat
.Lfunc_end186:
	.size	_ZN7rocprim17ROCPRIM_400000_NS6detail17trampoline_kernelINS0_14default_configENS1_33run_length_encode_config_selectorIhjNS0_4plusIjEEEEZZNS1_33reduce_by_key_impl_wrapped_configILNS1_25lookback_scan_determinismE0ES3_S7_PKhNS0_17constant_iteratorIjlEEPhPlSF_S6_NS0_8equal_toIhEEEE10hipError_tPvRmT2_T3_mT4_T5_T6_T7_T8_P12ihipStream_tbENKUlT_T0_E_clISt17integral_constantIbLb1EESY_IbLb0EEEEDaSU_SV_EUlSU_E_NS1_11comp_targetILNS1_3genE4ELNS1_11target_archE910ELNS1_3gpuE8ELNS1_3repE0EEENS1_30default_config_static_selectorELNS0_4arch9wavefront6targetE0EEEvT1_, .Lfunc_end186-_ZN7rocprim17ROCPRIM_400000_NS6detail17trampoline_kernelINS0_14default_configENS1_33run_length_encode_config_selectorIhjNS0_4plusIjEEEEZZNS1_33reduce_by_key_impl_wrapped_configILNS1_25lookback_scan_determinismE0ES3_S7_PKhNS0_17constant_iteratorIjlEEPhPlSF_S6_NS0_8equal_toIhEEEE10hipError_tPvRmT2_T3_mT4_T5_T6_T7_T8_P12ihipStream_tbENKUlT_T0_E_clISt17integral_constantIbLb1EESY_IbLb0EEEEDaSU_SV_EUlSU_E_NS1_11comp_targetILNS1_3genE4ELNS1_11target_archE910ELNS1_3gpuE8ELNS1_3repE0EEENS1_30default_config_static_selectorELNS0_4arch9wavefront6targetE0EEEvT1_
                                        ; -- End function
	.set _ZN7rocprim17ROCPRIM_400000_NS6detail17trampoline_kernelINS0_14default_configENS1_33run_length_encode_config_selectorIhjNS0_4plusIjEEEEZZNS1_33reduce_by_key_impl_wrapped_configILNS1_25lookback_scan_determinismE0ES3_S7_PKhNS0_17constant_iteratorIjlEEPhPlSF_S6_NS0_8equal_toIhEEEE10hipError_tPvRmT2_T3_mT4_T5_T6_T7_T8_P12ihipStream_tbENKUlT_T0_E_clISt17integral_constantIbLb1EESY_IbLb0EEEEDaSU_SV_EUlSU_E_NS1_11comp_targetILNS1_3genE4ELNS1_11target_archE910ELNS1_3gpuE8ELNS1_3repE0EEENS1_30default_config_static_selectorELNS0_4arch9wavefront6targetE0EEEvT1_.num_vgpr, 0
	.set _ZN7rocprim17ROCPRIM_400000_NS6detail17trampoline_kernelINS0_14default_configENS1_33run_length_encode_config_selectorIhjNS0_4plusIjEEEEZZNS1_33reduce_by_key_impl_wrapped_configILNS1_25lookback_scan_determinismE0ES3_S7_PKhNS0_17constant_iteratorIjlEEPhPlSF_S6_NS0_8equal_toIhEEEE10hipError_tPvRmT2_T3_mT4_T5_T6_T7_T8_P12ihipStream_tbENKUlT_T0_E_clISt17integral_constantIbLb1EESY_IbLb0EEEEDaSU_SV_EUlSU_E_NS1_11comp_targetILNS1_3genE4ELNS1_11target_archE910ELNS1_3gpuE8ELNS1_3repE0EEENS1_30default_config_static_selectorELNS0_4arch9wavefront6targetE0EEEvT1_.num_agpr, 0
	.set _ZN7rocprim17ROCPRIM_400000_NS6detail17trampoline_kernelINS0_14default_configENS1_33run_length_encode_config_selectorIhjNS0_4plusIjEEEEZZNS1_33reduce_by_key_impl_wrapped_configILNS1_25lookback_scan_determinismE0ES3_S7_PKhNS0_17constant_iteratorIjlEEPhPlSF_S6_NS0_8equal_toIhEEEE10hipError_tPvRmT2_T3_mT4_T5_T6_T7_T8_P12ihipStream_tbENKUlT_T0_E_clISt17integral_constantIbLb1EESY_IbLb0EEEEDaSU_SV_EUlSU_E_NS1_11comp_targetILNS1_3genE4ELNS1_11target_archE910ELNS1_3gpuE8ELNS1_3repE0EEENS1_30default_config_static_selectorELNS0_4arch9wavefront6targetE0EEEvT1_.numbered_sgpr, 0
	.set _ZN7rocprim17ROCPRIM_400000_NS6detail17trampoline_kernelINS0_14default_configENS1_33run_length_encode_config_selectorIhjNS0_4plusIjEEEEZZNS1_33reduce_by_key_impl_wrapped_configILNS1_25lookback_scan_determinismE0ES3_S7_PKhNS0_17constant_iteratorIjlEEPhPlSF_S6_NS0_8equal_toIhEEEE10hipError_tPvRmT2_T3_mT4_T5_T6_T7_T8_P12ihipStream_tbENKUlT_T0_E_clISt17integral_constantIbLb1EESY_IbLb0EEEEDaSU_SV_EUlSU_E_NS1_11comp_targetILNS1_3genE4ELNS1_11target_archE910ELNS1_3gpuE8ELNS1_3repE0EEENS1_30default_config_static_selectorELNS0_4arch9wavefront6targetE0EEEvT1_.num_named_barrier, 0
	.set _ZN7rocprim17ROCPRIM_400000_NS6detail17trampoline_kernelINS0_14default_configENS1_33run_length_encode_config_selectorIhjNS0_4plusIjEEEEZZNS1_33reduce_by_key_impl_wrapped_configILNS1_25lookback_scan_determinismE0ES3_S7_PKhNS0_17constant_iteratorIjlEEPhPlSF_S6_NS0_8equal_toIhEEEE10hipError_tPvRmT2_T3_mT4_T5_T6_T7_T8_P12ihipStream_tbENKUlT_T0_E_clISt17integral_constantIbLb1EESY_IbLb0EEEEDaSU_SV_EUlSU_E_NS1_11comp_targetILNS1_3genE4ELNS1_11target_archE910ELNS1_3gpuE8ELNS1_3repE0EEENS1_30default_config_static_selectorELNS0_4arch9wavefront6targetE0EEEvT1_.private_seg_size, 0
	.set _ZN7rocprim17ROCPRIM_400000_NS6detail17trampoline_kernelINS0_14default_configENS1_33run_length_encode_config_selectorIhjNS0_4plusIjEEEEZZNS1_33reduce_by_key_impl_wrapped_configILNS1_25lookback_scan_determinismE0ES3_S7_PKhNS0_17constant_iteratorIjlEEPhPlSF_S6_NS0_8equal_toIhEEEE10hipError_tPvRmT2_T3_mT4_T5_T6_T7_T8_P12ihipStream_tbENKUlT_T0_E_clISt17integral_constantIbLb1EESY_IbLb0EEEEDaSU_SV_EUlSU_E_NS1_11comp_targetILNS1_3genE4ELNS1_11target_archE910ELNS1_3gpuE8ELNS1_3repE0EEENS1_30default_config_static_selectorELNS0_4arch9wavefront6targetE0EEEvT1_.uses_vcc, 0
	.set _ZN7rocprim17ROCPRIM_400000_NS6detail17trampoline_kernelINS0_14default_configENS1_33run_length_encode_config_selectorIhjNS0_4plusIjEEEEZZNS1_33reduce_by_key_impl_wrapped_configILNS1_25lookback_scan_determinismE0ES3_S7_PKhNS0_17constant_iteratorIjlEEPhPlSF_S6_NS0_8equal_toIhEEEE10hipError_tPvRmT2_T3_mT4_T5_T6_T7_T8_P12ihipStream_tbENKUlT_T0_E_clISt17integral_constantIbLb1EESY_IbLb0EEEEDaSU_SV_EUlSU_E_NS1_11comp_targetILNS1_3genE4ELNS1_11target_archE910ELNS1_3gpuE8ELNS1_3repE0EEENS1_30default_config_static_selectorELNS0_4arch9wavefront6targetE0EEEvT1_.uses_flat_scratch, 0
	.set _ZN7rocprim17ROCPRIM_400000_NS6detail17trampoline_kernelINS0_14default_configENS1_33run_length_encode_config_selectorIhjNS0_4plusIjEEEEZZNS1_33reduce_by_key_impl_wrapped_configILNS1_25lookback_scan_determinismE0ES3_S7_PKhNS0_17constant_iteratorIjlEEPhPlSF_S6_NS0_8equal_toIhEEEE10hipError_tPvRmT2_T3_mT4_T5_T6_T7_T8_P12ihipStream_tbENKUlT_T0_E_clISt17integral_constantIbLb1EESY_IbLb0EEEEDaSU_SV_EUlSU_E_NS1_11comp_targetILNS1_3genE4ELNS1_11target_archE910ELNS1_3gpuE8ELNS1_3repE0EEENS1_30default_config_static_selectorELNS0_4arch9wavefront6targetE0EEEvT1_.has_dyn_sized_stack, 0
	.set _ZN7rocprim17ROCPRIM_400000_NS6detail17trampoline_kernelINS0_14default_configENS1_33run_length_encode_config_selectorIhjNS0_4plusIjEEEEZZNS1_33reduce_by_key_impl_wrapped_configILNS1_25lookback_scan_determinismE0ES3_S7_PKhNS0_17constant_iteratorIjlEEPhPlSF_S6_NS0_8equal_toIhEEEE10hipError_tPvRmT2_T3_mT4_T5_T6_T7_T8_P12ihipStream_tbENKUlT_T0_E_clISt17integral_constantIbLb1EESY_IbLb0EEEEDaSU_SV_EUlSU_E_NS1_11comp_targetILNS1_3genE4ELNS1_11target_archE910ELNS1_3gpuE8ELNS1_3repE0EEENS1_30default_config_static_selectorELNS0_4arch9wavefront6targetE0EEEvT1_.has_recursion, 0
	.set _ZN7rocprim17ROCPRIM_400000_NS6detail17trampoline_kernelINS0_14default_configENS1_33run_length_encode_config_selectorIhjNS0_4plusIjEEEEZZNS1_33reduce_by_key_impl_wrapped_configILNS1_25lookback_scan_determinismE0ES3_S7_PKhNS0_17constant_iteratorIjlEEPhPlSF_S6_NS0_8equal_toIhEEEE10hipError_tPvRmT2_T3_mT4_T5_T6_T7_T8_P12ihipStream_tbENKUlT_T0_E_clISt17integral_constantIbLb1EESY_IbLb0EEEEDaSU_SV_EUlSU_E_NS1_11comp_targetILNS1_3genE4ELNS1_11target_archE910ELNS1_3gpuE8ELNS1_3repE0EEENS1_30default_config_static_selectorELNS0_4arch9wavefront6targetE0EEEvT1_.has_indirect_call, 0
	.section	.AMDGPU.csdata,"",@progbits
; Kernel info:
; codeLenInByte = 0
; TotalNumSgprs: 0
; NumVgprs: 0
; ScratchSize: 0
; MemoryBound: 0
; FloatMode: 240
; IeeeMode: 1
; LDSByteSize: 0 bytes/workgroup (compile time only)
; SGPRBlocks: 0
; VGPRBlocks: 0
; NumSGPRsForWavesPerEU: 1
; NumVGPRsForWavesPerEU: 1
; NamedBarCnt: 0
; Occupancy: 16
; WaveLimiterHint : 0
; COMPUTE_PGM_RSRC2:SCRATCH_EN: 0
; COMPUTE_PGM_RSRC2:USER_SGPR: 2
; COMPUTE_PGM_RSRC2:TRAP_HANDLER: 0
; COMPUTE_PGM_RSRC2:TGID_X_EN: 1
; COMPUTE_PGM_RSRC2:TGID_Y_EN: 0
; COMPUTE_PGM_RSRC2:TGID_Z_EN: 0
; COMPUTE_PGM_RSRC2:TIDIG_COMP_CNT: 0
	.section	.text._ZN7rocprim17ROCPRIM_400000_NS6detail17trampoline_kernelINS0_14default_configENS1_33run_length_encode_config_selectorIhjNS0_4plusIjEEEEZZNS1_33reduce_by_key_impl_wrapped_configILNS1_25lookback_scan_determinismE0ES3_S7_PKhNS0_17constant_iteratorIjlEEPhPlSF_S6_NS0_8equal_toIhEEEE10hipError_tPvRmT2_T3_mT4_T5_T6_T7_T8_P12ihipStream_tbENKUlT_T0_E_clISt17integral_constantIbLb1EESY_IbLb0EEEEDaSU_SV_EUlSU_E_NS1_11comp_targetILNS1_3genE3ELNS1_11target_archE908ELNS1_3gpuE7ELNS1_3repE0EEENS1_30default_config_static_selectorELNS0_4arch9wavefront6targetE0EEEvT1_,"axG",@progbits,_ZN7rocprim17ROCPRIM_400000_NS6detail17trampoline_kernelINS0_14default_configENS1_33run_length_encode_config_selectorIhjNS0_4plusIjEEEEZZNS1_33reduce_by_key_impl_wrapped_configILNS1_25lookback_scan_determinismE0ES3_S7_PKhNS0_17constant_iteratorIjlEEPhPlSF_S6_NS0_8equal_toIhEEEE10hipError_tPvRmT2_T3_mT4_T5_T6_T7_T8_P12ihipStream_tbENKUlT_T0_E_clISt17integral_constantIbLb1EESY_IbLb0EEEEDaSU_SV_EUlSU_E_NS1_11comp_targetILNS1_3genE3ELNS1_11target_archE908ELNS1_3gpuE7ELNS1_3repE0EEENS1_30default_config_static_selectorELNS0_4arch9wavefront6targetE0EEEvT1_,comdat
	.protected	_ZN7rocprim17ROCPRIM_400000_NS6detail17trampoline_kernelINS0_14default_configENS1_33run_length_encode_config_selectorIhjNS0_4plusIjEEEEZZNS1_33reduce_by_key_impl_wrapped_configILNS1_25lookback_scan_determinismE0ES3_S7_PKhNS0_17constant_iteratorIjlEEPhPlSF_S6_NS0_8equal_toIhEEEE10hipError_tPvRmT2_T3_mT4_T5_T6_T7_T8_P12ihipStream_tbENKUlT_T0_E_clISt17integral_constantIbLb1EESY_IbLb0EEEEDaSU_SV_EUlSU_E_NS1_11comp_targetILNS1_3genE3ELNS1_11target_archE908ELNS1_3gpuE7ELNS1_3repE0EEENS1_30default_config_static_selectorELNS0_4arch9wavefront6targetE0EEEvT1_ ; -- Begin function _ZN7rocprim17ROCPRIM_400000_NS6detail17trampoline_kernelINS0_14default_configENS1_33run_length_encode_config_selectorIhjNS0_4plusIjEEEEZZNS1_33reduce_by_key_impl_wrapped_configILNS1_25lookback_scan_determinismE0ES3_S7_PKhNS0_17constant_iteratorIjlEEPhPlSF_S6_NS0_8equal_toIhEEEE10hipError_tPvRmT2_T3_mT4_T5_T6_T7_T8_P12ihipStream_tbENKUlT_T0_E_clISt17integral_constantIbLb1EESY_IbLb0EEEEDaSU_SV_EUlSU_E_NS1_11comp_targetILNS1_3genE3ELNS1_11target_archE908ELNS1_3gpuE7ELNS1_3repE0EEENS1_30default_config_static_selectorELNS0_4arch9wavefront6targetE0EEEvT1_
	.globl	_ZN7rocprim17ROCPRIM_400000_NS6detail17trampoline_kernelINS0_14default_configENS1_33run_length_encode_config_selectorIhjNS0_4plusIjEEEEZZNS1_33reduce_by_key_impl_wrapped_configILNS1_25lookback_scan_determinismE0ES3_S7_PKhNS0_17constant_iteratorIjlEEPhPlSF_S6_NS0_8equal_toIhEEEE10hipError_tPvRmT2_T3_mT4_T5_T6_T7_T8_P12ihipStream_tbENKUlT_T0_E_clISt17integral_constantIbLb1EESY_IbLb0EEEEDaSU_SV_EUlSU_E_NS1_11comp_targetILNS1_3genE3ELNS1_11target_archE908ELNS1_3gpuE7ELNS1_3repE0EEENS1_30default_config_static_selectorELNS0_4arch9wavefront6targetE0EEEvT1_
	.p2align	8
	.type	_ZN7rocprim17ROCPRIM_400000_NS6detail17trampoline_kernelINS0_14default_configENS1_33run_length_encode_config_selectorIhjNS0_4plusIjEEEEZZNS1_33reduce_by_key_impl_wrapped_configILNS1_25lookback_scan_determinismE0ES3_S7_PKhNS0_17constant_iteratorIjlEEPhPlSF_S6_NS0_8equal_toIhEEEE10hipError_tPvRmT2_T3_mT4_T5_T6_T7_T8_P12ihipStream_tbENKUlT_T0_E_clISt17integral_constantIbLb1EESY_IbLb0EEEEDaSU_SV_EUlSU_E_NS1_11comp_targetILNS1_3genE3ELNS1_11target_archE908ELNS1_3gpuE7ELNS1_3repE0EEENS1_30default_config_static_selectorELNS0_4arch9wavefront6targetE0EEEvT1_,@function
_ZN7rocprim17ROCPRIM_400000_NS6detail17trampoline_kernelINS0_14default_configENS1_33run_length_encode_config_selectorIhjNS0_4plusIjEEEEZZNS1_33reduce_by_key_impl_wrapped_configILNS1_25lookback_scan_determinismE0ES3_S7_PKhNS0_17constant_iteratorIjlEEPhPlSF_S6_NS0_8equal_toIhEEEE10hipError_tPvRmT2_T3_mT4_T5_T6_T7_T8_P12ihipStream_tbENKUlT_T0_E_clISt17integral_constantIbLb1EESY_IbLb0EEEEDaSU_SV_EUlSU_E_NS1_11comp_targetILNS1_3genE3ELNS1_11target_archE908ELNS1_3gpuE7ELNS1_3repE0EEENS1_30default_config_static_selectorELNS0_4arch9wavefront6targetE0EEEvT1_: ; @_ZN7rocprim17ROCPRIM_400000_NS6detail17trampoline_kernelINS0_14default_configENS1_33run_length_encode_config_selectorIhjNS0_4plusIjEEEEZZNS1_33reduce_by_key_impl_wrapped_configILNS1_25lookback_scan_determinismE0ES3_S7_PKhNS0_17constant_iteratorIjlEEPhPlSF_S6_NS0_8equal_toIhEEEE10hipError_tPvRmT2_T3_mT4_T5_T6_T7_T8_P12ihipStream_tbENKUlT_T0_E_clISt17integral_constantIbLb1EESY_IbLb0EEEEDaSU_SV_EUlSU_E_NS1_11comp_targetILNS1_3genE3ELNS1_11target_archE908ELNS1_3gpuE7ELNS1_3repE0EEENS1_30default_config_static_selectorELNS0_4arch9wavefront6targetE0EEEvT1_
; %bb.0:
	.section	.rodata,"a",@progbits
	.p2align	6, 0x0
	.amdhsa_kernel _ZN7rocprim17ROCPRIM_400000_NS6detail17trampoline_kernelINS0_14default_configENS1_33run_length_encode_config_selectorIhjNS0_4plusIjEEEEZZNS1_33reduce_by_key_impl_wrapped_configILNS1_25lookback_scan_determinismE0ES3_S7_PKhNS0_17constant_iteratorIjlEEPhPlSF_S6_NS0_8equal_toIhEEEE10hipError_tPvRmT2_T3_mT4_T5_T6_T7_T8_P12ihipStream_tbENKUlT_T0_E_clISt17integral_constantIbLb1EESY_IbLb0EEEEDaSU_SV_EUlSU_E_NS1_11comp_targetILNS1_3genE3ELNS1_11target_archE908ELNS1_3gpuE7ELNS1_3repE0EEENS1_30default_config_static_selectorELNS0_4arch9wavefront6targetE0EEEvT1_
		.amdhsa_group_segment_fixed_size 0
		.amdhsa_private_segment_fixed_size 0
		.amdhsa_kernarg_size 128
		.amdhsa_user_sgpr_count 2
		.amdhsa_user_sgpr_dispatch_ptr 0
		.amdhsa_user_sgpr_queue_ptr 0
		.amdhsa_user_sgpr_kernarg_segment_ptr 1
		.amdhsa_user_sgpr_dispatch_id 0
		.amdhsa_user_sgpr_kernarg_preload_length 0
		.amdhsa_user_sgpr_kernarg_preload_offset 0
		.amdhsa_user_sgpr_private_segment_size 0
		.amdhsa_wavefront_size32 1
		.amdhsa_uses_dynamic_stack 0
		.amdhsa_enable_private_segment 0
		.amdhsa_system_sgpr_workgroup_id_x 1
		.amdhsa_system_sgpr_workgroup_id_y 0
		.amdhsa_system_sgpr_workgroup_id_z 0
		.amdhsa_system_sgpr_workgroup_info 0
		.amdhsa_system_vgpr_workitem_id 0
		.amdhsa_next_free_vgpr 1
		.amdhsa_next_free_sgpr 1
		.amdhsa_named_barrier_count 0
		.amdhsa_reserve_vcc 0
		.amdhsa_float_round_mode_32 0
		.amdhsa_float_round_mode_16_64 0
		.amdhsa_float_denorm_mode_32 3
		.amdhsa_float_denorm_mode_16_64 3
		.amdhsa_fp16_overflow 0
		.amdhsa_memory_ordered 1
		.amdhsa_forward_progress 1
		.amdhsa_inst_pref_size 0
		.amdhsa_round_robin_scheduling 0
		.amdhsa_exception_fp_ieee_invalid_op 0
		.amdhsa_exception_fp_denorm_src 0
		.amdhsa_exception_fp_ieee_div_zero 0
		.amdhsa_exception_fp_ieee_overflow 0
		.amdhsa_exception_fp_ieee_underflow 0
		.amdhsa_exception_fp_ieee_inexact 0
		.amdhsa_exception_int_div_zero 0
	.end_amdhsa_kernel
	.section	.text._ZN7rocprim17ROCPRIM_400000_NS6detail17trampoline_kernelINS0_14default_configENS1_33run_length_encode_config_selectorIhjNS0_4plusIjEEEEZZNS1_33reduce_by_key_impl_wrapped_configILNS1_25lookback_scan_determinismE0ES3_S7_PKhNS0_17constant_iteratorIjlEEPhPlSF_S6_NS0_8equal_toIhEEEE10hipError_tPvRmT2_T3_mT4_T5_T6_T7_T8_P12ihipStream_tbENKUlT_T0_E_clISt17integral_constantIbLb1EESY_IbLb0EEEEDaSU_SV_EUlSU_E_NS1_11comp_targetILNS1_3genE3ELNS1_11target_archE908ELNS1_3gpuE7ELNS1_3repE0EEENS1_30default_config_static_selectorELNS0_4arch9wavefront6targetE0EEEvT1_,"axG",@progbits,_ZN7rocprim17ROCPRIM_400000_NS6detail17trampoline_kernelINS0_14default_configENS1_33run_length_encode_config_selectorIhjNS0_4plusIjEEEEZZNS1_33reduce_by_key_impl_wrapped_configILNS1_25lookback_scan_determinismE0ES3_S7_PKhNS0_17constant_iteratorIjlEEPhPlSF_S6_NS0_8equal_toIhEEEE10hipError_tPvRmT2_T3_mT4_T5_T6_T7_T8_P12ihipStream_tbENKUlT_T0_E_clISt17integral_constantIbLb1EESY_IbLb0EEEEDaSU_SV_EUlSU_E_NS1_11comp_targetILNS1_3genE3ELNS1_11target_archE908ELNS1_3gpuE7ELNS1_3repE0EEENS1_30default_config_static_selectorELNS0_4arch9wavefront6targetE0EEEvT1_,comdat
.Lfunc_end187:
	.size	_ZN7rocprim17ROCPRIM_400000_NS6detail17trampoline_kernelINS0_14default_configENS1_33run_length_encode_config_selectorIhjNS0_4plusIjEEEEZZNS1_33reduce_by_key_impl_wrapped_configILNS1_25lookback_scan_determinismE0ES3_S7_PKhNS0_17constant_iteratorIjlEEPhPlSF_S6_NS0_8equal_toIhEEEE10hipError_tPvRmT2_T3_mT4_T5_T6_T7_T8_P12ihipStream_tbENKUlT_T0_E_clISt17integral_constantIbLb1EESY_IbLb0EEEEDaSU_SV_EUlSU_E_NS1_11comp_targetILNS1_3genE3ELNS1_11target_archE908ELNS1_3gpuE7ELNS1_3repE0EEENS1_30default_config_static_selectorELNS0_4arch9wavefront6targetE0EEEvT1_, .Lfunc_end187-_ZN7rocprim17ROCPRIM_400000_NS6detail17trampoline_kernelINS0_14default_configENS1_33run_length_encode_config_selectorIhjNS0_4plusIjEEEEZZNS1_33reduce_by_key_impl_wrapped_configILNS1_25lookback_scan_determinismE0ES3_S7_PKhNS0_17constant_iteratorIjlEEPhPlSF_S6_NS0_8equal_toIhEEEE10hipError_tPvRmT2_T3_mT4_T5_T6_T7_T8_P12ihipStream_tbENKUlT_T0_E_clISt17integral_constantIbLb1EESY_IbLb0EEEEDaSU_SV_EUlSU_E_NS1_11comp_targetILNS1_3genE3ELNS1_11target_archE908ELNS1_3gpuE7ELNS1_3repE0EEENS1_30default_config_static_selectorELNS0_4arch9wavefront6targetE0EEEvT1_
                                        ; -- End function
	.set _ZN7rocprim17ROCPRIM_400000_NS6detail17trampoline_kernelINS0_14default_configENS1_33run_length_encode_config_selectorIhjNS0_4plusIjEEEEZZNS1_33reduce_by_key_impl_wrapped_configILNS1_25lookback_scan_determinismE0ES3_S7_PKhNS0_17constant_iteratorIjlEEPhPlSF_S6_NS0_8equal_toIhEEEE10hipError_tPvRmT2_T3_mT4_T5_T6_T7_T8_P12ihipStream_tbENKUlT_T0_E_clISt17integral_constantIbLb1EESY_IbLb0EEEEDaSU_SV_EUlSU_E_NS1_11comp_targetILNS1_3genE3ELNS1_11target_archE908ELNS1_3gpuE7ELNS1_3repE0EEENS1_30default_config_static_selectorELNS0_4arch9wavefront6targetE0EEEvT1_.num_vgpr, 0
	.set _ZN7rocprim17ROCPRIM_400000_NS6detail17trampoline_kernelINS0_14default_configENS1_33run_length_encode_config_selectorIhjNS0_4plusIjEEEEZZNS1_33reduce_by_key_impl_wrapped_configILNS1_25lookback_scan_determinismE0ES3_S7_PKhNS0_17constant_iteratorIjlEEPhPlSF_S6_NS0_8equal_toIhEEEE10hipError_tPvRmT2_T3_mT4_T5_T6_T7_T8_P12ihipStream_tbENKUlT_T0_E_clISt17integral_constantIbLb1EESY_IbLb0EEEEDaSU_SV_EUlSU_E_NS1_11comp_targetILNS1_3genE3ELNS1_11target_archE908ELNS1_3gpuE7ELNS1_3repE0EEENS1_30default_config_static_selectorELNS0_4arch9wavefront6targetE0EEEvT1_.num_agpr, 0
	.set _ZN7rocprim17ROCPRIM_400000_NS6detail17trampoline_kernelINS0_14default_configENS1_33run_length_encode_config_selectorIhjNS0_4plusIjEEEEZZNS1_33reduce_by_key_impl_wrapped_configILNS1_25lookback_scan_determinismE0ES3_S7_PKhNS0_17constant_iteratorIjlEEPhPlSF_S6_NS0_8equal_toIhEEEE10hipError_tPvRmT2_T3_mT4_T5_T6_T7_T8_P12ihipStream_tbENKUlT_T0_E_clISt17integral_constantIbLb1EESY_IbLb0EEEEDaSU_SV_EUlSU_E_NS1_11comp_targetILNS1_3genE3ELNS1_11target_archE908ELNS1_3gpuE7ELNS1_3repE0EEENS1_30default_config_static_selectorELNS0_4arch9wavefront6targetE0EEEvT1_.numbered_sgpr, 0
	.set _ZN7rocprim17ROCPRIM_400000_NS6detail17trampoline_kernelINS0_14default_configENS1_33run_length_encode_config_selectorIhjNS0_4plusIjEEEEZZNS1_33reduce_by_key_impl_wrapped_configILNS1_25lookback_scan_determinismE0ES3_S7_PKhNS0_17constant_iteratorIjlEEPhPlSF_S6_NS0_8equal_toIhEEEE10hipError_tPvRmT2_T3_mT4_T5_T6_T7_T8_P12ihipStream_tbENKUlT_T0_E_clISt17integral_constantIbLb1EESY_IbLb0EEEEDaSU_SV_EUlSU_E_NS1_11comp_targetILNS1_3genE3ELNS1_11target_archE908ELNS1_3gpuE7ELNS1_3repE0EEENS1_30default_config_static_selectorELNS0_4arch9wavefront6targetE0EEEvT1_.num_named_barrier, 0
	.set _ZN7rocprim17ROCPRIM_400000_NS6detail17trampoline_kernelINS0_14default_configENS1_33run_length_encode_config_selectorIhjNS0_4plusIjEEEEZZNS1_33reduce_by_key_impl_wrapped_configILNS1_25lookback_scan_determinismE0ES3_S7_PKhNS0_17constant_iteratorIjlEEPhPlSF_S6_NS0_8equal_toIhEEEE10hipError_tPvRmT2_T3_mT4_T5_T6_T7_T8_P12ihipStream_tbENKUlT_T0_E_clISt17integral_constantIbLb1EESY_IbLb0EEEEDaSU_SV_EUlSU_E_NS1_11comp_targetILNS1_3genE3ELNS1_11target_archE908ELNS1_3gpuE7ELNS1_3repE0EEENS1_30default_config_static_selectorELNS0_4arch9wavefront6targetE0EEEvT1_.private_seg_size, 0
	.set _ZN7rocprim17ROCPRIM_400000_NS6detail17trampoline_kernelINS0_14default_configENS1_33run_length_encode_config_selectorIhjNS0_4plusIjEEEEZZNS1_33reduce_by_key_impl_wrapped_configILNS1_25lookback_scan_determinismE0ES3_S7_PKhNS0_17constant_iteratorIjlEEPhPlSF_S6_NS0_8equal_toIhEEEE10hipError_tPvRmT2_T3_mT4_T5_T6_T7_T8_P12ihipStream_tbENKUlT_T0_E_clISt17integral_constantIbLb1EESY_IbLb0EEEEDaSU_SV_EUlSU_E_NS1_11comp_targetILNS1_3genE3ELNS1_11target_archE908ELNS1_3gpuE7ELNS1_3repE0EEENS1_30default_config_static_selectorELNS0_4arch9wavefront6targetE0EEEvT1_.uses_vcc, 0
	.set _ZN7rocprim17ROCPRIM_400000_NS6detail17trampoline_kernelINS0_14default_configENS1_33run_length_encode_config_selectorIhjNS0_4plusIjEEEEZZNS1_33reduce_by_key_impl_wrapped_configILNS1_25lookback_scan_determinismE0ES3_S7_PKhNS0_17constant_iteratorIjlEEPhPlSF_S6_NS0_8equal_toIhEEEE10hipError_tPvRmT2_T3_mT4_T5_T6_T7_T8_P12ihipStream_tbENKUlT_T0_E_clISt17integral_constantIbLb1EESY_IbLb0EEEEDaSU_SV_EUlSU_E_NS1_11comp_targetILNS1_3genE3ELNS1_11target_archE908ELNS1_3gpuE7ELNS1_3repE0EEENS1_30default_config_static_selectorELNS0_4arch9wavefront6targetE0EEEvT1_.uses_flat_scratch, 0
	.set _ZN7rocprim17ROCPRIM_400000_NS6detail17trampoline_kernelINS0_14default_configENS1_33run_length_encode_config_selectorIhjNS0_4plusIjEEEEZZNS1_33reduce_by_key_impl_wrapped_configILNS1_25lookback_scan_determinismE0ES3_S7_PKhNS0_17constant_iteratorIjlEEPhPlSF_S6_NS0_8equal_toIhEEEE10hipError_tPvRmT2_T3_mT4_T5_T6_T7_T8_P12ihipStream_tbENKUlT_T0_E_clISt17integral_constantIbLb1EESY_IbLb0EEEEDaSU_SV_EUlSU_E_NS1_11comp_targetILNS1_3genE3ELNS1_11target_archE908ELNS1_3gpuE7ELNS1_3repE0EEENS1_30default_config_static_selectorELNS0_4arch9wavefront6targetE0EEEvT1_.has_dyn_sized_stack, 0
	.set _ZN7rocprim17ROCPRIM_400000_NS6detail17trampoline_kernelINS0_14default_configENS1_33run_length_encode_config_selectorIhjNS0_4plusIjEEEEZZNS1_33reduce_by_key_impl_wrapped_configILNS1_25lookback_scan_determinismE0ES3_S7_PKhNS0_17constant_iteratorIjlEEPhPlSF_S6_NS0_8equal_toIhEEEE10hipError_tPvRmT2_T3_mT4_T5_T6_T7_T8_P12ihipStream_tbENKUlT_T0_E_clISt17integral_constantIbLb1EESY_IbLb0EEEEDaSU_SV_EUlSU_E_NS1_11comp_targetILNS1_3genE3ELNS1_11target_archE908ELNS1_3gpuE7ELNS1_3repE0EEENS1_30default_config_static_selectorELNS0_4arch9wavefront6targetE0EEEvT1_.has_recursion, 0
	.set _ZN7rocprim17ROCPRIM_400000_NS6detail17trampoline_kernelINS0_14default_configENS1_33run_length_encode_config_selectorIhjNS0_4plusIjEEEEZZNS1_33reduce_by_key_impl_wrapped_configILNS1_25lookback_scan_determinismE0ES3_S7_PKhNS0_17constant_iteratorIjlEEPhPlSF_S6_NS0_8equal_toIhEEEE10hipError_tPvRmT2_T3_mT4_T5_T6_T7_T8_P12ihipStream_tbENKUlT_T0_E_clISt17integral_constantIbLb1EESY_IbLb0EEEEDaSU_SV_EUlSU_E_NS1_11comp_targetILNS1_3genE3ELNS1_11target_archE908ELNS1_3gpuE7ELNS1_3repE0EEENS1_30default_config_static_selectorELNS0_4arch9wavefront6targetE0EEEvT1_.has_indirect_call, 0
	.section	.AMDGPU.csdata,"",@progbits
; Kernel info:
; codeLenInByte = 0
; TotalNumSgprs: 0
; NumVgprs: 0
; ScratchSize: 0
; MemoryBound: 0
; FloatMode: 240
; IeeeMode: 1
; LDSByteSize: 0 bytes/workgroup (compile time only)
; SGPRBlocks: 0
; VGPRBlocks: 0
; NumSGPRsForWavesPerEU: 1
; NumVGPRsForWavesPerEU: 1
; NamedBarCnt: 0
; Occupancy: 16
; WaveLimiterHint : 0
; COMPUTE_PGM_RSRC2:SCRATCH_EN: 0
; COMPUTE_PGM_RSRC2:USER_SGPR: 2
; COMPUTE_PGM_RSRC2:TRAP_HANDLER: 0
; COMPUTE_PGM_RSRC2:TGID_X_EN: 1
; COMPUTE_PGM_RSRC2:TGID_Y_EN: 0
; COMPUTE_PGM_RSRC2:TGID_Z_EN: 0
; COMPUTE_PGM_RSRC2:TIDIG_COMP_CNT: 0
	.section	.text._ZN7rocprim17ROCPRIM_400000_NS6detail17trampoline_kernelINS0_14default_configENS1_33run_length_encode_config_selectorIhjNS0_4plusIjEEEEZZNS1_33reduce_by_key_impl_wrapped_configILNS1_25lookback_scan_determinismE0ES3_S7_PKhNS0_17constant_iteratorIjlEEPhPlSF_S6_NS0_8equal_toIhEEEE10hipError_tPvRmT2_T3_mT4_T5_T6_T7_T8_P12ihipStream_tbENKUlT_T0_E_clISt17integral_constantIbLb1EESY_IbLb0EEEEDaSU_SV_EUlSU_E_NS1_11comp_targetILNS1_3genE2ELNS1_11target_archE906ELNS1_3gpuE6ELNS1_3repE0EEENS1_30default_config_static_selectorELNS0_4arch9wavefront6targetE0EEEvT1_,"axG",@progbits,_ZN7rocprim17ROCPRIM_400000_NS6detail17trampoline_kernelINS0_14default_configENS1_33run_length_encode_config_selectorIhjNS0_4plusIjEEEEZZNS1_33reduce_by_key_impl_wrapped_configILNS1_25lookback_scan_determinismE0ES3_S7_PKhNS0_17constant_iteratorIjlEEPhPlSF_S6_NS0_8equal_toIhEEEE10hipError_tPvRmT2_T3_mT4_T5_T6_T7_T8_P12ihipStream_tbENKUlT_T0_E_clISt17integral_constantIbLb1EESY_IbLb0EEEEDaSU_SV_EUlSU_E_NS1_11comp_targetILNS1_3genE2ELNS1_11target_archE906ELNS1_3gpuE6ELNS1_3repE0EEENS1_30default_config_static_selectorELNS0_4arch9wavefront6targetE0EEEvT1_,comdat
	.protected	_ZN7rocprim17ROCPRIM_400000_NS6detail17trampoline_kernelINS0_14default_configENS1_33run_length_encode_config_selectorIhjNS0_4plusIjEEEEZZNS1_33reduce_by_key_impl_wrapped_configILNS1_25lookback_scan_determinismE0ES3_S7_PKhNS0_17constant_iteratorIjlEEPhPlSF_S6_NS0_8equal_toIhEEEE10hipError_tPvRmT2_T3_mT4_T5_T6_T7_T8_P12ihipStream_tbENKUlT_T0_E_clISt17integral_constantIbLb1EESY_IbLb0EEEEDaSU_SV_EUlSU_E_NS1_11comp_targetILNS1_3genE2ELNS1_11target_archE906ELNS1_3gpuE6ELNS1_3repE0EEENS1_30default_config_static_selectorELNS0_4arch9wavefront6targetE0EEEvT1_ ; -- Begin function _ZN7rocprim17ROCPRIM_400000_NS6detail17trampoline_kernelINS0_14default_configENS1_33run_length_encode_config_selectorIhjNS0_4plusIjEEEEZZNS1_33reduce_by_key_impl_wrapped_configILNS1_25lookback_scan_determinismE0ES3_S7_PKhNS0_17constant_iteratorIjlEEPhPlSF_S6_NS0_8equal_toIhEEEE10hipError_tPvRmT2_T3_mT4_T5_T6_T7_T8_P12ihipStream_tbENKUlT_T0_E_clISt17integral_constantIbLb1EESY_IbLb0EEEEDaSU_SV_EUlSU_E_NS1_11comp_targetILNS1_3genE2ELNS1_11target_archE906ELNS1_3gpuE6ELNS1_3repE0EEENS1_30default_config_static_selectorELNS0_4arch9wavefront6targetE0EEEvT1_
	.globl	_ZN7rocprim17ROCPRIM_400000_NS6detail17trampoline_kernelINS0_14default_configENS1_33run_length_encode_config_selectorIhjNS0_4plusIjEEEEZZNS1_33reduce_by_key_impl_wrapped_configILNS1_25lookback_scan_determinismE0ES3_S7_PKhNS0_17constant_iteratorIjlEEPhPlSF_S6_NS0_8equal_toIhEEEE10hipError_tPvRmT2_T3_mT4_T5_T6_T7_T8_P12ihipStream_tbENKUlT_T0_E_clISt17integral_constantIbLb1EESY_IbLb0EEEEDaSU_SV_EUlSU_E_NS1_11comp_targetILNS1_3genE2ELNS1_11target_archE906ELNS1_3gpuE6ELNS1_3repE0EEENS1_30default_config_static_selectorELNS0_4arch9wavefront6targetE0EEEvT1_
	.p2align	8
	.type	_ZN7rocprim17ROCPRIM_400000_NS6detail17trampoline_kernelINS0_14default_configENS1_33run_length_encode_config_selectorIhjNS0_4plusIjEEEEZZNS1_33reduce_by_key_impl_wrapped_configILNS1_25lookback_scan_determinismE0ES3_S7_PKhNS0_17constant_iteratorIjlEEPhPlSF_S6_NS0_8equal_toIhEEEE10hipError_tPvRmT2_T3_mT4_T5_T6_T7_T8_P12ihipStream_tbENKUlT_T0_E_clISt17integral_constantIbLb1EESY_IbLb0EEEEDaSU_SV_EUlSU_E_NS1_11comp_targetILNS1_3genE2ELNS1_11target_archE906ELNS1_3gpuE6ELNS1_3repE0EEENS1_30default_config_static_selectorELNS0_4arch9wavefront6targetE0EEEvT1_,@function
_ZN7rocprim17ROCPRIM_400000_NS6detail17trampoline_kernelINS0_14default_configENS1_33run_length_encode_config_selectorIhjNS0_4plusIjEEEEZZNS1_33reduce_by_key_impl_wrapped_configILNS1_25lookback_scan_determinismE0ES3_S7_PKhNS0_17constant_iteratorIjlEEPhPlSF_S6_NS0_8equal_toIhEEEE10hipError_tPvRmT2_T3_mT4_T5_T6_T7_T8_P12ihipStream_tbENKUlT_T0_E_clISt17integral_constantIbLb1EESY_IbLb0EEEEDaSU_SV_EUlSU_E_NS1_11comp_targetILNS1_3genE2ELNS1_11target_archE906ELNS1_3gpuE6ELNS1_3repE0EEENS1_30default_config_static_selectorELNS0_4arch9wavefront6targetE0EEEvT1_: ; @_ZN7rocprim17ROCPRIM_400000_NS6detail17trampoline_kernelINS0_14default_configENS1_33run_length_encode_config_selectorIhjNS0_4plusIjEEEEZZNS1_33reduce_by_key_impl_wrapped_configILNS1_25lookback_scan_determinismE0ES3_S7_PKhNS0_17constant_iteratorIjlEEPhPlSF_S6_NS0_8equal_toIhEEEE10hipError_tPvRmT2_T3_mT4_T5_T6_T7_T8_P12ihipStream_tbENKUlT_T0_E_clISt17integral_constantIbLb1EESY_IbLb0EEEEDaSU_SV_EUlSU_E_NS1_11comp_targetILNS1_3genE2ELNS1_11target_archE906ELNS1_3gpuE6ELNS1_3repE0EEENS1_30default_config_static_selectorELNS0_4arch9wavefront6targetE0EEEvT1_
; %bb.0:
	.section	.rodata,"a",@progbits
	.p2align	6, 0x0
	.amdhsa_kernel _ZN7rocprim17ROCPRIM_400000_NS6detail17trampoline_kernelINS0_14default_configENS1_33run_length_encode_config_selectorIhjNS0_4plusIjEEEEZZNS1_33reduce_by_key_impl_wrapped_configILNS1_25lookback_scan_determinismE0ES3_S7_PKhNS0_17constant_iteratorIjlEEPhPlSF_S6_NS0_8equal_toIhEEEE10hipError_tPvRmT2_T3_mT4_T5_T6_T7_T8_P12ihipStream_tbENKUlT_T0_E_clISt17integral_constantIbLb1EESY_IbLb0EEEEDaSU_SV_EUlSU_E_NS1_11comp_targetILNS1_3genE2ELNS1_11target_archE906ELNS1_3gpuE6ELNS1_3repE0EEENS1_30default_config_static_selectorELNS0_4arch9wavefront6targetE0EEEvT1_
		.amdhsa_group_segment_fixed_size 0
		.amdhsa_private_segment_fixed_size 0
		.amdhsa_kernarg_size 128
		.amdhsa_user_sgpr_count 2
		.amdhsa_user_sgpr_dispatch_ptr 0
		.amdhsa_user_sgpr_queue_ptr 0
		.amdhsa_user_sgpr_kernarg_segment_ptr 1
		.amdhsa_user_sgpr_dispatch_id 0
		.amdhsa_user_sgpr_kernarg_preload_length 0
		.amdhsa_user_sgpr_kernarg_preload_offset 0
		.amdhsa_user_sgpr_private_segment_size 0
		.amdhsa_wavefront_size32 1
		.amdhsa_uses_dynamic_stack 0
		.amdhsa_enable_private_segment 0
		.amdhsa_system_sgpr_workgroup_id_x 1
		.amdhsa_system_sgpr_workgroup_id_y 0
		.amdhsa_system_sgpr_workgroup_id_z 0
		.amdhsa_system_sgpr_workgroup_info 0
		.amdhsa_system_vgpr_workitem_id 0
		.amdhsa_next_free_vgpr 1
		.amdhsa_next_free_sgpr 1
		.amdhsa_named_barrier_count 0
		.amdhsa_reserve_vcc 0
		.amdhsa_float_round_mode_32 0
		.amdhsa_float_round_mode_16_64 0
		.amdhsa_float_denorm_mode_32 3
		.amdhsa_float_denorm_mode_16_64 3
		.amdhsa_fp16_overflow 0
		.amdhsa_memory_ordered 1
		.amdhsa_forward_progress 1
		.amdhsa_inst_pref_size 0
		.amdhsa_round_robin_scheduling 0
		.amdhsa_exception_fp_ieee_invalid_op 0
		.amdhsa_exception_fp_denorm_src 0
		.amdhsa_exception_fp_ieee_div_zero 0
		.amdhsa_exception_fp_ieee_overflow 0
		.amdhsa_exception_fp_ieee_underflow 0
		.amdhsa_exception_fp_ieee_inexact 0
		.amdhsa_exception_int_div_zero 0
	.end_amdhsa_kernel
	.section	.text._ZN7rocprim17ROCPRIM_400000_NS6detail17trampoline_kernelINS0_14default_configENS1_33run_length_encode_config_selectorIhjNS0_4plusIjEEEEZZNS1_33reduce_by_key_impl_wrapped_configILNS1_25lookback_scan_determinismE0ES3_S7_PKhNS0_17constant_iteratorIjlEEPhPlSF_S6_NS0_8equal_toIhEEEE10hipError_tPvRmT2_T3_mT4_T5_T6_T7_T8_P12ihipStream_tbENKUlT_T0_E_clISt17integral_constantIbLb1EESY_IbLb0EEEEDaSU_SV_EUlSU_E_NS1_11comp_targetILNS1_3genE2ELNS1_11target_archE906ELNS1_3gpuE6ELNS1_3repE0EEENS1_30default_config_static_selectorELNS0_4arch9wavefront6targetE0EEEvT1_,"axG",@progbits,_ZN7rocprim17ROCPRIM_400000_NS6detail17trampoline_kernelINS0_14default_configENS1_33run_length_encode_config_selectorIhjNS0_4plusIjEEEEZZNS1_33reduce_by_key_impl_wrapped_configILNS1_25lookback_scan_determinismE0ES3_S7_PKhNS0_17constant_iteratorIjlEEPhPlSF_S6_NS0_8equal_toIhEEEE10hipError_tPvRmT2_T3_mT4_T5_T6_T7_T8_P12ihipStream_tbENKUlT_T0_E_clISt17integral_constantIbLb1EESY_IbLb0EEEEDaSU_SV_EUlSU_E_NS1_11comp_targetILNS1_3genE2ELNS1_11target_archE906ELNS1_3gpuE6ELNS1_3repE0EEENS1_30default_config_static_selectorELNS0_4arch9wavefront6targetE0EEEvT1_,comdat
.Lfunc_end188:
	.size	_ZN7rocprim17ROCPRIM_400000_NS6detail17trampoline_kernelINS0_14default_configENS1_33run_length_encode_config_selectorIhjNS0_4plusIjEEEEZZNS1_33reduce_by_key_impl_wrapped_configILNS1_25lookback_scan_determinismE0ES3_S7_PKhNS0_17constant_iteratorIjlEEPhPlSF_S6_NS0_8equal_toIhEEEE10hipError_tPvRmT2_T3_mT4_T5_T6_T7_T8_P12ihipStream_tbENKUlT_T0_E_clISt17integral_constantIbLb1EESY_IbLb0EEEEDaSU_SV_EUlSU_E_NS1_11comp_targetILNS1_3genE2ELNS1_11target_archE906ELNS1_3gpuE6ELNS1_3repE0EEENS1_30default_config_static_selectorELNS0_4arch9wavefront6targetE0EEEvT1_, .Lfunc_end188-_ZN7rocprim17ROCPRIM_400000_NS6detail17trampoline_kernelINS0_14default_configENS1_33run_length_encode_config_selectorIhjNS0_4plusIjEEEEZZNS1_33reduce_by_key_impl_wrapped_configILNS1_25lookback_scan_determinismE0ES3_S7_PKhNS0_17constant_iteratorIjlEEPhPlSF_S6_NS0_8equal_toIhEEEE10hipError_tPvRmT2_T3_mT4_T5_T6_T7_T8_P12ihipStream_tbENKUlT_T0_E_clISt17integral_constantIbLb1EESY_IbLb0EEEEDaSU_SV_EUlSU_E_NS1_11comp_targetILNS1_3genE2ELNS1_11target_archE906ELNS1_3gpuE6ELNS1_3repE0EEENS1_30default_config_static_selectorELNS0_4arch9wavefront6targetE0EEEvT1_
                                        ; -- End function
	.set _ZN7rocprim17ROCPRIM_400000_NS6detail17trampoline_kernelINS0_14default_configENS1_33run_length_encode_config_selectorIhjNS0_4plusIjEEEEZZNS1_33reduce_by_key_impl_wrapped_configILNS1_25lookback_scan_determinismE0ES3_S7_PKhNS0_17constant_iteratorIjlEEPhPlSF_S6_NS0_8equal_toIhEEEE10hipError_tPvRmT2_T3_mT4_T5_T6_T7_T8_P12ihipStream_tbENKUlT_T0_E_clISt17integral_constantIbLb1EESY_IbLb0EEEEDaSU_SV_EUlSU_E_NS1_11comp_targetILNS1_3genE2ELNS1_11target_archE906ELNS1_3gpuE6ELNS1_3repE0EEENS1_30default_config_static_selectorELNS0_4arch9wavefront6targetE0EEEvT1_.num_vgpr, 0
	.set _ZN7rocprim17ROCPRIM_400000_NS6detail17trampoline_kernelINS0_14default_configENS1_33run_length_encode_config_selectorIhjNS0_4plusIjEEEEZZNS1_33reduce_by_key_impl_wrapped_configILNS1_25lookback_scan_determinismE0ES3_S7_PKhNS0_17constant_iteratorIjlEEPhPlSF_S6_NS0_8equal_toIhEEEE10hipError_tPvRmT2_T3_mT4_T5_T6_T7_T8_P12ihipStream_tbENKUlT_T0_E_clISt17integral_constantIbLb1EESY_IbLb0EEEEDaSU_SV_EUlSU_E_NS1_11comp_targetILNS1_3genE2ELNS1_11target_archE906ELNS1_3gpuE6ELNS1_3repE0EEENS1_30default_config_static_selectorELNS0_4arch9wavefront6targetE0EEEvT1_.num_agpr, 0
	.set _ZN7rocprim17ROCPRIM_400000_NS6detail17trampoline_kernelINS0_14default_configENS1_33run_length_encode_config_selectorIhjNS0_4plusIjEEEEZZNS1_33reduce_by_key_impl_wrapped_configILNS1_25lookback_scan_determinismE0ES3_S7_PKhNS0_17constant_iteratorIjlEEPhPlSF_S6_NS0_8equal_toIhEEEE10hipError_tPvRmT2_T3_mT4_T5_T6_T7_T8_P12ihipStream_tbENKUlT_T0_E_clISt17integral_constantIbLb1EESY_IbLb0EEEEDaSU_SV_EUlSU_E_NS1_11comp_targetILNS1_3genE2ELNS1_11target_archE906ELNS1_3gpuE6ELNS1_3repE0EEENS1_30default_config_static_selectorELNS0_4arch9wavefront6targetE0EEEvT1_.numbered_sgpr, 0
	.set _ZN7rocprim17ROCPRIM_400000_NS6detail17trampoline_kernelINS0_14default_configENS1_33run_length_encode_config_selectorIhjNS0_4plusIjEEEEZZNS1_33reduce_by_key_impl_wrapped_configILNS1_25lookback_scan_determinismE0ES3_S7_PKhNS0_17constant_iteratorIjlEEPhPlSF_S6_NS0_8equal_toIhEEEE10hipError_tPvRmT2_T3_mT4_T5_T6_T7_T8_P12ihipStream_tbENKUlT_T0_E_clISt17integral_constantIbLb1EESY_IbLb0EEEEDaSU_SV_EUlSU_E_NS1_11comp_targetILNS1_3genE2ELNS1_11target_archE906ELNS1_3gpuE6ELNS1_3repE0EEENS1_30default_config_static_selectorELNS0_4arch9wavefront6targetE0EEEvT1_.num_named_barrier, 0
	.set _ZN7rocprim17ROCPRIM_400000_NS6detail17trampoline_kernelINS0_14default_configENS1_33run_length_encode_config_selectorIhjNS0_4plusIjEEEEZZNS1_33reduce_by_key_impl_wrapped_configILNS1_25lookback_scan_determinismE0ES3_S7_PKhNS0_17constant_iteratorIjlEEPhPlSF_S6_NS0_8equal_toIhEEEE10hipError_tPvRmT2_T3_mT4_T5_T6_T7_T8_P12ihipStream_tbENKUlT_T0_E_clISt17integral_constantIbLb1EESY_IbLb0EEEEDaSU_SV_EUlSU_E_NS1_11comp_targetILNS1_3genE2ELNS1_11target_archE906ELNS1_3gpuE6ELNS1_3repE0EEENS1_30default_config_static_selectorELNS0_4arch9wavefront6targetE0EEEvT1_.private_seg_size, 0
	.set _ZN7rocprim17ROCPRIM_400000_NS6detail17trampoline_kernelINS0_14default_configENS1_33run_length_encode_config_selectorIhjNS0_4plusIjEEEEZZNS1_33reduce_by_key_impl_wrapped_configILNS1_25lookback_scan_determinismE0ES3_S7_PKhNS0_17constant_iteratorIjlEEPhPlSF_S6_NS0_8equal_toIhEEEE10hipError_tPvRmT2_T3_mT4_T5_T6_T7_T8_P12ihipStream_tbENKUlT_T0_E_clISt17integral_constantIbLb1EESY_IbLb0EEEEDaSU_SV_EUlSU_E_NS1_11comp_targetILNS1_3genE2ELNS1_11target_archE906ELNS1_3gpuE6ELNS1_3repE0EEENS1_30default_config_static_selectorELNS0_4arch9wavefront6targetE0EEEvT1_.uses_vcc, 0
	.set _ZN7rocprim17ROCPRIM_400000_NS6detail17trampoline_kernelINS0_14default_configENS1_33run_length_encode_config_selectorIhjNS0_4plusIjEEEEZZNS1_33reduce_by_key_impl_wrapped_configILNS1_25lookback_scan_determinismE0ES3_S7_PKhNS0_17constant_iteratorIjlEEPhPlSF_S6_NS0_8equal_toIhEEEE10hipError_tPvRmT2_T3_mT4_T5_T6_T7_T8_P12ihipStream_tbENKUlT_T0_E_clISt17integral_constantIbLb1EESY_IbLb0EEEEDaSU_SV_EUlSU_E_NS1_11comp_targetILNS1_3genE2ELNS1_11target_archE906ELNS1_3gpuE6ELNS1_3repE0EEENS1_30default_config_static_selectorELNS0_4arch9wavefront6targetE0EEEvT1_.uses_flat_scratch, 0
	.set _ZN7rocprim17ROCPRIM_400000_NS6detail17trampoline_kernelINS0_14default_configENS1_33run_length_encode_config_selectorIhjNS0_4plusIjEEEEZZNS1_33reduce_by_key_impl_wrapped_configILNS1_25lookback_scan_determinismE0ES3_S7_PKhNS0_17constant_iteratorIjlEEPhPlSF_S6_NS0_8equal_toIhEEEE10hipError_tPvRmT2_T3_mT4_T5_T6_T7_T8_P12ihipStream_tbENKUlT_T0_E_clISt17integral_constantIbLb1EESY_IbLb0EEEEDaSU_SV_EUlSU_E_NS1_11comp_targetILNS1_3genE2ELNS1_11target_archE906ELNS1_3gpuE6ELNS1_3repE0EEENS1_30default_config_static_selectorELNS0_4arch9wavefront6targetE0EEEvT1_.has_dyn_sized_stack, 0
	.set _ZN7rocprim17ROCPRIM_400000_NS6detail17trampoline_kernelINS0_14default_configENS1_33run_length_encode_config_selectorIhjNS0_4plusIjEEEEZZNS1_33reduce_by_key_impl_wrapped_configILNS1_25lookback_scan_determinismE0ES3_S7_PKhNS0_17constant_iteratorIjlEEPhPlSF_S6_NS0_8equal_toIhEEEE10hipError_tPvRmT2_T3_mT4_T5_T6_T7_T8_P12ihipStream_tbENKUlT_T0_E_clISt17integral_constantIbLb1EESY_IbLb0EEEEDaSU_SV_EUlSU_E_NS1_11comp_targetILNS1_3genE2ELNS1_11target_archE906ELNS1_3gpuE6ELNS1_3repE0EEENS1_30default_config_static_selectorELNS0_4arch9wavefront6targetE0EEEvT1_.has_recursion, 0
	.set _ZN7rocprim17ROCPRIM_400000_NS6detail17trampoline_kernelINS0_14default_configENS1_33run_length_encode_config_selectorIhjNS0_4plusIjEEEEZZNS1_33reduce_by_key_impl_wrapped_configILNS1_25lookback_scan_determinismE0ES3_S7_PKhNS0_17constant_iteratorIjlEEPhPlSF_S6_NS0_8equal_toIhEEEE10hipError_tPvRmT2_T3_mT4_T5_T6_T7_T8_P12ihipStream_tbENKUlT_T0_E_clISt17integral_constantIbLb1EESY_IbLb0EEEEDaSU_SV_EUlSU_E_NS1_11comp_targetILNS1_3genE2ELNS1_11target_archE906ELNS1_3gpuE6ELNS1_3repE0EEENS1_30default_config_static_selectorELNS0_4arch9wavefront6targetE0EEEvT1_.has_indirect_call, 0
	.section	.AMDGPU.csdata,"",@progbits
; Kernel info:
; codeLenInByte = 0
; TotalNumSgprs: 0
; NumVgprs: 0
; ScratchSize: 0
; MemoryBound: 0
; FloatMode: 240
; IeeeMode: 1
; LDSByteSize: 0 bytes/workgroup (compile time only)
; SGPRBlocks: 0
; VGPRBlocks: 0
; NumSGPRsForWavesPerEU: 1
; NumVGPRsForWavesPerEU: 1
; NamedBarCnt: 0
; Occupancy: 16
; WaveLimiterHint : 0
; COMPUTE_PGM_RSRC2:SCRATCH_EN: 0
; COMPUTE_PGM_RSRC2:USER_SGPR: 2
; COMPUTE_PGM_RSRC2:TRAP_HANDLER: 0
; COMPUTE_PGM_RSRC2:TGID_X_EN: 1
; COMPUTE_PGM_RSRC2:TGID_Y_EN: 0
; COMPUTE_PGM_RSRC2:TGID_Z_EN: 0
; COMPUTE_PGM_RSRC2:TIDIG_COMP_CNT: 0
	.section	.text._ZN7rocprim17ROCPRIM_400000_NS6detail17trampoline_kernelINS0_14default_configENS1_33run_length_encode_config_selectorIhjNS0_4plusIjEEEEZZNS1_33reduce_by_key_impl_wrapped_configILNS1_25lookback_scan_determinismE0ES3_S7_PKhNS0_17constant_iteratorIjlEEPhPlSF_S6_NS0_8equal_toIhEEEE10hipError_tPvRmT2_T3_mT4_T5_T6_T7_T8_P12ihipStream_tbENKUlT_T0_E_clISt17integral_constantIbLb1EESY_IbLb0EEEEDaSU_SV_EUlSU_E_NS1_11comp_targetILNS1_3genE10ELNS1_11target_archE1201ELNS1_3gpuE5ELNS1_3repE0EEENS1_30default_config_static_selectorELNS0_4arch9wavefront6targetE0EEEvT1_,"axG",@progbits,_ZN7rocprim17ROCPRIM_400000_NS6detail17trampoline_kernelINS0_14default_configENS1_33run_length_encode_config_selectorIhjNS0_4plusIjEEEEZZNS1_33reduce_by_key_impl_wrapped_configILNS1_25lookback_scan_determinismE0ES3_S7_PKhNS0_17constant_iteratorIjlEEPhPlSF_S6_NS0_8equal_toIhEEEE10hipError_tPvRmT2_T3_mT4_T5_T6_T7_T8_P12ihipStream_tbENKUlT_T0_E_clISt17integral_constantIbLb1EESY_IbLb0EEEEDaSU_SV_EUlSU_E_NS1_11comp_targetILNS1_3genE10ELNS1_11target_archE1201ELNS1_3gpuE5ELNS1_3repE0EEENS1_30default_config_static_selectorELNS0_4arch9wavefront6targetE0EEEvT1_,comdat
	.protected	_ZN7rocprim17ROCPRIM_400000_NS6detail17trampoline_kernelINS0_14default_configENS1_33run_length_encode_config_selectorIhjNS0_4plusIjEEEEZZNS1_33reduce_by_key_impl_wrapped_configILNS1_25lookback_scan_determinismE0ES3_S7_PKhNS0_17constant_iteratorIjlEEPhPlSF_S6_NS0_8equal_toIhEEEE10hipError_tPvRmT2_T3_mT4_T5_T6_T7_T8_P12ihipStream_tbENKUlT_T0_E_clISt17integral_constantIbLb1EESY_IbLb0EEEEDaSU_SV_EUlSU_E_NS1_11comp_targetILNS1_3genE10ELNS1_11target_archE1201ELNS1_3gpuE5ELNS1_3repE0EEENS1_30default_config_static_selectorELNS0_4arch9wavefront6targetE0EEEvT1_ ; -- Begin function _ZN7rocprim17ROCPRIM_400000_NS6detail17trampoline_kernelINS0_14default_configENS1_33run_length_encode_config_selectorIhjNS0_4plusIjEEEEZZNS1_33reduce_by_key_impl_wrapped_configILNS1_25lookback_scan_determinismE0ES3_S7_PKhNS0_17constant_iteratorIjlEEPhPlSF_S6_NS0_8equal_toIhEEEE10hipError_tPvRmT2_T3_mT4_T5_T6_T7_T8_P12ihipStream_tbENKUlT_T0_E_clISt17integral_constantIbLb1EESY_IbLb0EEEEDaSU_SV_EUlSU_E_NS1_11comp_targetILNS1_3genE10ELNS1_11target_archE1201ELNS1_3gpuE5ELNS1_3repE0EEENS1_30default_config_static_selectorELNS0_4arch9wavefront6targetE0EEEvT1_
	.globl	_ZN7rocprim17ROCPRIM_400000_NS6detail17trampoline_kernelINS0_14default_configENS1_33run_length_encode_config_selectorIhjNS0_4plusIjEEEEZZNS1_33reduce_by_key_impl_wrapped_configILNS1_25lookback_scan_determinismE0ES3_S7_PKhNS0_17constant_iteratorIjlEEPhPlSF_S6_NS0_8equal_toIhEEEE10hipError_tPvRmT2_T3_mT4_T5_T6_T7_T8_P12ihipStream_tbENKUlT_T0_E_clISt17integral_constantIbLb1EESY_IbLb0EEEEDaSU_SV_EUlSU_E_NS1_11comp_targetILNS1_3genE10ELNS1_11target_archE1201ELNS1_3gpuE5ELNS1_3repE0EEENS1_30default_config_static_selectorELNS0_4arch9wavefront6targetE0EEEvT1_
	.p2align	8
	.type	_ZN7rocprim17ROCPRIM_400000_NS6detail17trampoline_kernelINS0_14default_configENS1_33run_length_encode_config_selectorIhjNS0_4plusIjEEEEZZNS1_33reduce_by_key_impl_wrapped_configILNS1_25lookback_scan_determinismE0ES3_S7_PKhNS0_17constant_iteratorIjlEEPhPlSF_S6_NS0_8equal_toIhEEEE10hipError_tPvRmT2_T3_mT4_T5_T6_T7_T8_P12ihipStream_tbENKUlT_T0_E_clISt17integral_constantIbLb1EESY_IbLb0EEEEDaSU_SV_EUlSU_E_NS1_11comp_targetILNS1_3genE10ELNS1_11target_archE1201ELNS1_3gpuE5ELNS1_3repE0EEENS1_30default_config_static_selectorELNS0_4arch9wavefront6targetE0EEEvT1_,@function
_ZN7rocprim17ROCPRIM_400000_NS6detail17trampoline_kernelINS0_14default_configENS1_33run_length_encode_config_selectorIhjNS0_4plusIjEEEEZZNS1_33reduce_by_key_impl_wrapped_configILNS1_25lookback_scan_determinismE0ES3_S7_PKhNS0_17constant_iteratorIjlEEPhPlSF_S6_NS0_8equal_toIhEEEE10hipError_tPvRmT2_T3_mT4_T5_T6_T7_T8_P12ihipStream_tbENKUlT_T0_E_clISt17integral_constantIbLb1EESY_IbLb0EEEEDaSU_SV_EUlSU_E_NS1_11comp_targetILNS1_3genE10ELNS1_11target_archE1201ELNS1_3gpuE5ELNS1_3repE0EEENS1_30default_config_static_selectorELNS0_4arch9wavefront6targetE0EEEvT1_: ; @_ZN7rocprim17ROCPRIM_400000_NS6detail17trampoline_kernelINS0_14default_configENS1_33run_length_encode_config_selectorIhjNS0_4plusIjEEEEZZNS1_33reduce_by_key_impl_wrapped_configILNS1_25lookback_scan_determinismE0ES3_S7_PKhNS0_17constant_iteratorIjlEEPhPlSF_S6_NS0_8equal_toIhEEEE10hipError_tPvRmT2_T3_mT4_T5_T6_T7_T8_P12ihipStream_tbENKUlT_T0_E_clISt17integral_constantIbLb1EESY_IbLb0EEEEDaSU_SV_EUlSU_E_NS1_11comp_targetILNS1_3genE10ELNS1_11target_archE1201ELNS1_3gpuE5ELNS1_3repE0EEENS1_30default_config_static_selectorELNS0_4arch9wavefront6targetE0EEEvT1_
; %bb.0:
	.section	.rodata,"a",@progbits
	.p2align	6, 0x0
	.amdhsa_kernel _ZN7rocprim17ROCPRIM_400000_NS6detail17trampoline_kernelINS0_14default_configENS1_33run_length_encode_config_selectorIhjNS0_4plusIjEEEEZZNS1_33reduce_by_key_impl_wrapped_configILNS1_25lookback_scan_determinismE0ES3_S7_PKhNS0_17constant_iteratorIjlEEPhPlSF_S6_NS0_8equal_toIhEEEE10hipError_tPvRmT2_T3_mT4_T5_T6_T7_T8_P12ihipStream_tbENKUlT_T0_E_clISt17integral_constantIbLb1EESY_IbLb0EEEEDaSU_SV_EUlSU_E_NS1_11comp_targetILNS1_3genE10ELNS1_11target_archE1201ELNS1_3gpuE5ELNS1_3repE0EEENS1_30default_config_static_selectorELNS0_4arch9wavefront6targetE0EEEvT1_
		.amdhsa_group_segment_fixed_size 0
		.amdhsa_private_segment_fixed_size 0
		.amdhsa_kernarg_size 128
		.amdhsa_user_sgpr_count 2
		.amdhsa_user_sgpr_dispatch_ptr 0
		.amdhsa_user_sgpr_queue_ptr 0
		.amdhsa_user_sgpr_kernarg_segment_ptr 1
		.amdhsa_user_sgpr_dispatch_id 0
		.amdhsa_user_sgpr_kernarg_preload_length 0
		.amdhsa_user_sgpr_kernarg_preload_offset 0
		.amdhsa_user_sgpr_private_segment_size 0
		.amdhsa_wavefront_size32 1
		.amdhsa_uses_dynamic_stack 0
		.amdhsa_enable_private_segment 0
		.amdhsa_system_sgpr_workgroup_id_x 1
		.amdhsa_system_sgpr_workgroup_id_y 0
		.amdhsa_system_sgpr_workgroup_id_z 0
		.amdhsa_system_sgpr_workgroup_info 0
		.amdhsa_system_vgpr_workitem_id 0
		.amdhsa_next_free_vgpr 1
		.amdhsa_next_free_sgpr 1
		.amdhsa_named_barrier_count 0
		.amdhsa_reserve_vcc 0
		.amdhsa_float_round_mode_32 0
		.amdhsa_float_round_mode_16_64 0
		.amdhsa_float_denorm_mode_32 3
		.amdhsa_float_denorm_mode_16_64 3
		.amdhsa_fp16_overflow 0
		.amdhsa_memory_ordered 1
		.amdhsa_forward_progress 1
		.amdhsa_inst_pref_size 0
		.amdhsa_round_robin_scheduling 0
		.amdhsa_exception_fp_ieee_invalid_op 0
		.amdhsa_exception_fp_denorm_src 0
		.amdhsa_exception_fp_ieee_div_zero 0
		.amdhsa_exception_fp_ieee_overflow 0
		.amdhsa_exception_fp_ieee_underflow 0
		.amdhsa_exception_fp_ieee_inexact 0
		.amdhsa_exception_int_div_zero 0
	.end_amdhsa_kernel
	.section	.text._ZN7rocprim17ROCPRIM_400000_NS6detail17trampoline_kernelINS0_14default_configENS1_33run_length_encode_config_selectorIhjNS0_4plusIjEEEEZZNS1_33reduce_by_key_impl_wrapped_configILNS1_25lookback_scan_determinismE0ES3_S7_PKhNS0_17constant_iteratorIjlEEPhPlSF_S6_NS0_8equal_toIhEEEE10hipError_tPvRmT2_T3_mT4_T5_T6_T7_T8_P12ihipStream_tbENKUlT_T0_E_clISt17integral_constantIbLb1EESY_IbLb0EEEEDaSU_SV_EUlSU_E_NS1_11comp_targetILNS1_3genE10ELNS1_11target_archE1201ELNS1_3gpuE5ELNS1_3repE0EEENS1_30default_config_static_selectorELNS0_4arch9wavefront6targetE0EEEvT1_,"axG",@progbits,_ZN7rocprim17ROCPRIM_400000_NS6detail17trampoline_kernelINS0_14default_configENS1_33run_length_encode_config_selectorIhjNS0_4plusIjEEEEZZNS1_33reduce_by_key_impl_wrapped_configILNS1_25lookback_scan_determinismE0ES3_S7_PKhNS0_17constant_iteratorIjlEEPhPlSF_S6_NS0_8equal_toIhEEEE10hipError_tPvRmT2_T3_mT4_T5_T6_T7_T8_P12ihipStream_tbENKUlT_T0_E_clISt17integral_constantIbLb1EESY_IbLb0EEEEDaSU_SV_EUlSU_E_NS1_11comp_targetILNS1_3genE10ELNS1_11target_archE1201ELNS1_3gpuE5ELNS1_3repE0EEENS1_30default_config_static_selectorELNS0_4arch9wavefront6targetE0EEEvT1_,comdat
.Lfunc_end189:
	.size	_ZN7rocprim17ROCPRIM_400000_NS6detail17trampoline_kernelINS0_14default_configENS1_33run_length_encode_config_selectorIhjNS0_4plusIjEEEEZZNS1_33reduce_by_key_impl_wrapped_configILNS1_25lookback_scan_determinismE0ES3_S7_PKhNS0_17constant_iteratorIjlEEPhPlSF_S6_NS0_8equal_toIhEEEE10hipError_tPvRmT2_T3_mT4_T5_T6_T7_T8_P12ihipStream_tbENKUlT_T0_E_clISt17integral_constantIbLb1EESY_IbLb0EEEEDaSU_SV_EUlSU_E_NS1_11comp_targetILNS1_3genE10ELNS1_11target_archE1201ELNS1_3gpuE5ELNS1_3repE0EEENS1_30default_config_static_selectorELNS0_4arch9wavefront6targetE0EEEvT1_, .Lfunc_end189-_ZN7rocprim17ROCPRIM_400000_NS6detail17trampoline_kernelINS0_14default_configENS1_33run_length_encode_config_selectorIhjNS0_4plusIjEEEEZZNS1_33reduce_by_key_impl_wrapped_configILNS1_25lookback_scan_determinismE0ES3_S7_PKhNS0_17constant_iteratorIjlEEPhPlSF_S6_NS0_8equal_toIhEEEE10hipError_tPvRmT2_T3_mT4_T5_T6_T7_T8_P12ihipStream_tbENKUlT_T0_E_clISt17integral_constantIbLb1EESY_IbLb0EEEEDaSU_SV_EUlSU_E_NS1_11comp_targetILNS1_3genE10ELNS1_11target_archE1201ELNS1_3gpuE5ELNS1_3repE0EEENS1_30default_config_static_selectorELNS0_4arch9wavefront6targetE0EEEvT1_
                                        ; -- End function
	.set _ZN7rocprim17ROCPRIM_400000_NS6detail17trampoline_kernelINS0_14default_configENS1_33run_length_encode_config_selectorIhjNS0_4plusIjEEEEZZNS1_33reduce_by_key_impl_wrapped_configILNS1_25lookback_scan_determinismE0ES3_S7_PKhNS0_17constant_iteratorIjlEEPhPlSF_S6_NS0_8equal_toIhEEEE10hipError_tPvRmT2_T3_mT4_T5_T6_T7_T8_P12ihipStream_tbENKUlT_T0_E_clISt17integral_constantIbLb1EESY_IbLb0EEEEDaSU_SV_EUlSU_E_NS1_11comp_targetILNS1_3genE10ELNS1_11target_archE1201ELNS1_3gpuE5ELNS1_3repE0EEENS1_30default_config_static_selectorELNS0_4arch9wavefront6targetE0EEEvT1_.num_vgpr, 0
	.set _ZN7rocprim17ROCPRIM_400000_NS6detail17trampoline_kernelINS0_14default_configENS1_33run_length_encode_config_selectorIhjNS0_4plusIjEEEEZZNS1_33reduce_by_key_impl_wrapped_configILNS1_25lookback_scan_determinismE0ES3_S7_PKhNS0_17constant_iteratorIjlEEPhPlSF_S6_NS0_8equal_toIhEEEE10hipError_tPvRmT2_T3_mT4_T5_T6_T7_T8_P12ihipStream_tbENKUlT_T0_E_clISt17integral_constantIbLb1EESY_IbLb0EEEEDaSU_SV_EUlSU_E_NS1_11comp_targetILNS1_3genE10ELNS1_11target_archE1201ELNS1_3gpuE5ELNS1_3repE0EEENS1_30default_config_static_selectorELNS0_4arch9wavefront6targetE0EEEvT1_.num_agpr, 0
	.set _ZN7rocprim17ROCPRIM_400000_NS6detail17trampoline_kernelINS0_14default_configENS1_33run_length_encode_config_selectorIhjNS0_4plusIjEEEEZZNS1_33reduce_by_key_impl_wrapped_configILNS1_25lookback_scan_determinismE0ES3_S7_PKhNS0_17constant_iteratorIjlEEPhPlSF_S6_NS0_8equal_toIhEEEE10hipError_tPvRmT2_T3_mT4_T5_T6_T7_T8_P12ihipStream_tbENKUlT_T0_E_clISt17integral_constantIbLb1EESY_IbLb0EEEEDaSU_SV_EUlSU_E_NS1_11comp_targetILNS1_3genE10ELNS1_11target_archE1201ELNS1_3gpuE5ELNS1_3repE0EEENS1_30default_config_static_selectorELNS0_4arch9wavefront6targetE0EEEvT1_.numbered_sgpr, 0
	.set _ZN7rocprim17ROCPRIM_400000_NS6detail17trampoline_kernelINS0_14default_configENS1_33run_length_encode_config_selectorIhjNS0_4plusIjEEEEZZNS1_33reduce_by_key_impl_wrapped_configILNS1_25lookback_scan_determinismE0ES3_S7_PKhNS0_17constant_iteratorIjlEEPhPlSF_S6_NS0_8equal_toIhEEEE10hipError_tPvRmT2_T3_mT4_T5_T6_T7_T8_P12ihipStream_tbENKUlT_T0_E_clISt17integral_constantIbLb1EESY_IbLb0EEEEDaSU_SV_EUlSU_E_NS1_11comp_targetILNS1_3genE10ELNS1_11target_archE1201ELNS1_3gpuE5ELNS1_3repE0EEENS1_30default_config_static_selectorELNS0_4arch9wavefront6targetE0EEEvT1_.num_named_barrier, 0
	.set _ZN7rocprim17ROCPRIM_400000_NS6detail17trampoline_kernelINS0_14default_configENS1_33run_length_encode_config_selectorIhjNS0_4plusIjEEEEZZNS1_33reduce_by_key_impl_wrapped_configILNS1_25lookback_scan_determinismE0ES3_S7_PKhNS0_17constant_iteratorIjlEEPhPlSF_S6_NS0_8equal_toIhEEEE10hipError_tPvRmT2_T3_mT4_T5_T6_T7_T8_P12ihipStream_tbENKUlT_T0_E_clISt17integral_constantIbLb1EESY_IbLb0EEEEDaSU_SV_EUlSU_E_NS1_11comp_targetILNS1_3genE10ELNS1_11target_archE1201ELNS1_3gpuE5ELNS1_3repE0EEENS1_30default_config_static_selectorELNS0_4arch9wavefront6targetE0EEEvT1_.private_seg_size, 0
	.set _ZN7rocprim17ROCPRIM_400000_NS6detail17trampoline_kernelINS0_14default_configENS1_33run_length_encode_config_selectorIhjNS0_4plusIjEEEEZZNS1_33reduce_by_key_impl_wrapped_configILNS1_25lookback_scan_determinismE0ES3_S7_PKhNS0_17constant_iteratorIjlEEPhPlSF_S6_NS0_8equal_toIhEEEE10hipError_tPvRmT2_T3_mT4_T5_T6_T7_T8_P12ihipStream_tbENKUlT_T0_E_clISt17integral_constantIbLb1EESY_IbLb0EEEEDaSU_SV_EUlSU_E_NS1_11comp_targetILNS1_3genE10ELNS1_11target_archE1201ELNS1_3gpuE5ELNS1_3repE0EEENS1_30default_config_static_selectorELNS0_4arch9wavefront6targetE0EEEvT1_.uses_vcc, 0
	.set _ZN7rocprim17ROCPRIM_400000_NS6detail17trampoline_kernelINS0_14default_configENS1_33run_length_encode_config_selectorIhjNS0_4plusIjEEEEZZNS1_33reduce_by_key_impl_wrapped_configILNS1_25lookback_scan_determinismE0ES3_S7_PKhNS0_17constant_iteratorIjlEEPhPlSF_S6_NS0_8equal_toIhEEEE10hipError_tPvRmT2_T3_mT4_T5_T6_T7_T8_P12ihipStream_tbENKUlT_T0_E_clISt17integral_constantIbLb1EESY_IbLb0EEEEDaSU_SV_EUlSU_E_NS1_11comp_targetILNS1_3genE10ELNS1_11target_archE1201ELNS1_3gpuE5ELNS1_3repE0EEENS1_30default_config_static_selectorELNS0_4arch9wavefront6targetE0EEEvT1_.uses_flat_scratch, 0
	.set _ZN7rocprim17ROCPRIM_400000_NS6detail17trampoline_kernelINS0_14default_configENS1_33run_length_encode_config_selectorIhjNS0_4plusIjEEEEZZNS1_33reduce_by_key_impl_wrapped_configILNS1_25lookback_scan_determinismE0ES3_S7_PKhNS0_17constant_iteratorIjlEEPhPlSF_S6_NS0_8equal_toIhEEEE10hipError_tPvRmT2_T3_mT4_T5_T6_T7_T8_P12ihipStream_tbENKUlT_T0_E_clISt17integral_constantIbLb1EESY_IbLb0EEEEDaSU_SV_EUlSU_E_NS1_11comp_targetILNS1_3genE10ELNS1_11target_archE1201ELNS1_3gpuE5ELNS1_3repE0EEENS1_30default_config_static_selectorELNS0_4arch9wavefront6targetE0EEEvT1_.has_dyn_sized_stack, 0
	.set _ZN7rocprim17ROCPRIM_400000_NS6detail17trampoline_kernelINS0_14default_configENS1_33run_length_encode_config_selectorIhjNS0_4plusIjEEEEZZNS1_33reduce_by_key_impl_wrapped_configILNS1_25lookback_scan_determinismE0ES3_S7_PKhNS0_17constant_iteratorIjlEEPhPlSF_S6_NS0_8equal_toIhEEEE10hipError_tPvRmT2_T3_mT4_T5_T6_T7_T8_P12ihipStream_tbENKUlT_T0_E_clISt17integral_constantIbLb1EESY_IbLb0EEEEDaSU_SV_EUlSU_E_NS1_11comp_targetILNS1_3genE10ELNS1_11target_archE1201ELNS1_3gpuE5ELNS1_3repE0EEENS1_30default_config_static_selectorELNS0_4arch9wavefront6targetE0EEEvT1_.has_recursion, 0
	.set _ZN7rocprim17ROCPRIM_400000_NS6detail17trampoline_kernelINS0_14default_configENS1_33run_length_encode_config_selectorIhjNS0_4plusIjEEEEZZNS1_33reduce_by_key_impl_wrapped_configILNS1_25lookback_scan_determinismE0ES3_S7_PKhNS0_17constant_iteratorIjlEEPhPlSF_S6_NS0_8equal_toIhEEEE10hipError_tPvRmT2_T3_mT4_T5_T6_T7_T8_P12ihipStream_tbENKUlT_T0_E_clISt17integral_constantIbLb1EESY_IbLb0EEEEDaSU_SV_EUlSU_E_NS1_11comp_targetILNS1_3genE10ELNS1_11target_archE1201ELNS1_3gpuE5ELNS1_3repE0EEENS1_30default_config_static_selectorELNS0_4arch9wavefront6targetE0EEEvT1_.has_indirect_call, 0
	.section	.AMDGPU.csdata,"",@progbits
; Kernel info:
; codeLenInByte = 0
; TotalNumSgprs: 0
; NumVgprs: 0
; ScratchSize: 0
; MemoryBound: 0
; FloatMode: 240
; IeeeMode: 1
; LDSByteSize: 0 bytes/workgroup (compile time only)
; SGPRBlocks: 0
; VGPRBlocks: 0
; NumSGPRsForWavesPerEU: 1
; NumVGPRsForWavesPerEU: 1
; NamedBarCnt: 0
; Occupancy: 16
; WaveLimiterHint : 0
; COMPUTE_PGM_RSRC2:SCRATCH_EN: 0
; COMPUTE_PGM_RSRC2:USER_SGPR: 2
; COMPUTE_PGM_RSRC2:TRAP_HANDLER: 0
; COMPUTE_PGM_RSRC2:TGID_X_EN: 1
; COMPUTE_PGM_RSRC2:TGID_Y_EN: 0
; COMPUTE_PGM_RSRC2:TGID_Z_EN: 0
; COMPUTE_PGM_RSRC2:TIDIG_COMP_CNT: 0
	.section	.text._ZN7rocprim17ROCPRIM_400000_NS6detail17trampoline_kernelINS0_14default_configENS1_33run_length_encode_config_selectorIhjNS0_4plusIjEEEEZZNS1_33reduce_by_key_impl_wrapped_configILNS1_25lookback_scan_determinismE0ES3_S7_PKhNS0_17constant_iteratorIjlEEPhPlSF_S6_NS0_8equal_toIhEEEE10hipError_tPvRmT2_T3_mT4_T5_T6_T7_T8_P12ihipStream_tbENKUlT_T0_E_clISt17integral_constantIbLb1EESY_IbLb0EEEEDaSU_SV_EUlSU_E_NS1_11comp_targetILNS1_3genE10ELNS1_11target_archE1200ELNS1_3gpuE4ELNS1_3repE0EEENS1_30default_config_static_selectorELNS0_4arch9wavefront6targetE0EEEvT1_,"axG",@progbits,_ZN7rocprim17ROCPRIM_400000_NS6detail17trampoline_kernelINS0_14default_configENS1_33run_length_encode_config_selectorIhjNS0_4plusIjEEEEZZNS1_33reduce_by_key_impl_wrapped_configILNS1_25lookback_scan_determinismE0ES3_S7_PKhNS0_17constant_iteratorIjlEEPhPlSF_S6_NS0_8equal_toIhEEEE10hipError_tPvRmT2_T3_mT4_T5_T6_T7_T8_P12ihipStream_tbENKUlT_T0_E_clISt17integral_constantIbLb1EESY_IbLb0EEEEDaSU_SV_EUlSU_E_NS1_11comp_targetILNS1_3genE10ELNS1_11target_archE1200ELNS1_3gpuE4ELNS1_3repE0EEENS1_30default_config_static_selectorELNS0_4arch9wavefront6targetE0EEEvT1_,comdat
	.protected	_ZN7rocprim17ROCPRIM_400000_NS6detail17trampoline_kernelINS0_14default_configENS1_33run_length_encode_config_selectorIhjNS0_4plusIjEEEEZZNS1_33reduce_by_key_impl_wrapped_configILNS1_25lookback_scan_determinismE0ES3_S7_PKhNS0_17constant_iteratorIjlEEPhPlSF_S6_NS0_8equal_toIhEEEE10hipError_tPvRmT2_T3_mT4_T5_T6_T7_T8_P12ihipStream_tbENKUlT_T0_E_clISt17integral_constantIbLb1EESY_IbLb0EEEEDaSU_SV_EUlSU_E_NS1_11comp_targetILNS1_3genE10ELNS1_11target_archE1200ELNS1_3gpuE4ELNS1_3repE0EEENS1_30default_config_static_selectorELNS0_4arch9wavefront6targetE0EEEvT1_ ; -- Begin function _ZN7rocprim17ROCPRIM_400000_NS6detail17trampoline_kernelINS0_14default_configENS1_33run_length_encode_config_selectorIhjNS0_4plusIjEEEEZZNS1_33reduce_by_key_impl_wrapped_configILNS1_25lookback_scan_determinismE0ES3_S7_PKhNS0_17constant_iteratorIjlEEPhPlSF_S6_NS0_8equal_toIhEEEE10hipError_tPvRmT2_T3_mT4_T5_T6_T7_T8_P12ihipStream_tbENKUlT_T0_E_clISt17integral_constantIbLb1EESY_IbLb0EEEEDaSU_SV_EUlSU_E_NS1_11comp_targetILNS1_3genE10ELNS1_11target_archE1200ELNS1_3gpuE4ELNS1_3repE0EEENS1_30default_config_static_selectorELNS0_4arch9wavefront6targetE0EEEvT1_
	.globl	_ZN7rocprim17ROCPRIM_400000_NS6detail17trampoline_kernelINS0_14default_configENS1_33run_length_encode_config_selectorIhjNS0_4plusIjEEEEZZNS1_33reduce_by_key_impl_wrapped_configILNS1_25lookback_scan_determinismE0ES3_S7_PKhNS0_17constant_iteratorIjlEEPhPlSF_S6_NS0_8equal_toIhEEEE10hipError_tPvRmT2_T3_mT4_T5_T6_T7_T8_P12ihipStream_tbENKUlT_T0_E_clISt17integral_constantIbLb1EESY_IbLb0EEEEDaSU_SV_EUlSU_E_NS1_11comp_targetILNS1_3genE10ELNS1_11target_archE1200ELNS1_3gpuE4ELNS1_3repE0EEENS1_30default_config_static_selectorELNS0_4arch9wavefront6targetE0EEEvT1_
	.p2align	8
	.type	_ZN7rocprim17ROCPRIM_400000_NS6detail17trampoline_kernelINS0_14default_configENS1_33run_length_encode_config_selectorIhjNS0_4plusIjEEEEZZNS1_33reduce_by_key_impl_wrapped_configILNS1_25lookback_scan_determinismE0ES3_S7_PKhNS0_17constant_iteratorIjlEEPhPlSF_S6_NS0_8equal_toIhEEEE10hipError_tPvRmT2_T3_mT4_T5_T6_T7_T8_P12ihipStream_tbENKUlT_T0_E_clISt17integral_constantIbLb1EESY_IbLb0EEEEDaSU_SV_EUlSU_E_NS1_11comp_targetILNS1_3genE10ELNS1_11target_archE1200ELNS1_3gpuE4ELNS1_3repE0EEENS1_30default_config_static_selectorELNS0_4arch9wavefront6targetE0EEEvT1_,@function
_ZN7rocprim17ROCPRIM_400000_NS6detail17trampoline_kernelINS0_14default_configENS1_33run_length_encode_config_selectorIhjNS0_4plusIjEEEEZZNS1_33reduce_by_key_impl_wrapped_configILNS1_25lookback_scan_determinismE0ES3_S7_PKhNS0_17constant_iteratorIjlEEPhPlSF_S6_NS0_8equal_toIhEEEE10hipError_tPvRmT2_T3_mT4_T5_T6_T7_T8_P12ihipStream_tbENKUlT_T0_E_clISt17integral_constantIbLb1EESY_IbLb0EEEEDaSU_SV_EUlSU_E_NS1_11comp_targetILNS1_3genE10ELNS1_11target_archE1200ELNS1_3gpuE4ELNS1_3repE0EEENS1_30default_config_static_selectorELNS0_4arch9wavefront6targetE0EEEvT1_: ; @_ZN7rocprim17ROCPRIM_400000_NS6detail17trampoline_kernelINS0_14default_configENS1_33run_length_encode_config_selectorIhjNS0_4plusIjEEEEZZNS1_33reduce_by_key_impl_wrapped_configILNS1_25lookback_scan_determinismE0ES3_S7_PKhNS0_17constant_iteratorIjlEEPhPlSF_S6_NS0_8equal_toIhEEEE10hipError_tPvRmT2_T3_mT4_T5_T6_T7_T8_P12ihipStream_tbENKUlT_T0_E_clISt17integral_constantIbLb1EESY_IbLb0EEEEDaSU_SV_EUlSU_E_NS1_11comp_targetILNS1_3genE10ELNS1_11target_archE1200ELNS1_3gpuE4ELNS1_3repE0EEENS1_30default_config_static_selectorELNS0_4arch9wavefront6targetE0EEEvT1_
; %bb.0:
	.section	.rodata,"a",@progbits
	.p2align	6, 0x0
	.amdhsa_kernel _ZN7rocprim17ROCPRIM_400000_NS6detail17trampoline_kernelINS0_14default_configENS1_33run_length_encode_config_selectorIhjNS0_4plusIjEEEEZZNS1_33reduce_by_key_impl_wrapped_configILNS1_25lookback_scan_determinismE0ES3_S7_PKhNS0_17constant_iteratorIjlEEPhPlSF_S6_NS0_8equal_toIhEEEE10hipError_tPvRmT2_T3_mT4_T5_T6_T7_T8_P12ihipStream_tbENKUlT_T0_E_clISt17integral_constantIbLb1EESY_IbLb0EEEEDaSU_SV_EUlSU_E_NS1_11comp_targetILNS1_3genE10ELNS1_11target_archE1200ELNS1_3gpuE4ELNS1_3repE0EEENS1_30default_config_static_selectorELNS0_4arch9wavefront6targetE0EEEvT1_
		.amdhsa_group_segment_fixed_size 0
		.amdhsa_private_segment_fixed_size 0
		.amdhsa_kernarg_size 128
		.amdhsa_user_sgpr_count 2
		.amdhsa_user_sgpr_dispatch_ptr 0
		.amdhsa_user_sgpr_queue_ptr 0
		.amdhsa_user_sgpr_kernarg_segment_ptr 1
		.amdhsa_user_sgpr_dispatch_id 0
		.amdhsa_user_sgpr_kernarg_preload_length 0
		.amdhsa_user_sgpr_kernarg_preload_offset 0
		.amdhsa_user_sgpr_private_segment_size 0
		.amdhsa_wavefront_size32 1
		.amdhsa_uses_dynamic_stack 0
		.amdhsa_enable_private_segment 0
		.amdhsa_system_sgpr_workgroup_id_x 1
		.amdhsa_system_sgpr_workgroup_id_y 0
		.amdhsa_system_sgpr_workgroup_id_z 0
		.amdhsa_system_sgpr_workgroup_info 0
		.amdhsa_system_vgpr_workitem_id 0
		.amdhsa_next_free_vgpr 1
		.amdhsa_next_free_sgpr 1
		.amdhsa_named_barrier_count 0
		.amdhsa_reserve_vcc 0
		.amdhsa_float_round_mode_32 0
		.amdhsa_float_round_mode_16_64 0
		.amdhsa_float_denorm_mode_32 3
		.amdhsa_float_denorm_mode_16_64 3
		.amdhsa_fp16_overflow 0
		.amdhsa_memory_ordered 1
		.amdhsa_forward_progress 1
		.amdhsa_inst_pref_size 0
		.amdhsa_round_robin_scheduling 0
		.amdhsa_exception_fp_ieee_invalid_op 0
		.amdhsa_exception_fp_denorm_src 0
		.amdhsa_exception_fp_ieee_div_zero 0
		.amdhsa_exception_fp_ieee_overflow 0
		.amdhsa_exception_fp_ieee_underflow 0
		.amdhsa_exception_fp_ieee_inexact 0
		.amdhsa_exception_int_div_zero 0
	.end_amdhsa_kernel
	.section	.text._ZN7rocprim17ROCPRIM_400000_NS6detail17trampoline_kernelINS0_14default_configENS1_33run_length_encode_config_selectorIhjNS0_4plusIjEEEEZZNS1_33reduce_by_key_impl_wrapped_configILNS1_25lookback_scan_determinismE0ES3_S7_PKhNS0_17constant_iteratorIjlEEPhPlSF_S6_NS0_8equal_toIhEEEE10hipError_tPvRmT2_T3_mT4_T5_T6_T7_T8_P12ihipStream_tbENKUlT_T0_E_clISt17integral_constantIbLb1EESY_IbLb0EEEEDaSU_SV_EUlSU_E_NS1_11comp_targetILNS1_3genE10ELNS1_11target_archE1200ELNS1_3gpuE4ELNS1_3repE0EEENS1_30default_config_static_selectorELNS0_4arch9wavefront6targetE0EEEvT1_,"axG",@progbits,_ZN7rocprim17ROCPRIM_400000_NS6detail17trampoline_kernelINS0_14default_configENS1_33run_length_encode_config_selectorIhjNS0_4plusIjEEEEZZNS1_33reduce_by_key_impl_wrapped_configILNS1_25lookback_scan_determinismE0ES3_S7_PKhNS0_17constant_iteratorIjlEEPhPlSF_S6_NS0_8equal_toIhEEEE10hipError_tPvRmT2_T3_mT4_T5_T6_T7_T8_P12ihipStream_tbENKUlT_T0_E_clISt17integral_constantIbLb1EESY_IbLb0EEEEDaSU_SV_EUlSU_E_NS1_11comp_targetILNS1_3genE10ELNS1_11target_archE1200ELNS1_3gpuE4ELNS1_3repE0EEENS1_30default_config_static_selectorELNS0_4arch9wavefront6targetE0EEEvT1_,comdat
.Lfunc_end190:
	.size	_ZN7rocprim17ROCPRIM_400000_NS6detail17trampoline_kernelINS0_14default_configENS1_33run_length_encode_config_selectorIhjNS0_4plusIjEEEEZZNS1_33reduce_by_key_impl_wrapped_configILNS1_25lookback_scan_determinismE0ES3_S7_PKhNS0_17constant_iteratorIjlEEPhPlSF_S6_NS0_8equal_toIhEEEE10hipError_tPvRmT2_T3_mT4_T5_T6_T7_T8_P12ihipStream_tbENKUlT_T0_E_clISt17integral_constantIbLb1EESY_IbLb0EEEEDaSU_SV_EUlSU_E_NS1_11comp_targetILNS1_3genE10ELNS1_11target_archE1200ELNS1_3gpuE4ELNS1_3repE0EEENS1_30default_config_static_selectorELNS0_4arch9wavefront6targetE0EEEvT1_, .Lfunc_end190-_ZN7rocprim17ROCPRIM_400000_NS6detail17trampoline_kernelINS0_14default_configENS1_33run_length_encode_config_selectorIhjNS0_4plusIjEEEEZZNS1_33reduce_by_key_impl_wrapped_configILNS1_25lookback_scan_determinismE0ES3_S7_PKhNS0_17constant_iteratorIjlEEPhPlSF_S6_NS0_8equal_toIhEEEE10hipError_tPvRmT2_T3_mT4_T5_T6_T7_T8_P12ihipStream_tbENKUlT_T0_E_clISt17integral_constantIbLb1EESY_IbLb0EEEEDaSU_SV_EUlSU_E_NS1_11comp_targetILNS1_3genE10ELNS1_11target_archE1200ELNS1_3gpuE4ELNS1_3repE0EEENS1_30default_config_static_selectorELNS0_4arch9wavefront6targetE0EEEvT1_
                                        ; -- End function
	.set _ZN7rocprim17ROCPRIM_400000_NS6detail17trampoline_kernelINS0_14default_configENS1_33run_length_encode_config_selectorIhjNS0_4plusIjEEEEZZNS1_33reduce_by_key_impl_wrapped_configILNS1_25lookback_scan_determinismE0ES3_S7_PKhNS0_17constant_iteratorIjlEEPhPlSF_S6_NS0_8equal_toIhEEEE10hipError_tPvRmT2_T3_mT4_T5_T6_T7_T8_P12ihipStream_tbENKUlT_T0_E_clISt17integral_constantIbLb1EESY_IbLb0EEEEDaSU_SV_EUlSU_E_NS1_11comp_targetILNS1_3genE10ELNS1_11target_archE1200ELNS1_3gpuE4ELNS1_3repE0EEENS1_30default_config_static_selectorELNS0_4arch9wavefront6targetE0EEEvT1_.num_vgpr, 0
	.set _ZN7rocprim17ROCPRIM_400000_NS6detail17trampoline_kernelINS0_14default_configENS1_33run_length_encode_config_selectorIhjNS0_4plusIjEEEEZZNS1_33reduce_by_key_impl_wrapped_configILNS1_25lookback_scan_determinismE0ES3_S7_PKhNS0_17constant_iteratorIjlEEPhPlSF_S6_NS0_8equal_toIhEEEE10hipError_tPvRmT2_T3_mT4_T5_T6_T7_T8_P12ihipStream_tbENKUlT_T0_E_clISt17integral_constantIbLb1EESY_IbLb0EEEEDaSU_SV_EUlSU_E_NS1_11comp_targetILNS1_3genE10ELNS1_11target_archE1200ELNS1_3gpuE4ELNS1_3repE0EEENS1_30default_config_static_selectorELNS0_4arch9wavefront6targetE0EEEvT1_.num_agpr, 0
	.set _ZN7rocprim17ROCPRIM_400000_NS6detail17trampoline_kernelINS0_14default_configENS1_33run_length_encode_config_selectorIhjNS0_4plusIjEEEEZZNS1_33reduce_by_key_impl_wrapped_configILNS1_25lookback_scan_determinismE0ES3_S7_PKhNS0_17constant_iteratorIjlEEPhPlSF_S6_NS0_8equal_toIhEEEE10hipError_tPvRmT2_T3_mT4_T5_T6_T7_T8_P12ihipStream_tbENKUlT_T0_E_clISt17integral_constantIbLb1EESY_IbLb0EEEEDaSU_SV_EUlSU_E_NS1_11comp_targetILNS1_3genE10ELNS1_11target_archE1200ELNS1_3gpuE4ELNS1_3repE0EEENS1_30default_config_static_selectorELNS0_4arch9wavefront6targetE0EEEvT1_.numbered_sgpr, 0
	.set _ZN7rocprim17ROCPRIM_400000_NS6detail17trampoline_kernelINS0_14default_configENS1_33run_length_encode_config_selectorIhjNS0_4plusIjEEEEZZNS1_33reduce_by_key_impl_wrapped_configILNS1_25lookback_scan_determinismE0ES3_S7_PKhNS0_17constant_iteratorIjlEEPhPlSF_S6_NS0_8equal_toIhEEEE10hipError_tPvRmT2_T3_mT4_T5_T6_T7_T8_P12ihipStream_tbENKUlT_T0_E_clISt17integral_constantIbLb1EESY_IbLb0EEEEDaSU_SV_EUlSU_E_NS1_11comp_targetILNS1_3genE10ELNS1_11target_archE1200ELNS1_3gpuE4ELNS1_3repE0EEENS1_30default_config_static_selectorELNS0_4arch9wavefront6targetE0EEEvT1_.num_named_barrier, 0
	.set _ZN7rocprim17ROCPRIM_400000_NS6detail17trampoline_kernelINS0_14default_configENS1_33run_length_encode_config_selectorIhjNS0_4plusIjEEEEZZNS1_33reduce_by_key_impl_wrapped_configILNS1_25lookback_scan_determinismE0ES3_S7_PKhNS0_17constant_iteratorIjlEEPhPlSF_S6_NS0_8equal_toIhEEEE10hipError_tPvRmT2_T3_mT4_T5_T6_T7_T8_P12ihipStream_tbENKUlT_T0_E_clISt17integral_constantIbLb1EESY_IbLb0EEEEDaSU_SV_EUlSU_E_NS1_11comp_targetILNS1_3genE10ELNS1_11target_archE1200ELNS1_3gpuE4ELNS1_3repE0EEENS1_30default_config_static_selectorELNS0_4arch9wavefront6targetE0EEEvT1_.private_seg_size, 0
	.set _ZN7rocprim17ROCPRIM_400000_NS6detail17trampoline_kernelINS0_14default_configENS1_33run_length_encode_config_selectorIhjNS0_4plusIjEEEEZZNS1_33reduce_by_key_impl_wrapped_configILNS1_25lookback_scan_determinismE0ES3_S7_PKhNS0_17constant_iteratorIjlEEPhPlSF_S6_NS0_8equal_toIhEEEE10hipError_tPvRmT2_T3_mT4_T5_T6_T7_T8_P12ihipStream_tbENKUlT_T0_E_clISt17integral_constantIbLb1EESY_IbLb0EEEEDaSU_SV_EUlSU_E_NS1_11comp_targetILNS1_3genE10ELNS1_11target_archE1200ELNS1_3gpuE4ELNS1_3repE0EEENS1_30default_config_static_selectorELNS0_4arch9wavefront6targetE0EEEvT1_.uses_vcc, 0
	.set _ZN7rocprim17ROCPRIM_400000_NS6detail17trampoline_kernelINS0_14default_configENS1_33run_length_encode_config_selectorIhjNS0_4plusIjEEEEZZNS1_33reduce_by_key_impl_wrapped_configILNS1_25lookback_scan_determinismE0ES3_S7_PKhNS0_17constant_iteratorIjlEEPhPlSF_S6_NS0_8equal_toIhEEEE10hipError_tPvRmT2_T3_mT4_T5_T6_T7_T8_P12ihipStream_tbENKUlT_T0_E_clISt17integral_constantIbLb1EESY_IbLb0EEEEDaSU_SV_EUlSU_E_NS1_11comp_targetILNS1_3genE10ELNS1_11target_archE1200ELNS1_3gpuE4ELNS1_3repE0EEENS1_30default_config_static_selectorELNS0_4arch9wavefront6targetE0EEEvT1_.uses_flat_scratch, 0
	.set _ZN7rocprim17ROCPRIM_400000_NS6detail17trampoline_kernelINS0_14default_configENS1_33run_length_encode_config_selectorIhjNS0_4plusIjEEEEZZNS1_33reduce_by_key_impl_wrapped_configILNS1_25lookback_scan_determinismE0ES3_S7_PKhNS0_17constant_iteratorIjlEEPhPlSF_S6_NS0_8equal_toIhEEEE10hipError_tPvRmT2_T3_mT4_T5_T6_T7_T8_P12ihipStream_tbENKUlT_T0_E_clISt17integral_constantIbLb1EESY_IbLb0EEEEDaSU_SV_EUlSU_E_NS1_11comp_targetILNS1_3genE10ELNS1_11target_archE1200ELNS1_3gpuE4ELNS1_3repE0EEENS1_30default_config_static_selectorELNS0_4arch9wavefront6targetE0EEEvT1_.has_dyn_sized_stack, 0
	.set _ZN7rocprim17ROCPRIM_400000_NS6detail17trampoline_kernelINS0_14default_configENS1_33run_length_encode_config_selectorIhjNS0_4plusIjEEEEZZNS1_33reduce_by_key_impl_wrapped_configILNS1_25lookback_scan_determinismE0ES3_S7_PKhNS0_17constant_iteratorIjlEEPhPlSF_S6_NS0_8equal_toIhEEEE10hipError_tPvRmT2_T3_mT4_T5_T6_T7_T8_P12ihipStream_tbENKUlT_T0_E_clISt17integral_constantIbLb1EESY_IbLb0EEEEDaSU_SV_EUlSU_E_NS1_11comp_targetILNS1_3genE10ELNS1_11target_archE1200ELNS1_3gpuE4ELNS1_3repE0EEENS1_30default_config_static_selectorELNS0_4arch9wavefront6targetE0EEEvT1_.has_recursion, 0
	.set _ZN7rocprim17ROCPRIM_400000_NS6detail17trampoline_kernelINS0_14default_configENS1_33run_length_encode_config_selectorIhjNS0_4plusIjEEEEZZNS1_33reduce_by_key_impl_wrapped_configILNS1_25lookback_scan_determinismE0ES3_S7_PKhNS0_17constant_iteratorIjlEEPhPlSF_S6_NS0_8equal_toIhEEEE10hipError_tPvRmT2_T3_mT4_T5_T6_T7_T8_P12ihipStream_tbENKUlT_T0_E_clISt17integral_constantIbLb1EESY_IbLb0EEEEDaSU_SV_EUlSU_E_NS1_11comp_targetILNS1_3genE10ELNS1_11target_archE1200ELNS1_3gpuE4ELNS1_3repE0EEENS1_30default_config_static_selectorELNS0_4arch9wavefront6targetE0EEEvT1_.has_indirect_call, 0
	.section	.AMDGPU.csdata,"",@progbits
; Kernel info:
; codeLenInByte = 0
; TotalNumSgprs: 0
; NumVgprs: 0
; ScratchSize: 0
; MemoryBound: 0
; FloatMode: 240
; IeeeMode: 1
; LDSByteSize: 0 bytes/workgroup (compile time only)
; SGPRBlocks: 0
; VGPRBlocks: 0
; NumSGPRsForWavesPerEU: 1
; NumVGPRsForWavesPerEU: 1
; NamedBarCnt: 0
; Occupancy: 16
; WaveLimiterHint : 0
; COMPUTE_PGM_RSRC2:SCRATCH_EN: 0
; COMPUTE_PGM_RSRC2:USER_SGPR: 2
; COMPUTE_PGM_RSRC2:TRAP_HANDLER: 0
; COMPUTE_PGM_RSRC2:TGID_X_EN: 1
; COMPUTE_PGM_RSRC2:TGID_Y_EN: 0
; COMPUTE_PGM_RSRC2:TGID_Z_EN: 0
; COMPUTE_PGM_RSRC2:TIDIG_COMP_CNT: 0
	.section	.text._ZN7rocprim17ROCPRIM_400000_NS6detail17trampoline_kernelINS0_14default_configENS1_33run_length_encode_config_selectorIhjNS0_4plusIjEEEEZZNS1_33reduce_by_key_impl_wrapped_configILNS1_25lookback_scan_determinismE0ES3_S7_PKhNS0_17constant_iteratorIjlEEPhPlSF_S6_NS0_8equal_toIhEEEE10hipError_tPvRmT2_T3_mT4_T5_T6_T7_T8_P12ihipStream_tbENKUlT_T0_E_clISt17integral_constantIbLb1EESY_IbLb0EEEEDaSU_SV_EUlSU_E_NS1_11comp_targetILNS1_3genE9ELNS1_11target_archE1100ELNS1_3gpuE3ELNS1_3repE0EEENS1_30default_config_static_selectorELNS0_4arch9wavefront6targetE0EEEvT1_,"axG",@progbits,_ZN7rocprim17ROCPRIM_400000_NS6detail17trampoline_kernelINS0_14default_configENS1_33run_length_encode_config_selectorIhjNS0_4plusIjEEEEZZNS1_33reduce_by_key_impl_wrapped_configILNS1_25lookback_scan_determinismE0ES3_S7_PKhNS0_17constant_iteratorIjlEEPhPlSF_S6_NS0_8equal_toIhEEEE10hipError_tPvRmT2_T3_mT4_T5_T6_T7_T8_P12ihipStream_tbENKUlT_T0_E_clISt17integral_constantIbLb1EESY_IbLb0EEEEDaSU_SV_EUlSU_E_NS1_11comp_targetILNS1_3genE9ELNS1_11target_archE1100ELNS1_3gpuE3ELNS1_3repE0EEENS1_30default_config_static_selectorELNS0_4arch9wavefront6targetE0EEEvT1_,comdat
	.protected	_ZN7rocprim17ROCPRIM_400000_NS6detail17trampoline_kernelINS0_14default_configENS1_33run_length_encode_config_selectorIhjNS0_4plusIjEEEEZZNS1_33reduce_by_key_impl_wrapped_configILNS1_25lookback_scan_determinismE0ES3_S7_PKhNS0_17constant_iteratorIjlEEPhPlSF_S6_NS0_8equal_toIhEEEE10hipError_tPvRmT2_T3_mT4_T5_T6_T7_T8_P12ihipStream_tbENKUlT_T0_E_clISt17integral_constantIbLb1EESY_IbLb0EEEEDaSU_SV_EUlSU_E_NS1_11comp_targetILNS1_3genE9ELNS1_11target_archE1100ELNS1_3gpuE3ELNS1_3repE0EEENS1_30default_config_static_selectorELNS0_4arch9wavefront6targetE0EEEvT1_ ; -- Begin function _ZN7rocprim17ROCPRIM_400000_NS6detail17trampoline_kernelINS0_14default_configENS1_33run_length_encode_config_selectorIhjNS0_4plusIjEEEEZZNS1_33reduce_by_key_impl_wrapped_configILNS1_25lookback_scan_determinismE0ES3_S7_PKhNS0_17constant_iteratorIjlEEPhPlSF_S6_NS0_8equal_toIhEEEE10hipError_tPvRmT2_T3_mT4_T5_T6_T7_T8_P12ihipStream_tbENKUlT_T0_E_clISt17integral_constantIbLb1EESY_IbLb0EEEEDaSU_SV_EUlSU_E_NS1_11comp_targetILNS1_3genE9ELNS1_11target_archE1100ELNS1_3gpuE3ELNS1_3repE0EEENS1_30default_config_static_selectorELNS0_4arch9wavefront6targetE0EEEvT1_
	.globl	_ZN7rocprim17ROCPRIM_400000_NS6detail17trampoline_kernelINS0_14default_configENS1_33run_length_encode_config_selectorIhjNS0_4plusIjEEEEZZNS1_33reduce_by_key_impl_wrapped_configILNS1_25lookback_scan_determinismE0ES3_S7_PKhNS0_17constant_iteratorIjlEEPhPlSF_S6_NS0_8equal_toIhEEEE10hipError_tPvRmT2_T3_mT4_T5_T6_T7_T8_P12ihipStream_tbENKUlT_T0_E_clISt17integral_constantIbLb1EESY_IbLb0EEEEDaSU_SV_EUlSU_E_NS1_11comp_targetILNS1_3genE9ELNS1_11target_archE1100ELNS1_3gpuE3ELNS1_3repE0EEENS1_30default_config_static_selectorELNS0_4arch9wavefront6targetE0EEEvT1_
	.p2align	8
	.type	_ZN7rocprim17ROCPRIM_400000_NS6detail17trampoline_kernelINS0_14default_configENS1_33run_length_encode_config_selectorIhjNS0_4plusIjEEEEZZNS1_33reduce_by_key_impl_wrapped_configILNS1_25lookback_scan_determinismE0ES3_S7_PKhNS0_17constant_iteratorIjlEEPhPlSF_S6_NS0_8equal_toIhEEEE10hipError_tPvRmT2_T3_mT4_T5_T6_T7_T8_P12ihipStream_tbENKUlT_T0_E_clISt17integral_constantIbLb1EESY_IbLb0EEEEDaSU_SV_EUlSU_E_NS1_11comp_targetILNS1_3genE9ELNS1_11target_archE1100ELNS1_3gpuE3ELNS1_3repE0EEENS1_30default_config_static_selectorELNS0_4arch9wavefront6targetE0EEEvT1_,@function
_ZN7rocprim17ROCPRIM_400000_NS6detail17trampoline_kernelINS0_14default_configENS1_33run_length_encode_config_selectorIhjNS0_4plusIjEEEEZZNS1_33reduce_by_key_impl_wrapped_configILNS1_25lookback_scan_determinismE0ES3_S7_PKhNS0_17constant_iteratorIjlEEPhPlSF_S6_NS0_8equal_toIhEEEE10hipError_tPvRmT2_T3_mT4_T5_T6_T7_T8_P12ihipStream_tbENKUlT_T0_E_clISt17integral_constantIbLb1EESY_IbLb0EEEEDaSU_SV_EUlSU_E_NS1_11comp_targetILNS1_3genE9ELNS1_11target_archE1100ELNS1_3gpuE3ELNS1_3repE0EEENS1_30default_config_static_selectorELNS0_4arch9wavefront6targetE0EEEvT1_: ; @_ZN7rocprim17ROCPRIM_400000_NS6detail17trampoline_kernelINS0_14default_configENS1_33run_length_encode_config_selectorIhjNS0_4plusIjEEEEZZNS1_33reduce_by_key_impl_wrapped_configILNS1_25lookback_scan_determinismE0ES3_S7_PKhNS0_17constant_iteratorIjlEEPhPlSF_S6_NS0_8equal_toIhEEEE10hipError_tPvRmT2_T3_mT4_T5_T6_T7_T8_P12ihipStream_tbENKUlT_T0_E_clISt17integral_constantIbLb1EESY_IbLb0EEEEDaSU_SV_EUlSU_E_NS1_11comp_targetILNS1_3genE9ELNS1_11target_archE1100ELNS1_3gpuE3ELNS1_3repE0EEENS1_30default_config_static_selectorELNS0_4arch9wavefront6targetE0EEEvT1_
; %bb.0:
	.section	.rodata,"a",@progbits
	.p2align	6, 0x0
	.amdhsa_kernel _ZN7rocprim17ROCPRIM_400000_NS6detail17trampoline_kernelINS0_14default_configENS1_33run_length_encode_config_selectorIhjNS0_4plusIjEEEEZZNS1_33reduce_by_key_impl_wrapped_configILNS1_25lookback_scan_determinismE0ES3_S7_PKhNS0_17constant_iteratorIjlEEPhPlSF_S6_NS0_8equal_toIhEEEE10hipError_tPvRmT2_T3_mT4_T5_T6_T7_T8_P12ihipStream_tbENKUlT_T0_E_clISt17integral_constantIbLb1EESY_IbLb0EEEEDaSU_SV_EUlSU_E_NS1_11comp_targetILNS1_3genE9ELNS1_11target_archE1100ELNS1_3gpuE3ELNS1_3repE0EEENS1_30default_config_static_selectorELNS0_4arch9wavefront6targetE0EEEvT1_
		.amdhsa_group_segment_fixed_size 0
		.amdhsa_private_segment_fixed_size 0
		.amdhsa_kernarg_size 128
		.amdhsa_user_sgpr_count 2
		.amdhsa_user_sgpr_dispatch_ptr 0
		.amdhsa_user_sgpr_queue_ptr 0
		.amdhsa_user_sgpr_kernarg_segment_ptr 1
		.amdhsa_user_sgpr_dispatch_id 0
		.amdhsa_user_sgpr_kernarg_preload_length 0
		.amdhsa_user_sgpr_kernarg_preload_offset 0
		.amdhsa_user_sgpr_private_segment_size 0
		.amdhsa_wavefront_size32 1
		.amdhsa_uses_dynamic_stack 0
		.amdhsa_enable_private_segment 0
		.amdhsa_system_sgpr_workgroup_id_x 1
		.amdhsa_system_sgpr_workgroup_id_y 0
		.amdhsa_system_sgpr_workgroup_id_z 0
		.amdhsa_system_sgpr_workgroup_info 0
		.amdhsa_system_vgpr_workitem_id 0
		.amdhsa_next_free_vgpr 1
		.amdhsa_next_free_sgpr 1
		.amdhsa_named_barrier_count 0
		.amdhsa_reserve_vcc 0
		.amdhsa_float_round_mode_32 0
		.amdhsa_float_round_mode_16_64 0
		.amdhsa_float_denorm_mode_32 3
		.amdhsa_float_denorm_mode_16_64 3
		.amdhsa_fp16_overflow 0
		.amdhsa_memory_ordered 1
		.amdhsa_forward_progress 1
		.amdhsa_inst_pref_size 0
		.amdhsa_round_robin_scheduling 0
		.amdhsa_exception_fp_ieee_invalid_op 0
		.amdhsa_exception_fp_denorm_src 0
		.amdhsa_exception_fp_ieee_div_zero 0
		.amdhsa_exception_fp_ieee_overflow 0
		.amdhsa_exception_fp_ieee_underflow 0
		.amdhsa_exception_fp_ieee_inexact 0
		.amdhsa_exception_int_div_zero 0
	.end_amdhsa_kernel
	.section	.text._ZN7rocprim17ROCPRIM_400000_NS6detail17trampoline_kernelINS0_14default_configENS1_33run_length_encode_config_selectorIhjNS0_4plusIjEEEEZZNS1_33reduce_by_key_impl_wrapped_configILNS1_25lookback_scan_determinismE0ES3_S7_PKhNS0_17constant_iteratorIjlEEPhPlSF_S6_NS0_8equal_toIhEEEE10hipError_tPvRmT2_T3_mT4_T5_T6_T7_T8_P12ihipStream_tbENKUlT_T0_E_clISt17integral_constantIbLb1EESY_IbLb0EEEEDaSU_SV_EUlSU_E_NS1_11comp_targetILNS1_3genE9ELNS1_11target_archE1100ELNS1_3gpuE3ELNS1_3repE0EEENS1_30default_config_static_selectorELNS0_4arch9wavefront6targetE0EEEvT1_,"axG",@progbits,_ZN7rocprim17ROCPRIM_400000_NS6detail17trampoline_kernelINS0_14default_configENS1_33run_length_encode_config_selectorIhjNS0_4plusIjEEEEZZNS1_33reduce_by_key_impl_wrapped_configILNS1_25lookback_scan_determinismE0ES3_S7_PKhNS0_17constant_iteratorIjlEEPhPlSF_S6_NS0_8equal_toIhEEEE10hipError_tPvRmT2_T3_mT4_T5_T6_T7_T8_P12ihipStream_tbENKUlT_T0_E_clISt17integral_constantIbLb1EESY_IbLb0EEEEDaSU_SV_EUlSU_E_NS1_11comp_targetILNS1_3genE9ELNS1_11target_archE1100ELNS1_3gpuE3ELNS1_3repE0EEENS1_30default_config_static_selectorELNS0_4arch9wavefront6targetE0EEEvT1_,comdat
.Lfunc_end191:
	.size	_ZN7rocprim17ROCPRIM_400000_NS6detail17trampoline_kernelINS0_14default_configENS1_33run_length_encode_config_selectorIhjNS0_4plusIjEEEEZZNS1_33reduce_by_key_impl_wrapped_configILNS1_25lookback_scan_determinismE0ES3_S7_PKhNS0_17constant_iteratorIjlEEPhPlSF_S6_NS0_8equal_toIhEEEE10hipError_tPvRmT2_T3_mT4_T5_T6_T7_T8_P12ihipStream_tbENKUlT_T0_E_clISt17integral_constantIbLb1EESY_IbLb0EEEEDaSU_SV_EUlSU_E_NS1_11comp_targetILNS1_3genE9ELNS1_11target_archE1100ELNS1_3gpuE3ELNS1_3repE0EEENS1_30default_config_static_selectorELNS0_4arch9wavefront6targetE0EEEvT1_, .Lfunc_end191-_ZN7rocprim17ROCPRIM_400000_NS6detail17trampoline_kernelINS0_14default_configENS1_33run_length_encode_config_selectorIhjNS0_4plusIjEEEEZZNS1_33reduce_by_key_impl_wrapped_configILNS1_25lookback_scan_determinismE0ES3_S7_PKhNS0_17constant_iteratorIjlEEPhPlSF_S6_NS0_8equal_toIhEEEE10hipError_tPvRmT2_T3_mT4_T5_T6_T7_T8_P12ihipStream_tbENKUlT_T0_E_clISt17integral_constantIbLb1EESY_IbLb0EEEEDaSU_SV_EUlSU_E_NS1_11comp_targetILNS1_3genE9ELNS1_11target_archE1100ELNS1_3gpuE3ELNS1_3repE0EEENS1_30default_config_static_selectorELNS0_4arch9wavefront6targetE0EEEvT1_
                                        ; -- End function
	.set _ZN7rocprim17ROCPRIM_400000_NS6detail17trampoline_kernelINS0_14default_configENS1_33run_length_encode_config_selectorIhjNS0_4plusIjEEEEZZNS1_33reduce_by_key_impl_wrapped_configILNS1_25lookback_scan_determinismE0ES3_S7_PKhNS0_17constant_iteratorIjlEEPhPlSF_S6_NS0_8equal_toIhEEEE10hipError_tPvRmT2_T3_mT4_T5_T6_T7_T8_P12ihipStream_tbENKUlT_T0_E_clISt17integral_constantIbLb1EESY_IbLb0EEEEDaSU_SV_EUlSU_E_NS1_11comp_targetILNS1_3genE9ELNS1_11target_archE1100ELNS1_3gpuE3ELNS1_3repE0EEENS1_30default_config_static_selectorELNS0_4arch9wavefront6targetE0EEEvT1_.num_vgpr, 0
	.set _ZN7rocprim17ROCPRIM_400000_NS6detail17trampoline_kernelINS0_14default_configENS1_33run_length_encode_config_selectorIhjNS0_4plusIjEEEEZZNS1_33reduce_by_key_impl_wrapped_configILNS1_25lookback_scan_determinismE0ES3_S7_PKhNS0_17constant_iteratorIjlEEPhPlSF_S6_NS0_8equal_toIhEEEE10hipError_tPvRmT2_T3_mT4_T5_T6_T7_T8_P12ihipStream_tbENKUlT_T0_E_clISt17integral_constantIbLb1EESY_IbLb0EEEEDaSU_SV_EUlSU_E_NS1_11comp_targetILNS1_3genE9ELNS1_11target_archE1100ELNS1_3gpuE3ELNS1_3repE0EEENS1_30default_config_static_selectorELNS0_4arch9wavefront6targetE0EEEvT1_.num_agpr, 0
	.set _ZN7rocprim17ROCPRIM_400000_NS6detail17trampoline_kernelINS0_14default_configENS1_33run_length_encode_config_selectorIhjNS0_4plusIjEEEEZZNS1_33reduce_by_key_impl_wrapped_configILNS1_25lookback_scan_determinismE0ES3_S7_PKhNS0_17constant_iteratorIjlEEPhPlSF_S6_NS0_8equal_toIhEEEE10hipError_tPvRmT2_T3_mT4_T5_T6_T7_T8_P12ihipStream_tbENKUlT_T0_E_clISt17integral_constantIbLb1EESY_IbLb0EEEEDaSU_SV_EUlSU_E_NS1_11comp_targetILNS1_3genE9ELNS1_11target_archE1100ELNS1_3gpuE3ELNS1_3repE0EEENS1_30default_config_static_selectorELNS0_4arch9wavefront6targetE0EEEvT1_.numbered_sgpr, 0
	.set _ZN7rocprim17ROCPRIM_400000_NS6detail17trampoline_kernelINS0_14default_configENS1_33run_length_encode_config_selectorIhjNS0_4plusIjEEEEZZNS1_33reduce_by_key_impl_wrapped_configILNS1_25lookback_scan_determinismE0ES3_S7_PKhNS0_17constant_iteratorIjlEEPhPlSF_S6_NS0_8equal_toIhEEEE10hipError_tPvRmT2_T3_mT4_T5_T6_T7_T8_P12ihipStream_tbENKUlT_T0_E_clISt17integral_constantIbLb1EESY_IbLb0EEEEDaSU_SV_EUlSU_E_NS1_11comp_targetILNS1_3genE9ELNS1_11target_archE1100ELNS1_3gpuE3ELNS1_3repE0EEENS1_30default_config_static_selectorELNS0_4arch9wavefront6targetE0EEEvT1_.num_named_barrier, 0
	.set _ZN7rocprim17ROCPRIM_400000_NS6detail17trampoline_kernelINS0_14default_configENS1_33run_length_encode_config_selectorIhjNS0_4plusIjEEEEZZNS1_33reduce_by_key_impl_wrapped_configILNS1_25lookback_scan_determinismE0ES3_S7_PKhNS0_17constant_iteratorIjlEEPhPlSF_S6_NS0_8equal_toIhEEEE10hipError_tPvRmT2_T3_mT4_T5_T6_T7_T8_P12ihipStream_tbENKUlT_T0_E_clISt17integral_constantIbLb1EESY_IbLb0EEEEDaSU_SV_EUlSU_E_NS1_11comp_targetILNS1_3genE9ELNS1_11target_archE1100ELNS1_3gpuE3ELNS1_3repE0EEENS1_30default_config_static_selectorELNS0_4arch9wavefront6targetE0EEEvT1_.private_seg_size, 0
	.set _ZN7rocprim17ROCPRIM_400000_NS6detail17trampoline_kernelINS0_14default_configENS1_33run_length_encode_config_selectorIhjNS0_4plusIjEEEEZZNS1_33reduce_by_key_impl_wrapped_configILNS1_25lookback_scan_determinismE0ES3_S7_PKhNS0_17constant_iteratorIjlEEPhPlSF_S6_NS0_8equal_toIhEEEE10hipError_tPvRmT2_T3_mT4_T5_T6_T7_T8_P12ihipStream_tbENKUlT_T0_E_clISt17integral_constantIbLb1EESY_IbLb0EEEEDaSU_SV_EUlSU_E_NS1_11comp_targetILNS1_3genE9ELNS1_11target_archE1100ELNS1_3gpuE3ELNS1_3repE0EEENS1_30default_config_static_selectorELNS0_4arch9wavefront6targetE0EEEvT1_.uses_vcc, 0
	.set _ZN7rocprim17ROCPRIM_400000_NS6detail17trampoline_kernelINS0_14default_configENS1_33run_length_encode_config_selectorIhjNS0_4plusIjEEEEZZNS1_33reduce_by_key_impl_wrapped_configILNS1_25lookback_scan_determinismE0ES3_S7_PKhNS0_17constant_iteratorIjlEEPhPlSF_S6_NS0_8equal_toIhEEEE10hipError_tPvRmT2_T3_mT4_T5_T6_T7_T8_P12ihipStream_tbENKUlT_T0_E_clISt17integral_constantIbLb1EESY_IbLb0EEEEDaSU_SV_EUlSU_E_NS1_11comp_targetILNS1_3genE9ELNS1_11target_archE1100ELNS1_3gpuE3ELNS1_3repE0EEENS1_30default_config_static_selectorELNS0_4arch9wavefront6targetE0EEEvT1_.uses_flat_scratch, 0
	.set _ZN7rocprim17ROCPRIM_400000_NS6detail17trampoline_kernelINS0_14default_configENS1_33run_length_encode_config_selectorIhjNS0_4plusIjEEEEZZNS1_33reduce_by_key_impl_wrapped_configILNS1_25lookback_scan_determinismE0ES3_S7_PKhNS0_17constant_iteratorIjlEEPhPlSF_S6_NS0_8equal_toIhEEEE10hipError_tPvRmT2_T3_mT4_T5_T6_T7_T8_P12ihipStream_tbENKUlT_T0_E_clISt17integral_constantIbLb1EESY_IbLb0EEEEDaSU_SV_EUlSU_E_NS1_11comp_targetILNS1_3genE9ELNS1_11target_archE1100ELNS1_3gpuE3ELNS1_3repE0EEENS1_30default_config_static_selectorELNS0_4arch9wavefront6targetE0EEEvT1_.has_dyn_sized_stack, 0
	.set _ZN7rocprim17ROCPRIM_400000_NS6detail17trampoline_kernelINS0_14default_configENS1_33run_length_encode_config_selectorIhjNS0_4plusIjEEEEZZNS1_33reduce_by_key_impl_wrapped_configILNS1_25lookback_scan_determinismE0ES3_S7_PKhNS0_17constant_iteratorIjlEEPhPlSF_S6_NS0_8equal_toIhEEEE10hipError_tPvRmT2_T3_mT4_T5_T6_T7_T8_P12ihipStream_tbENKUlT_T0_E_clISt17integral_constantIbLb1EESY_IbLb0EEEEDaSU_SV_EUlSU_E_NS1_11comp_targetILNS1_3genE9ELNS1_11target_archE1100ELNS1_3gpuE3ELNS1_3repE0EEENS1_30default_config_static_selectorELNS0_4arch9wavefront6targetE0EEEvT1_.has_recursion, 0
	.set _ZN7rocprim17ROCPRIM_400000_NS6detail17trampoline_kernelINS0_14default_configENS1_33run_length_encode_config_selectorIhjNS0_4plusIjEEEEZZNS1_33reduce_by_key_impl_wrapped_configILNS1_25lookback_scan_determinismE0ES3_S7_PKhNS0_17constant_iteratorIjlEEPhPlSF_S6_NS0_8equal_toIhEEEE10hipError_tPvRmT2_T3_mT4_T5_T6_T7_T8_P12ihipStream_tbENKUlT_T0_E_clISt17integral_constantIbLb1EESY_IbLb0EEEEDaSU_SV_EUlSU_E_NS1_11comp_targetILNS1_3genE9ELNS1_11target_archE1100ELNS1_3gpuE3ELNS1_3repE0EEENS1_30default_config_static_selectorELNS0_4arch9wavefront6targetE0EEEvT1_.has_indirect_call, 0
	.section	.AMDGPU.csdata,"",@progbits
; Kernel info:
; codeLenInByte = 0
; TotalNumSgprs: 0
; NumVgprs: 0
; ScratchSize: 0
; MemoryBound: 0
; FloatMode: 240
; IeeeMode: 1
; LDSByteSize: 0 bytes/workgroup (compile time only)
; SGPRBlocks: 0
; VGPRBlocks: 0
; NumSGPRsForWavesPerEU: 1
; NumVGPRsForWavesPerEU: 1
; NamedBarCnt: 0
; Occupancy: 16
; WaveLimiterHint : 0
; COMPUTE_PGM_RSRC2:SCRATCH_EN: 0
; COMPUTE_PGM_RSRC2:USER_SGPR: 2
; COMPUTE_PGM_RSRC2:TRAP_HANDLER: 0
; COMPUTE_PGM_RSRC2:TGID_X_EN: 1
; COMPUTE_PGM_RSRC2:TGID_Y_EN: 0
; COMPUTE_PGM_RSRC2:TGID_Z_EN: 0
; COMPUTE_PGM_RSRC2:TIDIG_COMP_CNT: 0
	.section	.text._ZN7rocprim17ROCPRIM_400000_NS6detail17trampoline_kernelINS0_14default_configENS1_33run_length_encode_config_selectorIhjNS0_4plusIjEEEEZZNS1_33reduce_by_key_impl_wrapped_configILNS1_25lookback_scan_determinismE0ES3_S7_PKhNS0_17constant_iteratorIjlEEPhPlSF_S6_NS0_8equal_toIhEEEE10hipError_tPvRmT2_T3_mT4_T5_T6_T7_T8_P12ihipStream_tbENKUlT_T0_E_clISt17integral_constantIbLb1EESY_IbLb0EEEEDaSU_SV_EUlSU_E_NS1_11comp_targetILNS1_3genE8ELNS1_11target_archE1030ELNS1_3gpuE2ELNS1_3repE0EEENS1_30default_config_static_selectorELNS0_4arch9wavefront6targetE0EEEvT1_,"axG",@progbits,_ZN7rocprim17ROCPRIM_400000_NS6detail17trampoline_kernelINS0_14default_configENS1_33run_length_encode_config_selectorIhjNS0_4plusIjEEEEZZNS1_33reduce_by_key_impl_wrapped_configILNS1_25lookback_scan_determinismE0ES3_S7_PKhNS0_17constant_iteratorIjlEEPhPlSF_S6_NS0_8equal_toIhEEEE10hipError_tPvRmT2_T3_mT4_T5_T6_T7_T8_P12ihipStream_tbENKUlT_T0_E_clISt17integral_constantIbLb1EESY_IbLb0EEEEDaSU_SV_EUlSU_E_NS1_11comp_targetILNS1_3genE8ELNS1_11target_archE1030ELNS1_3gpuE2ELNS1_3repE0EEENS1_30default_config_static_selectorELNS0_4arch9wavefront6targetE0EEEvT1_,comdat
	.protected	_ZN7rocprim17ROCPRIM_400000_NS6detail17trampoline_kernelINS0_14default_configENS1_33run_length_encode_config_selectorIhjNS0_4plusIjEEEEZZNS1_33reduce_by_key_impl_wrapped_configILNS1_25lookback_scan_determinismE0ES3_S7_PKhNS0_17constant_iteratorIjlEEPhPlSF_S6_NS0_8equal_toIhEEEE10hipError_tPvRmT2_T3_mT4_T5_T6_T7_T8_P12ihipStream_tbENKUlT_T0_E_clISt17integral_constantIbLb1EESY_IbLb0EEEEDaSU_SV_EUlSU_E_NS1_11comp_targetILNS1_3genE8ELNS1_11target_archE1030ELNS1_3gpuE2ELNS1_3repE0EEENS1_30default_config_static_selectorELNS0_4arch9wavefront6targetE0EEEvT1_ ; -- Begin function _ZN7rocprim17ROCPRIM_400000_NS6detail17trampoline_kernelINS0_14default_configENS1_33run_length_encode_config_selectorIhjNS0_4plusIjEEEEZZNS1_33reduce_by_key_impl_wrapped_configILNS1_25lookback_scan_determinismE0ES3_S7_PKhNS0_17constant_iteratorIjlEEPhPlSF_S6_NS0_8equal_toIhEEEE10hipError_tPvRmT2_T3_mT4_T5_T6_T7_T8_P12ihipStream_tbENKUlT_T0_E_clISt17integral_constantIbLb1EESY_IbLb0EEEEDaSU_SV_EUlSU_E_NS1_11comp_targetILNS1_3genE8ELNS1_11target_archE1030ELNS1_3gpuE2ELNS1_3repE0EEENS1_30default_config_static_selectorELNS0_4arch9wavefront6targetE0EEEvT1_
	.globl	_ZN7rocprim17ROCPRIM_400000_NS6detail17trampoline_kernelINS0_14default_configENS1_33run_length_encode_config_selectorIhjNS0_4plusIjEEEEZZNS1_33reduce_by_key_impl_wrapped_configILNS1_25lookback_scan_determinismE0ES3_S7_PKhNS0_17constant_iteratorIjlEEPhPlSF_S6_NS0_8equal_toIhEEEE10hipError_tPvRmT2_T3_mT4_T5_T6_T7_T8_P12ihipStream_tbENKUlT_T0_E_clISt17integral_constantIbLb1EESY_IbLb0EEEEDaSU_SV_EUlSU_E_NS1_11comp_targetILNS1_3genE8ELNS1_11target_archE1030ELNS1_3gpuE2ELNS1_3repE0EEENS1_30default_config_static_selectorELNS0_4arch9wavefront6targetE0EEEvT1_
	.p2align	8
	.type	_ZN7rocprim17ROCPRIM_400000_NS6detail17trampoline_kernelINS0_14default_configENS1_33run_length_encode_config_selectorIhjNS0_4plusIjEEEEZZNS1_33reduce_by_key_impl_wrapped_configILNS1_25lookback_scan_determinismE0ES3_S7_PKhNS0_17constant_iteratorIjlEEPhPlSF_S6_NS0_8equal_toIhEEEE10hipError_tPvRmT2_T3_mT4_T5_T6_T7_T8_P12ihipStream_tbENKUlT_T0_E_clISt17integral_constantIbLb1EESY_IbLb0EEEEDaSU_SV_EUlSU_E_NS1_11comp_targetILNS1_3genE8ELNS1_11target_archE1030ELNS1_3gpuE2ELNS1_3repE0EEENS1_30default_config_static_selectorELNS0_4arch9wavefront6targetE0EEEvT1_,@function
_ZN7rocprim17ROCPRIM_400000_NS6detail17trampoline_kernelINS0_14default_configENS1_33run_length_encode_config_selectorIhjNS0_4plusIjEEEEZZNS1_33reduce_by_key_impl_wrapped_configILNS1_25lookback_scan_determinismE0ES3_S7_PKhNS0_17constant_iteratorIjlEEPhPlSF_S6_NS0_8equal_toIhEEEE10hipError_tPvRmT2_T3_mT4_T5_T6_T7_T8_P12ihipStream_tbENKUlT_T0_E_clISt17integral_constantIbLb1EESY_IbLb0EEEEDaSU_SV_EUlSU_E_NS1_11comp_targetILNS1_3genE8ELNS1_11target_archE1030ELNS1_3gpuE2ELNS1_3repE0EEENS1_30default_config_static_selectorELNS0_4arch9wavefront6targetE0EEEvT1_: ; @_ZN7rocprim17ROCPRIM_400000_NS6detail17trampoline_kernelINS0_14default_configENS1_33run_length_encode_config_selectorIhjNS0_4plusIjEEEEZZNS1_33reduce_by_key_impl_wrapped_configILNS1_25lookback_scan_determinismE0ES3_S7_PKhNS0_17constant_iteratorIjlEEPhPlSF_S6_NS0_8equal_toIhEEEE10hipError_tPvRmT2_T3_mT4_T5_T6_T7_T8_P12ihipStream_tbENKUlT_T0_E_clISt17integral_constantIbLb1EESY_IbLb0EEEEDaSU_SV_EUlSU_E_NS1_11comp_targetILNS1_3genE8ELNS1_11target_archE1030ELNS1_3gpuE2ELNS1_3repE0EEENS1_30default_config_static_selectorELNS0_4arch9wavefront6targetE0EEEvT1_
; %bb.0:
	.section	.rodata,"a",@progbits
	.p2align	6, 0x0
	.amdhsa_kernel _ZN7rocprim17ROCPRIM_400000_NS6detail17trampoline_kernelINS0_14default_configENS1_33run_length_encode_config_selectorIhjNS0_4plusIjEEEEZZNS1_33reduce_by_key_impl_wrapped_configILNS1_25lookback_scan_determinismE0ES3_S7_PKhNS0_17constant_iteratorIjlEEPhPlSF_S6_NS0_8equal_toIhEEEE10hipError_tPvRmT2_T3_mT4_T5_T6_T7_T8_P12ihipStream_tbENKUlT_T0_E_clISt17integral_constantIbLb1EESY_IbLb0EEEEDaSU_SV_EUlSU_E_NS1_11comp_targetILNS1_3genE8ELNS1_11target_archE1030ELNS1_3gpuE2ELNS1_3repE0EEENS1_30default_config_static_selectorELNS0_4arch9wavefront6targetE0EEEvT1_
		.amdhsa_group_segment_fixed_size 0
		.amdhsa_private_segment_fixed_size 0
		.amdhsa_kernarg_size 128
		.amdhsa_user_sgpr_count 2
		.amdhsa_user_sgpr_dispatch_ptr 0
		.amdhsa_user_sgpr_queue_ptr 0
		.amdhsa_user_sgpr_kernarg_segment_ptr 1
		.amdhsa_user_sgpr_dispatch_id 0
		.amdhsa_user_sgpr_kernarg_preload_length 0
		.amdhsa_user_sgpr_kernarg_preload_offset 0
		.amdhsa_user_sgpr_private_segment_size 0
		.amdhsa_wavefront_size32 1
		.amdhsa_uses_dynamic_stack 0
		.amdhsa_enable_private_segment 0
		.amdhsa_system_sgpr_workgroup_id_x 1
		.amdhsa_system_sgpr_workgroup_id_y 0
		.amdhsa_system_sgpr_workgroup_id_z 0
		.amdhsa_system_sgpr_workgroup_info 0
		.amdhsa_system_vgpr_workitem_id 0
		.amdhsa_next_free_vgpr 1
		.amdhsa_next_free_sgpr 1
		.amdhsa_named_barrier_count 0
		.amdhsa_reserve_vcc 0
		.amdhsa_float_round_mode_32 0
		.amdhsa_float_round_mode_16_64 0
		.amdhsa_float_denorm_mode_32 3
		.amdhsa_float_denorm_mode_16_64 3
		.amdhsa_fp16_overflow 0
		.amdhsa_memory_ordered 1
		.amdhsa_forward_progress 1
		.amdhsa_inst_pref_size 0
		.amdhsa_round_robin_scheduling 0
		.amdhsa_exception_fp_ieee_invalid_op 0
		.amdhsa_exception_fp_denorm_src 0
		.amdhsa_exception_fp_ieee_div_zero 0
		.amdhsa_exception_fp_ieee_overflow 0
		.amdhsa_exception_fp_ieee_underflow 0
		.amdhsa_exception_fp_ieee_inexact 0
		.amdhsa_exception_int_div_zero 0
	.end_amdhsa_kernel
	.section	.text._ZN7rocprim17ROCPRIM_400000_NS6detail17trampoline_kernelINS0_14default_configENS1_33run_length_encode_config_selectorIhjNS0_4plusIjEEEEZZNS1_33reduce_by_key_impl_wrapped_configILNS1_25lookback_scan_determinismE0ES3_S7_PKhNS0_17constant_iteratorIjlEEPhPlSF_S6_NS0_8equal_toIhEEEE10hipError_tPvRmT2_T3_mT4_T5_T6_T7_T8_P12ihipStream_tbENKUlT_T0_E_clISt17integral_constantIbLb1EESY_IbLb0EEEEDaSU_SV_EUlSU_E_NS1_11comp_targetILNS1_3genE8ELNS1_11target_archE1030ELNS1_3gpuE2ELNS1_3repE0EEENS1_30default_config_static_selectorELNS0_4arch9wavefront6targetE0EEEvT1_,"axG",@progbits,_ZN7rocprim17ROCPRIM_400000_NS6detail17trampoline_kernelINS0_14default_configENS1_33run_length_encode_config_selectorIhjNS0_4plusIjEEEEZZNS1_33reduce_by_key_impl_wrapped_configILNS1_25lookback_scan_determinismE0ES3_S7_PKhNS0_17constant_iteratorIjlEEPhPlSF_S6_NS0_8equal_toIhEEEE10hipError_tPvRmT2_T3_mT4_T5_T6_T7_T8_P12ihipStream_tbENKUlT_T0_E_clISt17integral_constantIbLb1EESY_IbLb0EEEEDaSU_SV_EUlSU_E_NS1_11comp_targetILNS1_3genE8ELNS1_11target_archE1030ELNS1_3gpuE2ELNS1_3repE0EEENS1_30default_config_static_selectorELNS0_4arch9wavefront6targetE0EEEvT1_,comdat
.Lfunc_end192:
	.size	_ZN7rocprim17ROCPRIM_400000_NS6detail17trampoline_kernelINS0_14default_configENS1_33run_length_encode_config_selectorIhjNS0_4plusIjEEEEZZNS1_33reduce_by_key_impl_wrapped_configILNS1_25lookback_scan_determinismE0ES3_S7_PKhNS0_17constant_iteratorIjlEEPhPlSF_S6_NS0_8equal_toIhEEEE10hipError_tPvRmT2_T3_mT4_T5_T6_T7_T8_P12ihipStream_tbENKUlT_T0_E_clISt17integral_constantIbLb1EESY_IbLb0EEEEDaSU_SV_EUlSU_E_NS1_11comp_targetILNS1_3genE8ELNS1_11target_archE1030ELNS1_3gpuE2ELNS1_3repE0EEENS1_30default_config_static_selectorELNS0_4arch9wavefront6targetE0EEEvT1_, .Lfunc_end192-_ZN7rocprim17ROCPRIM_400000_NS6detail17trampoline_kernelINS0_14default_configENS1_33run_length_encode_config_selectorIhjNS0_4plusIjEEEEZZNS1_33reduce_by_key_impl_wrapped_configILNS1_25lookback_scan_determinismE0ES3_S7_PKhNS0_17constant_iteratorIjlEEPhPlSF_S6_NS0_8equal_toIhEEEE10hipError_tPvRmT2_T3_mT4_T5_T6_T7_T8_P12ihipStream_tbENKUlT_T0_E_clISt17integral_constantIbLb1EESY_IbLb0EEEEDaSU_SV_EUlSU_E_NS1_11comp_targetILNS1_3genE8ELNS1_11target_archE1030ELNS1_3gpuE2ELNS1_3repE0EEENS1_30default_config_static_selectorELNS0_4arch9wavefront6targetE0EEEvT1_
                                        ; -- End function
	.set _ZN7rocprim17ROCPRIM_400000_NS6detail17trampoline_kernelINS0_14default_configENS1_33run_length_encode_config_selectorIhjNS0_4plusIjEEEEZZNS1_33reduce_by_key_impl_wrapped_configILNS1_25lookback_scan_determinismE0ES3_S7_PKhNS0_17constant_iteratorIjlEEPhPlSF_S6_NS0_8equal_toIhEEEE10hipError_tPvRmT2_T3_mT4_T5_T6_T7_T8_P12ihipStream_tbENKUlT_T0_E_clISt17integral_constantIbLb1EESY_IbLb0EEEEDaSU_SV_EUlSU_E_NS1_11comp_targetILNS1_3genE8ELNS1_11target_archE1030ELNS1_3gpuE2ELNS1_3repE0EEENS1_30default_config_static_selectorELNS0_4arch9wavefront6targetE0EEEvT1_.num_vgpr, 0
	.set _ZN7rocprim17ROCPRIM_400000_NS6detail17trampoline_kernelINS0_14default_configENS1_33run_length_encode_config_selectorIhjNS0_4plusIjEEEEZZNS1_33reduce_by_key_impl_wrapped_configILNS1_25lookback_scan_determinismE0ES3_S7_PKhNS0_17constant_iteratorIjlEEPhPlSF_S6_NS0_8equal_toIhEEEE10hipError_tPvRmT2_T3_mT4_T5_T6_T7_T8_P12ihipStream_tbENKUlT_T0_E_clISt17integral_constantIbLb1EESY_IbLb0EEEEDaSU_SV_EUlSU_E_NS1_11comp_targetILNS1_3genE8ELNS1_11target_archE1030ELNS1_3gpuE2ELNS1_3repE0EEENS1_30default_config_static_selectorELNS0_4arch9wavefront6targetE0EEEvT1_.num_agpr, 0
	.set _ZN7rocprim17ROCPRIM_400000_NS6detail17trampoline_kernelINS0_14default_configENS1_33run_length_encode_config_selectorIhjNS0_4plusIjEEEEZZNS1_33reduce_by_key_impl_wrapped_configILNS1_25lookback_scan_determinismE0ES3_S7_PKhNS0_17constant_iteratorIjlEEPhPlSF_S6_NS0_8equal_toIhEEEE10hipError_tPvRmT2_T3_mT4_T5_T6_T7_T8_P12ihipStream_tbENKUlT_T0_E_clISt17integral_constantIbLb1EESY_IbLb0EEEEDaSU_SV_EUlSU_E_NS1_11comp_targetILNS1_3genE8ELNS1_11target_archE1030ELNS1_3gpuE2ELNS1_3repE0EEENS1_30default_config_static_selectorELNS0_4arch9wavefront6targetE0EEEvT1_.numbered_sgpr, 0
	.set _ZN7rocprim17ROCPRIM_400000_NS6detail17trampoline_kernelINS0_14default_configENS1_33run_length_encode_config_selectorIhjNS0_4plusIjEEEEZZNS1_33reduce_by_key_impl_wrapped_configILNS1_25lookback_scan_determinismE0ES3_S7_PKhNS0_17constant_iteratorIjlEEPhPlSF_S6_NS0_8equal_toIhEEEE10hipError_tPvRmT2_T3_mT4_T5_T6_T7_T8_P12ihipStream_tbENKUlT_T0_E_clISt17integral_constantIbLb1EESY_IbLb0EEEEDaSU_SV_EUlSU_E_NS1_11comp_targetILNS1_3genE8ELNS1_11target_archE1030ELNS1_3gpuE2ELNS1_3repE0EEENS1_30default_config_static_selectorELNS0_4arch9wavefront6targetE0EEEvT1_.num_named_barrier, 0
	.set _ZN7rocprim17ROCPRIM_400000_NS6detail17trampoline_kernelINS0_14default_configENS1_33run_length_encode_config_selectorIhjNS0_4plusIjEEEEZZNS1_33reduce_by_key_impl_wrapped_configILNS1_25lookback_scan_determinismE0ES3_S7_PKhNS0_17constant_iteratorIjlEEPhPlSF_S6_NS0_8equal_toIhEEEE10hipError_tPvRmT2_T3_mT4_T5_T6_T7_T8_P12ihipStream_tbENKUlT_T0_E_clISt17integral_constantIbLb1EESY_IbLb0EEEEDaSU_SV_EUlSU_E_NS1_11comp_targetILNS1_3genE8ELNS1_11target_archE1030ELNS1_3gpuE2ELNS1_3repE0EEENS1_30default_config_static_selectorELNS0_4arch9wavefront6targetE0EEEvT1_.private_seg_size, 0
	.set _ZN7rocprim17ROCPRIM_400000_NS6detail17trampoline_kernelINS0_14default_configENS1_33run_length_encode_config_selectorIhjNS0_4plusIjEEEEZZNS1_33reduce_by_key_impl_wrapped_configILNS1_25lookback_scan_determinismE0ES3_S7_PKhNS0_17constant_iteratorIjlEEPhPlSF_S6_NS0_8equal_toIhEEEE10hipError_tPvRmT2_T3_mT4_T5_T6_T7_T8_P12ihipStream_tbENKUlT_T0_E_clISt17integral_constantIbLb1EESY_IbLb0EEEEDaSU_SV_EUlSU_E_NS1_11comp_targetILNS1_3genE8ELNS1_11target_archE1030ELNS1_3gpuE2ELNS1_3repE0EEENS1_30default_config_static_selectorELNS0_4arch9wavefront6targetE0EEEvT1_.uses_vcc, 0
	.set _ZN7rocprim17ROCPRIM_400000_NS6detail17trampoline_kernelINS0_14default_configENS1_33run_length_encode_config_selectorIhjNS0_4plusIjEEEEZZNS1_33reduce_by_key_impl_wrapped_configILNS1_25lookback_scan_determinismE0ES3_S7_PKhNS0_17constant_iteratorIjlEEPhPlSF_S6_NS0_8equal_toIhEEEE10hipError_tPvRmT2_T3_mT4_T5_T6_T7_T8_P12ihipStream_tbENKUlT_T0_E_clISt17integral_constantIbLb1EESY_IbLb0EEEEDaSU_SV_EUlSU_E_NS1_11comp_targetILNS1_3genE8ELNS1_11target_archE1030ELNS1_3gpuE2ELNS1_3repE0EEENS1_30default_config_static_selectorELNS0_4arch9wavefront6targetE0EEEvT1_.uses_flat_scratch, 0
	.set _ZN7rocprim17ROCPRIM_400000_NS6detail17trampoline_kernelINS0_14default_configENS1_33run_length_encode_config_selectorIhjNS0_4plusIjEEEEZZNS1_33reduce_by_key_impl_wrapped_configILNS1_25lookback_scan_determinismE0ES3_S7_PKhNS0_17constant_iteratorIjlEEPhPlSF_S6_NS0_8equal_toIhEEEE10hipError_tPvRmT2_T3_mT4_T5_T6_T7_T8_P12ihipStream_tbENKUlT_T0_E_clISt17integral_constantIbLb1EESY_IbLb0EEEEDaSU_SV_EUlSU_E_NS1_11comp_targetILNS1_3genE8ELNS1_11target_archE1030ELNS1_3gpuE2ELNS1_3repE0EEENS1_30default_config_static_selectorELNS0_4arch9wavefront6targetE0EEEvT1_.has_dyn_sized_stack, 0
	.set _ZN7rocprim17ROCPRIM_400000_NS6detail17trampoline_kernelINS0_14default_configENS1_33run_length_encode_config_selectorIhjNS0_4plusIjEEEEZZNS1_33reduce_by_key_impl_wrapped_configILNS1_25lookback_scan_determinismE0ES3_S7_PKhNS0_17constant_iteratorIjlEEPhPlSF_S6_NS0_8equal_toIhEEEE10hipError_tPvRmT2_T3_mT4_T5_T6_T7_T8_P12ihipStream_tbENKUlT_T0_E_clISt17integral_constantIbLb1EESY_IbLb0EEEEDaSU_SV_EUlSU_E_NS1_11comp_targetILNS1_3genE8ELNS1_11target_archE1030ELNS1_3gpuE2ELNS1_3repE0EEENS1_30default_config_static_selectorELNS0_4arch9wavefront6targetE0EEEvT1_.has_recursion, 0
	.set _ZN7rocprim17ROCPRIM_400000_NS6detail17trampoline_kernelINS0_14default_configENS1_33run_length_encode_config_selectorIhjNS0_4plusIjEEEEZZNS1_33reduce_by_key_impl_wrapped_configILNS1_25lookback_scan_determinismE0ES3_S7_PKhNS0_17constant_iteratorIjlEEPhPlSF_S6_NS0_8equal_toIhEEEE10hipError_tPvRmT2_T3_mT4_T5_T6_T7_T8_P12ihipStream_tbENKUlT_T0_E_clISt17integral_constantIbLb1EESY_IbLb0EEEEDaSU_SV_EUlSU_E_NS1_11comp_targetILNS1_3genE8ELNS1_11target_archE1030ELNS1_3gpuE2ELNS1_3repE0EEENS1_30default_config_static_selectorELNS0_4arch9wavefront6targetE0EEEvT1_.has_indirect_call, 0
	.section	.AMDGPU.csdata,"",@progbits
; Kernel info:
; codeLenInByte = 0
; TotalNumSgprs: 0
; NumVgprs: 0
; ScratchSize: 0
; MemoryBound: 0
; FloatMode: 240
; IeeeMode: 1
; LDSByteSize: 0 bytes/workgroup (compile time only)
; SGPRBlocks: 0
; VGPRBlocks: 0
; NumSGPRsForWavesPerEU: 1
; NumVGPRsForWavesPerEU: 1
; NamedBarCnt: 0
; Occupancy: 16
; WaveLimiterHint : 0
; COMPUTE_PGM_RSRC2:SCRATCH_EN: 0
; COMPUTE_PGM_RSRC2:USER_SGPR: 2
; COMPUTE_PGM_RSRC2:TRAP_HANDLER: 0
; COMPUTE_PGM_RSRC2:TGID_X_EN: 1
; COMPUTE_PGM_RSRC2:TGID_Y_EN: 0
; COMPUTE_PGM_RSRC2:TGID_Z_EN: 0
; COMPUTE_PGM_RSRC2:TIDIG_COMP_CNT: 0
	.section	.text._ZN7rocprim17ROCPRIM_400000_NS6detail17trampoline_kernelINS0_14default_configENS1_33run_length_encode_config_selectorIhjNS0_4plusIjEEEEZZNS1_33reduce_by_key_impl_wrapped_configILNS1_25lookback_scan_determinismE0ES3_S7_PKhNS0_17constant_iteratorIjlEEPhPlSF_S6_NS0_8equal_toIhEEEE10hipError_tPvRmT2_T3_mT4_T5_T6_T7_T8_P12ihipStream_tbENKUlT_T0_E_clISt17integral_constantIbLb0EESY_IbLb1EEEEDaSU_SV_EUlSU_E_NS1_11comp_targetILNS1_3genE0ELNS1_11target_archE4294967295ELNS1_3gpuE0ELNS1_3repE0EEENS1_30default_config_static_selectorELNS0_4arch9wavefront6targetE0EEEvT1_,"axG",@progbits,_ZN7rocprim17ROCPRIM_400000_NS6detail17trampoline_kernelINS0_14default_configENS1_33run_length_encode_config_selectorIhjNS0_4plusIjEEEEZZNS1_33reduce_by_key_impl_wrapped_configILNS1_25lookback_scan_determinismE0ES3_S7_PKhNS0_17constant_iteratorIjlEEPhPlSF_S6_NS0_8equal_toIhEEEE10hipError_tPvRmT2_T3_mT4_T5_T6_T7_T8_P12ihipStream_tbENKUlT_T0_E_clISt17integral_constantIbLb0EESY_IbLb1EEEEDaSU_SV_EUlSU_E_NS1_11comp_targetILNS1_3genE0ELNS1_11target_archE4294967295ELNS1_3gpuE0ELNS1_3repE0EEENS1_30default_config_static_selectorELNS0_4arch9wavefront6targetE0EEEvT1_,comdat
	.protected	_ZN7rocprim17ROCPRIM_400000_NS6detail17trampoline_kernelINS0_14default_configENS1_33run_length_encode_config_selectorIhjNS0_4plusIjEEEEZZNS1_33reduce_by_key_impl_wrapped_configILNS1_25lookback_scan_determinismE0ES3_S7_PKhNS0_17constant_iteratorIjlEEPhPlSF_S6_NS0_8equal_toIhEEEE10hipError_tPvRmT2_T3_mT4_T5_T6_T7_T8_P12ihipStream_tbENKUlT_T0_E_clISt17integral_constantIbLb0EESY_IbLb1EEEEDaSU_SV_EUlSU_E_NS1_11comp_targetILNS1_3genE0ELNS1_11target_archE4294967295ELNS1_3gpuE0ELNS1_3repE0EEENS1_30default_config_static_selectorELNS0_4arch9wavefront6targetE0EEEvT1_ ; -- Begin function _ZN7rocprim17ROCPRIM_400000_NS6detail17trampoline_kernelINS0_14default_configENS1_33run_length_encode_config_selectorIhjNS0_4plusIjEEEEZZNS1_33reduce_by_key_impl_wrapped_configILNS1_25lookback_scan_determinismE0ES3_S7_PKhNS0_17constant_iteratorIjlEEPhPlSF_S6_NS0_8equal_toIhEEEE10hipError_tPvRmT2_T3_mT4_T5_T6_T7_T8_P12ihipStream_tbENKUlT_T0_E_clISt17integral_constantIbLb0EESY_IbLb1EEEEDaSU_SV_EUlSU_E_NS1_11comp_targetILNS1_3genE0ELNS1_11target_archE4294967295ELNS1_3gpuE0ELNS1_3repE0EEENS1_30default_config_static_selectorELNS0_4arch9wavefront6targetE0EEEvT1_
	.globl	_ZN7rocprim17ROCPRIM_400000_NS6detail17trampoline_kernelINS0_14default_configENS1_33run_length_encode_config_selectorIhjNS0_4plusIjEEEEZZNS1_33reduce_by_key_impl_wrapped_configILNS1_25lookback_scan_determinismE0ES3_S7_PKhNS0_17constant_iteratorIjlEEPhPlSF_S6_NS0_8equal_toIhEEEE10hipError_tPvRmT2_T3_mT4_T5_T6_T7_T8_P12ihipStream_tbENKUlT_T0_E_clISt17integral_constantIbLb0EESY_IbLb1EEEEDaSU_SV_EUlSU_E_NS1_11comp_targetILNS1_3genE0ELNS1_11target_archE4294967295ELNS1_3gpuE0ELNS1_3repE0EEENS1_30default_config_static_selectorELNS0_4arch9wavefront6targetE0EEEvT1_
	.p2align	8
	.type	_ZN7rocprim17ROCPRIM_400000_NS6detail17trampoline_kernelINS0_14default_configENS1_33run_length_encode_config_selectorIhjNS0_4plusIjEEEEZZNS1_33reduce_by_key_impl_wrapped_configILNS1_25lookback_scan_determinismE0ES3_S7_PKhNS0_17constant_iteratorIjlEEPhPlSF_S6_NS0_8equal_toIhEEEE10hipError_tPvRmT2_T3_mT4_T5_T6_T7_T8_P12ihipStream_tbENKUlT_T0_E_clISt17integral_constantIbLb0EESY_IbLb1EEEEDaSU_SV_EUlSU_E_NS1_11comp_targetILNS1_3genE0ELNS1_11target_archE4294967295ELNS1_3gpuE0ELNS1_3repE0EEENS1_30default_config_static_selectorELNS0_4arch9wavefront6targetE0EEEvT1_,@function
_ZN7rocprim17ROCPRIM_400000_NS6detail17trampoline_kernelINS0_14default_configENS1_33run_length_encode_config_selectorIhjNS0_4plusIjEEEEZZNS1_33reduce_by_key_impl_wrapped_configILNS1_25lookback_scan_determinismE0ES3_S7_PKhNS0_17constant_iteratorIjlEEPhPlSF_S6_NS0_8equal_toIhEEEE10hipError_tPvRmT2_T3_mT4_T5_T6_T7_T8_P12ihipStream_tbENKUlT_T0_E_clISt17integral_constantIbLb0EESY_IbLb1EEEEDaSU_SV_EUlSU_E_NS1_11comp_targetILNS1_3genE0ELNS1_11target_archE4294967295ELNS1_3gpuE0ELNS1_3repE0EEENS1_30default_config_static_selectorELNS0_4arch9wavefront6targetE0EEEvT1_: ; @_ZN7rocprim17ROCPRIM_400000_NS6detail17trampoline_kernelINS0_14default_configENS1_33run_length_encode_config_selectorIhjNS0_4plusIjEEEEZZNS1_33reduce_by_key_impl_wrapped_configILNS1_25lookback_scan_determinismE0ES3_S7_PKhNS0_17constant_iteratorIjlEEPhPlSF_S6_NS0_8equal_toIhEEEE10hipError_tPvRmT2_T3_mT4_T5_T6_T7_T8_P12ihipStream_tbENKUlT_T0_E_clISt17integral_constantIbLb0EESY_IbLb1EEEEDaSU_SV_EUlSU_E_NS1_11comp_targetILNS1_3genE0ELNS1_11target_archE4294967295ELNS1_3gpuE0ELNS1_3repE0EEENS1_30default_config_static_selectorELNS0_4arch9wavefront6targetE0EEEvT1_
; %bb.0:
	s_clause 0x5
	s_load_b32 s8, s[0:1], 0x10
	s_load_b128 s[24:27], s[0:1], 0x20
	s_load_b64 s[34:35], s[0:1], 0x30
	s_load_b64 s[36:37], s[0:1], 0x70
	s_load_b128 s[28:31], s[0:1], 0x60
	s_load_b256 s[16:23], s[0:1], 0x40
	v_cmp_ne_u32_e64 s3, 0, v0
	v_cmp_eq_u32_e64 s2, 0, v0
	s_and_saveexec_b32 s4, s2
	s_cbranch_execz .LBB193_4
; %bb.1:
	s_mov_b32 s6, exec_lo
	s_mov_b32 s5, exec_lo
	v_mbcnt_lo_u32_b32 v1, s6, 0
                                        ; implicit-def: $vgpr2
	s_delay_alu instid0(VALU_DEP_1)
	v_cmpx_eq_u32_e32 0, v1
	s_cbranch_execz .LBB193_3
; %bb.2:
	s_load_b64 s[10:11], s[0:1], 0x78
	s_bcnt1_i32_b32 s6, s6
	s_delay_alu instid0(SALU_CYCLE_1)
	v_dual_mov_b32 v2, 0 :: v_dual_mov_b32 v3, s6
	s_wait_xcnt 0x0
	s_wait_kmcnt 0x0
	global_atomic_add_u32 v2, v2, v3, s[10:11] th:TH_ATOMIC_RETURN scope:SCOPE_DEV
.LBB193_3:
	s_wait_xcnt 0x0
	s_or_b32 exec_lo, exec_lo, s5
	s_wait_loadcnt 0x0
	v_readfirstlane_b32 s5, v2
	s_delay_alu instid0(VALU_DEP_1)
	v_dual_mov_b32 v2, 0 :: v_dual_add_nc_u32 v1, s5, v1
	ds_store_b32 v2, v1
.LBB193_4:
	s_or_b32 exec_lo, exec_lo, s4
	v_mov_b32_e32 v3, 0
	s_wait_dscnt 0x0
	s_barrier_signal -1
	s_barrier_wait -1
	ds_load_b32 v1, v3
	s_load_b128 s[4:7], s[0:1], 0x0
	s_wait_kmcnt 0x0
	s_mul_u64 s[0:1], s[20:21], s[18:19]
	s_mov_b32 s21, 0
	v_mad_u32_u24 v4, v0, 13, v0
	s_wait_dscnt 0x0
	s_barrier_signal -1
	s_barrier_wait -1
	v_mul_lo_u32 v2, 0xe00, v1
	v_readfirstlane_b32 s20, v1
	s_add_nc_u64 s[4:5], s[4:5], s[6:7]
	s_add_nc_u64 s[6:7], s[22:23], -1
	s_delay_alu instid0(SALU_CYCLE_1) | instskip(SKIP_1) | instid1(SALU_CYCLE_1)
	s_mul_i32 s23, s6, 0xfffff200
	s_add_nc_u64 s[14:15], s[0:1], s[20:21]
	s_cmp_eq_u64 s[14:15], s[6:7]
	s_cselect_b32 s22, -1, 0
	v_add_nc_u64_e32 v[2:3], s[4:5], v[2:3]
	s_cmp_lg_u64 s[14:15], s[6:7]
	s_cselect_b32 s0, -1, 0
	s_and_b32 vcc_lo, exec_lo, s22
	s_cbranch_vccnz .LBB193_6
; %bb.5:
	s_delay_alu instid0(VALU_DEP_1) | instskip(NEXT) | instid1(VALU_DEP_2)
	v_readfirstlane_b32 s4, v2
	v_readfirstlane_b32 s5, v3
	s_mov_b32 s1, 0
	s_mov_b32 s21, -1
	s_clause 0xd
	global_load_u8 v1, v0, s[4:5]
	global_load_u8 v5, v0, s[4:5] offset:256
	global_load_u8 v6, v0, s[4:5] offset:512
	;; [unrolled: 1-line block ×13, first 2 shown]
	s_wait_loadcnt 0xd
	ds_store_b8 v0, v1
	s_wait_loadcnt 0xc
	ds_store_b8 v0, v5 offset:256
	s_wait_loadcnt 0xb
	ds_store_b8 v0, v6 offset:512
	;; [unrolled: 2-line block ×13, first 2 shown]
	s_wait_dscnt 0x0
	s_barrier_signal -1
	s_barrier_wait -1
	ds_load_u16 v1, v4
	ds_load_b96 v[10:12], v4 offset:2
	s_wait_dscnt 0x1
	v_lshrrev_b16 v13, 8, v1
	s_branch .LBB193_7
.LBB193_6:
	s_mov_b32 s1, -1
                                        ; implicit-def: $vgpr10
                                        ; implicit-def: $vgpr1
                                        ; implicit-def: $vgpr13
.LBB193_7:
	v_dual_mov_b32 v50, s8 :: v_dual_mov_b32 v51, s8
	v_dual_mov_b32 v52, s8 :: v_dual_mov_b32 v54, s8
	;; [unrolled: 1-line block ×6, first 2 shown]
	v_mov_b32_e32 v53, s8
	s_and_not1_b32 vcc_lo, exec_lo, s1
	s_add_co_i32 s23, s23, s28
                                        ; implicit-def: $vgpr76
	s_cbranch_vccnz .LBB193_37
; %bb.8:
	s_mov_b32 s1, exec_lo
                                        ; implicit-def: $vgpr1
	v_cmpx_gt_u32_e64 s23, v0
	s_cbranch_execz .LBB193_10
; %bb.9:
	v_readfirstlane_b32 s4, v2
	v_readfirstlane_b32 s5, v3
	global_load_u8 v1, v0, s[4:5]
.LBB193_10:
	s_wait_xcnt 0x0
	s_or_b32 exec_lo, exec_lo, s1
	v_or_b32_e32 v5, 0x100, v0
	s_delay_alu instid0(VALU_DEP_1)
	v_cmp_gt_u32_e32 vcc_lo, s23, v5
                                        ; implicit-def: $vgpr5
	s_and_saveexec_b32 s1, vcc_lo
	s_cbranch_execz .LBB193_12
; %bb.11:
	v_readfirstlane_b32 s4, v2
	v_readfirstlane_b32 s5, v3
	global_load_u8 v5, v0, s[4:5] offset:256
.LBB193_12:
	s_wait_xcnt 0x0
	s_or_b32 exec_lo, exec_lo, s1
	v_or_b32_e32 v6, 0x200, v0
	s_delay_alu instid0(VALU_DEP_1)
	v_cmp_gt_u32_e32 vcc_lo, s23, v6
                                        ; implicit-def: $vgpr6
	s_and_saveexec_b32 s1, vcc_lo
	s_cbranch_execz .LBB193_14
; %bb.13:
	v_readfirstlane_b32 s4, v2
	v_readfirstlane_b32 s5, v3
	global_load_u8 v6, v0, s[4:5] offset:512
.LBB193_14:
	s_wait_xcnt 0x0
	s_or_b32 exec_lo, exec_lo, s1
	v_or_b32_e32 v7, 0x300, v0
	s_delay_alu instid0(VALU_DEP_1)
	v_cmp_gt_u32_e32 vcc_lo, s23, v7
                                        ; implicit-def: $vgpr7
	s_and_saveexec_b32 s1, vcc_lo
	s_cbranch_execz .LBB193_16
; %bb.15:
	v_readfirstlane_b32 s4, v2
	v_readfirstlane_b32 s5, v3
	global_load_u8 v7, v0, s[4:5] offset:768
.LBB193_16:
	s_wait_xcnt 0x0
	s_or_b32 exec_lo, exec_lo, s1
	v_or_b32_e32 v8, 0x400, v0
	s_delay_alu instid0(VALU_DEP_1)
	v_cmp_gt_u32_e32 vcc_lo, s23, v8
                                        ; implicit-def: $vgpr8
	s_and_saveexec_b32 s1, vcc_lo
	s_cbranch_execz .LBB193_18
; %bb.17:
	v_readfirstlane_b32 s4, v2
	v_readfirstlane_b32 s5, v3
	global_load_u8 v8, v0, s[4:5] offset:1024
.LBB193_18:
	s_wait_xcnt 0x0
	s_or_b32 exec_lo, exec_lo, s1
	v_or_b32_e32 v9, 0x500, v0
	s_delay_alu instid0(VALU_DEP_1)
	v_cmp_gt_u32_e32 vcc_lo, s23, v9
                                        ; implicit-def: $vgpr9
	s_and_saveexec_b32 s1, vcc_lo
	s_cbranch_execz .LBB193_20
; %bb.19:
	v_readfirstlane_b32 s4, v2
	v_readfirstlane_b32 s5, v3
	global_load_u8 v9, v0, s[4:5] offset:1280
.LBB193_20:
	s_wait_xcnt 0x0
	s_or_b32 exec_lo, exec_lo, s1
	s_wait_dscnt 0x0
	v_or_b32_e32 v10, 0x600, v0
	s_delay_alu instid0(VALU_DEP_1)
	v_cmp_gt_u32_e32 vcc_lo, s23, v10
                                        ; implicit-def: $vgpr10
	s_and_saveexec_b32 s1, vcc_lo
	s_cbranch_execz .LBB193_22
; %bb.21:
	v_readfirstlane_b32 s4, v2
	v_readfirstlane_b32 s5, v3
	global_load_u8 v10, v0, s[4:5] offset:1536
.LBB193_22:
	s_wait_xcnt 0x0
	s_or_b32 exec_lo, exec_lo, s1
	v_or_b32_e32 v11, 0x700, v0
	s_delay_alu instid0(VALU_DEP_1)
	v_cmp_gt_u32_e32 vcc_lo, s23, v11
                                        ; implicit-def: $vgpr11
	s_and_saveexec_b32 s1, vcc_lo
	s_cbranch_execz .LBB193_24
; %bb.23:
	v_readfirstlane_b32 s4, v2
	v_readfirstlane_b32 s5, v3
	global_load_u8 v11, v0, s[4:5] offset:1792
.LBB193_24:
	s_wait_xcnt 0x0
	s_or_b32 exec_lo, exec_lo, s1
	v_or_b32_e32 v12, 0x800, v0
	s_delay_alu instid0(VALU_DEP_1)
	v_cmp_gt_u32_e32 vcc_lo, s23, v12
                                        ; implicit-def: $vgpr12
	s_and_saveexec_b32 s1, vcc_lo
	s_cbranch_execz .LBB193_26
; %bb.25:
	v_readfirstlane_b32 s4, v2
	v_readfirstlane_b32 s5, v3
	global_load_u8 v12, v0, s[4:5] offset:2048
.LBB193_26:
	s_wait_xcnt 0x0
	s_or_b32 exec_lo, exec_lo, s1
	v_or_b32_e32 v13, 0x900, v0
	s_delay_alu instid0(VALU_DEP_1)
	v_cmp_gt_u32_e32 vcc_lo, s23, v13
                                        ; implicit-def: $vgpr13
	s_and_saveexec_b32 s1, vcc_lo
	s_cbranch_execz .LBB193_28
; %bb.27:
	v_readfirstlane_b32 s4, v2
	v_readfirstlane_b32 s5, v3
	global_load_u8 v13, v0, s[4:5] offset:2304
.LBB193_28:
	s_wait_xcnt 0x0
	s_or_b32 exec_lo, exec_lo, s1
	v_or_b32_e32 v14, 0xa00, v0
	s_delay_alu instid0(VALU_DEP_1)
	v_cmp_gt_u32_e32 vcc_lo, s23, v14
                                        ; implicit-def: $vgpr14
	s_and_saveexec_b32 s1, vcc_lo
	s_cbranch_execz .LBB193_30
; %bb.29:
	v_readfirstlane_b32 s4, v2
	v_readfirstlane_b32 s5, v3
	global_load_u8 v14, v0, s[4:5] offset:2560
.LBB193_30:
	s_wait_xcnt 0x0
	s_or_b32 exec_lo, exec_lo, s1
	v_or_b32_e32 v15, 0xb00, v0
	s_delay_alu instid0(VALU_DEP_1)
	v_cmp_gt_u32_e32 vcc_lo, s23, v15
                                        ; implicit-def: $vgpr15
	s_and_saveexec_b32 s1, vcc_lo
	s_cbranch_execz .LBB193_32
; %bb.31:
	v_readfirstlane_b32 s4, v2
	v_readfirstlane_b32 s5, v3
	global_load_u8 v15, v0, s[4:5] offset:2816
.LBB193_32:
	s_wait_xcnt 0x0
	s_or_b32 exec_lo, exec_lo, s1
	v_or_b32_e32 v16, 0xc00, v0
	s_delay_alu instid0(VALU_DEP_1)
	v_cmp_gt_u32_e32 vcc_lo, s23, v16
                                        ; implicit-def: $vgpr16
	s_and_saveexec_b32 s1, vcc_lo
	s_cbranch_execz .LBB193_34
; %bb.33:
	v_readfirstlane_b32 s4, v2
	v_readfirstlane_b32 s5, v3
	global_load_u8 v16, v0, s[4:5] offset:3072
.LBB193_34:
	s_wait_xcnt 0x0
	s_or_b32 exec_lo, exec_lo, s1
	v_or_b32_e32 v17, 0xd00, v0
	s_delay_alu instid0(VALU_DEP_1)
	v_cmp_gt_u32_e32 vcc_lo, s23, v17
                                        ; implicit-def: $vgpr17
	s_and_saveexec_b32 s1, vcc_lo
	s_cbranch_execz .LBB193_36
; %bb.35:
	v_readfirstlane_b32 s4, v2
	v_readfirstlane_b32 s5, v3
	global_load_u8 v17, v0, s[4:5] offset:3328
.LBB193_36:
	s_wait_xcnt 0x0
	s_or_b32 exec_lo, exec_lo, s1
	s_wait_loadcnt 0x0
	ds_store_b8 v0, v1
	ds_store_b8 v0, v5 offset:256
	ds_store_b8 v0, v6 offset:512
	ds_store_b8 v0, v7 offset:768
	ds_store_b8 v0, v8 offset:1024
	ds_store_b8 v0, v9 offset:1280
	ds_store_b8 v0, v10 offset:1536
	ds_store_b8 v0, v11 offset:1792
	ds_store_b8 v0, v12 offset:2048
	ds_store_b8 v0, v13 offset:2304
	ds_store_b8 v0, v14 offset:2560
	ds_store_b8 v0, v15 offset:2816
	ds_store_b8 v0, v16 offset:3072
	ds_store_b8 v0, v17 offset:3328
	v_mul_u32_u24_e32 v5, 14, v0
	s_wait_dscnt 0x0
	s_barrier_signal -1
	s_barrier_wait -1
	ds_load_u16 v1, v4
	ds_load_b96 v[10:12], v4 offset:2
	v_dual_mov_b32 v76, 0 :: v_dual_bitop2_b32 v4, 1, v5 bitop3:0x54
	v_cmp_gt_u32_e32 vcc_lo, s23, v5
	v_mad_u32_u24 v5, v0, 14, 2
	v_mad_u32_u24 v6, v0, 14, 4
	v_cndmask_b32_e64 v53, 0, s8, vcc_lo
	v_cmp_gt_u32_e32 vcc_lo, s23, v4
	v_mad_u32_u24 v4, v0, 14, 3
	v_cndmask_b32_e64 v55, 0, s8, vcc_lo
	v_cmp_gt_u32_e32 vcc_lo, s23, v5
	v_mad_u32_u24 v5, v0, 14, 5
	s_wait_dscnt 0x1
	v_lshrrev_b16 v13, 8, v1
	v_cndmask_b32_e64 v72, 0, s8, vcc_lo
	v_cmp_gt_u32_e32 vcc_lo, s23, v4
	v_mad_u32_u24 v4, v0, 14, 6
	v_cndmask_b32_e64 v74, 0, s8, vcc_lo
	v_cmp_gt_u32_e32 vcc_lo, s23, v6
	v_mad_u32_u24 v6, v0, 14, 8
	;; [unrolled: 3-line block ×8, first 2 shown]
	v_cndmask_b32_e64 v52, 0, s8, vcc_lo
	v_cmp_gt_u32_e32 vcc_lo, s23, v4
	s_delay_alu instid0(VALU_DEP_3)
	v_cmp_gt_u32_e64 s21, s23, v5
	v_cndmask_b32_e64 v51, 0, s8, vcc_lo
	v_cmp_gt_u32_e32 vcc_lo, s23, v6
	v_cndmask_b32_e64 v50, 0, s8, vcc_lo
.LBB193_37:
	s_delay_alu instid0(VALU_DEP_4)
	s_and_saveexec_b32 s1, s21
; %bb.38:
	v_mov_b32_e32 v76, s8
; %bb.39:
	s_or_b32 exec_lo, exec_lo, s1
	s_cmp_eq_u64 s[14:15], 0
	s_wait_dscnt 0x0
	s_cselect_b32 s21, -1, 0
	s_cmp_lg_u64 s[14:15], 0
	s_barrier_signal -1
	s_cselect_b32 s39, -1, 0
	s_and_b32 vcc_lo, exec_lo, s0
	s_barrier_wait -1
	s_cbranch_vccz .LBB193_44
; %bb.40:
	s_and_b32 vcc_lo, exec_lo, s39
	s_cbranch_vccz .LBB193_45
; %bb.41:
	global_load_u8 v4, v[2:3], off offset:-1
	v_dual_lshrrev_b32 v5, 16, v12 :: v_dual_lshrrev_b32 v6, 24, v12
	v_dual_lshrrev_b32 v7, 8, v12 :: v_dual_lshrrev_b32 v8, 16, v11
	v_lshrrev_b32_e32 v9, 16, v10
	s_delay_alu instid0(VALU_DEP_3)
	v_and_b32_e32 v5, 0xff, v5
	ds_store_b8 v0, v6
	v_and_b32_e32 v7, 0xff, v7
	v_and_b32_e32 v14, 0xff, v12
	v_lshrrev_b32_e32 v15, 8, v11
	v_cmp_ne_u16_e32 vcc_lo, v5, v6
	v_lshrrev_b32_e32 v6, 24, v11
	v_cmp_ne_u16_e64 s0, v7, v5
	v_and_b32_e32 v5, 0xff, v8
	v_cmp_ne_u16_e64 s1, v14, v7
	v_and_b32_e32 v8, 0xff, v11
	v_cmp_ne_u16_e64 s4, v6, v14
	v_lshrrev_b32_e32 v14, 24, v10
	v_and_b32_e32 v7, 0xff, v15
	v_cmp_ne_u16_e64 s5, v5, v6
	v_lshrrev_b32_e32 v6, 8, v10
	s_wait_loadcnt_dscnt 0x0
	v_cmp_ne_u16_e64 s8, v14, v8
	v_cmp_ne_u16_e64 s6, v7, v5
	;; [unrolled: 1-line block ×3, first 2 shown]
	v_and_b32_e32 v7, 0xff, v9
	v_and_b32_e32 v6, 0xff, v6
	;; [unrolled: 1-line block ×5, first 2 shown]
	v_cmp_ne_u16_e64 s13, v7, v14
	v_cmp_ne_u16_e64 s9, v6, v7
	;; [unrolled: 1-line block ×5, first 2 shown]
	s_barrier_signal -1
	s_barrier_wait -1
	s_and_saveexec_b32 s33, s3
; %bb.42:
	v_add_nc_u32_e32 v4, -1, v0
	ds_load_u8 v4, v4
; %bb.43:
	s_or_b32 exec_lo, exec_lo, s33
	s_wait_dscnt 0x0
	v_and_b32_e32 v4, 0xff, v4
	v_cndmask_b32_e64 v61, 0, 1, vcc_lo
	v_cndmask_b32_e64 v59, 0, 1, s0
	v_cndmask_b32_e64 v56, 0, 1, s1
	v_cndmask_b32_e64 v21, 0, 1, s4
	v_cndmask_b32_e64 v57, 0, 1, s5
	v_cndmask_b32_e64 v58, 0, 1, s6
	v_cndmask_b32_e64 v60, 0, 1, s7
	v_cndmask_b32_e64 v62, 0, 1, s8
	v_cndmask_b32_e64 v64, 0, 1, s13
	v_cndmask_b32_e64 v63, 0, 1, s9
	v_cndmask_b32_e64 v65, 0, 1, s10
	v_cndmask_b32_e64 v66, 0, 1, s11
	v_cndmask_b32_e64 v67, 0, 1, s12
	v_cmp_ne_u16_e64 s38, v4, v5
	s_mov_b32 s33, -1
	s_branch .LBB193_49
.LBB193_44:
	s_mov_b32 s33, 0
                                        ; implicit-def: $sgpr38
                                        ; implicit-def: $vgpr61
                                        ; implicit-def: $vgpr59
                                        ; implicit-def: $vgpr56
                                        ; implicit-def: $vgpr21
                                        ; implicit-def: $vgpr57
                                        ; implicit-def: $vgpr58
                                        ; implicit-def: $vgpr60
                                        ; implicit-def: $vgpr62
                                        ; implicit-def: $vgpr64
                                        ; implicit-def: $vgpr63
                                        ; implicit-def: $vgpr65
                                        ; implicit-def: $vgpr66
                                        ; implicit-def: $vgpr67
	s_cbranch_execnz .LBB193_50
	s_branch .LBB193_58
.LBB193_45:
	s_mov_b32 s33, 0
                                        ; implicit-def: $sgpr38
                                        ; implicit-def: $vgpr61
                                        ; implicit-def: $vgpr59
                                        ; implicit-def: $vgpr56
                                        ; implicit-def: $vgpr21
                                        ; implicit-def: $vgpr57
                                        ; implicit-def: $vgpr58
                                        ; implicit-def: $vgpr60
                                        ; implicit-def: $vgpr62
                                        ; implicit-def: $vgpr64
                                        ; implicit-def: $vgpr63
                                        ; implicit-def: $vgpr65
                                        ; implicit-def: $vgpr66
                                        ; implicit-def: $vgpr67
	s_cbranch_execz .LBB193_49
; %bb.46:
	v_dual_lshrrev_b32 v4, 16, v12 :: v_dual_lshrrev_b32 v5, 16, v11
	v_dual_lshrrev_b32 v6, 8, v12 :: v_dual_lshrrev_b32 v7, 16, v10
	;; [unrolled: 1-line block ×3, first 2 shown]
	s_delay_alu instid0(VALU_DEP_3) | instskip(SKIP_1) | instid1(VALU_DEP_4)
	v_and_b32_e32 v4, 0xff, v4
	v_and_b32_e32 v9, 0xff, v12
	;; [unrolled: 1-line block ×3, first 2 shown]
	ds_store_b8 v0, v8
	s_wait_dscnt 0x0
	v_cmp_ne_u16_e32 vcc_lo, v4, v8
	v_lshrrev_b32_e32 v8, 8, v11
	v_cmp_ne_u16_e64 s0, v6, v4
	v_cmp_ne_u16_e64 s1, v9, v6
	v_and_b32_e32 v4, 0xff, v5
	v_cmp_ne_u16_e64 s4, v14, v9
	v_and_b32_e32 v6, 0xff, v11
	v_lshrrev_b32_e32 v9, 8, v10
	v_and_b32_e32 v5, 0xff, v8
	v_lshrrev_b32_e32 v8, 24, v10
	v_cmp_ne_u16_e64 s5, v4, v14
	s_barrier_signal -1
	s_barrier_wait -1
	v_cmp_ne_u16_e64 s6, v5, v4
	v_cmp_ne_u16_e64 s7, v6, v5
	;; [unrolled: 1-line block ×3, first 2 shown]
	v_and_b32_e32 v5, 0xff, v7
	v_and_b32_e32 v6, 0xff, v9
	;; [unrolled: 1-line block ×5, first 2 shown]
	v_cmp_ne_u16_e64 s9, v5, v8
	v_cmp_ne_u16_e64 s10, v6, v5
	;; [unrolled: 1-line block ×5, first 2 shown]
                                        ; implicit-def: $sgpr38
	s_and_saveexec_b32 s40, s3
	s_delay_alu instid0(SALU_CYCLE_1)
	s_xor_b32 s40, exec_lo, s40
	s_cbranch_execz .LBB193_48
; %bb.47:
	v_add_nc_u32_e32 v5, -1, v0
	s_or_b32 s33, s33, exec_lo
	ds_load_u8 v5, v5
	s_wait_dscnt 0x0
	v_cmp_ne_u16_e64 s38, v5, v4
.LBB193_48:
	s_or_b32 exec_lo, exec_lo, s40
	v_cndmask_b32_e64 v61, 0, 1, vcc_lo
	v_cndmask_b32_e64 v59, 0, 1, s0
	v_cndmask_b32_e64 v56, 0, 1, s1
	;; [unrolled: 1-line block ×12, first 2 shown]
.LBB193_49:
	s_branch .LBB193_58
.LBB193_50:
	s_mov_b64 s[0:1], 0xfffffffffffff200
	v_dual_lshrrev_b32 v41, 16, v12 :: v_dual_lshrrev_b32 v39, 16, v11
	v_lshrrev_b32_e32 v37, 16, v10
	v_mul_u32_u24_e32 v4, 14, v0
	v_mad_u32_u24 v6, v0, 14, 13
	v_mad_u32_u24 v32, v0, 14, 12
	v_mad_u32_u24 v30, v0, 14, 11
	v_and_b32_e32 v40, 0xff, v12
	v_mad_u32_u24 v28, v0, 14, 10
	v_mad_u32_u24 v26, v0, 14, 9
	v_mad_u32_u24 v24, v0, 14, 8
	v_mad_u32_u24 v22, v0, 14, 7
	v_and_b32_e32 v38, 0xff, v11
	v_mad_u32_u24 v20, v0, 14, 6
	;; [unrolled: 5-line block ×3, first 2 shown]
	v_and_b32_e32 v36, 0xff, v13
	v_and_b32_e32 v34, 0xff, v1
	s_mul_u64 s[0:1], s[14:15], s[0:1]
	s_and_b32 vcc_lo, exec_lo, s39
	s_add_nc_u64 s[12:13], s[0:1], s[28:29]
	s_cbranch_vccz .LBB193_54
; %bb.51:
	global_load_u8 v2, v[2:3], off offset:-1
	s_wait_xcnt 0x0
	v_dual_mov_b32 v7, 0 :: v_dual_lshrrev_b32 v3, 24, v12
	v_lshrrev_b32_e32 v5, 8, v12
	v_and_b32_e32 v9, 0xff, v41
	s_delay_alu instid0(VALU_DEP_3) | instskip(SKIP_1) | instid1(VALU_DEP_4)
	v_dual_mov_b32 v43, v7 :: v_dual_bitop2_b32 v42, 1, v4 bitop3:0x54
	v_mov_b32_e32 v33, v7
	v_and_b32_e32 v5, 0xff, v5
	v_dual_mov_b32 v31, v7 :: v_dual_mov_b32 v29, v7
	v_cmp_gt_u64_e32 vcc_lo, s[12:13], v[6:7]
	v_cmp_ne_u16_e64 s0, v9, v3
	s_delay_alu instid0(VALU_DEP_4)
	v_cmp_ne_u16_e64 s4, v5, v9
	v_lshrrev_b32_e32 v9, 24, v11
	ds_store_b8 v0, v3
	v_dual_lshrrev_b32 v3, 8, v11 :: v_dual_mov_b32 v27, v7
	v_mov_b32_e32 v25, v7
	v_cmp_gt_u64_e64 s1, s[12:13], v[32:33]
	v_cmp_gt_u64_e64 s5, s[12:13], v[30:31]
	v_cmp_ne_u16_e64 s6, v40, v5
	v_and_b32_e32 v5, 0xff, v39
	v_and_b32_e32 v3, 0xff, v3
	s_and_b32 s11, vcc_lo, s0
	v_cmp_gt_u64_e32 vcc_lo, s[12:13], v[26:27]
	v_dual_mov_b32 v23, v7 :: v_dual_mov_b32 v21, v7
	v_cmp_ne_u16_e64 s0, v5, v9
	s_and_b32 s14, s1, s4
	s_and_b32 s15, s5, s6
	v_cmp_ne_u16_e64 s4, v3, v5
	v_cmp_ne_u16_e64 s6, v38, v3
	v_dual_lshrrev_b32 v3, 24, v10 :: v_dual_mov_b32 v19, v7
	s_and_b32 s38, vcc_lo, s0
	v_cmp_gt_u64_e32 vcc_lo, s[12:13], v[20:21]
	v_cmp_ne_u16_e64 s8, v9, v40
	s_delay_alu instid0(VALU_DEP_3)
	v_cmp_ne_u16_e64 s0, v3, v38
	v_and_b32_e32 v5, 0xff, v37
	v_dual_mov_b32 v17, v7 :: v_dual_lshrrev_b32 v9, 8, v10
	v_cmp_gt_u64_e64 s7, s[12:13], v[28:29]
	v_cmp_gt_u64_e64 s1, s[12:13], v[24:25]
	v_cmp_gt_u64_e64 s5, s[12:13], v[22:23]
	s_and_b32 s39, vcc_lo, s0
	v_cmp_ne_u16_e64 s0, v5, v3
	v_and_b32_e32 v3, 0xff, v9
	v_dual_mov_b32 v15, v7 :: v_dual_mov_b32 v9, v7
	s_and_b32 s28, s7, s8
	s_and_b32 s33, s1, s4
	;; [unrolled: 1-line block ×3, first 2 shown]
	v_cmp_gt_u64_e32 vcc_lo, s[12:13], v[18:19]
	v_cmp_gt_u64_e64 s1, s[12:13], v[16:17]
	v_cmp_gt_u64_e64 s5, s[12:13], v[14:15]
	;; [unrolled: 1-line block ×4, first 2 shown]
	v_cmp_ne_u16_e64 s4, v3, v5
	v_cmp_ne_u16_e64 s6, v35, v3
	;; [unrolled: 1-line block ×4, first 2 shown]
	s_and_b32 s0, vcc_lo, s0
	s_and_b32 s1, s1, s4
	s_and_b32 s4, s5, s6
	;; [unrolled: 1-line block ×4, first 2 shown]
	s_wait_loadcnt_dscnt 0x0
	s_barrier_signal -1
	s_barrier_wait -1
	s_and_saveexec_b32 s7, s3
; %bb.52:
	v_add_nc_u32_e32 v2, -1, v0
	ds_load_u8 v2, v2
; %bb.53:
	s_or_b32 exec_lo, exec_lo, s7
	v_mov_b32_e32 v5, v7
	s_wait_dscnt 0x0
	v_and_b32_e32 v2, 0xff, v2
	v_cndmask_b32_e64 v64, 0, 1, s0
	v_cndmask_b32_e64 v61, 0, 1, s11
	;; [unrolled: 1-line block ×3, first 2 shown]
	v_cmp_gt_u64_e32 vcc_lo, s[12:13], v[4:5]
	v_cmp_ne_u16_e64 s0, v2, v34
	v_cndmask_b32_e64 v56, 0, 1, s15
	v_cndmask_b32_e64 v21, 0, 1, s28
	;; [unrolled: 1-line block ×10, first 2 shown]
	s_and_b32 s38, vcc_lo, s0
	s_mov_b32 s33, -1
	s_branch .LBB193_58
.LBB193_54:
                                        ; implicit-def: $sgpr38
                                        ; implicit-def: $vgpr61
                                        ; implicit-def: $vgpr59
                                        ; implicit-def: $vgpr56
                                        ; implicit-def: $vgpr21
                                        ; implicit-def: $vgpr57
                                        ; implicit-def: $vgpr58
                                        ; implicit-def: $vgpr60
                                        ; implicit-def: $vgpr62
                                        ; implicit-def: $vgpr64
                                        ; implicit-def: $vgpr63
                                        ; implicit-def: $vgpr65
                                        ; implicit-def: $vgpr66
                                        ; implicit-def: $vgpr67
	s_cbranch_execz .LBB193_58
; %bb.55:
	v_dual_mov_b32 v7, 0 :: v_dual_lshrrev_b32 v2, 24, v12
	v_and_b32_e32 v3, 0xff, v41
	v_lshrrev_b32_e32 v5, 8, v12
	v_cmp_ne_u16_e64 s9, v36, v35
	ds_store_b8 v0, v2
	v_cmp_gt_u64_e32 vcc_lo, s[12:13], v[6:7]
	v_dual_mov_b32 v31, v7 :: v_dual_mov_b32 v29, v7
	v_mov_b32_e32 v33, v7
	v_cmp_ne_u16_e64 s0, v3, v2
	v_and_b32_e32 v2, 0xff, v5
	v_lshrrev_b32_e32 v5, 24, v11
	v_cmp_gt_u64_e64 s7, s[12:13], v[28:29]
	v_dual_mov_b32 v27, v7 :: v_dual_mov_b32 v25, v7
	s_delay_alu instid0(VALU_DEP_4)
	v_cmp_ne_u16_e64 s5, v2, v3
	v_cmp_ne_u16_e64 s6, v40, v2
	v_lshrrev_b32_e32 v2, 8, v11
	s_and_b32 s11, vcc_lo, s0
	v_cmp_ne_u16_e32 vcc_lo, v5, v40
	v_cmp_gt_u64_e64 s4, s[12:13], v[30:31]
	v_and_b32_e32 v3, 0xff, v39
	v_and_b32_e32 v2, 0xff, v2
	v_dual_mov_b32 v23, v7 :: v_dual_mov_b32 v21, v7
	s_and_b32 s28, s7, vcc_lo
	v_cmp_gt_u64_e32 vcc_lo, s[12:13], v[26:27]
	v_cmp_ne_u16_e64 s0, v3, v5
	v_cmp_gt_u64_e64 s1, s[12:13], v[32:33]
	s_and_b32 s15, s4, s6
	v_cmp_ne_u16_e64 s4, v2, v3
	v_dual_lshrrev_b32 v3, 24, v10 :: v_dual_mov_b32 v19, v7
	s_and_b32 s29, vcc_lo, s0
	v_cmp_gt_u64_e32 vcc_lo, s[12:13], v[20:21]
	v_cmp_ne_u16_e64 s6, v38, v2
	s_delay_alu instid0(VALU_DEP_3)
	v_cmp_ne_u16_e64 s0, v3, v38
	v_and_b32_e32 v2, 0xff, v37
	v_dual_lshrrev_b32 v5, 8, v10 :: v_dual_mov_b32 v17, v7
	s_and_b32 s14, s1, s5
	v_cmp_gt_u64_e64 s1, s[12:13], v[24:25]
	v_cmp_gt_u64_e64 s5, s[12:13], v[22:23]
	v_dual_mov_b32 v15, v7 :: v_dual_mov_b32 v9, v7
	v_or_b32_e32 v6, 1, v4
	s_and_b32 s41, vcc_lo, s0
	v_cmp_ne_u16_e64 s0, v2, v3
	v_and_b32_e32 v3, 0xff, v5
	s_and_b32 s39, s1, s4
	s_and_b32 s40, s5, s6
	v_cmp_gt_u64_e32 vcc_lo, s[12:13], v[18:19]
	v_cmp_gt_u64_e64 s1, s[12:13], v[16:17]
	v_cmp_gt_u64_e64 s5, s[12:13], v[14:15]
	;; [unrolled: 1-line block ×4, first 2 shown]
	v_cmp_ne_u16_e64 s4, v3, v2
	v_cmp_ne_u16_e64 s6, v35, v3
	;; [unrolled: 1-line block ×3, first 2 shown]
	s_and_b32 s42, vcc_lo, s0
	s_wait_dscnt 0x0
	s_and_b32 s1, s1, s4
	s_and_b32 s4, s5, s6
	;; [unrolled: 1-line block ×4, first 2 shown]
	s_barrier_signal -1
	s_barrier_wait -1
                                        ; implicit-def: $sgpr38
	s_and_saveexec_b32 s7, s3
	s_cbranch_execz .LBB193_57
; %bb.56:
	v_dual_mov_b32 v5, v7 :: v_dual_add_nc_u32 v2, -1, v0
	s_or_b32 s33, s33, exec_lo
	ds_load_u8 v2, v2
	v_cmp_gt_u64_e32 vcc_lo, s[12:13], v[4:5]
	s_wait_dscnt 0x0
	v_and_b32_e32 v2, 0xff, v2
	s_delay_alu instid0(VALU_DEP_1)
	v_cmp_ne_u16_e64 s0, v2, v34
	s_and_b32 s38, vcc_lo, s0
.LBB193_57:
	s_or_b32 exec_lo, exec_lo, s7
	v_cndmask_b32_e64 v61, 0, 1, s11
	v_cndmask_b32_e64 v59, 0, 1, s14
	;; [unrolled: 1-line block ×13, first 2 shown]
.LBB193_58:
	v_mov_b32_e32 v68, 1
	s_and_saveexec_b32 s0, s33
; %bb.59:
	v_cndmask_b32_e64 v68, 0, 1, s38
; %bb.60:
	s_or_b32 exec_lo, exec_lo, s0
	s_delay_alu instid0(VALU_DEP_1)
	v_add_nc_u32_e32 v2, v67, v68
	v_cmp_eq_u32_e64 s12, 0, v67
	v_cmp_eq_u32_e64 s11, 0, v66
	;; [unrolled: 1-line block ×4, first 2 shown]
	v_add3_u32 v80, v2, v66, v65
	v_cmp_eq_u32_e64 s8, 0, v64
	v_cmp_eq_u32_e64 s7, 0, v62
	;; [unrolled: 1-line block ×8, first 2 shown]
	v_mbcnt_lo_u32_b32 v77, -1, 0
	v_dual_lshrrev_b32 v78, 5, v0 :: v_dual_bitop2_b32 v79, 31, v0 bitop3:0x54
	s_cmp_eq_u64 s[18:19], 0
	v_cmp_eq_u32_e32 vcc_lo, 0, v61
	s_cselect_b32 s18, -1, 0
	s_cmp_lg_u32 s20, 0
	s_cbranch_scc0 .LBB193_81
; %bb.61:
	v_add3_u32 v3, v80, v63, v64
	v_cndmask_b32_e64 v2, 0, v53, s12
	v_and_b32_e32 v5, 15, v77
	s_delay_alu instid0(VALU_DEP_3) | instskip(NEXT) | instid1(VALU_DEP_3)
	v_add3_u32 v3, v3, v62, v60
	v_add_nc_u32_e32 v2, v2, v55
	s_delay_alu instid0(VALU_DEP_2) | instskip(NEXT) | instid1(VALU_DEP_1)
	v_add3_u32 v3, v3, v58, v57
	v_add3_u32 v3, v3, v21, v56
	s_delay_alu instid0(VALU_DEP_1) | instskip(NEXT) | instid1(VALU_DEP_4)
	v_add3_u32 v3, v3, v59, v61
	v_cndmask_b32_e64 v2, 0, v2, s11
	s_delay_alu instid0(VALU_DEP_2) | instskip(NEXT) | instid1(VALU_DEP_2)
	v_mov_b32_dpp v6, v3 row_shr:1 row_mask:0xf bank_mask:0xf
	v_add_nc_u32_e32 v2, v2, v72
	s_delay_alu instid0(VALU_DEP_1) | instskip(NEXT) | instid1(VALU_DEP_1)
	v_cndmask_b32_e64 v2, 0, v2, s10
	v_add_nc_u32_e32 v2, v2, v74
	s_delay_alu instid0(VALU_DEP_1) | instskip(NEXT) | instid1(VALU_DEP_1)
	v_cndmask_b32_e64 v2, 0, v2, s9
	;; [unrolled: 3-line block ×10, first 2 shown]
	v_add_nc_u32_e32 v2, v2, v50
	s_delay_alu instid0(VALU_DEP_1) | instskip(SKIP_1) | instid1(VALU_DEP_2)
	v_cndmask_b32_e32 v2, 0, v2, vcc_lo
	v_cmp_eq_u32_e32 vcc_lo, 0, v3
	v_add_nc_u32_e32 v2, v2, v76
	s_delay_alu instid0(VALU_DEP_1) | instskip(NEXT) | instid1(VALU_DEP_1)
	v_mov_b32_dpp v4, v2 row_shr:1 row_mask:0xf bank_mask:0xf
	v_cndmask_b32_e32 v4, 0, v4, vcc_lo
	v_cmp_eq_u32_e32 vcc_lo, 0, v5
	v_cndmask_b32_e64 v6, v6, 0, vcc_lo
	s_delay_alu instid0(VALU_DEP_3) | instskip(SKIP_1) | instid1(VALU_DEP_2)
	v_cndmask_b32_e64 v4, v4, 0, vcc_lo
	v_cmp_lt_u32_e32 vcc_lo, 1, v5
	v_dual_add_nc_u32 v3, v6, v3 :: v_dual_add_nc_u32 v2, v4, v2
	s_delay_alu instid0(VALU_DEP_1) | instskip(SKIP_1) | instid1(VALU_DEP_3)
	v_mov_b32_dpp v4, v3 row_shr:2 row_mask:0xf bank_mask:0xf
	v_cmp_eq_u32_e64 s13, 0, v3
	v_mov_b32_dpp v6, v2 row_shr:2 row_mask:0xf bank_mask:0xf
	s_delay_alu instid0(VALU_DEP_3) | instskip(SKIP_1) | instid1(VALU_DEP_2)
	v_cndmask_b32_e32 v4, 0, v4, vcc_lo
	s_and_b32 vcc_lo, vcc_lo, s13
	v_cndmask_b32_e32 v6, 0, v6, vcc_lo
	v_cmp_lt_u32_e32 vcc_lo, 3, v5
	s_delay_alu instid0(VALU_DEP_2) | instskip(NEXT) | instid1(VALU_DEP_1)
	v_dual_add_nc_u32 v3, v3, v4 :: v_dual_add_nc_u32 v2, v6, v2
	v_mov_b32_dpp v4, v3 row_shr:4 row_mask:0xf bank_mask:0xf
	v_cmp_eq_u32_e64 s13, 0, v3
	s_delay_alu instid0(VALU_DEP_3) | instskip(NEXT) | instid1(VALU_DEP_3)
	v_mov_b32_dpp v6, v2 row_shr:4 row_mask:0xf bank_mask:0xf
	v_cndmask_b32_e32 v4, 0, v4, vcc_lo
	s_and_b32 vcc_lo, vcc_lo, s13
	s_delay_alu instid0(VALU_DEP_2) | instskip(SKIP_1) | instid1(VALU_DEP_2)
	v_cndmask_b32_e32 v6, 0, v6, vcc_lo
	v_cmp_lt_u32_e32 vcc_lo, 7, v5
	v_dual_add_nc_u32 v3, v4, v3 :: v_dual_add_nc_u32 v2, v2, v6
	v_bfe_i32 v6, v77, 4, 1
	s_delay_alu instid0(VALU_DEP_2) | instskip(SKIP_1) | instid1(VALU_DEP_4)
	v_mov_b32_dpp v4, v3 row_shr:8 row_mask:0xf bank_mask:0xf
	v_cmp_eq_u32_e64 s13, 0, v3
	v_mov_b32_dpp v5, v2 row_shr:8 row_mask:0xf bank_mask:0xf
	s_delay_alu instid0(VALU_DEP_3) | instskip(SKIP_2) | instid1(VALU_DEP_2)
	v_cndmask_b32_e32 v4, 0, v4, vcc_lo
	s_and_b32 vcc_lo, vcc_lo, s13
	s_mov_b32 s13, exec_lo
	v_cndmask_b32_e32 v5, 0, v5, vcc_lo
	s_delay_alu instid0(VALU_DEP_1)
	v_dual_add_nc_u32 v5, v5, v2 :: v_dual_add_nc_u32 v2, v4, v3
	ds_swizzle_b32 v3, v5 offset:swizzle(BROADCAST,32,15)
	ds_swizzle_b32 v4, v2 offset:swizzle(BROADCAST,32,15)
	v_cmp_eq_u32_e32 vcc_lo, 0, v2
	s_wait_dscnt 0x0
	v_dual_cndmask_b32 v3, 0, v3, vcc_lo :: v_dual_bitop2_b32 v4, v6, v4 bitop3:0x40
	s_delay_alu instid0(VALU_DEP_1) | instskip(NEXT) | instid1(VALU_DEP_1)
	v_dual_add_nc_u32 v2, v4, v2 :: v_dual_bitop2_b32 v3, v6, v3 bitop3:0x40
	v_dual_lshlrev_b32 v4, 3, v78 :: v_dual_add_nc_u32 v3, v3, v5
	v_cmpx_eq_u32_e64 v0, v79
; %bb.62:
	ds_store_b64 v4, v[2:3] offset:528
; %bb.63:
	s_or_b32 exec_lo, exec_lo, s13
	s_delay_alu instid0(SALU_CYCLE_1)
	s_mov_b32 s14, exec_lo
	s_wait_dscnt 0x0
	s_barrier_signal -1
	s_barrier_wait -1
	v_cmpx_gt_u32_e32 8, v0
	s_cbranch_execz .LBB193_65
; %bb.64:
	v_dual_lshlrev_b32 v5, 3, v0 :: v_dual_bitop2_b32 v9, 7, v77 bitop3:0x40
	ds_load_b64 v[6:7], v5 offset:528
	s_wait_dscnt 0x0
	v_mov_b32_dpp v8, v7 row_shr:1 row_mask:0xf bank_mask:0xf
	v_cmp_eq_u32_e32 vcc_lo, 0, v6
	v_mov_b32_dpp v14, v6 row_shr:1 row_mask:0xf bank_mask:0xf
	s_delay_alu instid0(VALU_DEP_3) | instskip(SKIP_1) | instid1(VALU_DEP_3)
	v_cndmask_b32_e32 v8, 0, v8, vcc_lo
	v_cmp_eq_u32_e32 vcc_lo, 0, v9
	v_cndmask_b32_e64 v14, v14, 0, vcc_lo
	s_delay_alu instid0(VALU_DEP_1) | instskip(NEXT) | instid1(VALU_DEP_4)
	v_add_nc_u32_e32 v6, v14, v6
	v_cndmask_b32_e64 v8, v8, 0, vcc_lo
	v_cmp_lt_u32_e32 vcc_lo, 1, v9
	s_delay_alu instid0(VALU_DEP_3) | instskip(NEXT) | instid1(VALU_DEP_3)
	v_cmp_eq_u32_e64 s13, 0, v6
	v_add_nc_u32_e32 v7, v8, v7
	v_mov_b32_dpp v8, v6 row_shr:2 row_mask:0xf bank_mask:0xf
	s_delay_alu instid0(VALU_DEP_1) | instskip(NEXT) | instid1(VALU_DEP_3)
	v_cndmask_b32_e32 v8, 0, v8, vcc_lo
	v_mov_b32_dpp v14, v7 row_shr:2 row_mask:0xf bank_mask:0xf
	s_and_b32 vcc_lo, vcc_lo, s13
	s_delay_alu instid0(VALU_DEP_2) | instskip(NEXT) | instid1(VALU_DEP_1)
	v_add_nc_u32_e32 v6, v8, v6
	v_mov_b32_dpp v8, v6 row_shr:4 row_mask:0xf bank_mask:0xf
	s_delay_alu instid0(VALU_DEP_3) | instskip(SKIP_1) | instid1(VALU_DEP_2)
	v_cndmask_b32_e32 v14, 0, v14, vcc_lo
	v_cmp_lt_u32_e32 vcc_lo, 3, v9
	v_dual_cndmask_b32 v8, 0, v8 :: v_dual_add_nc_u32 v7, v14, v7
	v_cmp_eq_u32_e64 s13, 0, v6
	s_delay_alu instid0(VALU_DEP_2) | instskip(NEXT) | instid1(VALU_DEP_3)
	v_add_nc_u32_e32 v6, v8, v6
	v_mov_b32_dpp v9, v7 row_shr:4 row_mask:0xf bank_mask:0xf
	s_and_b32 vcc_lo, vcc_lo, s13
	s_delay_alu instid0(VALU_DEP_1) | instskip(NEXT) | instid1(VALU_DEP_1)
	v_cndmask_b32_e32 v9, 0, v9, vcc_lo
	v_add_nc_u32_e32 v7, v9, v7
	ds_store_b64 v5, v[6:7] offset:528
.LBB193_65:
	s_or_b32 exec_lo, exec_lo, s14
	v_dual_mov_b32 v14, 0 :: v_dual_mov_b32 v15, 0
	s_mov_b32 s14, exec_lo
	v_cmp_gt_u32_e32 vcc_lo, 32, v0
	s_wait_dscnt 0x0
	s_barrier_signal -1
	s_barrier_wait -1
	v_cmpx_lt_u32_e32 31, v0
	s_cbranch_execz .LBB193_67
; %bb.66:
	ds_load_b64 v[14:15], v4 offset:520
	v_cmp_eq_u32_e64 s13, 0, v2
	s_wait_dscnt 0x0
	s_delay_alu instid0(VALU_DEP_1) | instskip(NEXT) | instid1(VALU_DEP_1)
	v_dual_cndmask_b32 v4, 0, v15, s13 :: v_dual_add_nc_u32 v2, v14, v2
	v_add_nc_u32_e32 v3, v4, v3
.LBB193_67:
	s_or_b32 exec_lo, exec_lo, s14
	v_sub_co_u32 v4, s13, v77, 1
	s_delay_alu instid0(VALU_DEP_1) | instskip(NEXT) | instid1(VALU_DEP_1)
	v_cmp_gt_i32_e64 s14, 0, v4
	v_cndmask_b32_e64 v4, v4, v77, s14
	s_delay_alu instid0(VALU_DEP_1)
	v_lshlrev_b32_e32 v4, 2, v4
	ds_bpermute_b32 v20, v4, v2
	ds_bpermute_b32 v22, v4, v3
	s_and_saveexec_b32 s19, vcc_lo
	s_cbranch_execz .LBB193_86
; %bb.68:
	v_mov_b32_e32 v5, 0
	ds_load_b64 v[2:3], v5 offset:584
	s_and_saveexec_b32 s14, s13
	s_cbranch_execz .LBB193_70
; %bb.69:
	s_add_co_i32 s28, s20, 32
	s_mov_b32 s29, 0
	v_mov_b32_e32 v4, 1
	s_lshl_b64 s[28:29], s[28:29], 4
	s_delay_alu instid0(SALU_CYCLE_1) | instskip(NEXT) | instid1(SALU_CYCLE_1)
	s_add_nc_u64 s[28:29], s[16:17], s[28:29]
	v_mov_b64_e32 v[6:7], s[28:29]
	s_wait_dscnt 0x0
	;;#ASMSTART
	global_store_b128 v[6:7], v[2:5] off scope:SCOPE_DEV	
s_wait_storecnt 0x0
	;;#ASMEND
.LBB193_70:
	s_or_b32 exec_lo, exec_lo, s14
	v_xad_u32 v16, v77, -1, s20
	s_mov_b32 s15, 0
	s_mov_b32 s14, exec_lo
	s_delay_alu instid0(VALU_DEP_1) | instskip(NEXT) | instid1(VALU_DEP_1)
	v_add_nc_u32_e32 v4, 32, v16
	v_lshl_add_u64 v[4:5], v[4:5], 4, s[16:17]
	;;#ASMSTART
	global_load_b128 v[6:9], v[4:5] off scope:SCOPE_DEV	
s_wait_loadcnt 0x0
	;;#ASMEND
	v_and_b32_e32 v9, 0xff, v8
	s_delay_alu instid0(VALU_DEP_1)
	v_cmpx_eq_u16_e32 0, v9
	s_cbranch_execz .LBB193_73
.LBB193_71:                             ; =>This Inner Loop Header: Depth=1
	;;#ASMSTART
	global_load_b128 v[6:9], v[4:5] off scope:SCOPE_DEV	
s_wait_loadcnt 0x0
	;;#ASMEND
	v_and_b32_e32 v9, 0xff, v8
	s_delay_alu instid0(VALU_DEP_1) | instskip(SKIP_1) | instid1(SALU_CYCLE_1)
	v_cmp_ne_u16_e32 vcc_lo, 0, v9
	s_or_b32 s15, vcc_lo, s15
	s_and_not1_b32 exec_lo, exec_lo, s15
	s_cbranch_execnz .LBB193_71
; %bb.72:
	s_or_b32 exec_lo, exec_lo, s15
.LBB193_73:
	s_delay_alu instid0(SALU_CYCLE_1)
	s_or_b32 exec_lo, exec_lo, s14
	v_cmp_ne_u32_e32 vcc_lo, 31, v77
	v_lshlrev_b32_e64 v24, v77, -1
	v_cmp_gt_u32_e64 s15, 30, v77
	v_lshl_or_b32 v31, v77, 2, 64
	v_add_nc_u32_e32 v26, 2, v77
	v_add_co_ci_u32_e64 v4, null, 0, v77, vcc_lo
	s_delay_alu instid0(VALU_DEP_4) | instskip(SKIP_1) | instid1(VALU_DEP_3)
	v_cndmask_b32_e64 v17, 0, 2, s15
	v_dual_add_nc_u32 v28, 4, v77 :: v_dual_add_nc_u32 v30, 8, v77
	v_lshlrev_b32_e32 v23, 2, v4
	v_and_b32_e32 v4, 0xff, v8
	s_delay_alu instid0(VALU_DEP_4)
	v_add_lshl_u32 v25, v17, v77, 2
	v_add_nc_u32_e32 v32, 16, v77
	ds_bpermute_b32 v5, v23, v6
	v_cmp_eq_u16_e32 vcc_lo, 2, v4
	v_and_or_b32 v9, vcc_lo, v24, 0x80000000
	v_cmp_eq_u32_e32 vcc_lo, 0, v6
	s_delay_alu instid0(VALU_DEP_2) | instskip(NEXT) | instid1(VALU_DEP_1)
	v_ctz_i32_b32_e32 v9, v9
	v_cmp_lt_u32_e64 s14, v77, v9
	s_wait_dscnt 0x0
	s_delay_alu instid0(VALU_DEP_1) | instskip(SKIP_4) | instid1(VALU_DEP_1)
	v_cndmask_b32_e64 v5, 0, v5, s14
	ds_bpermute_b32 v4, v23, v7
	s_and_b32 vcc_lo, s14, vcc_lo
	s_wait_dscnt 0x0
	v_dual_cndmask_b32 v4, 0, v4 :: v_dual_add_nc_u32 v5, v5, v6
	v_cmp_eq_u32_e32 vcc_lo, 0, v5
	s_delay_alu instid0(VALU_DEP_2)
	v_add_nc_u32_e32 v4, v4, v7
	ds_bpermute_b32 v7, v25, v4
	s_wait_dscnt 0x0
	v_cndmask_b32_e32 v6, 0, v7, vcc_lo
	ds_bpermute_b32 v7, v25, v5
	v_cmp_gt_u32_e32 vcc_lo, 28, v77
	v_cndmask_b32_e64 v17, 0, 4, vcc_lo
	v_cmp_gt_u32_e32 vcc_lo, v26, v9
	s_delay_alu instid0(VALU_DEP_2) | instskip(SKIP_2) | instid1(VALU_DEP_1)
	v_add_lshl_u32 v27, v17, v77, 2
	s_wait_dscnt 0x0
	v_cndmask_b32_e64 v7, v7, 0, vcc_lo
	v_add_nc_u32_e32 v5, v5, v7
	v_cndmask_b32_e64 v6, v6, 0, vcc_lo
	ds_bpermute_b32 v7, v27, v5
	v_add_nc_u32_e32 v4, v6, v4
	v_cmp_eq_u32_e32 vcc_lo, 0, v5
	ds_bpermute_b32 v6, v27, v4
	s_wait_dscnt 0x0
	v_cndmask_b32_e32 v6, 0, v6, vcc_lo
	v_cmp_gt_u32_e32 vcc_lo, 24, v77
	v_cndmask_b32_e64 v17, 0, 8, vcc_lo
	v_cmp_gt_u32_e32 vcc_lo, v28, v9
	s_delay_alu instid0(VALU_DEP_2) | instskip(SKIP_1) | instid1(VALU_DEP_1)
	v_add_lshl_u32 v29, v17, v77, 2
	v_cndmask_b32_e64 v7, v7, 0, vcc_lo
	v_dual_mov_b32 v17, 0 :: v_dual_add_nc_u32 v5, v5, v7
	v_cndmask_b32_e64 v6, v6, 0, vcc_lo
	ds_bpermute_b32 v7, v29, v5
	v_add_nc_u32_e32 v4, v4, v6
	v_cmp_eq_u32_e32 vcc_lo, 0, v5
	ds_bpermute_b32 v6, v29, v4
	s_wait_dscnt 0x0
	v_cndmask_b32_e32 v6, 0, v6, vcc_lo
	v_cmp_gt_u32_e32 vcc_lo, v30, v9
	s_delay_alu instid0(VALU_DEP_2) | instskip(NEXT) | instid1(VALU_DEP_1)
	v_cndmask_b32_e64 v6, v6, 0, vcc_lo
	v_add_nc_u32_e32 v4, v4, v6
	v_cndmask_b32_e64 v6, v7, 0, vcc_lo
	s_delay_alu instid0(VALU_DEP_1)
	v_add_nc_u32_e32 v5, v5, v6
	ds_bpermute_b32 v7, v31, v4
	ds_bpermute_b32 v6, v31, v5
	v_cmp_eq_u32_e32 vcc_lo, 0, v5
	s_wait_dscnt 0x1
	v_cndmask_b32_e32 v7, 0, v7, vcc_lo
	v_cmp_gt_u32_e32 vcc_lo, v32, v9
	s_wait_dscnt 0x0
	v_cndmask_b32_e64 v6, v6, 0, vcc_lo
	s_delay_alu instid0(VALU_DEP_1) | instskip(SKIP_1) | instid1(VALU_DEP_1)
	v_add_nc_u32_e32 v6, v6, v5
	v_cndmask_b32_e64 v7, v7, 0, vcc_lo
	v_add_nc_u32_e32 v7, v7, v4
	s_branch .LBB193_77
.LBB193_74:                             ;   in Loop: Header=BB193_77 Depth=1
	s_or_b32 exec_lo, exec_lo, s15
.LBB193_75:                             ;   in Loop: Header=BB193_77 Depth=1
	s_delay_alu instid0(SALU_CYCLE_1)
	s_or_b32 exec_lo, exec_lo, s14
	v_and_b32_e32 v9, 0xff, v8
	ds_bpermute_b32 v18, v23, v6
	v_subrev_nc_u32_e32 v16, 32, v16
	v_cmp_eq_u16_e32 vcc_lo, 2, v9
	ds_bpermute_b32 v9, v23, v7
	v_and_or_b32 v19, vcc_lo, v24, 0x80000000
	v_cmp_eq_u32_e32 vcc_lo, 0, v6
	s_delay_alu instid0(VALU_DEP_2) | instskip(NEXT) | instid1(VALU_DEP_1)
	v_ctz_i32_b32_e32 v19, v19
	v_cmp_lt_u32_e64 s14, v77, v19
	s_and_b32 vcc_lo, s14, vcc_lo
	s_wait_dscnt 0x0
	v_dual_cndmask_b32 v18, 0, v18, s14 :: v_dual_cndmask_b32 v9, 0, v9, vcc_lo
	s_mov_b32 s14, 0
	s_delay_alu instid0(VALU_DEP_1)
	v_dual_add_nc_u32 v6, v18, v6 :: v_dual_add_nc_u32 v7, v9, v7
	ds_bpermute_b32 v18, v25, v6
	ds_bpermute_b32 v9, v25, v7
	v_cmp_eq_u32_e32 vcc_lo, 0, v6
	s_wait_dscnt 0x0
	v_cndmask_b32_e32 v9, 0, v9, vcc_lo
	v_cmp_gt_u32_e32 vcc_lo, v26, v19
	v_cndmask_b32_e64 v18, v18, 0, vcc_lo
	s_delay_alu instid0(VALU_DEP_1) | instskip(NEXT) | instid1(VALU_DEP_4)
	v_add_nc_u32_e32 v6, v6, v18
	v_cndmask_b32_e64 v9, v9, 0, vcc_lo
	s_delay_alu instid0(VALU_DEP_2) | instskip(NEXT) | instid1(VALU_DEP_2)
	v_cmp_eq_u32_e32 vcc_lo, 0, v6
	v_add_nc_u32_e32 v7, v9, v7
	ds_bpermute_b32 v18, v27, v6
	ds_bpermute_b32 v9, v27, v7
	s_wait_dscnt 0x0
	v_cndmask_b32_e32 v9, 0, v9, vcc_lo
	v_cmp_gt_u32_e32 vcc_lo, v28, v19
	s_delay_alu instid0(VALU_DEP_2) | instskip(SKIP_1) | instid1(VALU_DEP_1)
	v_cndmask_b32_e64 v9, v9, 0, vcc_lo
	v_cndmask_b32_e64 v18, v18, 0, vcc_lo
	v_dual_add_nc_u32 v7, v7, v9 :: v_dual_add_nc_u32 v6, v6, v18
	ds_bpermute_b32 v9, v29, v7
	ds_bpermute_b32 v18, v29, v6
	v_cmp_eq_u32_e32 vcc_lo, 0, v6
	s_wait_dscnt 0x1
	v_cndmask_b32_e32 v9, 0, v9, vcc_lo
	v_cmp_gt_u32_e32 vcc_lo, v30, v19
	s_wait_dscnt 0x0
	v_cndmask_b32_e64 v18, v18, 0, vcc_lo
	s_delay_alu instid0(VALU_DEP_1) | instskip(SKIP_1) | instid1(VALU_DEP_2)
	v_add_nc_u32_e32 v6, v6, v18
	v_cndmask_b32_e64 v9, v9, 0, vcc_lo
	v_cmp_eq_u32_e32 vcc_lo, 0, v6
	s_delay_alu instid0(VALU_DEP_2)
	v_add_nc_u32_e32 v7, v7, v9
	ds_bpermute_b32 v18, v31, v6
	ds_bpermute_b32 v9, v31, v7
	s_wait_dscnt 0x0
	v_cndmask_b32_e32 v9, 0, v9, vcc_lo
	v_cmp_gt_u32_e32 vcc_lo, v32, v19
	s_delay_alu instid0(VALU_DEP_2) | instskip(NEXT) | instid1(VALU_DEP_1)
	v_cndmask_b32_e64 v9, v9, 0, vcc_lo
	v_add_nc_u32_e32 v7, v9, v7
	v_cndmask_b32_e64 v9, v18, 0, vcc_lo
	v_cmp_eq_u32_e32 vcc_lo, 0, v4
	s_delay_alu instid0(VALU_DEP_2) | instskip(NEXT) | instid1(VALU_DEP_4)
	v_add3_u32 v6, v6, v4, v9
	v_cndmask_b32_e32 v7, 0, v7, vcc_lo
	s_delay_alu instid0(VALU_DEP_1)
	v_add_nc_u32_e32 v7, v7, v5
.LBB193_76:                             ;   in Loop: Header=BB193_77 Depth=1
	s_and_b32 vcc_lo, exec_lo, s14
	s_cbranch_vccnz .LBB193_82
.LBB193_77:                             ; =>This Loop Header: Depth=1
                                        ;     Child Loop BB193_80 Depth 2
	v_and_b32_e32 v4, 0xff, v8
	s_delay_alu instid0(VALU_DEP_2) | instskip(SKIP_1) | instid1(VALU_DEP_2)
	v_mov_b32_e32 v5, v7
	s_mov_b32 s14, -1
                                        ; implicit-def: $vgpr7
                                        ; implicit-def: $vgpr8
	v_cmp_ne_u16_e32 vcc_lo, 2, v4
	v_mov_b32_e32 v4, v6
                                        ; implicit-def: $vgpr6
	s_cmp_lg_u32 vcc_lo, exec_lo
	s_cbranch_scc1 .LBB193_76
; %bb.78:                               ;   in Loop: Header=BB193_77 Depth=1
	v_lshl_add_u64 v[18:19], v[16:17], 4, s[16:17]
	;;#ASMSTART
	global_load_b128 v[6:9], v[18:19] off scope:SCOPE_DEV	
s_wait_loadcnt 0x0
	;;#ASMEND
	v_and_b32_e32 v9, 0xff, v8
	s_mov_b32 s14, exec_lo
	s_delay_alu instid0(VALU_DEP_1)
	v_cmpx_eq_u16_e32 0, v9
	s_cbranch_execz .LBB193_75
; %bb.79:                               ;   in Loop: Header=BB193_77 Depth=1
	s_mov_b32 s15, 0
.LBB193_80:                             ;   Parent Loop BB193_77 Depth=1
                                        ; =>  This Inner Loop Header: Depth=2
	;;#ASMSTART
	global_load_b128 v[6:9], v[18:19] off scope:SCOPE_DEV	
s_wait_loadcnt 0x0
	;;#ASMEND
	v_and_b32_e32 v9, 0xff, v8
	s_delay_alu instid0(VALU_DEP_1) | instskip(SKIP_1) | instid1(SALU_CYCLE_1)
	v_cmp_ne_u16_e32 vcc_lo, 0, v9
	s_or_b32 s15, vcc_lo, s15
	s_and_not1_b32 exec_lo, exec_lo, s15
	s_cbranch_execnz .LBB193_80
	s_branch .LBB193_74
.LBB193_81:
                                        ; implicit-def: $vgpr16
                                        ; implicit-def: $vgpr20
                                        ; implicit-def: $vgpr22_vgpr23
                                        ; implicit-def: $vgpr28_vgpr29
                                        ; implicit-def: $vgpr36_vgpr37
                                        ; implicit-def: $vgpr30_vgpr31
                                        ; implicit-def: $vgpr44_vgpr45
                                        ; implicit-def: $vgpr48_vgpr49
                                        ; implicit-def: $vgpr46_vgpr47
                                        ; implicit-def: $vgpr42_vgpr43
                                        ; implicit-def: $vgpr38_vgpr39
                                        ; implicit-def: $vgpr32_vgpr33
                                        ; implicit-def: $vgpr34_vgpr35
                                        ; implicit-def: $vgpr40_vgpr41
                                        ; implicit-def: $vgpr24_vgpr25
                                        ; implicit-def: $vgpr26_vgpr27
	s_cbranch_execnz .LBB193_87
	s_branch .LBB193_98
.LBB193_82:
	s_and_saveexec_b32 s14, s13
	s_cbranch_execz .LBB193_84
; %bb.83:
	v_cmp_eq_u32_e32 vcc_lo, 0, v2
	s_mov_b32 s29, 0
	s_add_co_i32 s28, s20, 32
	v_mov_b32_e32 v9, 0
	s_lshl_b64 s[28:29], s[28:29], 4
	v_dual_cndmask_b32 v7, 0, v5 :: v_dual_add_nc_u32 v6, v4, v2
	s_add_nc_u64 s[28:29], s[16:17], s[28:29]
	v_mov_b32_e32 v8, 2
	v_mov_b64_e32 v[16:17], s[28:29]
	s_delay_alu instid0(VALU_DEP_3)
	v_add_nc_u32_e32 v7, v7, v3
	;;#ASMSTART
	global_store_b128 v[16:17], v[6:9] off scope:SCOPE_DEV	
s_wait_storecnt 0x0
	;;#ASMEND
	ds_store_b128 v9, v[2:5] offset:512
.LBB193_84:
	s_or_b32 exec_lo, exec_lo, s14
	s_delay_alu instid0(SALU_CYCLE_1)
	s_and_b32 exec_lo, exec_lo, s2
; %bb.85:
	v_mov_b32_e32 v2, 0
	ds_store_b64 v2, v[4:5] offset:584
.LBB193_86:
	s_or_b32 exec_lo, exec_lo, s19
	s_wait_dscnt 0x1
	v_dual_mov_b32 v4, 0 :: v_dual_cndmask_b32 v5, v20, v14, s13
	s_wait_dscnt 0x0
	s_barrier_signal -1
	s_barrier_wait -1
	ds_load_b64 v[2:3], v4 offset:584
	v_cmp_eq_u32_e32 vcc_lo, 0, v5
	v_cndmask_b32_e64 v5, v5, 0, s2
	s_wait_dscnt 0x0
	s_barrier_signal -1
	s_barrier_wait -1
	ds_load_b128 v[16:19], v4 offset:512
	v_cndmask_b32_e32 v7, 0, v3, vcc_lo
	v_cmp_eq_u32_e32 vcc_lo, 0, v68
	v_cndmask_b32_e64 v6, v22, v15, s13
	s_delay_alu instid0(VALU_DEP_1) | instskip(NEXT) | instid1(VALU_DEP_1)
	v_dual_add_nc_u32 v44, v2, v5 :: v_dual_add_nc_u32 v6, v7, v6
	v_dual_add_nc_u32 v48, v44, v68 :: v_dual_cndmask_b32 v45, v6, v3, s2
	s_delay_alu instid0(VALU_DEP_1) | instskip(SKIP_2) | instid1(VALU_DEP_2)
	v_dual_cndmask_b32 v3, 0, v45 :: v_dual_add_nc_u32 v46, v48, v67
	s_wait_dscnt 0x0
	v_cmp_eq_u32_e32 vcc_lo, 0, v16
	v_add_nc_u32_e32 v49, v3, v53
	s_delay_alu instid0(VALU_DEP_1) | instskip(NEXT) | instid1(VALU_DEP_1)
	v_cndmask_b32_e64 v3, 0, v49, s12
	v_add_nc_u32_e32 v47, v3, v55
	s_delay_alu instid0(VALU_DEP_1) | instskip(NEXT) | instid1(VALU_DEP_1)
	v_cndmask_b32_e64 v3, 0, v47, s11
	;; [unrolled: 3-line block ×5, first 2 shown]
	v_add_nc_u32_e32 v35, v3, v71
	v_cndmask_b32_e32 v3, 0, v19, vcc_lo
	s_delay_alu instid0(VALU_DEP_1) | instskip(NEXT) | instid1(VALU_DEP_1)
	v_dual_cndmask_b32 v2, 0, v35, s7 :: v_dual_add_nc_u32 v20, v3, v17
	v_add_nc_u32_e32 v41, v2, v75
	s_delay_alu instid0(VALU_DEP_1) | instskip(NEXT) | instid1(VALU_DEP_1)
	v_cndmask_b32_e64 v2, 0, v41, s6
	v_add_nc_u32_e32 v25, v2, v73
	s_delay_alu instid0(VALU_DEP_1) | instskip(NEXT) | instid1(VALU_DEP_1)
	v_dual_add_nc_u32 v42, v46, v66 :: v_dual_cndmask_b32 v2, 0, v25, s5
	v_add_nc_u32_e32 v38, v42, v65
	s_delay_alu instid0(VALU_DEP_1) | instskip(NEXT) | instid1(VALU_DEP_1)
	v_add_nc_u32_e32 v32, v38, v63
	v_dual_add_nc_u32 v27, v2, v69 :: v_dual_add_nc_u32 v34, v32, v64
	s_delay_alu instid0(VALU_DEP_1) | instskip(NEXT) | instid1(VALU_DEP_1)
	v_dual_cndmask_b32 v2, 0, v27, s4 :: v_dual_add_nc_u32 v40, v34, v62
	v_dual_add_nc_u32 v31, v2, v54 :: v_dual_add_nc_u32 v24, v40, v60
	s_delay_alu instid0(VALU_DEP_1) | instskip(NEXT) | instid1(VALU_DEP_1)
	v_dual_cndmask_b32 v2, 0, v31, s3 :: v_dual_add_nc_u32 v26, v24, v58
	v_add_nc_u32_e32 v37, v2, v52
	s_delay_alu instid0(VALU_DEP_2) | instskip(NEXT) | instid1(VALU_DEP_2)
	v_add_nc_u32_e32 v30, v26, v57
	v_cndmask_b32_e64 v2, 0, v37, s1
	s_delay_alu instid0(VALU_DEP_2) | instskip(NEXT) | instid1(VALU_DEP_1)
	v_add_nc_u32_e32 v36, v30, v21
	v_dual_add_nc_u32 v29, v2, v51 :: v_dual_add_nc_u32 v28, v36, v56
	s_delay_alu instid0(VALU_DEP_1) | instskip(NEXT) | instid1(VALU_DEP_1)
	v_cndmask_b32_e64 v2, 0, v29, s0
	v_dual_add_nc_u32 v22, v28, v59 :: v_dual_add_nc_u32 v23, v2, v50
	s_branch .LBB193_98
.LBB193_87:
	s_cmp_eq_u64 s[36:37], 0
	v_mov_b32_e32 v6, v53
	s_cselect_b32 s0, -1, 0
	s_delay_alu instid0(SALU_CYCLE_1) | instskip(NEXT) | instid1(SALU_CYCLE_1)
	s_or_b32 s0, s18, s0
	s_and_b32 vcc_lo, exec_lo, s0
	s_cbranch_vccnz .LBB193_89
; %bb.88:
	v_mov_b32_e32 v2, 0
	global_load_b32 v6, v2, s[36:37]
.LBB193_89:
	v_add3_u32 v3, v80, v63, v64
	v_cmp_eq_u32_e64 s6, 0, v67
	v_cmp_eq_u32_e64 s7, 0, v66
	;; [unrolled: 1-line block ×4, first 2 shown]
	v_add3_u32 v3, v3, v62, v60
	s_wait_xcnt 0x0
	v_cndmask_b32_e64 v2, 0, v53, s6
	v_cmp_eq_u32_e64 s11, 0, v64
	v_cmp_eq_u32_e64 s10, 0, v62
	;; [unrolled: 1-line block ×3, first 2 shown]
	v_add3_u32 v3, v3, v58, v57
	v_dual_add_nc_u32 v2, v2, v55 :: v_dual_bitop2_b32 v5, 15, v77 bitop3:0x40
	v_cmp_eq_u32_e64 s4, 0, v58
	v_cmp_eq_u32_e64 s3, 0, v57
	s_delay_alu instid0(VALU_DEP_4)
	v_add3_u32 v3, v3, v21, v56
	v_cmp_eq_u32_e64 s1, 0, v21
	v_cmp_eq_u32_e32 vcc_lo, 0, v56
	v_cmp_eq_u32_e64 s0, 0, v59
	v_cmp_eq_u32_e64 s12, 0, v61
	v_add3_u32 v3, v3, v59, v61
	v_cndmask_b32_e64 v2, 0, v2, s7
	s_delay_alu instid0(VALU_DEP_2) | instskip(NEXT) | instid1(VALU_DEP_2)
	v_mov_b32_dpp v7, v3 row_shr:1 row_mask:0xf bank_mask:0xf
	v_add_nc_u32_e32 v2, v2, v72
	s_delay_alu instid0(VALU_DEP_1) | instskip(NEXT) | instid1(VALU_DEP_1)
	v_cndmask_b32_e64 v2, 0, v2, s8
	v_add_nc_u32_e32 v2, v2, v74
	s_delay_alu instid0(VALU_DEP_1) | instskip(NEXT) | instid1(VALU_DEP_1)
	v_cndmask_b32_e64 v2, 0, v2, s9
	;; [unrolled: 3-line block ×8, first 2 shown]
	v_add_nc_u32_e32 v2, v2, v52
	s_delay_alu instid0(VALU_DEP_1) | instskip(NEXT) | instid1(VALU_DEP_1)
	v_cndmask_b32_e32 v2, 0, v2, vcc_lo
	v_add_nc_u32_e32 v2, v2, v51
	s_delay_alu instid0(VALU_DEP_1) | instskip(NEXT) | instid1(VALU_DEP_1)
	v_cndmask_b32_e64 v2, 0, v2, s0
	v_add_nc_u32_e32 v2, v2, v50
	s_delay_alu instid0(VALU_DEP_1) | instskip(SKIP_1) | instid1(VALU_DEP_2)
	v_cndmask_b32_e64 v2, 0, v2, s12
	v_cmp_eq_u32_e64 s12, 0, v3
	v_add_nc_u32_e32 v2, v2, v76
	s_delay_alu instid0(VALU_DEP_1) | instskip(NEXT) | instid1(VALU_DEP_1)
	v_mov_b32_dpp v4, v2 row_shr:1 row_mask:0xf bank_mask:0xf
	v_cndmask_b32_e64 v4, 0, v4, s12
	v_cmp_eq_u32_e64 s12, 0, v5
	s_delay_alu instid0(VALU_DEP_1) | instskip(NEXT) | instid1(VALU_DEP_3)
	v_cndmask_b32_e64 v7, v7, 0, s12
	v_cndmask_b32_e64 v4, v4, 0, s12
	v_cmp_lt_u32_e64 s12, 1, v5
	s_delay_alu instid0(VALU_DEP_2) | instskip(NEXT) | instid1(VALU_DEP_1)
	v_dual_add_nc_u32 v3, v7, v3 :: v_dual_add_nc_u32 v2, v4, v2
	v_mov_b32_dpp v4, v3 row_shr:2 row_mask:0xf bank_mask:0xf
	v_cmp_eq_u32_e64 s13, 0, v3
	s_delay_alu instid0(VALU_DEP_3) | instskip(NEXT) | instid1(VALU_DEP_3)
	v_mov_b32_dpp v7, v2 row_shr:2 row_mask:0xf bank_mask:0xf
	v_cndmask_b32_e64 v4, 0, v4, s12
	s_and_b32 s12, s12, s13
	s_delay_alu instid0(VALU_DEP_2) | instid1(SALU_CYCLE_1)
	v_cndmask_b32_e64 v7, 0, v7, s12
	v_cmp_lt_u32_e64 s12, 3, v5
	s_delay_alu instid0(VALU_DEP_3) | instskip(NEXT) | instid1(VALU_DEP_3)
	v_add_nc_u32_e32 v3, v3, v4
	v_add_nc_u32_e32 v2, v7, v2
	s_delay_alu instid0(VALU_DEP_2) | instskip(SKIP_1) | instid1(VALU_DEP_3)
	v_mov_b32_dpp v4, v3 row_shr:4 row_mask:0xf bank_mask:0xf
	v_cmp_eq_u32_e64 s13, 0, v3
	v_mov_b32_dpp v7, v2 row_shr:4 row_mask:0xf bank_mask:0xf
	s_delay_alu instid0(VALU_DEP_3)
	v_cndmask_b32_e64 v4, 0, v4, s12
	s_and_b32 s12, s12, s13
	s_delay_alu instid0(VALU_DEP_2) | instid1(SALU_CYCLE_1)
	v_cndmask_b32_e64 v7, 0, v7, s12
	v_cmp_lt_u32_e64 s12, 7, v5
	s_delay_alu instid0(VALU_DEP_3) | instskip(NEXT) | instid1(VALU_DEP_3)
	v_add_nc_u32_e32 v3, v4, v3
	v_add_nc_u32_e32 v2, v2, v7
	v_bfe_i32 v7, v77, 4, 1
	s_delay_alu instid0(VALU_DEP_3) | instskip(SKIP_1) | instid1(VALU_DEP_4)
	v_mov_b32_dpp v4, v3 row_shr:8 row_mask:0xf bank_mask:0xf
	v_cmp_eq_u32_e64 s13, 0, v3
	v_mov_b32_dpp v5, v2 row_shr:8 row_mask:0xf bank_mask:0xf
	s_delay_alu instid0(VALU_DEP_3) | instskip(SKIP_2) | instid1(VALU_DEP_2)
	v_cndmask_b32_e64 v4, 0, v4, s12
	s_and_b32 s12, s12, s13
	s_mov_b32 s13, exec_lo
	v_cndmask_b32_e64 v5, 0, v5, s12
	s_delay_alu instid0(VALU_DEP_1) | instskip(SKIP_4) | instid1(VALU_DEP_1)
	v_dual_add_nc_u32 v5, v5, v2 :: v_dual_add_nc_u32 v2, v4, v3
	ds_swizzle_b32 v3, v5 offset:swizzle(BROADCAST,32,15)
	ds_swizzle_b32 v4, v2 offset:swizzle(BROADCAST,32,15)
	v_cmp_eq_u32_e64 s12, 0, v2
	s_wait_dscnt 0x0
	v_dual_cndmask_b32 v3, 0, v3, s12 :: v_dual_bitop2_b32 v4, v7, v4 bitop3:0x40
	s_delay_alu instid0(VALU_DEP_1) | instskip(NEXT) | instid1(VALU_DEP_1)
	v_dual_add_nc_u32 v2, v4, v2 :: v_dual_bitop2_b32 v3, v7, v3 bitop3:0x40
	v_dual_add_nc_u32 v3, v3, v5 :: v_dual_lshlrev_b32 v5, 3, v78
	v_cmpx_eq_u32_e64 v0, v79
; %bb.90:
	ds_store_b64 v5, v[2:3] offset:528
; %bb.91:
	s_or_b32 exec_lo, exec_lo, s13
	s_delay_alu instid0(SALU_CYCLE_1)
	s_mov_b32 s14, exec_lo
	s_wait_loadcnt_dscnt 0x0
	s_barrier_signal -1
	s_barrier_wait -1
	v_cmpx_gt_u32_e32 8, v0
	s_cbranch_execz .LBB193_93
; %bb.92:
	v_dual_lshlrev_b32 v4, 3, v0 :: v_dual_bitop2_b32 v14, 7, v77 bitop3:0x40
	ds_load_b64 v[8:9], v4 offset:528
	s_wait_dscnt 0x0
	v_mov_b32_dpp v7, v9 row_shr:1 row_mask:0xf bank_mask:0xf
	v_cmp_eq_u32_e64 s12, 0, v8
	v_mov_b32_dpp v15, v8 row_shr:1 row_mask:0xf bank_mask:0xf
	s_delay_alu instid0(VALU_DEP_2) | instskip(SKIP_1) | instid1(VALU_DEP_1)
	v_cndmask_b32_e64 v7, 0, v7, s12
	v_cmp_eq_u32_e64 s12, 0, v14
	v_cndmask_b32_e64 v15, v15, 0, s12
	s_delay_alu instid0(VALU_DEP_1) | instskip(NEXT) | instid1(VALU_DEP_4)
	v_add_nc_u32_e32 v8, v15, v8
	v_cndmask_b32_e64 v7, v7, 0, s12
	v_cmp_lt_u32_e64 s12, 1, v14
	s_delay_alu instid0(VALU_DEP_3) | instskip(NEXT) | instid1(VALU_DEP_3)
	v_cmp_eq_u32_e64 s13, 0, v8
	v_add_nc_u32_e32 v7, v7, v9
	v_mov_b32_dpp v9, v8 row_shr:2 row_mask:0xf bank_mask:0xf
	s_delay_alu instid0(VALU_DEP_1) | instskip(NEXT) | instid1(VALU_DEP_3)
	v_cndmask_b32_e64 v9, 0, v9, s12
	v_mov_b32_dpp v15, v7 row_shr:2 row_mask:0xf bank_mask:0xf
	s_and_b32 s12, s12, s13
	s_delay_alu instid0(VALU_DEP_1) | instid1(SALU_CYCLE_1)
	v_dual_add_nc_u32 v8, v9, v8 :: v_dual_cndmask_b32 v15, 0, v15, s12
	v_cmp_lt_u32_e64 s12, 3, v14
	s_delay_alu instid0(VALU_DEP_2) | instskip(NEXT) | instid1(VALU_DEP_3)
	v_mov_b32_dpp v9, v8 row_shr:4 row_mask:0xf bank_mask:0xf
	v_add_nc_u32_e32 v7, v15, v7
	v_cmp_eq_u32_e64 s13, 0, v8
	s_delay_alu instid0(VALU_DEP_3) | instskip(NEXT) | instid1(VALU_DEP_3)
	v_cndmask_b32_e64 v9, 0, v9, s12
	v_mov_b32_dpp v14, v7 row_shr:4 row_mask:0xf bank_mask:0xf
	s_and_b32 s12, s12, s13
	s_delay_alu instid0(VALU_DEP_1) | instid1(SALU_CYCLE_1)
	v_dual_add_nc_u32 v8, v9, v8 :: v_dual_cndmask_b32 v14, 0, v14, s12
	s_delay_alu instid0(VALU_DEP_1)
	v_add_nc_u32_e32 v9, v14, v7
	ds_store_b64 v4, v[8:9] offset:528
.LBB193_93:
	s_or_b32 exec_lo, exec_lo, s14
	v_dual_mov_b32 v7, 0 :: v_dual_mov_b32 v4, 0
	v_mov_b32_e32 v8, v6
	s_mov_b32 s13, exec_lo
	s_wait_dscnt 0x0
	s_barrier_signal -1
	s_barrier_wait -1
	v_cmpx_lt_u32_e32 31, v0
	s_cbranch_execz .LBB193_95
; %bb.94:
	ds_load_b64 v[4:5], v5 offset:520
	s_wait_dscnt 0x0
	v_cmp_eq_u32_e64 s12, 0, v4
	s_delay_alu instid0(VALU_DEP_1) | instskip(NEXT) | instid1(VALU_DEP_1)
	v_cndmask_b32_e64 v8, 0, v6, s12
	v_add_nc_u32_e32 v8, v8, v5
.LBB193_95:
	s_or_b32 exec_lo, exec_lo, s13
	v_sub_co_u32 v5, s12, v77, 1
	ds_load_b64 v[16:17], v7 offset:584
	v_cmp_gt_i32_e64 s13, 0, v5
	s_delay_alu instid0(VALU_DEP_1) | instskip(SKIP_1) | instid1(VALU_DEP_1)
	v_cndmask_b32_e64 v5, v5, v77, s13
	v_cmp_eq_u32_e64 s13, 0, v2
	v_dual_cndmask_b32 v9, 0, v8, s13 :: v_dual_add_nc_u32 v2, v4, v2
	s_delay_alu instid0(VALU_DEP_3)
	v_lshlrev_b32_e32 v5, 2, v5
	ds_bpermute_b32 v2, v5, v2
	s_wait_dscnt 0x0
	v_dual_add_nc_u32 v3, v9, v3 :: v_dual_cndmask_b32 v2, v2, v4, s12
	ds_bpermute_b32 v3, v5, v3
	v_cndmask_b32_e64 v44, v2, 0, s2
	s_delay_alu instid0(VALU_DEP_1) | instskip(NEXT) | instid1(VALU_DEP_1)
	v_add_nc_u32_e32 v48, v44, v68
	v_add_nc_u32_e32 v46, v48, v67
	s_wait_dscnt 0x0
	s_delay_alu instid0(VALU_DEP_1) | instskip(SKIP_1) | instid1(VALU_DEP_2)
	v_dual_add_nc_u32 v42, v46, v66 :: v_dual_cndmask_b32 v3, v3, v8, s12
	v_cmp_eq_u32_e64 s12, 0, v68
	v_dual_add_nc_u32 v38, v42, v65 :: v_dual_cndmask_b32 v45, v3, v6, s2
	s_delay_alu instid0(VALU_DEP_1) | instskip(NEXT) | instid1(VALU_DEP_1)
	v_dual_add_nc_u32 v32, v38, v63 :: v_dual_cndmask_b32 v3, 0, v45, s12
	v_dual_add_nc_u32 v34, v32, v64 :: v_dual_add_nc_u32 v49, v3, v53
	s_delay_alu instid0(VALU_DEP_1) | instskip(NEXT) | instid1(VALU_DEP_1)
	v_dual_add_nc_u32 v40, v34, v62 :: v_dual_cndmask_b32 v3, 0, v49, s6
	v_dual_add_nc_u32 v24, v40, v60 :: v_dual_add_nc_u32 v47, v3, v55
	;; [unrolled: 3-line block ×4, first 2 shown]
	s_delay_alu instid0(VALU_DEP_1) | instskip(NEXT) | instid1(VALU_DEP_2)
	v_add_nc_u32_e32 v22, v28, v59
	v_cndmask_b32_e64 v3, 0, v39, s9
	s_delay_alu instid0(VALU_DEP_1) | instskip(NEXT) | instid1(VALU_DEP_1)
	v_add_nc_u32_e32 v33, v3, v70
	v_cndmask_b32_e64 v3, 0, v33, s11
	s_delay_alu instid0(VALU_DEP_1) | instskip(NEXT) | instid1(VALU_DEP_1)
	;; [unrolled: 3-line block ×7, first 2 shown]
	v_add_nc_u32_e32 v37, v2, v52
	v_cndmask_b32_e32 v2, 0, v37, vcc_lo
	v_cmp_eq_u32_e32 vcc_lo, 0, v16
	s_delay_alu instid0(VALU_DEP_2) | instskip(NEXT) | instid1(VALU_DEP_1)
	v_dual_cndmask_b32 v3, 0, v6, vcc_lo :: v_dual_add_nc_u32 v29, v2, v51
	v_add_nc_u32_e32 v20, v3, v17
	s_delay_alu instid0(VALU_DEP_2) | instskip(NEXT) | instid1(VALU_DEP_1)
	v_cndmask_b32_e64 v2, 0, v29, s0
	v_add_nc_u32_e32 v23, v2, v50
	s_and_saveexec_b32 s0, s2
	s_cbranch_execz .LBB193_97
; %bb.96:
	s_add_nc_u64 s[4:5], s[16:17], 0x200
	v_dual_mov_b32 v18, 2 :: v_dual_mov_b32 v19, 0
	v_mov_b32_e32 v17, v20
	v_mov_b64_e32 v[2:3], s[4:5]
	;;#ASMSTART
	global_store_b128 v[2:3], v[16:19] off scope:SCOPE_DEV	
s_wait_storecnt 0x0
	;;#ASMEND
.LBB193_97:
	s_or_b32 exec_lo, exec_lo, s0
	v_mov_b32_e32 v18, 0
.LBB193_98:
	s_cmp_eq_u64 s[30:31], 0
	v_mov_b64_e32 v[50:51], 0
	s_cselect_b32 s0, -1, 0
	s_delay_alu instid0(SALU_CYCLE_1)
	s_or_b32 s0, s18, s0
	s_barrier_signal -1
	s_and_b32 vcc_lo, exec_lo, s0
	s_barrier_wait -1
	s_cbranch_vccnz .LBB193_100
; %bb.99:
	v_mov_b32_e32 v2, 0
	global_load_b64 v[50:51], v2, s[30:31]
.LBB193_100:
	v_cmp_eq_u32_e32 vcc_lo, 0, v68
	v_cmp_ne_u32_e64 s14, 0, v68
	v_cmp_ne_u32_e64 s13, 0, v67
	;; [unrolled: 1-line block ×4, first 2 shown]
	s_wait_xcnt 0x0
	v_cndmask_b32_e64 v2, 1, 2, vcc_lo
	v_cmp_eq_u32_e32 vcc_lo, 0, v67
	v_cmp_ne_u32_e64 s10, 0, v63
	v_cmp_ne_u32_e64 s9, 0, v64
	;; [unrolled: 1-line block ×4, first 2 shown]
	v_cndmask_b32_e64 v3, 1, 2, vcc_lo
	v_cmp_eq_u32_e32 vcc_lo, 0, v66
	v_cmp_ne_u32_e64 s6, 0, v58
	v_cmp_ne_u32_e64 s5, 0, v57
	s_delay_alu instid0(VALU_DEP_4)
	v_dual_mov_b32 v19, 0 :: v_dual_bitop2_b32 v2, v3, v2 bitop3:0x40
	v_cndmask_b32_e64 v3, 1, 2, vcc_lo
	v_cmp_eq_u32_e32 vcc_lo, 0, v65
	v_cmp_ne_u32_e64 s4, 0, v21
	v_cmp_ne_u32_e64 s3, 0, v56
	;; [unrolled: 1-line block ×4, first 2 shown]
	v_cndmask_b32_e64 v4, 1, 2, vcc_lo
	v_cmp_eq_u32_e32 vcc_lo, 0, v63
	s_mov_b32 s16, -1
	s_delay_alu instid0(VALU_DEP_2) | instskip(SKIP_4) | instid1(VALU_DEP_2)
	v_bitop3_b16 v2, v2, v4, v3 bitop3:0x80
	v_cndmask_b32_e64 v5, 1, 2, vcc_lo
	v_cmp_eq_u32_e32 vcc_lo, 0, v64
	v_cndmask_b32_e64 v6, 1, 2, vcc_lo
	v_cmp_eq_u32_e32 vcc_lo, 0, v62
	v_bitop3_b16 v4, v2, v6, v5 bitop3:0x80
	v_cndmask_b32_e64 v5, 1, 2, vcc_lo
	v_cmp_eq_u32_e32 vcc_lo, 0, v60
	s_wait_loadcnt 0x0
	v_add_nc_u64_e32 v[2:3], s[24:25], v[50:51]
	v_cndmask_b32_e64 v6, 1, 2, vcc_lo
	v_cmp_eq_u32_e32 vcc_lo, 0, v58
	s_delay_alu instid0(VALU_DEP_3) | instskip(NEXT) | instid1(VALU_DEP_3)
	v_add_nc_u64_e32 v[52:53], v[2:3], v[18:19]
	v_bitop3_b16 v4, v4, v6, v5 bitop3:0x80
	v_cndmask_b32_e64 v5, 1, 2, vcc_lo
	v_cmp_eq_u32_e32 vcc_lo, 0, v57
	v_cndmask_b32_e64 v6, 1, 2, vcc_lo
	v_cmp_eq_u32_e32 vcc_lo, 0, v21
	s_delay_alu instid0(VALU_DEP_2) | instskip(SKIP_4) | instid1(VALU_DEP_2)
	v_bitop3_b16 v2, v4, v6, v5 bitop3:0x80
	v_cndmask_b32_e64 v3, 1, 2, vcc_lo
	v_cmp_eq_u32_e32 vcc_lo, 0, v56
	v_cndmask_b32_e64 v4, 1, 2, vcc_lo
	v_cmp_eq_u32_e32 vcc_lo, 0, v59
	v_bitop3_b16 v2, v2, v4, v3 bitop3:0x80
	v_cndmask_b32_e64 v3, 1, 2, vcc_lo
	v_cmp_eq_u32_e32 vcc_lo, 0, v61
	v_cndmask_b32_e64 v4, 1, 2, vcc_lo
	v_cmp_gt_u32_e32 vcc_lo, 0x100, v16
	s_delay_alu instid0(VALU_DEP_2) | instskip(NEXT) | instid1(VALU_DEP_1)
	v_bitop3_b16 v2, v2, v4, v3 bitop3:0x80
	v_cmp_gt_i16_e64 s15, 2, v2
	s_cbranch_vccz .LBB193_107
; %bb.101:
	s_and_saveexec_b32 s16, s15
	s_cbranch_execz .LBB193_106
; %bb.102:
	s_mov_b32 s17, 0
	s_mov_b32 s15, exec_lo
	v_cmpx_ne_u16_e32 1, v2
	s_xor_b32 s15, exec_lo, s15
	s_cbranch_execnz .LBB193_149
; %bb.103:
	s_and_not1_saveexec_b32 s15, s15
	s_cbranch_execnz .LBB193_164
.LBB193_104:
	s_or_b32 exec_lo, exec_lo, s15
	s_delay_alu instid0(SALU_CYCLE_1)
	s_and_b32 exec_lo, exec_lo, s17
	s_cbranch_execz .LBB193_106
.LBB193_105:
	v_dual_sub_nc_u32 v3, v22, v18 :: v_dual_lshrrev_b32 v4, 24, v12
	v_readfirstlane_b32 s18, v52
	v_readfirstlane_b32 s19, v53
	global_store_b8 v3, v4, s[18:19]
.LBB193_106:
	s_wait_xcnt 0x0
	s_or_b32 exec_lo, exec_lo, s16
	s_mov_b32 s16, 0
.LBB193_107:
	s_delay_alu instid0(SALU_CYCLE_1)
	s_and_b32 vcc_lo, exec_lo, s16
	s_cbranch_vccz .LBB193_128
; %bb.108:
	s_mov_b32 s15, exec_lo
	v_cmpx_gt_i16_e32 2, v2
	s_cbranch_execz .LBB193_113
; %bb.109:
	s_mov_b32 s17, 0
	s_mov_b32 s16, exec_lo
	v_cmpx_ne_u16_e32 1, v2
	s_xor_b32 s16, exec_lo, s16
	s_cbranch_execnz .LBB193_165
; %bb.110:
	s_and_not1_saveexec_b32 s0, s16
	s_cbranch_execnz .LBB193_180
.LBB193_111:
	s_or_b32 exec_lo, exec_lo, s0
	s_delay_alu instid0(SALU_CYCLE_1)
	s_and_b32 exec_lo, exec_lo, s17
.LBB193_112:
	v_dual_sub_nc_u32 v1, v22, v18 :: v_dual_lshrrev_b32 v2, 24, v12
	ds_store_b8 v1, v2
.LBB193_113:
	s_or_b32 exec_lo, exec_lo, s15
	s_delay_alu instid0(SALU_CYCLE_1)
	s_mov_b32 s0, exec_lo
	s_wait_storecnt_dscnt 0x0
	s_barrier_signal -1
	s_barrier_wait -1
	v_cmpx_lt_u32_e64 v0, v16
	s_cbranch_execz .LBB193_127
; %bb.114:
	v_xad_u32 v2, v0, -1, v16
	v_mov_b32_e32 v1, v0
	s_mov_b32 s5, -1
	s_mov_b32 s3, exec_lo
	s_delay_alu instid0(VALU_DEP_2)
	v_cmp_gt_u32_e64 s1, 0x1f00, v2
	v_cmpx_lt_u32_e32 0x1eff, v2
	s_cbranch_execz .LBB193_124
; %bb.115:
	v_sub_nc_u32_e32 v1, v0, v16
	s_delay_alu instid0(VALU_DEP_1) | instskip(NEXT) | instid1(VALU_DEP_1)
	v_or_b32_e32 v1, 0xff, v1
	v_cmp_ge_u32_e32 vcc_lo, v1, v0
	v_mov_b32_e32 v1, v0
	s_and_saveexec_b32 s4, vcc_lo
	s_cbranch_execz .LBB193_123
; %bb.116:
	v_or_b32_e32 v7, 0x700, v0
	v_or_b32_e32 v6, 0x600, v0
	v_dual_mov_b32 v54, 0 :: v_dual_lshrrev_b32 v17, 8, v2
	v_or_b32_e32 v5, 0x500, v0
	v_or_b32_e32 v4, 0x400, v0
	;; [unrolled: 1-line block ×5, first 2 shown]
	v_mov_b64_e32 v[14:15], v[6:7]
	v_mov_b64_e32 v[12:13], v[4:5]
	v_add_nc_u32_e32 v69, -7, v17
	v_mov_b64_e32 v[10:11], v[2:3]
	v_mov_b64_e32 v[8:9], v[0:1]
	s_mov_b32 s5, exec_lo
	s_delay_alu instid0(VALU_DEP_3)
	v_cmpx_lt_u32_e32 7, v69
	s_cbranch_execz .LBB193_120
; %bb.117:
	v_dual_mov_b32 v55, 0 :: v_dual_lshrrev_b32 v8, 3, v69
	s_mov_b32 s6, 0
	s_mov_b32 s7, 0
	s_delay_alu instid0(VALU_DEP_1) | instskip(NEXT) | instid1(VALU_DEP_1)
	v_dual_mov_b32 v70, v0 :: v_dual_add_nc_u32 v8, 1, v8
	v_and_b32_e32 v71, 0x3ffffffe, v8
	v_mov_b64_e32 v[14:15], v[6:7]
	v_mov_b64_e32 v[12:13], v[4:5]
	;; [unrolled: 1-line block ×4, first 2 shown]
.LBB193_118:                            ; =>This Inner Loop Header: Depth=1
	s_delay_alu instid0(VALU_DEP_1)
	v_dual_mov_b32 v54, v8 :: v_dual_mov_b32 v79, v55
	v_add_nc_u32_e32 v71, -2, v71
	s_add_co_i32 s7, s7, 16
	s_delay_alu instid0(VALU_DEP_3) | instid1(SALU_CYCLE_1)
	v_dual_mov_b32 v1, s7 :: v_dual_add_nc_u32 v78, 0x800, v9
	s_delay_alu instid0(VALU_DEP_3)
	v_add_nc_u64_e32 v[80:81], v[52:53], v[54:55]
	v_dual_mov_b32 v54, v9 :: v_dual_add_nc_u32 v9, 0x1000, v9
	ds_load_u8 v88, v70
	ds_load_u8 v89, v70 offset:256
	ds_load_u8 v90, v70 offset:512
	;; [unrolled: 1-line block ×7, first 2 shown]
	v_dual_mov_b32 v5, v55 :: v_dual_add_nc_u32 v74, 0x800, v11
	v_add_nc_u64_e32 v[82:83], v[52:53], v[54:55]
	v_mov_b32_e32 v54, v10
	ds_load_u8 v96, v70 offset:2048
	ds_load_u8 v97, v70 offset:2304
	;; [unrolled: 1-line block ×8, first 2 shown]
	v_dual_mov_b32 v77, v55 :: v_dual_add_nc_u32 v2, 0x800, v15
	s_wait_dscnt 0xf
	global_store_b8 v[80:81], v88, off
	s_wait_dscnt 0xe
	global_store_b8 v[82:83], v89, off
	v_add_nc_u64_e32 v[84:85], v[52:53], v[54:55]
	v_dual_mov_b32 v54, v11 :: v_dual_add_nc_u32 v11, 0x1000, v11
	v_dual_mov_b32 v3, v55 :: v_dual_add_nc_u32 v76, 0x800, v10
	;; [unrolled: 1-line block ×3, first 2 shown]
	s_delay_alu instid0(VALU_DEP_3)
	v_add_nc_u64_e32 v[86:87], v[52:53], v[54:55]
	v_mov_b32_e32 v54, v12
	s_wait_dscnt 0xd
	global_store_b8 v[84:85], v90, off
	v_dual_mov_b32 v73, v55 :: v_dual_add_nc_u32 v6, 0x800, v13
	v_dual_mov_b32 v7, v55 :: v_dual_add_nc_u32 v72, 0x800, v12
	s_wait_xcnt 0x2
	v_add_nc_u64_e32 v[80:81], v[52:53], v[54:55]
	v_mov_b32_e32 v54, v13
	s_wait_dscnt 0xc
	global_store_b8 v[86:87], v91, off
	v_cmp_eq_u32_e32 vcc_lo, 0, v71
	v_add_nc_u32_e32 v70, 0x1000, v70
	v_add_nc_u64_e32 v[78:79], v[52:53], v[78:79]
	s_wait_xcnt 0x2
	v_add_nc_u64_e32 v[82:83], v[52:53], v[54:55]
	v_mov_b32_e32 v54, v14
	s_wait_dscnt 0xb
	global_store_b8 v[80:81], v92, off
	v_add_nc_u32_e32 v10, 0x1000, v10
	v_add_nc_u32_e32 v12, 0x1000, v12
	v_add_nc_u32_e32 v13, 0x1000, v13
	s_wait_xcnt 0x0
	v_add_nc_u64_e32 v[80:81], v[52:53], v[54:55]
	v_mov_b32_e32 v54, v15
	s_wait_dscnt 0xa
	global_store_b8 v[82:83], v93, off
	v_add_nc_u32_e32 v14, 0x1000, v14
	v_add_nc_u32_e32 v15, 0x1000, v15
	v_add_nc_u64_e32 v[76:77], v[52:53], v[76:77]
	s_wait_xcnt 0x0
	v_add_nc_u64_e32 v[82:83], v[52:53], v[54:55]
	v_add_nc_u32_e32 v54, 0x800, v8
	s_wait_dscnt 0x9
	global_store_b8 v[80:81], v94, off
	v_add_nc_u32_e32 v8, 0x1000, v8
	v_add_nc_u64_e32 v[74:75], v[52:53], v[74:75]
	v_add_nc_u64_e32 v[72:73], v[52:53], v[72:73]
	s_wait_xcnt 0x0
	v_add_nc_u64_e32 v[80:81], v[52:53], v[54:55]
	s_or_b32 s6, vcc_lo, s6
	v_add_nc_u64_e32 v[6:7], v[52:53], v[6:7]
	v_add_nc_u64_e32 v[4:5], v[52:53], v[4:5]
	;; [unrolled: 1-line block ×3, first 2 shown]
	s_wait_dscnt 0x8
	global_store_b8 v[82:83], v95, off
	s_wait_dscnt 0x7
	global_store_b8 v[80:81], v96, off
	;; [unrolled: 2-line block ×9, first 2 shown]
	s_wait_xcnt 0x0
	s_and_not1_b32 exec_lo, exec_lo, s6
	s_cbranch_execnz .LBB193_118
; %bb.119:
	s_or_b32 exec_lo, exec_lo, s6
	v_lshlrev_b32_e32 v54, 8, v1
.LBB193_120:
	s_or_b32 exec_lo, exec_lo, s5
	v_and_b32_e32 v1, 8, v69
	s_mov_b32 s5, exec_lo
	s_delay_alu instid0(VALU_DEP_1)
	v_cmpx_eq_u32_e32 0, v1
	s_cbranch_execz .LBB193_122
; %bb.121:
	v_dual_mov_b32 v3, 0 :: v_dual_mov_b32 v2, v8
	v_or_b32_e32 v1, v0, v54
	ds_load_u8 v69, v1
	ds_load_u8 v72, v1 offset:256
	ds_load_u8 v73, v1 offset:512
	;; [unrolled: 1-line block ×7, first 2 shown]
	v_add_nc_u64_e32 v[4:5], v[52:53], v[2:3]
	v_mov_b32_e32 v2, v9
	s_delay_alu instid0(VALU_DEP_1) | instskip(SKIP_1) | instid1(VALU_DEP_1)
	v_add_nc_u64_e32 v[6:7], v[52:53], v[2:3]
	v_mov_b32_e32 v2, v10
	v_add_nc_u64_e32 v[8:9], v[52:53], v[2:3]
	v_mov_b32_e32 v2, v11
	s_delay_alu instid0(VALU_DEP_1) | instskip(SKIP_1) | instid1(VALU_DEP_1)
	v_add_nc_u64_e32 v[10:11], v[52:53], v[2:3]
	v_mov_b32_e32 v2, v12
	v_add_nc_u64_e32 v[54:55], v[52:53], v[2:3]
	v_mov_b32_e32 v2, v13
	s_delay_alu instid0(VALU_DEP_1) | instskip(SKIP_1) | instid1(VALU_DEP_1)
	v_add_nc_u64_e32 v[12:13], v[52:53], v[2:3]
	v_mov_b32_e32 v2, v14
	v_add_nc_u64_e32 v[70:71], v[52:53], v[2:3]
	v_mov_b32_e32 v2, v15
	s_delay_alu instid0(VALU_DEP_1)
	v_add_nc_u64_e32 v[2:3], v[52:53], v[2:3]
	s_wait_dscnt 0x7
	global_store_b8 v[4:5], v69, off
	s_wait_dscnt 0x6
	global_store_b8 v[6:7], v72, off
	;; [unrolled: 2-line block ×8, first 2 shown]
.LBB193_122:
	s_wait_xcnt 0x0
	s_or_b32 exec_lo, exec_lo, s5
	v_add_nc_u32_e32 v1, 1, v17
	s_delay_alu instid0(VALU_DEP_1) | instskip(NEXT) | instid1(VALU_DEP_1)
	v_and_b32_e32 v2, 0x1fffff8, v1
	v_cmp_ne_u32_e32 vcc_lo, v1, v2
	v_lshl_or_b32 v1, v2, 8, v0
	s_or_not1_b32 s5, vcc_lo, exec_lo
.LBB193_123:
	s_or_b32 exec_lo, exec_lo, s4
	s_delay_alu instid0(SALU_CYCLE_1) | instskip(SKIP_1) | instid1(SALU_CYCLE_1)
	s_and_not1_b32 s1, s1, exec_lo
	s_and_b32 s4, s5, exec_lo
	s_or_b32 s1, s1, s4
.LBB193_124:
	s_or_b32 exec_lo, exec_lo, s3
	s_delay_alu instid0(SALU_CYCLE_1)
	s_and_b32 exec_lo, exec_lo, s1
	s_cbranch_execz .LBB193_127
; %bb.125:
	s_mov_b32 s1, 0
.LBB193_126:                            ; =>This Inner Loop Header: Depth=1
	ds_load_u8 v2, v1
	v_readfirstlane_b32 s4, v52
	v_readfirstlane_b32 s5, v53
	s_wait_dscnt 0x0
	global_store_b8 v1, v2, s[4:5]
	s_wait_xcnt 0x0
	v_add_nc_u32_e32 v1, 0x100, v1
	s_delay_alu instid0(VALU_DEP_1) | instskip(SKIP_1) | instid1(SALU_CYCLE_1)
	v_cmp_ge_u32_e32 vcc_lo, v1, v16
	s_or_b32 s1, vcc_lo, s1
	s_and_not1_b32 exec_lo, exec_lo, s1
	s_cbranch_execnz .LBB193_126
.LBB193_127:
	s_or_b32 exec_lo, exec_lo, s0
.LBB193_128:
	s_cmp_lg_u32 s23, 0xe00
	v_cndmask_b32_e64 v6, 0, 1, s21
	s_cselect_b32 s0, -1, 0
	s_lshr_b32 s1, s23, 1
	s_and_b32 s0, s0, s22
	v_mad_i32_i24 v3, v0, -14, s23
	v_cndmask_b32_e64 v2, 0, 1, s0
	s_mul_hi_u32 s0, s1, 0x92492493
	s_and_b32 s1, s2, s21
	s_lshr_b32 s0, s0, 2
	v_cndmask_b32_e64 v4, v68, 0, s1
	v_cmp_eq_u32_e32 vcc_lo, s0, v0
	v_cmp_ne_u32_e64 s0, 0, v3
	v_sub_nc_u32_e32 v1, v16, v6
	s_mov_b32 s15, -1
	s_wait_storecnt 0x0
	s_and_b32 vcc_lo, vcc_lo, s22
	s_barrier_signal -1
	v_dual_add_nc_u32 v1, v1, v2 :: v_dual_cndmask_b32 v2, 1, v4, s0
	v_cmp_ne_u32_e64 s0, 1, v3
	s_barrier_wait -1
	s_delay_alu instid0(VALU_DEP_1) | instskip(SKIP_1) | instid1(VALU_DEP_2)
	v_dual_cndmask_b32 v54, v4, v2, vcc_lo :: v_dual_cndmask_b32 v5, 1, v67, s0
	v_cmp_ne_u32_e64 s0, 2, v3
	v_cmp_ne_u32_e64 s13, 0, v54
	s_delay_alu instid0(VALU_DEP_2) | instskip(SKIP_1) | instid1(VALU_DEP_1)
	v_cndmask_b32_e64 v7, 1, v66, s0
	v_cmp_ne_u32_e64 s0, 3, v3
	v_cndmask_b32_e64 v8, 1, v65, s0
	v_cmp_ne_u32_e64 s0, 4, v3
	s_delay_alu instid0(VALU_DEP_4) | instskip(SKIP_1) | instid1(VALU_DEP_3)
	v_dual_cndmask_b32 v55, v67, v5, vcc_lo :: v_dual_cndmask_b32 v7, v66, v7, vcc_lo
	v_lshlrev_b64_e32 v[4:5], 3, v[18:19]
	v_cndmask_b32_e64 v9, 1, v63, s0
	v_cmp_ne_u32_e64 s0, 5, v3
	s_delay_alu instid0(VALU_DEP_4) | instskip(SKIP_1) | instid1(VALU_DEP_3)
	v_cmp_ne_u32_e64 s11, 0, v7
	v_cmp_ne_u32_e64 s12, 0, v55
	v_cndmask_b32_e64 v10, 1, v64, s0
	v_cmp_ne_u32_e64 s0, 6, v3
	v_dual_cndmask_b32 v8, v65, v8 :: v_dual_cndmask_b32 v9, v63, v9
	s_delay_alu instid0(VALU_DEP_3) | instskip(NEXT) | instid1(VALU_DEP_3)
	v_cndmask_b32_e32 v10, v64, v10, vcc_lo
	v_cndmask_b32_e64 v11, 1, v62, s0
	v_cmp_ne_u32_e64 s0, 7, v3
	s_delay_alu instid0(VALU_DEP_4) | instskip(SKIP_2) | instid1(VALU_DEP_4)
	v_cmp_ne_u32_e64 s10, 0, v8
	v_cmp_ne_u32_e64 s9, 0, v9
	;; [unrolled: 1-line block ×3, first 2 shown]
	v_cndmask_b32_e64 v12, 1, v60, s0
	v_cmp_ne_u32_e64 s0, 8, v3
	s_delay_alu instid0(VALU_DEP_1) | instskip(SKIP_1) | instid1(VALU_DEP_2)
	v_dual_cndmask_b32 v11, v62, v11, vcc_lo :: v_dual_cndmask_b32 v13, 1, v58, s0
	v_cmp_ne_u32_e64 s0, 9, v3
	v_cmp_ne_u32_e64 s7, 0, v11
	s_delay_alu instid0(VALU_DEP_2) | instskip(SKIP_2) | instid1(VALU_DEP_2)
	v_cndmask_b32_e64 v14, 1, v57, s0
	v_cmp_ne_u32_e64 s0, 10, v3
	v_dual_cndmask_b32 v12, v60, v12 :: v_dual_cndmask_b32 v13, v58, v13
	v_dual_cndmask_b32 v14, v57, v14, vcc_lo :: v_dual_cndmask_b32 v15, 1, v21, s0
	v_cmp_ne_u32_e64 s0, 13, v3
	s_delay_alu instid0(VALU_DEP_3) | instskip(NEXT) | instid1(VALU_DEP_4)
	v_cmp_ne_u32_e64 s6, 0, v12
	v_cmp_ne_u32_e64 s5, 0, v13
	s_delay_alu instid0(VALU_DEP_4) | instskip(NEXT) | instid1(VALU_DEP_4)
	v_cmp_ne_u32_e64 s4, 0, v14
	v_cndmask_b32_e64 v17, 1, v61, s0
	v_cmp_ne_u32_e64 s0, 12, v3
	s_delay_alu instid0(VALU_DEP_1) | instskip(SKIP_2) | instid1(VALU_DEP_3)
	v_cndmask_b32_e64 v52, 1, v59, s0
	v_cmp_ne_u32_e64 s0, 11, v3
	v_lshlrev_b64_e32 v[2:3], 3, v[50:51]
	v_dual_cndmask_b32 v15, v21, v15 :: v_dual_cndmask_b32 v52, v59, v52
	s_delay_alu instid0(VALU_DEP_3) | instskip(SKIP_1) | instid1(VALU_DEP_4)
	v_dual_cndmask_b32 v53, 1, v56, s0 :: v_dual_cndmask_b32 v17, v61, v17, vcc_lo
	v_cmp_eq_u32_e64 s0, 0, v54
	v_add_nc_u64_e32 v[2:3], s[26:27], v[2:3]
	s_delay_alu instid0(VALU_DEP_4) | instskip(NEXT) | instid1(VALU_DEP_4)
	v_cmp_ne_u32_e64 s3, 0, v15
	v_cndmask_b32_e32 v53, v56, v53, vcc_lo
	v_cmp_eq_u32_e32 vcc_lo, 0, v13
	v_cndmask_b32_e64 v59, 1, 2, s0
	v_cmp_eq_u32_e64 s0, 0, v55
	v_cmp_ne_u32_e64 s1, 0, v52
	v_add_nc_u64_e32 v[2:3], v[2:3], v[4:5]
	v_dual_mov_b32 v5, 0 :: v_dual_lshlrev_b32 v4, 3, v6
	s_delay_alu instid0(VALU_DEP_4)
	v_cndmask_b32_e64 v61, 1, 2, s0
	v_cmp_eq_u32_e64 s0, 0, v7
	v_add_nc_u32_e32 v6, v18, v6
	v_cmp_ne_u32_e64 s2, 0, v53
	v_add_nc_u64_e32 v[4:5], v[2:3], v[4:5]
	v_and_b32_e32 v59, v61, v59
	v_cndmask_b32_e64 v61, 1, 2, s0
	v_cmp_eq_u32_e64 s0, 0, v8
	s_delay_alu instid0(VALU_DEP_4) | instskip(NEXT) | instid1(VALU_DEP_2)
	v_add_nc_u64_e32 v[4:5], -8, v[4:5]
	v_cndmask_b32_e64 v64, 1, 2, s0
	v_cmp_eq_u32_e64 s0, 0, v9
	s_delay_alu instid0(VALU_DEP_2) | instskip(NEXT) | instid1(VALU_DEP_2)
	v_bitop3_b16 v59, v59, v64, v61 bitop3:0x80
	v_cndmask_b32_e64 v61, 1, 2, s0
	v_cmp_eq_u32_e64 s0, 0, v10
	s_delay_alu instid0(VALU_DEP_1) | instskip(SKIP_1) | instid1(VALU_DEP_2)
	v_cndmask_b32_e64 v63, 1, 2, s0
	v_cmp_eq_u32_e64 s0, 0, v11
	v_bitop3_b16 v56, v59, v63, v61 bitop3:0x80
	s_delay_alu instid0(VALU_DEP_2) | instskip(SKIP_1) | instid1(VALU_DEP_1)
	v_cndmask_b32_e64 v59, 1, 2, s0
	v_cmp_eq_u32_e64 s0, 0, v12
	v_cndmask_b32_e64 v60, 1, 2, s0
	v_cmp_ne_u32_e64 s0, 0, v17
	s_delay_alu instid0(VALU_DEP_2) | instskip(SKIP_4) | instid1(VALU_DEP_2)
	v_bitop3_b16 v21, v56, v60, v59 bitop3:0x80
	v_cndmask_b32_e64 v56, 1, 2, vcc_lo
	v_cmp_eq_u32_e32 vcc_lo, 0, v14
	v_cndmask_b32_e64 v57, 1, 2, vcc_lo
	v_cmp_eq_u32_e32 vcc_lo, 0, v15
	v_bitop3_b16 v7, v21, v57, v56 bitop3:0x80
	v_cndmask_b32_e64 v21, 1, 2, vcc_lo
	v_cmp_eq_u32_e32 vcc_lo, 0, v53
	v_cndmask_b32_e64 v54, 1, 2, vcc_lo
	v_cmp_eq_u32_e32 vcc_lo, 0, v52
	s_delay_alu instid0(VALU_DEP_2) | instskip(SKIP_4) | instid1(VALU_DEP_2)
	v_bitop3_b16 v7, v7, v54, v21 bitop3:0x80
	v_cndmask_b32_e64 v8, 1, 2, vcc_lo
	v_cmp_eq_u32_e32 vcc_lo, 0, v17
	v_cndmask_b32_e64 v9, 1, 2, vcc_lo
	v_cmp_gt_u32_e32 vcc_lo, 0x100, v1
	v_bitop3_b16 v7, v7, v9, v8 bitop3:0x80
	s_delay_alu instid0(VALU_DEP_1)
	v_cmp_gt_i16_e64 s14, 2, v7
	s_cbranch_vccnz .LBB193_132
; %bb.129:
	s_and_b32 vcc_lo, exec_lo, s15
	s_cbranch_vccnz .LBB193_138
.LBB193_130:
	v_cmp_eq_u32_e32 vcc_lo, 0xff, v0
	s_and_b32 s0, vcc_lo, s22
	s_delay_alu instid0(SALU_CYCLE_1)
	s_and_saveexec_b32 s1, s0
	s_cbranch_execnz .LBB193_147
.LBB193_131:
	s_sendmsg sendmsg(MSG_DEALLOC_VGPRS)
	s_endpgm
.LBB193_132:
	s_and_saveexec_b32 s15, s14
	s_cbranch_execz .LBB193_137
; %bb.133:
	s_mov_b32 s16, 0
	s_mov_b32 s14, exec_lo
	v_cmpx_ne_u16_e32 1, v7
	s_xor_b32 s14, exec_lo, s14
	s_cbranch_execnz .LBB193_181
; %bb.134:
	s_and_not1_saveexec_b32 s14, s14
	s_cbranch_execnz .LBB193_196
.LBB193_135:
	s_or_b32 exec_lo, exec_lo, s14
	s_delay_alu instid0(SALU_CYCLE_1)
	s_and_b32 exec_lo, exec_lo, s16
	s_cbranch_execz .LBB193_137
.LBB193_136:
	v_dual_mov_b32 v9, 0 :: v_dual_mov_b32 v8, v23
	v_sub_nc_u32_e32 v10, v22, v6
	v_readfirstlane_b32 s16, v4
	v_readfirstlane_b32 s17, v5
	global_store_b64 v10, v[8:9], s[16:17] scale_offset
.LBB193_137:
	s_wait_xcnt 0x0
	s_or_b32 exec_lo, exec_lo, s15
	s_branch .LBB193_130
.LBB193_138:
	s_mov_b32 s14, exec_lo
	v_cmpx_gt_i16_e32 2, v7
	s_cbranch_execz .LBB193_143
; %bb.139:
	s_mov_b32 s16, 0
	s_mov_b32 s15, exec_lo
	v_cmpx_ne_u16_e32 1, v7
	s_xor_b32 s15, exec_lo, s15
	s_cbranch_execnz .LBB193_197
; %bb.140:
	s_and_not1_saveexec_b32 s0, s15
	s_cbranch_execnz .LBB193_212
.LBB193_141:
	s_or_b32 exec_lo, exec_lo, s0
	s_delay_alu instid0(SALU_CYCLE_1)
	s_and_b32 exec_lo, exec_lo, s16
.LBB193_142:
	v_sub_nc_u32_e32 v6, v22, v6
	s_delay_alu instid0(VALU_DEP_1)
	v_lshlrev_b32_e32 v6, 2, v6
	ds_store_b32 v6, v23
.LBB193_143:
	s_or_b32 exec_lo, exec_lo, s14
	s_delay_alu instid0(SALU_CYCLE_1)
	s_mov_b32 s0, exec_lo
	s_wait_storecnt_dscnt 0x0
	s_barrier_signal -1
	s_barrier_wait -1
	v_cmpx_lt_u32_e64 v0, v1
	s_cbranch_execz .LBB193_146
; %bb.144:
	v_dual_mov_b32 v7, 0 :: v_dual_lshlrev_b32 v8, 2, v0
	v_mov_b32_e32 v9, v0
	s_mov_b32 s1, 0
.LBB193_145:                            ; =>This Inner Loop Header: Depth=1
	ds_load_b32 v6, v8
	v_readfirstlane_b32 s2, v4
	v_readfirstlane_b32 s3, v5
	v_add_nc_u32_e32 v8, 0x400, v8
	s_wait_dscnt 0x0
	global_store_b64 v9, v[6:7], s[2:3] scale_offset
	s_wait_xcnt 0x0
	v_add_nc_u32_e32 v9, 0x100, v9
	s_delay_alu instid0(VALU_DEP_1) | instskip(SKIP_1) | instid1(SALU_CYCLE_1)
	v_cmp_ge_u32_e32 vcc_lo, v9, v1
	s_or_b32 s1, vcc_lo, s1
	s_and_not1_b32 exec_lo, exec_lo, s1
	s_cbranch_execnz .LBB193_145
.LBB193_146:
	s_or_b32 exec_lo, exec_lo, s0
	v_cmp_eq_u32_e32 vcc_lo, 0xff, v0
	s_and_b32 s0, vcc_lo, s22
	s_delay_alu instid0(SALU_CYCLE_1)
	s_and_saveexec_b32 s1, s0
	s_cbranch_execz .LBB193_131
.LBB193_147:
	v_mov_b32_e32 v17, 0
	s_cmp_lg_u32 s23, 0xe00
	s_delay_alu instid0(VALU_DEP_1) | instskip(NEXT) | instid1(VALU_DEP_1)
	v_add_nc_u64_e32 v[0:1], v[16:17], v[18:19]
	v_add_nc_u64_e32 v[0:1], v[0:1], v[50:51]
	global_store_b64 v17, v[0:1], s[34:35]
	s_cbranch_scc1 .LBB193_131
; %bb.148:
	s_wait_xcnt 0x0
	v_lshlrev_b64_e32 v[0:1], 3, v[16:17]
	v_mov_b32_e32 v21, v17
	s_delay_alu instid0(VALU_DEP_2)
	v_add_nc_u64_e32 v[0:1], v[2:3], v[0:1]
	global_store_b64 v[0:1], v[20:21], off offset:-8
	s_sendmsg sendmsg(MSG_DEALLOC_VGPRS)
	s_endpgm
.LBB193_149:
	s_and_saveexec_b32 s17, s14
	s_cbranch_execnz .LBB193_213
; %bb.150:
	s_or_b32 exec_lo, exec_lo, s17
	s_and_saveexec_b32 s17, s13
	s_cbranch_execnz .LBB193_214
.LBB193_151:
	s_or_b32 exec_lo, exec_lo, s17
	s_and_saveexec_b32 s17, s12
	s_cbranch_execnz .LBB193_215
.LBB193_152:
	s_or_b32 exec_lo, exec_lo, s17
	s_and_saveexec_b32 s17, s11
	s_cbranch_execnz .LBB193_216
.LBB193_153:
	s_or_b32 exec_lo, exec_lo, s17
	s_and_saveexec_b32 s17, s10
	s_cbranch_execnz .LBB193_217
.LBB193_154:
	s_or_b32 exec_lo, exec_lo, s17
	s_and_saveexec_b32 s17, s9
	s_cbranch_execnz .LBB193_218
.LBB193_155:
	s_or_b32 exec_lo, exec_lo, s17
	s_and_saveexec_b32 s17, s8
	s_cbranch_execnz .LBB193_219
.LBB193_156:
	s_or_b32 exec_lo, exec_lo, s17
	s_and_saveexec_b32 s17, s7
	s_cbranch_execnz .LBB193_220
.LBB193_157:
	s_or_b32 exec_lo, exec_lo, s17
	s_and_saveexec_b32 s17, s6
	s_cbranch_execnz .LBB193_221
.LBB193_158:
	s_or_b32 exec_lo, exec_lo, s17
	s_and_saveexec_b32 s17, s5
	s_cbranch_execnz .LBB193_222
.LBB193_159:
	s_or_b32 exec_lo, exec_lo, s17
	s_and_saveexec_b32 s17, s4
	s_cbranch_execnz .LBB193_223
.LBB193_160:
	s_or_b32 exec_lo, exec_lo, s17
	s_and_saveexec_b32 s17, s3
	s_cbranch_execnz .LBB193_224
.LBB193_161:
	s_or_b32 exec_lo, exec_lo, s17
	s_and_saveexec_b32 s17, s1
	s_cbranch_execz .LBB193_163
.LBB193_162:
	v_sub_nc_u32_e32 v3, v28, v18
	v_readfirstlane_b32 s18, v52
	v_readfirstlane_b32 s19, v53
	global_store_d16_hi_b8 v3, v12, s[18:19]
.LBB193_163:
	s_wait_xcnt 0x0
	s_or_b32 exec_lo, exec_lo, s17
	s_delay_alu instid0(SALU_CYCLE_1)
	s_and_b32 s17, s0, exec_lo
	s_and_not1_saveexec_b32 s15, s15
	s_cbranch_execz .LBB193_104
.LBB193_164:
	v_dual_sub_nc_u32 v3, v44, v18 :: v_dual_sub_nc_u32 v5, v46, v18
	v_readfirstlane_b32 s18, v52
	v_readfirstlane_b32 s19, v53
	v_sub_nc_u32_e32 v4, v48, v18
	s_clause 0x2
	global_store_b8 v3, v1, s[18:19]
	global_store_b8 v4, v13, s[18:19]
	;; [unrolled: 1-line block ×3, first 2 shown]
	s_wait_xcnt 0x2
	v_sub_nc_u32_e32 v3, v42, v18
	s_wait_xcnt 0x1
	v_dual_lshrrev_b32 v4, 8, v10 :: v_dual_lshrrev_b32 v7, 24, v10
	s_wait_xcnt 0x0
	v_dual_sub_nc_u32 v5, v38, v18 :: v_dual_sub_nc_u32 v6, v32, v18
	v_dual_sub_nc_u32 v8, v34, v18 :: v_dual_sub_nc_u32 v9, v40, v18
	v_lshrrev_b32_e32 v14, 8, v11
	s_clause 0x4
	global_store_b8 v3, v4, s[18:19]
	global_store_d16_hi_b8 v5, v10, s[18:19]
	global_store_b8 v6, v7, s[18:19]
	global_store_b8 v8, v11, s[18:19]
	global_store_b8 v9, v14, s[18:19]
	s_wait_xcnt 0x4
	v_dual_sub_nc_u32 v3, v24, v18 :: v_dual_sub_nc_u32 v4, v26, v18
	s_wait_xcnt 0x1
	v_dual_lshrrev_b32 v5, 24, v11 :: v_dual_lshrrev_b32 v8, 8, v12
	v_dual_sub_nc_u32 v6, v30, v18 :: v_dual_sub_nc_u32 v7, v36, v18
	global_store_d16_hi_b8 v3, v11, s[18:19]
	s_wait_xcnt 0x0
	v_sub_nc_u32_e32 v3, v28, v18
	s_or_b32 s17, s17, exec_lo
	s_clause 0x3
	global_store_b8 v4, v5, s[18:19]
	global_store_b8 v6, v12, s[18:19]
	;; [unrolled: 1-line block ×3, first 2 shown]
	global_store_d16_hi_b8 v3, v12, s[18:19]
	s_wait_xcnt 0x0
	s_or_b32 exec_lo, exec_lo, s15
	s_delay_alu instid0(SALU_CYCLE_1)
	s_and_b32 exec_lo, exec_lo, s17
	s_cbranch_execnz .LBB193_105
	s_branch .LBB193_106
.LBB193_165:
	s_and_saveexec_b32 s17, s14
	s_cbranch_execnz .LBB193_225
; %bb.166:
	s_or_b32 exec_lo, exec_lo, s17
	s_and_saveexec_b32 s14, s13
	s_cbranch_execnz .LBB193_226
.LBB193_167:
	s_or_b32 exec_lo, exec_lo, s14
	s_and_saveexec_b32 s13, s12
	s_cbranch_execnz .LBB193_227
.LBB193_168:
	s_or_b32 exec_lo, exec_lo, s13
	s_and_saveexec_b32 s12, s11
	s_cbranch_execnz .LBB193_228
.LBB193_169:
	s_or_b32 exec_lo, exec_lo, s12
	s_and_saveexec_b32 s11, s10
	s_cbranch_execnz .LBB193_229
.LBB193_170:
	s_or_b32 exec_lo, exec_lo, s11
	s_and_saveexec_b32 s10, s9
	s_cbranch_execnz .LBB193_230
.LBB193_171:
	s_or_b32 exec_lo, exec_lo, s10
	s_and_saveexec_b32 s9, s8
	s_cbranch_execnz .LBB193_231
.LBB193_172:
	s_or_b32 exec_lo, exec_lo, s9
	s_and_saveexec_b32 s8, s7
	s_cbranch_execnz .LBB193_232
.LBB193_173:
	s_or_b32 exec_lo, exec_lo, s8
	s_and_saveexec_b32 s7, s6
	s_cbranch_execnz .LBB193_233
.LBB193_174:
	s_or_b32 exec_lo, exec_lo, s7
	s_and_saveexec_b32 s6, s5
	s_cbranch_execnz .LBB193_234
.LBB193_175:
	s_or_b32 exec_lo, exec_lo, s6
	s_and_saveexec_b32 s5, s4
	s_cbranch_execnz .LBB193_235
.LBB193_176:
	s_or_b32 exec_lo, exec_lo, s5
	s_and_saveexec_b32 s4, s3
	s_cbranch_execnz .LBB193_236
.LBB193_177:
	s_or_b32 exec_lo, exec_lo, s4
	s_and_saveexec_b32 s3, s1
.LBB193_178:
	v_sub_nc_u32_e32 v1, v28, v18
	ds_store_b8_d16_hi v1, v12
.LBB193_179:
	s_or_b32 exec_lo, exec_lo, s3
	s_delay_alu instid0(SALU_CYCLE_1)
	s_and_b32 s17, s0, exec_lo
                                        ; implicit-def: $vgpr1
                                        ; implicit-def: $vgpr13
	s_and_not1_saveexec_b32 s0, s16
	s_cbranch_execz .LBB193_111
.LBB193_180:
	v_dual_sub_nc_u32 v2, v44, v18 :: v_dual_sub_nc_u32 v4, v46, v18
	v_dual_sub_nc_u32 v3, v48, v18 :: v_dual_sub_nc_u32 v6, v34, v18
	v_sub_nc_u32_e32 v7, v40, v18
	ds_store_b8 v2, v1
	ds_store_b8 v3, v13
	;; [unrolled: 1-line block ×3, first 2 shown]
	v_sub_nc_u32_e32 v1, v42, v18
	v_dual_lshrrev_b32 v2, 8, v10 :: v_dual_lshrrev_b32 v5, 24, v10
	v_dual_sub_nc_u32 v3, v38, v18 :: v_dual_sub_nc_u32 v4, v32, v18
	v_lshrrev_b32_e32 v8, 8, v11
	ds_store_b8 v1, v2
	ds_store_b8_d16_hi v3, v10
	ds_store_b8 v4, v5
	ds_store_b8 v6, v11
	ds_store_b8 v7, v8
	v_dual_sub_nc_u32 v1, v24, v18 :: v_dual_sub_nc_u32 v2, v26, v18
	v_dual_lshrrev_b32 v3, 24, v11 :: v_dual_lshrrev_b32 v6, 8, v12
	v_dual_sub_nc_u32 v4, v30, v18 :: v_dual_sub_nc_u32 v5, v36, v18
	ds_store_b8_d16_hi v1, v11
	v_sub_nc_u32_e32 v1, v28, v18
	s_or_b32 s17, s17, exec_lo
	ds_store_b8 v2, v3
	ds_store_b8 v4, v12
	;; [unrolled: 1-line block ×3, first 2 shown]
	ds_store_b8_d16_hi v1, v12
	s_or_b32 exec_lo, exec_lo, s0
	s_delay_alu instid0(SALU_CYCLE_1)
	s_and_b32 exec_lo, exec_lo, s17
	s_cbranch_execnz .LBB193_112
	s_branch .LBB193_113
.LBB193_181:
	s_and_saveexec_b32 s16, s13
	s_cbranch_execnz .LBB193_237
; %bb.182:
	s_or_b32 exec_lo, exec_lo, s16
	s_and_saveexec_b32 s16, s12
	s_cbranch_execnz .LBB193_238
.LBB193_183:
	s_or_b32 exec_lo, exec_lo, s16
	s_and_saveexec_b32 s16, s11
	s_cbranch_execnz .LBB193_239
.LBB193_184:
	s_or_b32 exec_lo, exec_lo, s16
	s_and_saveexec_b32 s16, s10
	s_cbranch_execnz .LBB193_240
.LBB193_185:
	s_or_b32 exec_lo, exec_lo, s16
	s_and_saveexec_b32 s16, s9
	s_cbranch_execnz .LBB193_241
.LBB193_186:
	s_or_b32 exec_lo, exec_lo, s16
	s_and_saveexec_b32 s16, s8
	s_cbranch_execnz .LBB193_242
.LBB193_187:
	s_or_b32 exec_lo, exec_lo, s16
	s_and_saveexec_b32 s16, s7
	s_cbranch_execnz .LBB193_243
.LBB193_188:
	s_or_b32 exec_lo, exec_lo, s16
	s_and_saveexec_b32 s16, s6
	s_cbranch_execnz .LBB193_244
.LBB193_189:
	s_or_b32 exec_lo, exec_lo, s16
	s_and_saveexec_b32 s16, s5
	s_cbranch_execnz .LBB193_245
.LBB193_190:
	s_or_b32 exec_lo, exec_lo, s16
	s_and_saveexec_b32 s16, s4
	s_cbranch_execnz .LBB193_246
.LBB193_191:
	s_or_b32 exec_lo, exec_lo, s16
	s_and_saveexec_b32 s16, s3
	s_cbranch_execnz .LBB193_247
.LBB193_192:
	s_or_b32 exec_lo, exec_lo, s16
	s_and_saveexec_b32 s16, s2
	s_cbranch_execnz .LBB193_248
.LBB193_193:
	s_or_b32 exec_lo, exec_lo, s16
	s_and_saveexec_b32 s16, s1
	s_cbranch_execz .LBB193_195
.LBB193_194:
	v_dual_mov_b32 v9, 0 :: v_dual_sub_nc_u32 v10, v28, v6
	v_mov_b32_e32 v8, v29
	v_readfirstlane_b32 s18, v4
	v_readfirstlane_b32 s19, v5
	global_store_b64 v10, v[8:9], s[18:19] scale_offset
.LBB193_195:
	s_wait_xcnt 0x0
	s_or_b32 exec_lo, exec_lo, s16
	s_delay_alu instid0(SALU_CYCLE_1)
	s_and_b32 s16, s0, exec_lo
	s_and_not1_saveexec_b32 s14, s14
	s_cbranch_execz .LBB193_135
.LBB193_196:
	v_dual_mov_b32 v9, 0 :: v_dual_mov_b32 v8, v45
	v_sub_nc_u32_e32 v10, v44, v6
	v_readfirstlane_b32 s18, v4
	v_readfirstlane_b32 s19, v5
	v_sub_nc_u32_e32 v11, v46, v6
	s_or_b32 s16, s16, exec_lo
	global_store_b64 v10, v[8:9], s[18:19] scale_offset
	s_wait_xcnt 0x0
	v_dual_sub_nc_u32 v10, v48, v6 :: v_dual_mov_b32 v8, v49
	global_store_b64 v10, v[8:9], s[18:19] scale_offset
	s_wait_xcnt 0x0
	v_dual_mov_b32 v8, v47 :: v_dual_sub_nc_u32 v10, v42, v6
	global_store_b64 v11, v[8:9], s[18:19] scale_offset
	s_wait_xcnt 0x0
	v_dual_mov_b32 v8, v43 :: v_dual_sub_nc_u32 v11, v38, v6
	;; [unrolled: 3-line block ×9, first 2 shown]
	global_store_b64 v11, v[8:9], s[18:19] scale_offset
	s_wait_xcnt 0x0
	v_mov_b32_e32 v8, v37
	global_store_b64 v10, v[8:9], s[18:19] scale_offset
	s_wait_xcnt 0x0
	v_dual_mov_b32 v8, v29 :: v_dual_sub_nc_u32 v10, v28, v6
	global_store_b64 v10, v[8:9], s[18:19] scale_offset
	s_wait_xcnt 0x0
	s_or_b32 exec_lo, exec_lo, s14
	s_delay_alu instid0(SALU_CYCLE_1)
	s_and_b32 exec_lo, exec_lo, s16
	s_cbranch_execnz .LBB193_136
	s_branch .LBB193_137
.LBB193_197:
	s_and_saveexec_b32 s16, s13
	s_cbranch_execnz .LBB193_249
; %bb.198:
	s_or_b32 exec_lo, exec_lo, s16
	s_and_saveexec_b32 s13, s12
	s_cbranch_execnz .LBB193_250
.LBB193_199:
	s_or_b32 exec_lo, exec_lo, s13
	s_and_saveexec_b32 s12, s11
	s_cbranch_execnz .LBB193_251
.LBB193_200:
	s_or_b32 exec_lo, exec_lo, s12
	s_and_saveexec_b32 s11, s10
	s_cbranch_execnz .LBB193_252
.LBB193_201:
	s_or_b32 exec_lo, exec_lo, s11
	s_and_saveexec_b32 s10, s9
	s_cbranch_execnz .LBB193_253
.LBB193_202:
	s_or_b32 exec_lo, exec_lo, s10
	s_and_saveexec_b32 s9, s8
	s_cbranch_execnz .LBB193_254
.LBB193_203:
	s_or_b32 exec_lo, exec_lo, s9
	s_and_saveexec_b32 s8, s7
	s_cbranch_execnz .LBB193_255
.LBB193_204:
	s_or_b32 exec_lo, exec_lo, s8
	s_and_saveexec_b32 s7, s6
	s_cbranch_execnz .LBB193_256
.LBB193_205:
	s_or_b32 exec_lo, exec_lo, s7
	s_and_saveexec_b32 s6, s5
	s_cbranch_execnz .LBB193_257
.LBB193_206:
	s_or_b32 exec_lo, exec_lo, s6
	s_and_saveexec_b32 s5, s4
	s_cbranch_execnz .LBB193_258
.LBB193_207:
	s_or_b32 exec_lo, exec_lo, s5
	s_and_saveexec_b32 s4, s3
	s_cbranch_execnz .LBB193_259
.LBB193_208:
	s_or_b32 exec_lo, exec_lo, s4
	s_and_saveexec_b32 s3, s2
	s_cbranch_execnz .LBB193_260
.LBB193_209:
	s_or_b32 exec_lo, exec_lo, s3
	s_and_saveexec_b32 s2, s1
.LBB193_210:
	v_sub_nc_u32_e32 v7, v28, v6
	s_delay_alu instid0(VALU_DEP_1)
	v_lshlrev_b32_e32 v7, 2, v7
	ds_store_b32 v7, v29
.LBB193_211:
	s_or_b32 exec_lo, exec_lo, s2
	s_delay_alu instid0(SALU_CYCLE_1)
	s_and_b32 s16, s0, exec_lo
                                        ; implicit-def: $vgpr28_vgpr29
                                        ; implicit-def: $vgpr36_vgpr37
                                        ; implicit-def: $vgpr30_vgpr31
                                        ; implicit-def: $vgpr44_vgpr45
                                        ; implicit-def: $vgpr48_vgpr49
                                        ; implicit-def: $vgpr46_vgpr47
                                        ; implicit-def: $vgpr42_vgpr43
                                        ; implicit-def: $vgpr38_vgpr39
                                        ; implicit-def: $vgpr32_vgpr33
                                        ; implicit-def: $vgpr34_vgpr35
                                        ; implicit-def: $vgpr40_vgpr41
                                        ; implicit-def: $vgpr24_vgpr25
                                        ; implicit-def: $vgpr26_vgpr27
	s_and_not1_saveexec_b32 s0, s15
	s_cbranch_execz .LBB193_141
.LBB193_212:
	v_dual_sub_nc_u32 v7, v44, v6 :: v_dual_sub_nc_u32 v9, v46, v6
	v_dual_sub_nc_u32 v8, v48, v6 :: v_dual_sub_nc_u32 v10, v42, v6
	s_delay_alu instid0(VALU_DEP_2) | instskip(NEXT) | instid1(VALU_DEP_2)
	v_dual_sub_nc_u32 v11, v38, v6 :: v_dual_lshlrev_b32 v7, 2, v7
	v_dual_lshlrev_b32 v9, 2, v9 :: v_dual_lshlrev_b32 v8, 2, v8
	s_or_b32 s16, s16, exec_lo
	ds_store_b32 v7, v45
	ds_store_b32 v8, v49
	;; [unrolled: 1-line block ×3, first 2 shown]
	v_sub_nc_u32_e32 v7, v32, v6
	v_lshlrev_b32_e32 v9, 2, v10
	v_dual_sub_nc_u32 v10, v40, v6 :: v_dual_sub_nc_u32 v8, v34, v6
	v_lshlrev_b32_e32 v11, 2, v11
	s_delay_alu instid0(VALU_DEP_4)
	v_lshlrev_b32_e32 v7, 2, v7
	ds_store_b32 v9, v43
	v_dual_lshlrev_b32 v9, 2, v10 :: v_dual_lshlrev_b32 v8, 2, v8
	ds_store_b32 v11, v39
	ds_store_b32 v7, v33
	;; [unrolled: 1-line block ×3, first 2 shown]
	v_dual_sub_nc_u32 v7, v24, v6 :: v_dual_sub_nc_u32 v8, v26, v6
	ds_store_b32 v9, v41
	v_dual_sub_nc_u32 v9, v30, v6 :: v_dual_sub_nc_u32 v10, v36, v6
	v_dual_lshlrev_b32 v7, 2, v7 :: v_dual_sub_nc_u32 v11, v28, v6
	s_delay_alu instid0(VALU_DEP_2) | instskip(NEXT) | instid1(VALU_DEP_3)
	v_dual_lshlrev_b32 v8, 2, v8 :: v_dual_lshlrev_b32 v9, 2, v9
	v_lshlrev_b32_e32 v10, 2, v10
	ds_store_b32 v7, v25
	v_lshlrev_b32_e32 v7, 2, v11
	ds_store_b32 v8, v27
	ds_store_b32 v9, v31
	;; [unrolled: 1-line block ×4, first 2 shown]
	s_or_b32 exec_lo, exec_lo, s0
	s_delay_alu instid0(SALU_CYCLE_1)
	s_and_b32 exec_lo, exec_lo, s16
	s_cbranch_execnz .LBB193_142
	s_branch .LBB193_143
.LBB193_213:
	v_sub_nc_u32_e32 v3, v44, v18
	v_readfirstlane_b32 s18, v52
	v_readfirstlane_b32 s19, v53
	global_store_b8 v3, v1, s[18:19]
	s_wait_xcnt 0x0
	s_or_b32 exec_lo, exec_lo, s17
	s_and_saveexec_b32 s17, s13
	s_cbranch_execz .LBB193_151
.LBB193_214:
	v_sub_nc_u32_e32 v3, v48, v18
	v_readfirstlane_b32 s18, v52
	v_readfirstlane_b32 s19, v53
	global_store_b8 v3, v13, s[18:19]
	s_wait_xcnt 0x0
	s_or_b32 exec_lo, exec_lo, s17
	s_and_saveexec_b32 s17, s12
	s_cbranch_execz .LBB193_152
.LBB193_215:
	v_sub_nc_u32_e32 v3, v46, v18
	v_readfirstlane_b32 s18, v52
	v_readfirstlane_b32 s19, v53
	global_store_b8 v3, v10, s[18:19]
	s_wait_xcnt 0x0
	s_or_b32 exec_lo, exec_lo, s17
	s_and_saveexec_b32 s17, s11
	s_cbranch_execz .LBB193_153
.LBB193_216:
	v_sub_nc_u32_e32 v3, v42, v18
	v_lshrrev_b32_e32 v4, 8, v10
	v_readfirstlane_b32 s18, v52
	v_readfirstlane_b32 s19, v53
	global_store_b8 v3, v4, s[18:19]
	s_wait_xcnt 0x0
	s_or_b32 exec_lo, exec_lo, s17
	s_and_saveexec_b32 s17, s10
	s_cbranch_execz .LBB193_154
.LBB193_217:
	v_sub_nc_u32_e32 v3, v38, v18
	v_readfirstlane_b32 s18, v52
	v_readfirstlane_b32 s19, v53
	global_store_d16_hi_b8 v3, v10, s[18:19]
	s_wait_xcnt 0x0
	s_or_b32 exec_lo, exec_lo, s17
	s_and_saveexec_b32 s17, s9
	s_cbranch_execz .LBB193_155
.LBB193_218:
	v_sub_nc_u32_e32 v3, v32, v18
	v_lshrrev_b32_e32 v4, 24, v10
	v_readfirstlane_b32 s18, v52
	v_readfirstlane_b32 s19, v53
	global_store_b8 v3, v4, s[18:19]
	s_wait_xcnt 0x0
	s_or_b32 exec_lo, exec_lo, s17
	s_and_saveexec_b32 s17, s8
	s_cbranch_execz .LBB193_156
.LBB193_219:
	v_sub_nc_u32_e32 v3, v34, v18
	v_readfirstlane_b32 s18, v52
	v_readfirstlane_b32 s19, v53
	global_store_b8 v3, v11, s[18:19]
	s_wait_xcnt 0x0
	s_or_b32 exec_lo, exec_lo, s17
	s_and_saveexec_b32 s17, s7
	s_cbranch_execz .LBB193_157
.LBB193_220:
	v_dual_sub_nc_u32 v3, v40, v18 :: v_dual_lshrrev_b32 v4, 8, v11
	v_readfirstlane_b32 s18, v52
	v_readfirstlane_b32 s19, v53
	global_store_b8 v3, v4, s[18:19]
	s_wait_xcnt 0x0
	s_or_b32 exec_lo, exec_lo, s17
	s_and_saveexec_b32 s17, s6
	s_cbranch_execz .LBB193_158
.LBB193_221:
	v_sub_nc_u32_e32 v3, v24, v18
	v_readfirstlane_b32 s18, v52
	v_readfirstlane_b32 s19, v53
	global_store_d16_hi_b8 v3, v11, s[18:19]
	s_wait_xcnt 0x0
	s_or_b32 exec_lo, exec_lo, s17
	s_and_saveexec_b32 s17, s5
	s_cbranch_execz .LBB193_159
.LBB193_222:
	v_dual_sub_nc_u32 v3, v26, v18 :: v_dual_lshrrev_b32 v4, 24, v11
	v_readfirstlane_b32 s18, v52
	v_readfirstlane_b32 s19, v53
	global_store_b8 v3, v4, s[18:19]
	s_wait_xcnt 0x0
	s_or_b32 exec_lo, exec_lo, s17
	s_and_saveexec_b32 s17, s4
	s_cbranch_execz .LBB193_160
.LBB193_223:
	v_sub_nc_u32_e32 v3, v30, v18
	v_readfirstlane_b32 s18, v52
	v_readfirstlane_b32 s19, v53
	global_store_b8 v3, v12, s[18:19]
	s_wait_xcnt 0x0
	s_or_b32 exec_lo, exec_lo, s17
	s_and_saveexec_b32 s17, s3
	s_cbranch_execz .LBB193_161
.LBB193_224:
	v_dual_sub_nc_u32 v3, v36, v18 :: v_dual_lshrrev_b32 v4, 8, v12
	v_readfirstlane_b32 s18, v52
	v_readfirstlane_b32 s19, v53
	global_store_b8 v3, v4, s[18:19]
	s_wait_xcnt 0x0
	s_or_b32 exec_lo, exec_lo, s17
	s_and_saveexec_b32 s17, s1
	s_cbranch_execnz .LBB193_162
	s_branch .LBB193_163
.LBB193_225:
	v_sub_nc_u32_e32 v2, v44, v18
	ds_store_b8 v2, v1
	s_or_b32 exec_lo, exec_lo, s17
	s_and_saveexec_b32 s14, s13
	s_cbranch_execz .LBB193_167
.LBB193_226:
	v_sub_nc_u32_e32 v1, v48, v18
	ds_store_b8 v1, v13
	s_or_b32 exec_lo, exec_lo, s14
	s_and_saveexec_b32 s13, s12
	s_cbranch_execz .LBB193_168
.LBB193_227:
	v_sub_nc_u32_e32 v1, v46, v18
	ds_store_b8 v1, v10
	s_or_b32 exec_lo, exec_lo, s13
	s_and_saveexec_b32 s12, s11
	s_cbranch_execz .LBB193_169
.LBB193_228:
	v_sub_nc_u32_e32 v1, v42, v18
	v_lshrrev_b32_e32 v2, 8, v10
	ds_store_b8 v1, v2
	s_or_b32 exec_lo, exec_lo, s12
	s_and_saveexec_b32 s11, s10
	s_cbranch_execz .LBB193_170
.LBB193_229:
	v_sub_nc_u32_e32 v1, v38, v18
	ds_store_b8_d16_hi v1, v10
	s_or_b32 exec_lo, exec_lo, s11
	s_and_saveexec_b32 s10, s9
	s_cbranch_execz .LBB193_171
.LBB193_230:
	v_sub_nc_u32_e32 v1, v32, v18
	v_lshrrev_b32_e32 v2, 24, v10
	ds_store_b8 v1, v2
	s_or_b32 exec_lo, exec_lo, s10
	s_and_saveexec_b32 s9, s8
	s_cbranch_execz .LBB193_172
.LBB193_231:
	v_sub_nc_u32_e32 v1, v34, v18
	ds_store_b8 v1, v11
	s_or_b32 exec_lo, exec_lo, s9
	s_and_saveexec_b32 s8, s7
	s_cbranch_execz .LBB193_173
.LBB193_232:
	v_dual_sub_nc_u32 v1, v40, v18 :: v_dual_lshrrev_b32 v2, 8, v11
	ds_store_b8 v1, v2
	s_or_b32 exec_lo, exec_lo, s8
	s_and_saveexec_b32 s7, s6
	s_cbranch_execz .LBB193_174
.LBB193_233:
	v_sub_nc_u32_e32 v1, v24, v18
	ds_store_b8_d16_hi v1, v11
	s_or_b32 exec_lo, exec_lo, s7
	s_and_saveexec_b32 s6, s5
	s_cbranch_execz .LBB193_175
.LBB193_234:
	v_dual_sub_nc_u32 v1, v26, v18 :: v_dual_lshrrev_b32 v2, 24, v11
	ds_store_b8 v1, v2
	s_or_b32 exec_lo, exec_lo, s6
	s_and_saveexec_b32 s5, s4
	s_cbranch_execz .LBB193_176
.LBB193_235:
	v_sub_nc_u32_e32 v1, v30, v18
	ds_store_b8 v1, v12
	s_or_b32 exec_lo, exec_lo, s5
	s_and_saveexec_b32 s4, s3
	s_cbranch_execz .LBB193_177
.LBB193_236:
	v_dual_sub_nc_u32 v1, v36, v18 :: v_dual_lshrrev_b32 v2, 8, v12
	ds_store_b8 v1, v2
	s_or_b32 exec_lo, exec_lo, s4
	s_and_saveexec_b32 s3, s1
	s_cbranch_execnz .LBB193_178
	s_branch .LBB193_179
.LBB193_237:
	v_dual_mov_b32 v9, 0 :: v_dual_sub_nc_u32 v10, v44, v6
	v_mov_b32_e32 v8, v45
	v_readfirstlane_b32 s18, v4
	v_readfirstlane_b32 s19, v5
	global_store_b64 v10, v[8:9], s[18:19] scale_offset
	s_wait_xcnt 0x0
	s_or_b32 exec_lo, exec_lo, s16
	s_and_saveexec_b32 s16, s12
	s_cbranch_execz .LBB193_183
.LBB193_238:
	v_dual_mov_b32 v9, 0 :: v_dual_sub_nc_u32 v10, v48, v6
	v_mov_b32_e32 v8, v49
	v_readfirstlane_b32 s18, v4
	v_readfirstlane_b32 s19, v5
	global_store_b64 v10, v[8:9], s[18:19] scale_offset
	s_wait_xcnt 0x0
	s_or_b32 exec_lo, exec_lo, s16
	s_and_saveexec_b32 s16, s11
	s_cbranch_execz .LBB193_184
.LBB193_239:
	v_dual_mov_b32 v9, 0 :: v_dual_sub_nc_u32 v10, v46, v6
	v_mov_b32_e32 v8, v47
	v_readfirstlane_b32 s18, v4
	v_readfirstlane_b32 s19, v5
	global_store_b64 v10, v[8:9], s[18:19] scale_offset
	s_wait_xcnt 0x0
	s_or_b32 exec_lo, exec_lo, s16
	s_and_saveexec_b32 s16, s10
	s_cbranch_execz .LBB193_185
.LBB193_240:
	v_dual_mov_b32 v9, 0 :: v_dual_sub_nc_u32 v10, v42, v6
	v_mov_b32_e32 v8, v43
	v_readfirstlane_b32 s18, v4
	v_readfirstlane_b32 s19, v5
	global_store_b64 v10, v[8:9], s[18:19] scale_offset
	s_wait_xcnt 0x0
	s_or_b32 exec_lo, exec_lo, s16
	s_and_saveexec_b32 s16, s9
	s_cbranch_execz .LBB193_186
.LBB193_241:
	v_dual_mov_b32 v9, 0 :: v_dual_sub_nc_u32 v10, v38, v6
	v_mov_b32_e32 v8, v39
	v_readfirstlane_b32 s18, v4
	v_readfirstlane_b32 s19, v5
	global_store_b64 v10, v[8:9], s[18:19] scale_offset
	s_wait_xcnt 0x0
	s_or_b32 exec_lo, exec_lo, s16
	s_and_saveexec_b32 s16, s8
	s_cbranch_execz .LBB193_187
.LBB193_242:
	v_dual_mov_b32 v9, 0 :: v_dual_sub_nc_u32 v10, v32, v6
	v_mov_b32_e32 v8, v33
	v_readfirstlane_b32 s18, v4
	v_readfirstlane_b32 s19, v5
	global_store_b64 v10, v[8:9], s[18:19] scale_offset
	s_wait_xcnt 0x0
	s_or_b32 exec_lo, exec_lo, s16
	s_and_saveexec_b32 s16, s7
	s_cbranch_execz .LBB193_188
.LBB193_243:
	v_dual_mov_b32 v9, 0 :: v_dual_sub_nc_u32 v10, v34, v6
	v_mov_b32_e32 v8, v35
	v_readfirstlane_b32 s18, v4
	v_readfirstlane_b32 s19, v5
	global_store_b64 v10, v[8:9], s[18:19] scale_offset
	s_wait_xcnt 0x0
	s_or_b32 exec_lo, exec_lo, s16
	s_and_saveexec_b32 s16, s6
	s_cbranch_execz .LBB193_189
.LBB193_244:
	v_dual_mov_b32 v9, 0 :: v_dual_sub_nc_u32 v10, v40, v6
	v_mov_b32_e32 v8, v41
	v_readfirstlane_b32 s18, v4
	v_readfirstlane_b32 s19, v5
	global_store_b64 v10, v[8:9], s[18:19] scale_offset
	s_wait_xcnt 0x0
	s_or_b32 exec_lo, exec_lo, s16
	s_and_saveexec_b32 s16, s5
	s_cbranch_execz .LBB193_190
.LBB193_245:
	v_dual_mov_b32 v9, 0 :: v_dual_sub_nc_u32 v10, v24, v6
	v_mov_b32_e32 v8, v25
	v_readfirstlane_b32 s18, v4
	v_readfirstlane_b32 s19, v5
	global_store_b64 v10, v[8:9], s[18:19] scale_offset
	s_wait_xcnt 0x0
	s_or_b32 exec_lo, exec_lo, s16
	s_and_saveexec_b32 s16, s4
	s_cbranch_execz .LBB193_191
.LBB193_246:
	v_dual_mov_b32 v9, 0 :: v_dual_sub_nc_u32 v10, v26, v6
	v_mov_b32_e32 v8, v27
	v_readfirstlane_b32 s18, v4
	v_readfirstlane_b32 s19, v5
	global_store_b64 v10, v[8:9], s[18:19] scale_offset
	s_wait_xcnt 0x0
	s_or_b32 exec_lo, exec_lo, s16
	s_and_saveexec_b32 s16, s3
	s_cbranch_execz .LBB193_192
.LBB193_247:
	v_dual_mov_b32 v9, 0 :: v_dual_sub_nc_u32 v10, v30, v6
	v_mov_b32_e32 v8, v31
	v_readfirstlane_b32 s18, v4
	v_readfirstlane_b32 s19, v5
	global_store_b64 v10, v[8:9], s[18:19] scale_offset
	s_wait_xcnt 0x0
	s_or_b32 exec_lo, exec_lo, s16
	s_and_saveexec_b32 s16, s2
	s_cbranch_execz .LBB193_193
.LBB193_248:
	v_dual_mov_b32 v9, 0 :: v_dual_sub_nc_u32 v10, v36, v6
	v_mov_b32_e32 v8, v37
	v_readfirstlane_b32 s18, v4
	v_readfirstlane_b32 s19, v5
	global_store_b64 v10, v[8:9], s[18:19] scale_offset
	s_wait_xcnt 0x0
	s_or_b32 exec_lo, exec_lo, s16
	s_and_saveexec_b32 s16, s1
	s_cbranch_execnz .LBB193_194
	s_branch .LBB193_195
.LBB193_249:
	v_sub_nc_u32_e32 v7, v44, v6
	s_delay_alu instid0(VALU_DEP_1)
	v_lshlrev_b32_e32 v7, 2, v7
	ds_store_b32 v7, v45
	s_or_b32 exec_lo, exec_lo, s16
	s_and_saveexec_b32 s13, s12
	s_cbranch_execz .LBB193_199
.LBB193_250:
	v_sub_nc_u32_e32 v7, v48, v6
	s_delay_alu instid0(VALU_DEP_1)
	v_lshlrev_b32_e32 v7, 2, v7
	ds_store_b32 v7, v49
	s_or_b32 exec_lo, exec_lo, s13
	s_and_saveexec_b32 s12, s11
	s_cbranch_execz .LBB193_200
.LBB193_251:
	v_sub_nc_u32_e32 v7, v46, v6
	s_delay_alu instid0(VALU_DEP_1)
	v_lshlrev_b32_e32 v7, 2, v7
	ds_store_b32 v7, v47
	s_or_b32 exec_lo, exec_lo, s12
	s_and_saveexec_b32 s11, s10
	s_cbranch_execz .LBB193_201
.LBB193_252:
	v_sub_nc_u32_e32 v7, v42, v6
	s_delay_alu instid0(VALU_DEP_1)
	v_lshlrev_b32_e32 v7, 2, v7
	ds_store_b32 v7, v43
	s_or_b32 exec_lo, exec_lo, s11
	s_and_saveexec_b32 s10, s9
	s_cbranch_execz .LBB193_202
.LBB193_253:
	v_sub_nc_u32_e32 v7, v38, v6
	s_delay_alu instid0(VALU_DEP_1)
	v_lshlrev_b32_e32 v7, 2, v7
	ds_store_b32 v7, v39
	s_or_b32 exec_lo, exec_lo, s10
	s_and_saveexec_b32 s9, s8
	s_cbranch_execz .LBB193_203
.LBB193_254:
	v_sub_nc_u32_e32 v7, v32, v6
	s_delay_alu instid0(VALU_DEP_1)
	v_lshlrev_b32_e32 v7, 2, v7
	ds_store_b32 v7, v33
	s_or_b32 exec_lo, exec_lo, s9
	s_and_saveexec_b32 s8, s7
	s_cbranch_execz .LBB193_204
.LBB193_255:
	v_sub_nc_u32_e32 v7, v34, v6
	s_delay_alu instid0(VALU_DEP_1)
	v_lshlrev_b32_e32 v7, 2, v7
	ds_store_b32 v7, v35
	s_or_b32 exec_lo, exec_lo, s8
	s_and_saveexec_b32 s7, s6
	s_cbranch_execz .LBB193_205
.LBB193_256:
	v_sub_nc_u32_e32 v7, v40, v6
	s_delay_alu instid0(VALU_DEP_1)
	v_lshlrev_b32_e32 v7, 2, v7
	ds_store_b32 v7, v41
	s_or_b32 exec_lo, exec_lo, s7
	s_and_saveexec_b32 s6, s5
	s_cbranch_execz .LBB193_206
.LBB193_257:
	v_sub_nc_u32_e32 v7, v24, v6
	s_delay_alu instid0(VALU_DEP_1)
	v_lshlrev_b32_e32 v7, 2, v7
	ds_store_b32 v7, v25
	s_or_b32 exec_lo, exec_lo, s6
	s_and_saveexec_b32 s5, s4
	s_cbranch_execz .LBB193_207
.LBB193_258:
	v_sub_nc_u32_e32 v7, v26, v6
	s_delay_alu instid0(VALU_DEP_1)
	v_lshlrev_b32_e32 v7, 2, v7
	ds_store_b32 v7, v27
	s_or_b32 exec_lo, exec_lo, s5
	s_and_saveexec_b32 s4, s3
	s_cbranch_execz .LBB193_208
.LBB193_259:
	v_sub_nc_u32_e32 v7, v30, v6
	s_delay_alu instid0(VALU_DEP_1)
	v_lshlrev_b32_e32 v7, 2, v7
	ds_store_b32 v7, v31
	s_or_b32 exec_lo, exec_lo, s4
	s_and_saveexec_b32 s3, s2
	s_cbranch_execz .LBB193_209
.LBB193_260:
	v_sub_nc_u32_e32 v7, v36, v6
	s_delay_alu instid0(VALU_DEP_1)
	v_lshlrev_b32_e32 v7, 2, v7
	ds_store_b32 v7, v37
	s_or_b32 exec_lo, exec_lo, s3
	s_and_saveexec_b32 s2, s1
	s_cbranch_execnz .LBB193_210
	s_branch .LBB193_211
	.section	.rodata,"a",@progbits
	.p2align	6, 0x0
	.amdhsa_kernel _ZN7rocprim17ROCPRIM_400000_NS6detail17trampoline_kernelINS0_14default_configENS1_33run_length_encode_config_selectorIhjNS0_4plusIjEEEEZZNS1_33reduce_by_key_impl_wrapped_configILNS1_25lookback_scan_determinismE0ES3_S7_PKhNS0_17constant_iteratorIjlEEPhPlSF_S6_NS0_8equal_toIhEEEE10hipError_tPvRmT2_T3_mT4_T5_T6_T7_T8_P12ihipStream_tbENKUlT_T0_E_clISt17integral_constantIbLb0EESY_IbLb1EEEEDaSU_SV_EUlSU_E_NS1_11comp_targetILNS1_3genE0ELNS1_11target_archE4294967295ELNS1_3gpuE0ELNS1_3repE0EEENS1_30default_config_static_selectorELNS0_4arch9wavefront6targetE0EEEvT1_
		.amdhsa_group_segment_fixed_size 14336
		.amdhsa_private_segment_fixed_size 0
		.amdhsa_kernarg_size 128
		.amdhsa_user_sgpr_count 2
		.amdhsa_user_sgpr_dispatch_ptr 0
		.amdhsa_user_sgpr_queue_ptr 0
		.amdhsa_user_sgpr_kernarg_segment_ptr 1
		.amdhsa_user_sgpr_dispatch_id 0
		.amdhsa_user_sgpr_kernarg_preload_length 0
		.amdhsa_user_sgpr_kernarg_preload_offset 0
		.amdhsa_user_sgpr_private_segment_size 0
		.amdhsa_wavefront_size32 1
		.amdhsa_uses_dynamic_stack 0
		.amdhsa_enable_private_segment 0
		.amdhsa_system_sgpr_workgroup_id_x 1
		.amdhsa_system_sgpr_workgroup_id_y 0
		.amdhsa_system_sgpr_workgroup_id_z 0
		.amdhsa_system_sgpr_workgroup_info 0
		.amdhsa_system_vgpr_workitem_id 0
		.amdhsa_next_free_vgpr 104
		.amdhsa_next_free_sgpr 43
		.amdhsa_named_barrier_count 0
		.amdhsa_reserve_vcc 1
		.amdhsa_float_round_mode_32 0
		.amdhsa_float_round_mode_16_64 0
		.amdhsa_float_denorm_mode_32 3
		.amdhsa_float_denorm_mode_16_64 3
		.amdhsa_fp16_overflow 0
		.amdhsa_memory_ordered 1
		.amdhsa_forward_progress 1
		.amdhsa_inst_pref_size 125
		.amdhsa_round_robin_scheduling 0
		.amdhsa_exception_fp_ieee_invalid_op 0
		.amdhsa_exception_fp_denorm_src 0
		.amdhsa_exception_fp_ieee_div_zero 0
		.amdhsa_exception_fp_ieee_overflow 0
		.amdhsa_exception_fp_ieee_underflow 0
		.amdhsa_exception_fp_ieee_inexact 0
		.amdhsa_exception_int_div_zero 0
	.end_amdhsa_kernel
	.section	.text._ZN7rocprim17ROCPRIM_400000_NS6detail17trampoline_kernelINS0_14default_configENS1_33run_length_encode_config_selectorIhjNS0_4plusIjEEEEZZNS1_33reduce_by_key_impl_wrapped_configILNS1_25lookback_scan_determinismE0ES3_S7_PKhNS0_17constant_iteratorIjlEEPhPlSF_S6_NS0_8equal_toIhEEEE10hipError_tPvRmT2_T3_mT4_T5_T6_T7_T8_P12ihipStream_tbENKUlT_T0_E_clISt17integral_constantIbLb0EESY_IbLb1EEEEDaSU_SV_EUlSU_E_NS1_11comp_targetILNS1_3genE0ELNS1_11target_archE4294967295ELNS1_3gpuE0ELNS1_3repE0EEENS1_30default_config_static_selectorELNS0_4arch9wavefront6targetE0EEEvT1_,"axG",@progbits,_ZN7rocprim17ROCPRIM_400000_NS6detail17trampoline_kernelINS0_14default_configENS1_33run_length_encode_config_selectorIhjNS0_4plusIjEEEEZZNS1_33reduce_by_key_impl_wrapped_configILNS1_25lookback_scan_determinismE0ES3_S7_PKhNS0_17constant_iteratorIjlEEPhPlSF_S6_NS0_8equal_toIhEEEE10hipError_tPvRmT2_T3_mT4_T5_T6_T7_T8_P12ihipStream_tbENKUlT_T0_E_clISt17integral_constantIbLb0EESY_IbLb1EEEEDaSU_SV_EUlSU_E_NS1_11comp_targetILNS1_3genE0ELNS1_11target_archE4294967295ELNS1_3gpuE0ELNS1_3repE0EEENS1_30default_config_static_selectorELNS0_4arch9wavefront6targetE0EEEvT1_,comdat
.Lfunc_end193:
	.size	_ZN7rocprim17ROCPRIM_400000_NS6detail17trampoline_kernelINS0_14default_configENS1_33run_length_encode_config_selectorIhjNS0_4plusIjEEEEZZNS1_33reduce_by_key_impl_wrapped_configILNS1_25lookback_scan_determinismE0ES3_S7_PKhNS0_17constant_iteratorIjlEEPhPlSF_S6_NS0_8equal_toIhEEEE10hipError_tPvRmT2_T3_mT4_T5_T6_T7_T8_P12ihipStream_tbENKUlT_T0_E_clISt17integral_constantIbLb0EESY_IbLb1EEEEDaSU_SV_EUlSU_E_NS1_11comp_targetILNS1_3genE0ELNS1_11target_archE4294967295ELNS1_3gpuE0ELNS1_3repE0EEENS1_30default_config_static_selectorELNS0_4arch9wavefront6targetE0EEEvT1_, .Lfunc_end193-_ZN7rocprim17ROCPRIM_400000_NS6detail17trampoline_kernelINS0_14default_configENS1_33run_length_encode_config_selectorIhjNS0_4plusIjEEEEZZNS1_33reduce_by_key_impl_wrapped_configILNS1_25lookback_scan_determinismE0ES3_S7_PKhNS0_17constant_iteratorIjlEEPhPlSF_S6_NS0_8equal_toIhEEEE10hipError_tPvRmT2_T3_mT4_T5_T6_T7_T8_P12ihipStream_tbENKUlT_T0_E_clISt17integral_constantIbLb0EESY_IbLb1EEEEDaSU_SV_EUlSU_E_NS1_11comp_targetILNS1_3genE0ELNS1_11target_archE4294967295ELNS1_3gpuE0ELNS1_3repE0EEENS1_30default_config_static_selectorELNS0_4arch9wavefront6targetE0EEEvT1_
                                        ; -- End function
	.set _ZN7rocprim17ROCPRIM_400000_NS6detail17trampoline_kernelINS0_14default_configENS1_33run_length_encode_config_selectorIhjNS0_4plusIjEEEEZZNS1_33reduce_by_key_impl_wrapped_configILNS1_25lookback_scan_determinismE0ES3_S7_PKhNS0_17constant_iteratorIjlEEPhPlSF_S6_NS0_8equal_toIhEEEE10hipError_tPvRmT2_T3_mT4_T5_T6_T7_T8_P12ihipStream_tbENKUlT_T0_E_clISt17integral_constantIbLb0EESY_IbLb1EEEEDaSU_SV_EUlSU_E_NS1_11comp_targetILNS1_3genE0ELNS1_11target_archE4294967295ELNS1_3gpuE0ELNS1_3repE0EEENS1_30default_config_static_selectorELNS0_4arch9wavefront6targetE0EEEvT1_.num_vgpr, 104
	.set _ZN7rocprim17ROCPRIM_400000_NS6detail17trampoline_kernelINS0_14default_configENS1_33run_length_encode_config_selectorIhjNS0_4plusIjEEEEZZNS1_33reduce_by_key_impl_wrapped_configILNS1_25lookback_scan_determinismE0ES3_S7_PKhNS0_17constant_iteratorIjlEEPhPlSF_S6_NS0_8equal_toIhEEEE10hipError_tPvRmT2_T3_mT4_T5_T6_T7_T8_P12ihipStream_tbENKUlT_T0_E_clISt17integral_constantIbLb0EESY_IbLb1EEEEDaSU_SV_EUlSU_E_NS1_11comp_targetILNS1_3genE0ELNS1_11target_archE4294967295ELNS1_3gpuE0ELNS1_3repE0EEENS1_30default_config_static_selectorELNS0_4arch9wavefront6targetE0EEEvT1_.num_agpr, 0
	.set _ZN7rocprim17ROCPRIM_400000_NS6detail17trampoline_kernelINS0_14default_configENS1_33run_length_encode_config_selectorIhjNS0_4plusIjEEEEZZNS1_33reduce_by_key_impl_wrapped_configILNS1_25lookback_scan_determinismE0ES3_S7_PKhNS0_17constant_iteratorIjlEEPhPlSF_S6_NS0_8equal_toIhEEEE10hipError_tPvRmT2_T3_mT4_T5_T6_T7_T8_P12ihipStream_tbENKUlT_T0_E_clISt17integral_constantIbLb0EESY_IbLb1EEEEDaSU_SV_EUlSU_E_NS1_11comp_targetILNS1_3genE0ELNS1_11target_archE4294967295ELNS1_3gpuE0ELNS1_3repE0EEENS1_30default_config_static_selectorELNS0_4arch9wavefront6targetE0EEEvT1_.numbered_sgpr, 43
	.set _ZN7rocprim17ROCPRIM_400000_NS6detail17trampoline_kernelINS0_14default_configENS1_33run_length_encode_config_selectorIhjNS0_4plusIjEEEEZZNS1_33reduce_by_key_impl_wrapped_configILNS1_25lookback_scan_determinismE0ES3_S7_PKhNS0_17constant_iteratorIjlEEPhPlSF_S6_NS0_8equal_toIhEEEE10hipError_tPvRmT2_T3_mT4_T5_T6_T7_T8_P12ihipStream_tbENKUlT_T0_E_clISt17integral_constantIbLb0EESY_IbLb1EEEEDaSU_SV_EUlSU_E_NS1_11comp_targetILNS1_3genE0ELNS1_11target_archE4294967295ELNS1_3gpuE0ELNS1_3repE0EEENS1_30default_config_static_selectorELNS0_4arch9wavefront6targetE0EEEvT1_.num_named_barrier, 0
	.set _ZN7rocprim17ROCPRIM_400000_NS6detail17trampoline_kernelINS0_14default_configENS1_33run_length_encode_config_selectorIhjNS0_4plusIjEEEEZZNS1_33reduce_by_key_impl_wrapped_configILNS1_25lookback_scan_determinismE0ES3_S7_PKhNS0_17constant_iteratorIjlEEPhPlSF_S6_NS0_8equal_toIhEEEE10hipError_tPvRmT2_T3_mT4_T5_T6_T7_T8_P12ihipStream_tbENKUlT_T0_E_clISt17integral_constantIbLb0EESY_IbLb1EEEEDaSU_SV_EUlSU_E_NS1_11comp_targetILNS1_3genE0ELNS1_11target_archE4294967295ELNS1_3gpuE0ELNS1_3repE0EEENS1_30default_config_static_selectorELNS0_4arch9wavefront6targetE0EEEvT1_.private_seg_size, 0
	.set _ZN7rocprim17ROCPRIM_400000_NS6detail17trampoline_kernelINS0_14default_configENS1_33run_length_encode_config_selectorIhjNS0_4plusIjEEEEZZNS1_33reduce_by_key_impl_wrapped_configILNS1_25lookback_scan_determinismE0ES3_S7_PKhNS0_17constant_iteratorIjlEEPhPlSF_S6_NS0_8equal_toIhEEEE10hipError_tPvRmT2_T3_mT4_T5_T6_T7_T8_P12ihipStream_tbENKUlT_T0_E_clISt17integral_constantIbLb0EESY_IbLb1EEEEDaSU_SV_EUlSU_E_NS1_11comp_targetILNS1_3genE0ELNS1_11target_archE4294967295ELNS1_3gpuE0ELNS1_3repE0EEENS1_30default_config_static_selectorELNS0_4arch9wavefront6targetE0EEEvT1_.uses_vcc, 1
	.set _ZN7rocprim17ROCPRIM_400000_NS6detail17trampoline_kernelINS0_14default_configENS1_33run_length_encode_config_selectorIhjNS0_4plusIjEEEEZZNS1_33reduce_by_key_impl_wrapped_configILNS1_25lookback_scan_determinismE0ES3_S7_PKhNS0_17constant_iteratorIjlEEPhPlSF_S6_NS0_8equal_toIhEEEE10hipError_tPvRmT2_T3_mT4_T5_T6_T7_T8_P12ihipStream_tbENKUlT_T0_E_clISt17integral_constantIbLb0EESY_IbLb1EEEEDaSU_SV_EUlSU_E_NS1_11comp_targetILNS1_3genE0ELNS1_11target_archE4294967295ELNS1_3gpuE0ELNS1_3repE0EEENS1_30default_config_static_selectorELNS0_4arch9wavefront6targetE0EEEvT1_.uses_flat_scratch, 0
	.set _ZN7rocprim17ROCPRIM_400000_NS6detail17trampoline_kernelINS0_14default_configENS1_33run_length_encode_config_selectorIhjNS0_4plusIjEEEEZZNS1_33reduce_by_key_impl_wrapped_configILNS1_25lookback_scan_determinismE0ES3_S7_PKhNS0_17constant_iteratorIjlEEPhPlSF_S6_NS0_8equal_toIhEEEE10hipError_tPvRmT2_T3_mT4_T5_T6_T7_T8_P12ihipStream_tbENKUlT_T0_E_clISt17integral_constantIbLb0EESY_IbLb1EEEEDaSU_SV_EUlSU_E_NS1_11comp_targetILNS1_3genE0ELNS1_11target_archE4294967295ELNS1_3gpuE0ELNS1_3repE0EEENS1_30default_config_static_selectorELNS0_4arch9wavefront6targetE0EEEvT1_.has_dyn_sized_stack, 0
	.set _ZN7rocprim17ROCPRIM_400000_NS6detail17trampoline_kernelINS0_14default_configENS1_33run_length_encode_config_selectorIhjNS0_4plusIjEEEEZZNS1_33reduce_by_key_impl_wrapped_configILNS1_25lookback_scan_determinismE0ES3_S7_PKhNS0_17constant_iteratorIjlEEPhPlSF_S6_NS0_8equal_toIhEEEE10hipError_tPvRmT2_T3_mT4_T5_T6_T7_T8_P12ihipStream_tbENKUlT_T0_E_clISt17integral_constantIbLb0EESY_IbLb1EEEEDaSU_SV_EUlSU_E_NS1_11comp_targetILNS1_3genE0ELNS1_11target_archE4294967295ELNS1_3gpuE0ELNS1_3repE0EEENS1_30default_config_static_selectorELNS0_4arch9wavefront6targetE0EEEvT1_.has_recursion, 0
	.set _ZN7rocprim17ROCPRIM_400000_NS6detail17trampoline_kernelINS0_14default_configENS1_33run_length_encode_config_selectorIhjNS0_4plusIjEEEEZZNS1_33reduce_by_key_impl_wrapped_configILNS1_25lookback_scan_determinismE0ES3_S7_PKhNS0_17constant_iteratorIjlEEPhPlSF_S6_NS0_8equal_toIhEEEE10hipError_tPvRmT2_T3_mT4_T5_T6_T7_T8_P12ihipStream_tbENKUlT_T0_E_clISt17integral_constantIbLb0EESY_IbLb1EEEEDaSU_SV_EUlSU_E_NS1_11comp_targetILNS1_3genE0ELNS1_11target_archE4294967295ELNS1_3gpuE0ELNS1_3repE0EEENS1_30default_config_static_selectorELNS0_4arch9wavefront6targetE0EEEvT1_.has_indirect_call, 0
	.section	.AMDGPU.csdata,"",@progbits
; Kernel info:
; codeLenInByte = 15920
; TotalNumSgprs: 45
; NumVgprs: 104
; ScratchSize: 0
; MemoryBound: 0
; FloatMode: 240
; IeeeMode: 1
; LDSByteSize: 14336 bytes/workgroup (compile time only)
; SGPRBlocks: 0
; VGPRBlocks: 6
; NumSGPRsForWavesPerEU: 45
; NumVGPRsForWavesPerEU: 104
; NamedBarCnt: 0
; Occupancy: 9
; WaveLimiterHint : 1
; COMPUTE_PGM_RSRC2:SCRATCH_EN: 0
; COMPUTE_PGM_RSRC2:USER_SGPR: 2
; COMPUTE_PGM_RSRC2:TRAP_HANDLER: 0
; COMPUTE_PGM_RSRC2:TGID_X_EN: 1
; COMPUTE_PGM_RSRC2:TGID_Y_EN: 0
; COMPUTE_PGM_RSRC2:TGID_Z_EN: 0
; COMPUTE_PGM_RSRC2:TIDIG_COMP_CNT: 0
	.section	.text._ZN7rocprim17ROCPRIM_400000_NS6detail17trampoline_kernelINS0_14default_configENS1_33run_length_encode_config_selectorIhjNS0_4plusIjEEEEZZNS1_33reduce_by_key_impl_wrapped_configILNS1_25lookback_scan_determinismE0ES3_S7_PKhNS0_17constant_iteratorIjlEEPhPlSF_S6_NS0_8equal_toIhEEEE10hipError_tPvRmT2_T3_mT4_T5_T6_T7_T8_P12ihipStream_tbENKUlT_T0_E_clISt17integral_constantIbLb0EESY_IbLb1EEEEDaSU_SV_EUlSU_E_NS1_11comp_targetILNS1_3genE5ELNS1_11target_archE942ELNS1_3gpuE9ELNS1_3repE0EEENS1_30default_config_static_selectorELNS0_4arch9wavefront6targetE0EEEvT1_,"axG",@progbits,_ZN7rocprim17ROCPRIM_400000_NS6detail17trampoline_kernelINS0_14default_configENS1_33run_length_encode_config_selectorIhjNS0_4plusIjEEEEZZNS1_33reduce_by_key_impl_wrapped_configILNS1_25lookback_scan_determinismE0ES3_S7_PKhNS0_17constant_iteratorIjlEEPhPlSF_S6_NS0_8equal_toIhEEEE10hipError_tPvRmT2_T3_mT4_T5_T6_T7_T8_P12ihipStream_tbENKUlT_T0_E_clISt17integral_constantIbLb0EESY_IbLb1EEEEDaSU_SV_EUlSU_E_NS1_11comp_targetILNS1_3genE5ELNS1_11target_archE942ELNS1_3gpuE9ELNS1_3repE0EEENS1_30default_config_static_selectorELNS0_4arch9wavefront6targetE0EEEvT1_,comdat
	.protected	_ZN7rocprim17ROCPRIM_400000_NS6detail17trampoline_kernelINS0_14default_configENS1_33run_length_encode_config_selectorIhjNS0_4plusIjEEEEZZNS1_33reduce_by_key_impl_wrapped_configILNS1_25lookback_scan_determinismE0ES3_S7_PKhNS0_17constant_iteratorIjlEEPhPlSF_S6_NS0_8equal_toIhEEEE10hipError_tPvRmT2_T3_mT4_T5_T6_T7_T8_P12ihipStream_tbENKUlT_T0_E_clISt17integral_constantIbLb0EESY_IbLb1EEEEDaSU_SV_EUlSU_E_NS1_11comp_targetILNS1_3genE5ELNS1_11target_archE942ELNS1_3gpuE9ELNS1_3repE0EEENS1_30default_config_static_selectorELNS0_4arch9wavefront6targetE0EEEvT1_ ; -- Begin function _ZN7rocprim17ROCPRIM_400000_NS6detail17trampoline_kernelINS0_14default_configENS1_33run_length_encode_config_selectorIhjNS0_4plusIjEEEEZZNS1_33reduce_by_key_impl_wrapped_configILNS1_25lookback_scan_determinismE0ES3_S7_PKhNS0_17constant_iteratorIjlEEPhPlSF_S6_NS0_8equal_toIhEEEE10hipError_tPvRmT2_T3_mT4_T5_T6_T7_T8_P12ihipStream_tbENKUlT_T0_E_clISt17integral_constantIbLb0EESY_IbLb1EEEEDaSU_SV_EUlSU_E_NS1_11comp_targetILNS1_3genE5ELNS1_11target_archE942ELNS1_3gpuE9ELNS1_3repE0EEENS1_30default_config_static_selectorELNS0_4arch9wavefront6targetE0EEEvT1_
	.globl	_ZN7rocprim17ROCPRIM_400000_NS6detail17trampoline_kernelINS0_14default_configENS1_33run_length_encode_config_selectorIhjNS0_4plusIjEEEEZZNS1_33reduce_by_key_impl_wrapped_configILNS1_25lookback_scan_determinismE0ES3_S7_PKhNS0_17constant_iteratorIjlEEPhPlSF_S6_NS0_8equal_toIhEEEE10hipError_tPvRmT2_T3_mT4_T5_T6_T7_T8_P12ihipStream_tbENKUlT_T0_E_clISt17integral_constantIbLb0EESY_IbLb1EEEEDaSU_SV_EUlSU_E_NS1_11comp_targetILNS1_3genE5ELNS1_11target_archE942ELNS1_3gpuE9ELNS1_3repE0EEENS1_30default_config_static_selectorELNS0_4arch9wavefront6targetE0EEEvT1_
	.p2align	8
	.type	_ZN7rocprim17ROCPRIM_400000_NS6detail17trampoline_kernelINS0_14default_configENS1_33run_length_encode_config_selectorIhjNS0_4plusIjEEEEZZNS1_33reduce_by_key_impl_wrapped_configILNS1_25lookback_scan_determinismE0ES3_S7_PKhNS0_17constant_iteratorIjlEEPhPlSF_S6_NS0_8equal_toIhEEEE10hipError_tPvRmT2_T3_mT4_T5_T6_T7_T8_P12ihipStream_tbENKUlT_T0_E_clISt17integral_constantIbLb0EESY_IbLb1EEEEDaSU_SV_EUlSU_E_NS1_11comp_targetILNS1_3genE5ELNS1_11target_archE942ELNS1_3gpuE9ELNS1_3repE0EEENS1_30default_config_static_selectorELNS0_4arch9wavefront6targetE0EEEvT1_,@function
_ZN7rocprim17ROCPRIM_400000_NS6detail17trampoline_kernelINS0_14default_configENS1_33run_length_encode_config_selectorIhjNS0_4plusIjEEEEZZNS1_33reduce_by_key_impl_wrapped_configILNS1_25lookback_scan_determinismE0ES3_S7_PKhNS0_17constant_iteratorIjlEEPhPlSF_S6_NS0_8equal_toIhEEEE10hipError_tPvRmT2_T3_mT4_T5_T6_T7_T8_P12ihipStream_tbENKUlT_T0_E_clISt17integral_constantIbLb0EESY_IbLb1EEEEDaSU_SV_EUlSU_E_NS1_11comp_targetILNS1_3genE5ELNS1_11target_archE942ELNS1_3gpuE9ELNS1_3repE0EEENS1_30default_config_static_selectorELNS0_4arch9wavefront6targetE0EEEvT1_: ; @_ZN7rocprim17ROCPRIM_400000_NS6detail17trampoline_kernelINS0_14default_configENS1_33run_length_encode_config_selectorIhjNS0_4plusIjEEEEZZNS1_33reduce_by_key_impl_wrapped_configILNS1_25lookback_scan_determinismE0ES3_S7_PKhNS0_17constant_iteratorIjlEEPhPlSF_S6_NS0_8equal_toIhEEEE10hipError_tPvRmT2_T3_mT4_T5_T6_T7_T8_P12ihipStream_tbENKUlT_T0_E_clISt17integral_constantIbLb0EESY_IbLb1EEEEDaSU_SV_EUlSU_E_NS1_11comp_targetILNS1_3genE5ELNS1_11target_archE942ELNS1_3gpuE9ELNS1_3repE0EEENS1_30default_config_static_selectorELNS0_4arch9wavefront6targetE0EEEvT1_
; %bb.0:
	.section	.rodata,"a",@progbits
	.p2align	6, 0x0
	.amdhsa_kernel _ZN7rocprim17ROCPRIM_400000_NS6detail17trampoline_kernelINS0_14default_configENS1_33run_length_encode_config_selectorIhjNS0_4plusIjEEEEZZNS1_33reduce_by_key_impl_wrapped_configILNS1_25lookback_scan_determinismE0ES3_S7_PKhNS0_17constant_iteratorIjlEEPhPlSF_S6_NS0_8equal_toIhEEEE10hipError_tPvRmT2_T3_mT4_T5_T6_T7_T8_P12ihipStream_tbENKUlT_T0_E_clISt17integral_constantIbLb0EESY_IbLb1EEEEDaSU_SV_EUlSU_E_NS1_11comp_targetILNS1_3genE5ELNS1_11target_archE942ELNS1_3gpuE9ELNS1_3repE0EEENS1_30default_config_static_selectorELNS0_4arch9wavefront6targetE0EEEvT1_
		.amdhsa_group_segment_fixed_size 0
		.amdhsa_private_segment_fixed_size 0
		.amdhsa_kernarg_size 128
		.amdhsa_user_sgpr_count 2
		.amdhsa_user_sgpr_dispatch_ptr 0
		.amdhsa_user_sgpr_queue_ptr 0
		.amdhsa_user_sgpr_kernarg_segment_ptr 1
		.amdhsa_user_sgpr_dispatch_id 0
		.amdhsa_user_sgpr_kernarg_preload_length 0
		.amdhsa_user_sgpr_kernarg_preload_offset 0
		.amdhsa_user_sgpr_private_segment_size 0
		.amdhsa_wavefront_size32 1
		.amdhsa_uses_dynamic_stack 0
		.amdhsa_enable_private_segment 0
		.amdhsa_system_sgpr_workgroup_id_x 1
		.amdhsa_system_sgpr_workgroup_id_y 0
		.amdhsa_system_sgpr_workgroup_id_z 0
		.amdhsa_system_sgpr_workgroup_info 0
		.amdhsa_system_vgpr_workitem_id 0
		.amdhsa_next_free_vgpr 1
		.amdhsa_next_free_sgpr 1
		.amdhsa_named_barrier_count 0
		.amdhsa_reserve_vcc 0
		.amdhsa_float_round_mode_32 0
		.amdhsa_float_round_mode_16_64 0
		.amdhsa_float_denorm_mode_32 3
		.amdhsa_float_denorm_mode_16_64 3
		.amdhsa_fp16_overflow 0
		.amdhsa_memory_ordered 1
		.amdhsa_forward_progress 1
		.amdhsa_inst_pref_size 0
		.amdhsa_round_robin_scheduling 0
		.amdhsa_exception_fp_ieee_invalid_op 0
		.amdhsa_exception_fp_denorm_src 0
		.amdhsa_exception_fp_ieee_div_zero 0
		.amdhsa_exception_fp_ieee_overflow 0
		.amdhsa_exception_fp_ieee_underflow 0
		.amdhsa_exception_fp_ieee_inexact 0
		.amdhsa_exception_int_div_zero 0
	.end_amdhsa_kernel
	.section	.text._ZN7rocprim17ROCPRIM_400000_NS6detail17trampoline_kernelINS0_14default_configENS1_33run_length_encode_config_selectorIhjNS0_4plusIjEEEEZZNS1_33reduce_by_key_impl_wrapped_configILNS1_25lookback_scan_determinismE0ES3_S7_PKhNS0_17constant_iteratorIjlEEPhPlSF_S6_NS0_8equal_toIhEEEE10hipError_tPvRmT2_T3_mT4_T5_T6_T7_T8_P12ihipStream_tbENKUlT_T0_E_clISt17integral_constantIbLb0EESY_IbLb1EEEEDaSU_SV_EUlSU_E_NS1_11comp_targetILNS1_3genE5ELNS1_11target_archE942ELNS1_3gpuE9ELNS1_3repE0EEENS1_30default_config_static_selectorELNS0_4arch9wavefront6targetE0EEEvT1_,"axG",@progbits,_ZN7rocprim17ROCPRIM_400000_NS6detail17trampoline_kernelINS0_14default_configENS1_33run_length_encode_config_selectorIhjNS0_4plusIjEEEEZZNS1_33reduce_by_key_impl_wrapped_configILNS1_25lookback_scan_determinismE0ES3_S7_PKhNS0_17constant_iteratorIjlEEPhPlSF_S6_NS0_8equal_toIhEEEE10hipError_tPvRmT2_T3_mT4_T5_T6_T7_T8_P12ihipStream_tbENKUlT_T0_E_clISt17integral_constantIbLb0EESY_IbLb1EEEEDaSU_SV_EUlSU_E_NS1_11comp_targetILNS1_3genE5ELNS1_11target_archE942ELNS1_3gpuE9ELNS1_3repE0EEENS1_30default_config_static_selectorELNS0_4arch9wavefront6targetE0EEEvT1_,comdat
.Lfunc_end194:
	.size	_ZN7rocprim17ROCPRIM_400000_NS6detail17trampoline_kernelINS0_14default_configENS1_33run_length_encode_config_selectorIhjNS0_4plusIjEEEEZZNS1_33reduce_by_key_impl_wrapped_configILNS1_25lookback_scan_determinismE0ES3_S7_PKhNS0_17constant_iteratorIjlEEPhPlSF_S6_NS0_8equal_toIhEEEE10hipError_tPvRmT2_T3_mT4_T5_T6_T7_T8_P12ihipStream_tbENKUlT_T0_E_clISt17integral_constantIbLb0EESY_IbLb1EEEEDaSU_SV_EUlSU_E_NS1_11comp_targetILNS1_3genE5ELNS1_11target_archE942ELNS1_3gpuE9ELNS1_3repE0EEENS1_30default_config_static_selectorELNS0_4arch9wavefront6targetE0EEEvT1_, .Lfunc_end194-_ZN7rocprim17ROCPRIM_400000_NS6detail17trampoline_kernelINS0_14default_configENS1_33run_length_encode_config_selectorIhjNS0_4plusIjEEEEZZNS1_33reduce_by_key_impl_wrapped_configILNS1_25lookback_scan_determinismE0ES3_S7_PKhNS0_17constant_iteratorIjlEEPhPlSF_S6_NS0_8equal_toIhEEEE10hipError_tPvRmT2_T3_mT4_T5_T6_T7_T8_P12ihipStream_tbENKUlT_T0_E_clISt17integral_constantIbLb0EESY_IbLb1EEEEDaSU_SV_EUlSU_E_NS1_11comp_targetILNS1_3genE5ELNS1_11target_archE942ELNS1_3gpuE9ELNS1_3repE0EEENS1_30default_config_static_selectorELNS0_4arch9wavefront6targetE0EEEvT1_
                                        ; -- End function
	.set _ZN7rocprim17ROCPRIM_400000_NS6detail17trampoline_kernelINS0_14default_configENS1_33run_length_encode_config_selectorIhjNS0_4plusIjEEEEZZNS1_33reduce_by_key_impl_wrapped_configILNS1_25lookback_scan_determinismE0ES3_S7_PKhNS0_17constant_iteratorIjlEEPhPlSF_S6_NS0_8equal_toIhEEEE10hipError_tPvRmT2_T3_mT4_T5_T6_T7_T8_P12ihipStream_tbENKUlT_T0_E_clISt17integral_constantIbLb0EESY_IbLb1EEEEDaSU_SV_EUlSU_E_NS1_11comp_targetILNS1_3genE5ELNS1_11target_archE942ELNS1_3gpuE9ELNS1_3repE0EEENS1_30default_config_static_selectorELNS0_4arch9wavefront6targetE0EEEvT1_.num_vgpr, 0
	.set _ZN7rocprim17ROCPRIM_400000_NS6detail17trampoline_kernelINS0_14default_configENS1_33run_length_encode_config_selectorIhjNS0_4plusIjEEEEZZNS1_33reduce_by_key_impl_wrapped_configILNS1_25lookback_scan_determinismE0ES3_S7_PKhNS0_17constant_iteratorIjlEEPhPlSF_S6_NS0_8equal_toIhEEEE10hipError_tPvRmT2_T3_mT4_T5_T6_T7_T8_P12ihipStream_tbENKUlT_T0_E_clISt17integral_constantIbLb0EESY_IbLb1EEEEDaSU_SV_EUlSU_E_NS1_11comp_targetILNS1_3genE5ELNS1_11target_archE942ELNS1_3gpuE9ELNS1_3repE0EEENS1_30default_config_static_selectorELNS0_4arch9wavefront6targetE0EEEvT1_.num_agpr, 0
	.set _ZN7rocprim17ROCPRIM_400000_NS6detail17trampoline_kernelINS0_14default_configENS1_33run_length_encode_config_selectorIhjNS0_4plusIjEEEEZZNS1_33reduce_by_key_impl_wrapped_configILNS1_25lookback_scan_determinismE0ES3_S7_PKhNS0_17constant_iteratorIjlEEPhPlSF_S6_NS0_8equal_toIhEEEE10hipError_tPvRmT2_T3_mT4_T5_T6_T7_T8_P12ihipStream_tbENKUlT_T0_E_clISt17integral_constantIbLb0EESY_IbLb1EEEEDaSU_SV_EUlSU_E_NS1_11comp_targetILNS1_3genE5ELNS1_11target_archE942ELNS1_3gpuE9ELNS1_3repE0EEENS1_30default_config_static_selectorELNS0_4arch9wavefront6targetE0EEEvT1_.numbered_sgpr, 0
	.set _ZN7rocprim17ROCPRIM_400000_NS6detail17trampoline_kernelINS0_14default_configENS1_33run_length_encode_config_selectorIhjNS0_4plusIjEEEEZZNS1_33reduce_by_key_impl_wrapped_configILNS1_25lookback_scan_determinismE0ES3_S7_PKhNS0_17constant_iteratorIjlEEPhPlSF_S6_NS0_8equal_toIhEEEE10hipError_tPvRmT2_T3_mT4_T5_T6_T7_T8_P12ihipStream_tbENKUlT_T0_E_clISt17integral_constantIbLb0EESY_IbLb1EEEEDaSU_SV_EUlSU_E_NS1_11comp_targetILNS1_3genE5ELNS1_11target_archE942ELNS1_3gpuE9ELNS1_3repE0EEENS1_30default_config_static_selectorELNS0_4arch9wavefront6targetE0EEEvT1_.num_named_barrier, 0
	.set _ZN7rocprim17ROCPRIM_400000_NS6detail17trampoline_kernelINS0_14default_configENS1_33run_length_encode_config_selectorIhjNS0_4plusIjEEEEZZNS1_33reduce_by_key_impl_wrapped_configILNS1_25lookback_scan_determinismE0ES3_S7_PKhNS0_17constant_iteratorIjlEEPhPlSF_S6_NS0_8equal_toIhEEEE10hipError_tPvRmT2_T3_mT4_T5_T6_T7_T8_P12ihipStream_tbENKUlT_T0_E_clISt17integral_constantIbLb0EESY_IbLb1EEEEDaSU_SV_EUlSU_E_NS1_11comp_targetILNS1_3genE5ELNS1_11target_archE942ELNS1_3gpuE9ELNS1_3repE0EEENS1_30default_config_static_selectorELNS0_4arch9wavefront6targetE0EEEvT1_.private_seg_size, 0
	.set _ZN7rocprim17ROCPRIM_400000_NS6detail17trampoline_kernelINS0_14default_configENS1_33run_length_encode_config_selectorIhjNS0_4plusIjEEEEZZNS1_33reduce_by_key_impl_wrapped_configILNS1_25lookback_scan_determinismE0ES3_S7_PKhNS0_17constant_iteratorIjlEEPhPlSF_S6_NS0_8equal_toIhEEEE10hipError_tPvRmT2_T3_mT4_T5_T6_T7_T8_P12ihipStream_tbENKUlT_T0_E_clISt17integral_constantIbLb0EESY_IbLb1EEEEDaSU_SV_EUlSU_E_NS1_11comp_targetILNS1_3genE5ELNS1_11target_archE942ELNS1_3gpuE9ELNS1_3repE0EEENS1_30default_config_static_selectorELNS0_4arch9wavefront6targetE0EEEvT1_.uses_vcc, 0
	.set _ZN7rocprim17ROCPRIM_400000_NS6detail17trampoline_kernelINS0_14default_configENS1_33run_length_encode_config_selectorIhjNS0_4plusIjEEEEZZNS1_33reduce_by_key_impl_wrapped_configILNS1_25lookback_scan_determinismE0ES3_S7_PKhNS0_17constant_iteratorIjlEEPhPlSF_S6_NS0_8equal_toIhEEEE10hipError_tPvRmT2_T3_mT4_T5_T6_T7_T8_P12ihipStream_tbENKUlT_T0_E_clISt17integral_constantIbLb0EESY_IbLb1EEEEDaSU_SV_EUlSU_E_NS1_11comp_targetILNS1_3genE5ELNS1_11target_archE942ELNS1_3gpuE9ELNS1_3repE0EEENS1_30default_config_static_selectorELNS0_4arch9wavefront6targetE0EEEvT1_.uses_flat_scratch, 0
	.set _ZN7rocprim17ROCPRIM_400000_NS6detail17trampoline_kernelINS0_14default_configENS1_33run_length_encode_config_selectorIhjNS0_4plusIjEEEEZZNS1_33reduce_by_key_impl_wrapped_configILNS1_25lookback_scan_determinismE0ES3_S7_PKhNS0_17constant_iteratorIjlEEPhPlSF_S6_NS0_8equal_toIhEEEE10hipError_tPvRmT2_T3_mT4_T5_T6_T7_T8_P12ihipStream_tbENKUlT_T0_E_clISt17integral_constantIbLb0EESY_IbLb1EEEEDaSU_SV_EUlSU_E_NS1_11comp_targetILNS1_3genE5ELNS1_11target_archE942ELNS1_3gpuE9ELNS1_3repE0EEENS1_30default_config_static_selectorELNS0_4arch9wavefront6targetE0EEEvT1_.has_dyn_sized_stack, 0
	.set _ZN7rocprim17ROCPRIM_400000_NS6detail17trampoline_kernelINS0_14default_configENS1_33run_length_encode_config_selectorIhjNS0_4plusIjEEEEZZNS1_33reduce_by_key_impl_wrapped_configILNS1_25lookback_scan_determinismE0ES3_S7_PKhNS0_17constant_iteratorIjlEEPhPlSF_S6_NS0_8equal_toIhEEEE10hipError_tPvRmT2_T3_mT4_T5_T6_T7_T8_P12ihipStream_tbENKUlT_T0_E_clISt17integral_constantIbLb0EESY_IbLb1EEEEDaSU_SV_EUlSU_E_NS1_11comp_targetILNS1_3genE5ELNS1_11target_archE942ELNS1_3gpuE9ELNS1_3repE0EEENS1_30default_config_static_selectorELNS0_4arch9wavefront6targetE0EEEvT1_.has_recursion, 0
	.set _ZN7rocprim17ROCPRIM_400000_NS6detail17trampoline_kernelINS0_14default_configENS1_33run_length_encode_config_selectorIhjNS0_4plusIjEEEEZZNS1_33reduce_by_key_impl_wrapped_configILNS1_25lookback_scan_determinismE0ES3_S7_PKhNS0_17constant_iteratorIjlEEPhPlSF_S6_NS0_8equal_toIhEEEE10hipError_tPvRmT2_T3_mT4_T5_T6_T7_T8_P12ihipStream_tbENKUlT_T0_E_clISt17integral_constantIbLb0EESY_IbLb1EEEEDaSU_SV_EUlSU_E_NS1_11comp_targetILNS1_3genE5ELNS1_11target_archE942ELNS1_3gpuE9ELNS1_3repE0EEENS1_30default_config_static_selectorELNS0_4arch9wavefront6targetE0EEEvT1_.has_indirect_call, 0
	.section	.AMDGPU.csdata,"",@progbits
; Kernel info:
; codeLenInByte = 0
; TotalNumSgprs: 0
; NumVgprs: 0
; ScratchSize: 0
; MemoryBound: 0
; FloatMode: 240
; IeeeMode: 1
; LDSByteSize: 0 bytes/workgroup (compile time only)
; SGPRBlocks: 0
; VGPRBlocks: 0
; NumSGPRsForWavesPerEU: 1
; NumVGPRsForWavesPerEU: 1
; NamedBarCnt: 0
; Occupancy: 16
; WaveLimiterHint : 0
; COMPUTE_PGM_RSRC2:SCRATCH_EN: 0
; COMPUTE_PGM_RSRC2:USER_SGPR: 2
; COMPUTE_PGM_RSRC2:TRAP_HANDLER: 0
; COMPUTE_PGM_RSRC2:TGID_X_EN: 1
; COMPUTE_PGM_RSRC2:TGID_Y_EN: 0
; COMPUTE_PGM_RSRC2:TGID_Z_EN: 0
; COMPUTE_PGM_RSRC2:TIDIG_COMP_CNT: 0
	.section	.text._ZN7rocprim17ROCPRIM_400000_NS6detail17trampoline_kernelINS0_14default_configENS1_33run_length_encode_config_selectorIhjNS0_4plusIjEEEEZZNS1_33reduce_by_key_impl_wrapped_configILNS1_25lookback_scan_determinismE0ES3_S7_PKhNS0_17constant_iteratorIjlEEPhPlSF_S6_NS0_8equal_toIhEEEE10hipError_tPvRmT2_T3_mT4_T5_T6_T7_T8_P12ihipStream_tbENKUlT_T0_E_clISt17integral_constantIbLb0EESY_IbLb1EEEEDaSU_SV_EUlSU_E_NS1_11comp_targetILNS1_3genE4ELNS1_11target_archE910ELNS1_3gpuE8ELNS1_3repE0EEENS1_30default_config_static_selectorELNS0_4arch9wavefront6targetE0EEEvT1_,"axG",@progbits,_ZN7rocprim17ROCPRIM_400000_NS6detail17trampoline_kernelINS0_14default_configENS1_33run_length_encode_config_selectorIhjNS0_4plusIjEEEEZZNS1_33reduce_by_key_impl_wrapped_configILNS1_25lookback_scan_determinismE0ES3_S7_PKhNS0_17constant_iteratorIjlEEPhPlSF_S6_NS0_8equal_toIhEEEE10hipError_tPvRmT2_T3_mT4_T5_T6_T7_T8_P12ihipStream_tbENKUlT_T0_E_clISt17integral_constantIbLb0EESY_IbLb1EEEEDaSU_SV_EUlSU_E_NS1_11comp_targetILNS1_3genE4ELNS1_11target_archE910ELNS1_3gpuE8ELNS1_3repE0EEENS1_30default_config_static_selectorELNS0_4arch9wavefront6targetE0EEEvT1_,comdat
	.protected	_ZN7rocprim17ROCPRIM_400000_NS6detail17trampoline_kernelINS0_14default_configENS1_33run_length_encode_config_selectorIhjNS0_4plusIjEEEEZZNS1_33reduce_by_key_impl_wrapped_configILNS1_25lookback_scan_determinismE0ES3_S7_PKhNS0_17constant_iteratorIjlEEPhPlSF_S6_NS0_8equal_toIhEEEE10hipError_tPvRmT2_T3_mT4_T5_T6_T7_T8_P12ihipStream_tbENKUlT_T0_E_clISt17integral_constantIbLb0EESY_IbLb1EEEEDaSU_SV_EUlSU_E_NS1_11comp_targetILNS1_3genE4ELNS1_11target_archE910ELNS1_3gpuE8ELNS1_3repE0EEENS1_30default_config_static_selectorELNS0_4arch9wavefront6targetE0EEEvT1_ ; -- Begin function _ZN7rocprim17ROCPRIM_400000_NS6detail17trampoline_kernelINS0_14default_configENS1_33run_length_encode_config_selectorIhjNS0_4plusIjEEEEZZNS1_33reduce_by_key_impl_wrapped_configILNS1_25lookback_scan_determinismE0ES3_S7_PKhNS0_17constant_iteratorIjlEEPhPlSF_S6_NS0_8equal_toIhEEEE10hipError_tPvRmT2_T3_mT4_T5_T6_T7_T8_P12ihipStream_tbENKUlT_T0_E_clISt17integral_constantIbLb0EESY_IbLb1EEEEDaSU_SV_EUlSU_E_NS1_11comp_targetILNS1_3genE4ELNS1_11target_archE910ELNS1_3gpuE8ELNS1_3repE0EEENS1_30default_config_static_selectorELNS0_4arch9wavefront6targetE0EEEvT1_
	.globl	_ZN7rocprim17ROCPRIM_400000_NS6detail17trampoline_kernelINS0_14default_configENS1_33run_length_encode_config_selectorIhjNS0_4plusIjEEEEZZNS1_33reduce_by_key_impl_wrapped_configILNS1_25lookback_scan_determinismE0ES3_S7_PKhNS0_17constant_iteratorIjlEEPhPlSF_S6_NS0_8equal_toIhEEEE10hipError_tPvRmT2_T3_mT4_T5_T6_T7_T8_P12ihipStream_tbENKUlT_T0_E_clISt17integral_constantIbLb0EESY_IbLb1EEEEDaSU_SV_EUlSU_E_NS1_11comp_targetILNS1_3genE4ELNS1_11target_archE910ELNS1_3gpuE8ELNS1_3repE0EEENS1_30default_config_static_selectorELNS0_4arch9wavefront6targetE0EEEvT1_
	.p2align	8
	.type	_ZN7rocprim17ROCPRIM_400000_NS6detail17trampoline_kernelINS0_14default_configENS1_33run_length_encode_config_selectorIhjNS0_4plusIjEEEEZZNS1_33reduce_by_key_impl_wrapped_configILNS1_25lookback_scan_determinismE0ES3_S7_PKhNS0_17constant_iteratorIjlEEPhPlSF_S6_NS0_8equal_toIhEEEE10hipError_tPvRmT2_T3_mT4_T5_T6_T7_T8_P12ihipStream_tbENKUlT_T0_E_clISt17integral_constantIbLb0EESY_IbLb1EEEEDaSU_SV_EUlSU_E_NS1_11comp_targetILNS1_3genE4ELNS1_11target_archE910ELNS1_3gpuE8ELNS1_3repE0EEENS1_30default_config_static_selectorELNS0_4arch9wavefront6targetE0EEEvT1_,@function
_ZN7rocprim17ROCPRIM_400000_NS6detail17trampoline_kernelINS0_14default_configENS1_33run_length_encode_config_selectorIhjNS0_4plusIjEEEEZZNS1_33reduce_by_key_impl_wrapped_configILNS1_25lookback_scan_determinismE0ES3_S7_PKhNS0_17constant_iteratorIjlEEPhPlSF_S6_NS0_8equal_toIhEEEE10hipError_tPvRmT2_T3_mT4_T5_T6_T7_T8_P12ihipStream_tbENKUlT_T0_E_clISt17integral_constantIbLb0EESY_IbLb1EEEEDaSU_SV_EUlSU_E_NS1_11comp_targetILNS1_3genE4ELNS1_11target_archE910ELNS1_3gpuE8ELNS1_3repE0EEENS1_30default_config_static_selectorELNS0_4arch9wavefront6targetE0EEEvT1_: ; @_ZN7rocprim17ROCPRIM_400000_NS6detail17trampoline_kernelINS0_14default_configENS1_33run_length_encode_config_selectorIhjNS0_4plusIjEEEEZZNS1_33reduce_by_key_impl_wrapped_configILNS1_25lookback_scan_determinismE0ES3_S7_PKhNS0_17constant_iteratorIjlEEPhPlSF_S6_NS0_8equal_toIhEEEE10hipError_tPvRmT2_T3_mT4_T5_T6_T7_T8_P12ihipStream_tbENKUlT_T0_E_clISt17integral_constantIbLb0EESY_IbLb1EEEEDaSU_SV_EUlSU_E_NS1_11comp_targetILNS1_3genE4ELNS1_11target_archE910ELNS1_3gpuE8ELNS1_3repE0EEENS1_30default_config_static_selectorELNS0_4arch9wavefront6targetE0EEEvT1_
; %bb.0:
	.section	.rodata,"a",@progbits
	.p2align	6, 0x0
	.amdhsa_kernel _ZN7rocprim17ROCPRIM_400000_NS6detail17trampoline_kernelINS0_14default_configENS1_33run_length_encode_config_selectorIhjNS0_4plusIjEEEEZZNS1_33reduce_by_key_impl_wrapped_configILNS1_25lookback_scan_determinismE0ES3_S7_PKhNS0_17constant_iteratorIjlEEPhPlSF_S6_NS0_8equal_toIhEEEE10hipError_tPvRmT2_T3_mT4_T5_T6_T7_T8_P12ihipStream_tbENKUlT_T0_E_clISt17integral_constantIbLb0EESY_IbLb1EEEEDaSU_SV_EUlSU_E_NS1_11comp_targetILNS1_3genE4ELNS1_11target_archE910ELNS1_3gpuE8ELNS1_3repE0EEENS1_30default_config_static_selectorELNS0_4arch9wavefront6targetE0EEEvT1_
		.amdhsa_group_segment_fixed_size 0
		.amdhsa_private_segment_fixed_size 0
		.amdhsa_kernarg_size 128
		.amdhsa_user_sgpr_count 2
		.amdhsa_user_sgpr_dispatch_ptr 0
		.amdhsa_user_sgpr_queue_ptr 0
		.amdhsa_user_sgpr_kernarg_segment_ptr 1
		.amdhsa_user_sgpr_dispatch_id 0
		.amdhsa_user_sgpr_kernarg_preload_length 0
		.amdhsa_user_sgpr_kernarg_preload_offset 0
		.amdhsa_user_sgpr_private_segment_size 0
		.amdhsa_wavefront_size32 1
		.amdhsa_uses_dynamic_stack 0
		.amdhsa_enable_private_segment 0
		.amdhsa_system_sgpr_workgroup_id_x 1
		.amdhsa_system_sgpr_workgroup_id_y 0
		.amdhsa_system_sgpr_workgroup_id_z 0
		.amdhsa_system_sgpr_workgroup_info 0
		.amdhsa_system_vgpr_workitem_id 0
		.amdhsa_next_free_vgpr 1
		.amdhsa_next_free_sgpr 1
		.amdhsa_named_barrier_count 0
		.amdhsa_reserve_vcc 0
		.amdhsa_float_round_mode_32 0
		.amdhsa_float_round_mode_16_64 0
		.amdhsa_float_denorm_mode_32 3
		.amdhsa_float_denorm_mode_16_64 3
		.amdhsa_fp16_overflow 0
		.amdhsa_memory_ordered 1
		.amdhsa_forward_progress 1
		.amdhsa_inst_pref_size 0
		.amdhsa_round_robin_scheduling 0
		.amdhsa_exception_fp_ieee_invalid_op 0
		.amdhsa_exception_fp_denorm_src 0
		.amdhsa_exception_fp_ieee_div_zero 0
		.amdhsa_exception_fp_ieee_overflow 0
		.amdhsa_exception_fp_ieee_underflow 0
		.amdhsa_exception_fp_ieee_inexact 0
		.amdhsa_exception_int_div_zero 0
	.end_amdhsa_kernel
	.section	.text._ZN7rocprim17ROCPRIM_400000_NS6detail17trampoline_kernelINS0_14default_configENS1_33run_length_encode_config_selectorIhjNS0_4plusIjEEEEZZNS1_33reduce_by_key_impl_wrapped_configILNS1_25lookback_scan_determinismE0ES3_S7_PKhNS0_17constant_iteratorIjlEEPhPlSF_S6_NS0_8equal_toIhEEEE10hipError_tPvRmT2_T3_mT4_T5_T6_T7_T8_P12ihipStream_tbENKUlT_T0_E_clISt17integral_constantIbLb0EESY_IbLb1EEEEDaSU_SV_EUlSU_E_NS1_11comp_targetILNS1_3genE4ELNS1_11target_archE910ELNS1_3gpuE8ELNS1_3repE0EEENS1_30default_config_static_selectorELNS0_4arch9wavefront6targetE0EEEvT1_,"axG",@progbits,_ZN7rocprim17ROCPRIM_400000_NS6detail17trampoline_kernelINS0_14default_configENS1_33run_length_encode_config_selectorIhjNS0_4plusIjEEEEZZNS1_33reduce_by_key_impl_wrapped_configILNS1_25lookback_scan_determinismE0ES3_S7_PKhNS0_17constant_iteratorIjlEEPhPlSF_S6_NS0_8equal_toIhEEEE10hipError_tPvRmT2_T3_mT4_T5_T6_T7_T8_P12ihipStream_tbENKUlT_T0_E_clISt17integral_constantIbLb0EESY_IbLb1EEEEDaSU_SV_EUlSU_E_NS1_11comp_targetILNS1_3genE4ELNS1_11target_archE910ELNS1_3gpuE8ELNS1_3repE0EEENS1_30default_config_static_selectorELNS0_4arch9wavefront6targetE0EEEvT1_,comdat
.Lfunc_end195:
	.size	_ZN7rocprim17ROCPRIM_400000_NS6detail17trampoline_kernelINS0_14default_configENS1_33run_length_encode_config_selectorIhjNS0_4plusIjEEEEZZNS1_33reduce_by_key_impl_wrapped_configILNS1_25lookback_scan_determinismE0ES3_S7_PKhNS0_17constant_iteratorIjlEEPhPlSF_S6_NS0_8equal_toIhEEEE10hipError_tPvRmT2_T3_mT4_T5_T6_T7_T8_P12ihipStream_tbENKUlT_T0_E_clISt17integral_constantIbLb0EESY_IbLb1EEEEDaSU_SV_EUlSU_E_NS1_11comp_targetILNS1_3genE4ELNS1_11target_archE910ELNS1_3gpuE8ELNS1_3repE0EEENS1_30default_config_static_selectorELNS0_4arch9wavefront6targetE0EEEvT1_, .Lfunc_end195-_ZN7rocprim17ROCPRIM_400000_NS6detail17trampoline_kernelINS0_14default_configENS1_33run_length_encode_config_selectorIhjNS0_4plusIjEEEEZZNS1_33reduce_by_key_impl_wrapped_configILNS1_25lookback_scan_determinismE0ES3_S7_PKhNS0_17constant_iteratorIjlEEPhPlSF_S6_NS0_8equal_toIhEEEE10hipError_tPvRmT2_T3_mT4_T5_T6_T7_T8_P12ihipStream_tbENKUlT_T0_E_clISt17integral_constantIbLb0EESY_IbLb1EEEEDaSU_SV_EUlSU_E_NS1_11comp_targetILNS1_3genE4ELNS1_11target_archE910ELNS1_3gpuE8ELNS1_3repE0EEENS1_30default_config_static_selectorELNS0_4arch9wavefront6targetE0EEEvT1_
                                        ; -- End function
	.set _ZN7rocprim17ROCPRIM_400000_NS6detail17trampoline_kernelINS0_14default_configENS1_33run_length_encode_config_selectorIhjNS0_4plusIjEEEEZZNS1_33reduce_by_key_impl_wrapped_configILNS1_25lookback_scan_determinismE0ES3_S7_PKhNS0_17constant_iteratorIjlEEPhPlSF_S6_NS0_8equal_toIhEEEE10hipError_tPvRmT2_T3_mT4_T5_T6_T7_T8_P12ihipStream_tbENKUlT_T0_E_clISt17integral_constantIbLb0EESY_IbLb1EEEEDaSU_SV_EUlSU_E_NS1_11comp_targetILNS1_3genE4ELNS1_11target_archE910ELNS1_3gpuE8ELNS1_3repE0EEENS1_30default_config_static_selectorELNS0_4arch9wavefront6targetE0EEEvT1_.num_vgpr, 0
	.set _ZN7rocprim17ROCPRIM_400000_NS6detail17trampoline_kernelINS0_14default_configENS1_33run_length_encode_config_selectorIhjNS0_4plusIjEEEEZZNS1_33reduce_by_key_impl_wrapped_configILNS1_25lookback_scan_determinismE0ES3_S7_PKhNS0_17constant_iteratorIjlEEPhPlSF_S6_NS0_8equal_toIhEEEE10hipError_tPvRmT2_T3_mT4_T5_T6_T7_T8_P12ihipStream_tbENKUlT_T0_E_clISt17integral_constantIbLb0EESY_IbLb1EEEEDaSU_SV_EUlSU_E_NS1_11comp_targetILNS1_3genE4ELNS1_11target_archE910ELNS1_3gpuE8ELNS1_3repE0EEENS1_30default_config_static_selectorELNS0_4arch9wavefront6targetE0EEEvT1_.num_agpr, 0
	.set _ZN7rocprim17ROCPRIM_400000_NS6detail17trampoline_kernelINS0_14default_configENS1_33run_length_encode_config_selectorIhjNS0_4plusIjEEEEZZNS1_33reduce_by_key_impl_wrapped_configILNS1_25lookback_scan_determinismE0ES3_S7_PKhNS0_17constant_iteratorIjlEEPhPlSF_S6_NS0_8equal_toIhEEEE10hipError_tPvRmT2_T3_mT4_T5_T6_T7_T8_P12ihipStream_tbENKUlT_T0_E_clISt17integral_constantIbLb0EESY_IbLb1EEEEDaSU_SV_EUlSU_E_NS1_11comp_targetILNS1_3genE4ELNS1_11target_archE910ELNS1_3gpuE8ELNS1_3repE0EEENS1_30default_config_static_selectorELNS0_4arch9wavefront6targetE0EEEvT1_.numbered_sgpr, 0
	.set _ZN7rocprim17ROCPRIM_400000_NS6detail17trampoline_kernelINS0_14default_configENS1_33run_length_encode_config_selectorIhjNS0_4plusIjEEEEZZNS1_33reduce_by_key_impl_wrapped_configILNS1_25lookback_scan_determinismE0ES3_S7_PKhNS0_17constant_iteratorIjlEEPhPlSF_S6_NS0_8equal_toIhEEEE10hipError_tPvRmT2_T3_mT4_T5_T6_T7_T8_P12ihipStream_tbENKUlT_T0_E_clISt17integral_constantIbLb0EESY_IbLb1EEEEDaSU_SV_EUlSU_E_NS1_11comp_targetILNS1_3genE4ELNS1_11target_archE910ELNS1_3gpuE8ELNS1_3repE0EEENS1_30default_config_static_selectorELNS0_4arch9wavefront6targetE0EEEvT1_.num_named_barrier, 0
	.set _ZN7rocprim17ROCPRIM_400000_NS6detail17trampoline_kernelINS0_14default_configENS1_33run_length_encode_config_selectorIhjNS0_4plusIjEEEEZZNS1_33reduce_by_key_impl_wrapped_configILNS1_25lookback_scan_determinismE0ES3_S7_PKhNS0_17constant_iteratorIjlEEPhPlSF_S6_NS0_8equal_toIhEEEE10hipError_tPvRmT2_T3_mT4_T5_T6_T7_T8_P12ihipStream_tbENKUlT_T0_E_clISt17integral_constantIbLb0EESY_IbLb1EEEEDaSU_SV_EUlSU_E_NS1_11comp_targetILNS1_3genE4ELNS1_11target_archE910ELNS1_3gpuE8ELNS1_3repE0EEENS1_30default_config_static_selectorELNS0_4arch9wavefront6targetE0EEEvT1_.private_seg_size, 0
	.set _ZN7rocprim17ROCPRIM_400000_NS6detail17trampoline_kernelINS0_14default_configENS1_33run_length_encode_config_selectorIhjNS0_4plusIjEEEEZZNS1_33reduce_by_key_impl_wrapped_configILNS1_25lookback_scan_determinismE0ES3_S7_PKhNS0_17constant_iteratorIjlEEPhPlSF_S6_NS0_8equal_toIhEEEE10hipError_tPvRmT2_T3_mT4_T5_T6_T7_T8_P12ihipStream_tbENKUlT_T0_E_clISt17integral_constantIbLb0EESY_IbLb1EEEEDaSU_SV_EUlSU_E_NS1_11comp_targetILNS1_3genE4ELNS1_11target_archE910ELNS1_3gpuE8ELNS1_3repE0EEENS1_30default_config_static_selectorELNS0_4arch9wavefront6targetE0EEEvT1_.uses_vcc, 0
	.set _ZN7rocprim17ROCPRIM_400000_NS6detail17trampoline_kernelINS0_14default_configENS1_33run_length_encode_config_selectorIhjNS0_4plusIjEEEEZZNS1_33reduce_by_key_impl_wrapped_configILNS1_25lookback_scan_determinismE0ES3_S7_PKhNS0_17constant_iteratorIjlEEPhPlSF_S6_NS0_8equal_toIhEEEE10hipError_tPvRmT2_T3_mT4_T5_T6_T7_T8_P12ihipStream_tbENKUlT_T0_E_clISt17integral_constantIbLb0EESY_IbLb1EEEEDaSU_SV_EUlSU_E_NS1_11comp_targetILNS1_3genE4ELNS1_11target_archE910ELNS1_3gpuE8ELNS1_3repE0EEENS1_30default_config_static_selectorELNS0_4arch9wavefront6targetE0EEEvT1_.uses_flat_scratch, 0
	.set _ZN7rocprim17ROCPRIM_400000_NS6detail17trampoline_kernelINS0_14default_configENS1_33run_length_encode_config_selectorIhjNS0_4plusIjEEEEZZNS1_33reduce_by_key_impl_wrapped_configILNS1_25lookback_scan_determinismE0ES3_S7_PKhNS0_17constant_iteratorIjlEEPhPlSF_S6_NS0_8equal_toIhEEEE10hipError_tPvRmT2_T3_mT4_T5_T6_T7_T8_P12ihipStream_tbENKUlT_T0_E_clISt17integral_constantIbLb0EESY_IbLb1EEEEDaSU_SV_EUlSU_E_NS1_11comp_targetILNS1_3genE4ELNS1_11target_archE910ELNS1_3gpuE8ELNS1_3repE0EEENS1_30default_config_static_selectorELNS0_4arch9wavefront6targetE0EEEvT1_.has_dyn_sized_stack, 0
	.set _ZN7rocprim17ROCPRIM_400000_NS6detail17trampoline_kernelINS0_14default_configENS1_33run_length_encode_config_selectorIhjNS0_4plusIjEEEEZZNS1_33reduce_by_key_impl_wrapped_configILNS1_25lookback_scan_determinismE0ES3_S7_PKhNS0_17constant_iteratorIjlEEPhPlSF_S6_NS0_8equal_toIhEEEE10hipError_tPvRmT2_T3_mT4_T5_T6_T7_T8_P12ihipStream_tbENKUlT_T0_E_clISt17integral_constantIbLb0EESY_IbLb1EEEEDaSU_SV_EUlSU_E_NS1_11comp_targetILNS1_3genE4ELNS1_11target_archE910ELNS1_3gpuE8ELNS1_3repE0EEENS1_30default_config_static_selectorELNS0_4arch9wavefront6targetE0EEEvT1_.has_recursion, 0
	.set _ZN7rocprim17ROCPRIM_400000_NS6detail17trampoline_kernelINS0_14default_configENS1_33run_length_encode_config_selectorIhjNS0_4plusIjEEEEZZNS1_33reduce_by_key_impl_wrapped_configILNS1_25lookback_scan_determinismE0ES3_S7_PKhNS0_17constant_iteratorIjlEEPhPlSF_S6_NS0_8equal_toIhEEEE10hipError_tPvRmT2_T3_mT4_T5_T6_T7_T8_P12ihipStream_tbENKUlT_T0_E_clISt17integral_constantIbLb0EESY_IbLb1EEEEDaSU_SV_EUlSU_E_NS1_11comp_targetILNS1_3genE4ELNS1_11target_archE910ELNS1_3gpuE8ELNS1_3repE0EEENS1_30default_config_static_selectorELNS0_4arch9wavefront6targetE0EEEvT1_.has_indirect_call, 0
	.section	.AMDGPU.csdata,"",@progbits
; Kernel info:
; codeLenInByte = 0
; TotalNumSgprs: 0
; NumVgprs: 0
; ScratchSize: 0
; MemoryBound: 0
; FloatMode: 240
; IeeeMode: 1
; LDSByteSize: 0 bytes/workgroup (compile time only)
; SGPRBlocks: 0
; VGPRBlocks: 0
; NumSGPRsForWavesPerEU: 1
; NumVGPRsForWavesPerEU: 1
; NamedBarCnt: 0
; Occupancy: 16
; WaveLimiterHint : 0
; COMPUTE_PGM_RSRC2:SCRATCH_EN: 0
; COMPUTE_PGM_RSRC2:USER_SGPR: 2
; COMPUTE_PGM_RSRC2:TRAP_HANDLER: 0
; COMPUTE_PGM_RSRC2:TGID_X_EN: 1
; COMPUTE_PGM_RSRC2:TGID_Y_EN: 0
; COMPUTE_PGM_RSRC2:TGID_Z_EN: 0
; COMPUTE_PGM_RSRC2:TIDIG_COMP_CNT: 0
	.section	.text._ZN7rocprim17ROCPRIM_400000_NS6detail17trampoline_kernelINS0_14default_configENS1_33run_length_encode_config_selectorIhjNS0_4plusIjEEEEZZNS1_33reduce_by_key_impl_wrapped_configILNS1_25lookback_scan_determinismE0ES3_S7_PKhNS0_17constant_iteratorIjlEEPhPlSF_S6_NS0_8equal_toIhEEEE10hipError_tPvRmT2_T3_mT4_T5_T6_T7_T8_P12ihipStream_tbENKUlT_T0_E_clISt17integral_constantIbLb0EESY_IbLb1EEEEDaSU_SV_EUlSU_E_NS1_11comp_targetILNS1_3genE3ELNS1_11target_archE908ELNS1_3gpuE7ELNS1_3repE0EEENS1_30default_config_static_selectorELNS0_4arch9wavefront6targetE0EEEvT1_,"axG",@progbits,_ZN7rocprim17ROCPRIM_400000_NS6detail17trampoline_kernelINS0_14default_configENS1_33run_length_encode_config_selectorIhjNS0_4plusIjEEEEZZNS1_33reduce_by_key_impl_wrapped_configILNS1_25lookback_scan_determinismE0ES3_S7_PKhNS0_17constant_iteratorIjlEEPhPlSF_S6_NS0_8equal_toIhEEEE10hipError_tPvRmT2_T3_mT4_T5_T6_T7_T8_P12ihipStream_tbENKUlT_T0_E_clISt17integral_constantIbLb0EESY_IbLb1EEEEDaSU_SV_EUlSU_E_NS1_11comp_targetILNS1_3genE3ELNS1_11target_archE908ELNS1_3gpuE7ELNS1_3repE0EEENS1_30default_config_static_selectorELNS0_4arch9wavefront6targetE0EEEvT1_,comdat
	.protected	_ZN7rocprim17ROCPRIM_400000_NS6detail17trampoline_kernelINS0_14default_configENS1_33run_length_encode_config_selectorIhjNS0_4plusIjEEEEZZNS1_33reduce_by_key_impl_wrapped_configILNS1_25lookback_scan_determinismE0ES3_S7_PKhNS0_17constant_iteratorIjlEEPhPlSF_S6_NS0_8equal_toIhEEEE10hipError_tPvRmT2_T3_mT4_T5_T6_T7_T8_P12ihipStream_tbENKUlT_T0_E_clISt17integral_constantIbLb0EESY_IbLb1EEEEDaSU_SV_EUlSU_E_NS1_11comp_targetILNS1_3genE3ELNS1_11target_archE908ELNS1_3gpuE7ELNS1_3repE0EEENS1_30default_config_static_selectorELNS0_4arch9wavefront6targetE0EEEvT1_ ; -- Begin function _ZN7rocprim17ROCPRIM_400000_NS6detail17trampoline_kernelINS0_14default_configENS1_33run_length_encode_config_selectorIhjNS0_4plusIjEEEEZZNS1_33reduce_by_key_impl_wrapped_configILNS1_25lookback_scan_determinismE0ES3_S7_PKhNS0_17constant_iteratorIjlEEPhPlSF_S6_NS0_8equal_toIhEEEE10hipError_tPvRmT2_T3_mT4_T5_T6_T7_T8_P12ihipStream_tbENKUlT_T0_E_clISt17integral_constantIbLb0EESY_IbLb1EEEEDaSU_SV_EUlSU_E_NS1_11comp_targetILNS1_3genE3ELNS1_11target_archE908ELNS1_3gpuE7ELNS1_3repE0EEENS1_30default_config_static_selectorELNS0_4arch9wavefront6targetE0EEEvT1_
	.globl	_ZN7rocprim17ROCPRIM_400000_NS6detail17trampoline_kernelINS0_14default_configENS1_33run_length_encode_config_selectorIhjNS0_4plusIjEEEEZZNS1_33reduce_by_key_impl_wrapped_configILNS1_25lookback_scan_determinismE0ES3_S7_PKhNS0_17constant_iteratorIjlEEPhPlSF_S6_NS0_8equal_toIhEEEE10hipError_tPvRmT2_T3_mT4_T5_T6_T7_T8_P12ihipStream_tbENKUlT_T0_E_clISt17integral_constantIbLb0EESY_IbLb1EEEEDaSU_SV_EUlSU_E_NS1_11comp_targetILNS1_3genE3ELNS1_11target_archE908ELNS1_3gpuE7ELNS1_3repE0EEENS1_30default_config_static_selectorELNS0_4arch9wavefront6targetE0EEEvT1_
	.p2align	8
	.type	_ZN7rocprim17ROCPRIM_400000_NS6detail17trampoline_kernelINS0_14default_configENS1_33run_length_encode_config_selectorIhjNS0_4plusIjEEEEZZNS1_33reduce_by_key_impl_wrapped_configILNS1_25lookback_scan_determinismE0ES3_S7_PKhNS0_17constant_iteratorIjlEEPhPlSF_S6_NS0_8equal_toIhEEEE10hipError_tPvRmT2_T3_mT4_T5_T6_T7_T8_P12ihipStream_tbENKUlT_T0_E_clISt17integral_constantIbLb0EESY_IbLb1EEEEDaSU_SV_EUlSU_E_NS1_11comp_targetILNS1_3genE3ELNS1_11target_archE908ELNS1_3gpuE7ELNS1_3repE0EEENS1_30default_config_static_selectorELNS0_4arch9wavefront6targetE0EEEvT1_,@function
_ZN7rocprim17ROCPRIM_400000_NS6detail17trampoline_kernelINS0_14default_configENS1_33run_length_encode_config_selectorIhjNS0_4plusIjEEEEZZNS1_33reduce_by_key_impl_wrapped_configILNS1_25lookback_scan_determinismE0ES3_S7_PKhNS0_17constant_iteratorIjlEEPhPlSF_S6_NS0_8equal_toIhEEEE10hipError_tPvRmT2_T3_mT4_T5_T6_T7_T8_P12ihipStream_tbENKUlT_T0_E_clISt17integral_constantIbLb0EESY_IbLb1EEEEDaSU_SV_EUlSU_E_NS1_11comp_targetILNS1_3genE3ELNS1_11target_archE908ELNS1_3gpuE7ELNS1_3repE0EEENS1_30default_config_static_selectorELNS0_4arch9wavefront6targetE0EEEvT1_: ; @_ZN7rocprim17ROCPRIM_400000_NS6detail17trampoline_kernelINS0_14default_configENS1_33run_length_encode_config_selectorIhjNS0_4plusIjEEEEZZNS1_33reduce_by_key_impl_wrapped_configILNS1_25lookback_scan_determinismE0ES3_S7_PKhNS0_17constant_iteratorIjlEEPhPlSF_S6_NS0_8equal_toIhEEEE10hipError_tPvRmT2_T3_mT4_T5_T6_T7_T8_P12ihipStream_tbENKUlT_T0_E_clISt17integral_constantIbLb0EESY_IbLb1EEEEDaSU_SV_EUlSU_E_NS1_11comp_targetILNS1_3genE3ELNS1_11target_archE908ELNS1_3gpuE7ELNS1_3repE0EEENS1_30default_config_static_selectorELNS0_4arch9wavefront6targetE0EEEvT1_
; %bb.0:
	.section	.rodata,"a",@progbits
	.p2align	6, 0x0
	.amdhsa_kernel _ZN7rocprim17ROCPRIM_400000_NS6detail17trampoline_kernelINS0_14default_configENS1_33run_length_encode_config_selectorIhjNS0_4plusIjEEEEZZNS1_33reduce_by_key_impl_wrapped_configILNS1_25lookback_scan_determinismE0ES3_S7_PKhNS0_17constant_iteratorIjlEEPhPlSF_S6_NS0_8equal_toIhEEEE10hipError_tPvRmT2_T3_mT4_T5_T6_T7_T8_P12ihipStream_tbENKUlT_T0_E_clISt17integral_constantIbLb0EESY_IbLb1EEEEDaSU_SV_EUlSU_E_NS1_11comp_targetILNS1_3genE3ELNS1_11target_archE908ELNS1_3gpuE7ELNS1_3repE0EEENS1_30default_config_static_selectorELNS0_4arch9wavefront6targetE0EEEvT1_
		.amdhsa_group_segment_fixed_size 0
		.amdhsa_private_segment_fixed_size 0
		.amdhsa_kernarg_size 128
		.amdhsa_user_sgpr_count 2
		.amdhsa_user_sgpr_dispatch_ptr 0
		.amdhsa_user_sgpr_queue_ptr 0
		.amdhsa_user_sgpr_kernarg_segment_ptr 1
		.amdhsa_user_sgpr_dispatch_id 0
		.amdhsa_user_sgpr_kernarg_preload_length 0
		.amdhsa_user_sgpr_kernarg_preload_offset 0
		.amdhsa_user_sgpr_private_segment_size 0
		.amdhsa_wavefront_size32 1
		.amdhsa_uses_dynamic_stack 0
		.amdhsa_enable_private_segment 0
		.amdhsa_system_sgpr_workgroup_id_x 1
		.amdhsa_system_sgpr_workgroup_id_y 0
		.amdhsa_system_sgpr_workgroup_id_z 0
		.amdhsa_system_sgpr_workgroup_info 0
		.amdhsa_system_vgpr_workitem_id 0
		.amdhsa_next_free_vgpr 1
		.amdhsa_next_free_sgpr 1
		.amdhsa_named_barrier_count 0
		.amdhsa_reserve_vcc 0
		.amdhsa_float_round_mode_32 0
		.amdhsa_float_round_mode_16_64 0
		.amdhsa_float_denorm_mode_32 3
		.amdhsa_float_denorm_mode_16_64 3
		.amdhsa_fp16_overflow 0
		.amdhsa_memory_ordered 1
		.amdhsa_forward_progress 1
		.amdhsa_inst_pref_size 0
		.amdhsa_round_robin_scheduling 0
		.amdhsa_exception_fp_ieee_invalid_op 0
		.amdhsa_exception_fp_denorm_src 0
		.amdhsa_exception_fp_ieee_div_zero 0
		.amdhsa_exception_fp_ieee_overflow 0
		.amdhsa_exception_fp_ieee_underflow 0
		.amdhsa_exception_fp_ieee_inexact 0
		.amdhsa_exception_int_div_zero 0
	.end_amdhsa_kernel
	.section	.text._ZN7rocprim17ROCPRIM_400000_NS6detail17trampoline_kernelINS0_14default_configENS1_33run_length_encode_config_selectorIhjNS0_4plusIjEEEEZZNS1_33reduce_by_key_impl_wrapped_configILNS1_25lookback_scan_determinismE0ES3_S7_PKhNS0_17constant_iteratorIjlEEPhPlSF_S6_NS0_8equal_toIhEEEE10hipError_tPvRmT2_T3_mT4_T5_T6_T7_T8_P12ihipStream_tbENKUlT_T0_E_clISt17integral_constantIbLb0EESY_IbLb1EEEEDaSU_SV_EUlSU_E_NS1_11comp_targetILNS1_3genE3ELNS1_11target_archE908ELNS1_3gpuE7ELNS1_3repE0EEENS1_30default_config_static_selectorELNS0_4arch9wavefront6targetE0EEEvT1_,"axG",@progbits,_ZN7rocprim17ROCPRIM_400000_NS6detail17trampoline_kernelINS0_14default_configENS1_33run_length_encode_config_selectorIhjNS0_4plusIjEEEEZZNS1_33reduce_by_key_impl_wrapped_configILNS1_25lookback_scan_determinismE0ES3_S7_PKhNS0_17constant_iteratorIjlEEPhPlSF_S6_NS0_8equal_toIhEEEE10hipError_tPvRmT2_T3_mT4_T5_T6_T7_T8_P12ihipStream_tbENKUlT_T0_E_clISt17integral_constantIbLb0EESY_IbLb1EEEEDaSU_SV_EUlSU_E_NS1_11comp_targetILNS1_3genE3ELNS1_11target_archE908ELNS1_3gpuE7ELNS1_3repE0EEENS1_30default_config_static_selectorELNS0_4arch9wavefront6targetE0EEEvT1_,comdat
.Lfunc_end196:
	.size	_ZN7rocprim17ROCPRIM_400000_NS6detail17trampoline_kernelINS0_14default_configENS1_33run_length_encode_config_selectorIhjNS0_4plusIjEEEEZZNS1_33reduce_by_key_impl_wrapped_configILNS1_25lookback_scan_determinismE0ES3_S7_PKhNS0_17constant_iteratorIjlEEPhPlSF_S6_NS0_8equal_toIhEEEE10hipError_tPvRmT2_T3_mT4_T5_T6_T7_T8_P12ihipStream_tbENKUlT_T0_E_clISt17integral_constantIbLb0EESY_IbLb1EEEEDaSU_SV_EUlSU_E_NS1_11comp_targetILNS1_3genE3ELNS1_11target_archE908ELNS1_3gpuE7ELNS1_3repE0EEENS1_30default_config_static_selectorELNS0_4arch9wavefront6targetE0EEEvT1_, .Lfunc_end196-_ZN7rocprim17ROCPRIM_400000_NS6detail17trampoline_kernelINS0_14default_configENS1_33run_length_encode_config_selectorIhjNS0_4plusIjEEEEZZNS1_33reduce_by_key_impl_wrapped_configILNS1_25lookback_scan_determinismE0ES3_S7_PKhNS0_17constant_iteratorIjlEEPhPlSF_S6_NS0_8equal_toIhEEEE10hipError_tPvRmT2_T3_mT4_T5_T6_T7_T8_P12ihipStream_tbENKUlT_T0_E_clISt17integral_constantIbLb0EESY_IbLb1EEEEDaSU_SV_EUlSU_E_NS1_11comp_targetILNS1_3genE3ELNS1_11target_archE908ELNS1_3gpuE7ELNS1_3repE0EEENS1_30default_config_static_selectorELNS0_4arch9wavefront6targetE0EEEvT1_
                                        ; -- End function
	.set _ZN7rocprim17ROCPRIM_400000_NS6detail17trampoline_kernelINS0_14default_configENS1_33run_length_encode_config_selectorIhjNS0_4plusIjEEEEZZNS1_33reduce_by_key_impl_wrapped_configILNS1_25lookback_scan_determinismE0ES3_S7_PKhNS0_17constant_iteratorIjlEEPhPlSF_S6_NS0_8equal_toIhEEEE10hipError_tPvRmT2_T3_mT4_T5_T6_T7_T8_P12ihipStream_tbENKUlT_T0_E_clISt17integral_constantIbLb0EESY_IbLb1EEEEDaSU_SV_EUlSU_E_NS1_11comp_targetILNS1_3genE3ELNS1_11target_archE908ELNS1_3gpuE7ELNS1_3repE0EEENS1_30default_config_static_selectorELNS0_4arch9wavefront6targetE0EEEvT1_.num_vgpr, 0
	.set _ZN7rocprim17ROCPRIM_400000_NS6detail17trampoline_kernelINS0_14default_configENS1_33run_length_encode_config_selectorIhjNS0_4plusIjEEEEZZNS1_33reduce_by_key_impl_wrapped_configILNS1_25lookback_scan_determinismE0ES3_S7_PKhNS0_17constant_iteratorIjlEEPhPlSF_S6_NS0_8equal_toIhEEEE10hipError_tPvRmT2_T3_mT4_T5_T6_T7_T8_P12ihipStream_tbENKUlT_T0_E_clISt17integral_constantIbLb0EESY_IbLb1EEEEDaSU_SV_EUlSU_E_NS1_11comp_targetILNS1_3genE3ELNS1_11target_archE908ELNS1_3gpuE7ELNS1_3repE0EEENS1_30default_config_static_selectorELNS0_4arch9wavefront6targetE0EEEvT1_.num_agpr, 0
	.set _ZN7rocprim17ROCPRIM_400000_NS6detail17trampoline_kernelINS0_14default_configENS1_33run_length_encode_config_selectorIhjNS0_4plusIjEEEEZZNS1_33reduce_by_key_impl_wrapped_configILNS1_25lookback_scan_determinismE0ES3_S7_PKhNS0_17constant_iteratorIjlEEPhPlSF_S6_NS0_8equal_toIhEEEE10hipError_tPvRmT2_T3_mT4_T5_T6_T7_T8_P12ihipStream_tbENKUlT_T0_E_clISt17integral_constantIbLb0EESY_IbLb1EEEEDaSU_SV_EUlSU_E_NS1_11comp_targetILNS1_3genE3ELNS1_11target_archE908ELNS1_3gpuE7ELNS1_3repE0EEENS1_30default_config_static_selectorELNS0_4arch9wavefront6targetE0EEEvT1_.numbered_sgpr, 0
	.set _ZN7rocprim17ROCPRIM_400000_NS6detail17trampoline_kernelINS0_14default_configENS1_33run_length_encode_config_selectorIhjNS0_4plusIjEEEEZZNS1_33reduce_by_key_impl_wrapped_configILNS1_25lookback_scan_determinismE0ES3_S7_PKhNS0_17constant_iteratorIjlEEPhPlSF_S6_NS0_8equal_toIhEEEE10hipError_tPvRmT2_T3_mT4_T5_T6_T7_T8_P12ihipStream_tbENKUlT_T0_E_clISt17integral_constantIbLb0EESY_IbLb1EEEEDaSU_SV_EUlSU_E_NS1_11comp_targetILNS1_3genE3ELNS1_11target_archE908ELNS1_3gpuE7ELNS1_3repE0EEENS1_30default_config_static_selectorELNS0_4arch9wavefront6targetE0EEEvT1_.num_named_barrier, 0
	.set _ZN7rocprim17ROCPRIM_400000_NS6detail17trampoline_kernelINS0_14default_configENS1_33run_length_encode_config_selectorIhjNS0_4plusIjEEEEZZNS1_33reduce_by_key_impl_wrapped_configILNS1_25lookback_scan_determinismE0ES3_S7_PKhNS0_17constant_iteratorIjlEEPhPlSF_S6_NS0_8equal_toIhEEEE10hipError_tPvRmT2_T3_mT4_T5_T6_T7_T8_P12ihipStream_tbENKUlT_T0_E_clISt17integral_constantIbLb0EESY_IbLb1EEEEDaSU_SV_EUlSU_E_NS1_11comp_targetILNS1_3genE3ELNS1_11target_archE908ELNS1_3gpuE7ELNS1_3repE0EEENS1_30default_config_static_selectorELNS0_4arch9wavefront6targetE0EEEvT1_.private_seg_size, 0
	.set _ZN7rocprim17ROCPRIM_400000_NS6detail17trampoline_kernelINS0_14default_configENS1_33run_length_encode_config_selectorIhjNS0_4plusIjEEEEZZNS1_33reduce_by_key_impl_wrapped_configILNS1_25lookback_scan_determinismE0ES3_S7_PKhNS0_17constant_iteratorIjlEEPhPlSF_S6_NS0_8equal_toIhEEEE10hipError_tPvRmT2_T3_mT4_T5_T6_T7_T8_P12ihipStream_tbENKUlT_T0_E_clISt17integral_constantIbLb0EESY_IbLb1EEEEDaSU_SV_EUlSU_E_NS1_11comp_targetILNS1_3genE3ELNS1_11target_archE908ELNS1_3gpuE7ELNS1_3repE0EEENS1_30default_config_static_selectorELNS0_4arch9wavefront6targetE0EEEvT1_.uses_vcc, 0
	.set _ZN7rocprim17ROCPRIM_400000_NS6detail17trampoline_kernelINS0_14default_configENS1_33run_length_encode_config_selectorIhjNS0_4plusIjEEEEZZNS1_33reduce_by_key_impl_wrapped_configILNS1_25lookback_scan_determinismE0ES3_S7_PKhNS0_17constant_iteratorIjlEEPhPlSF_S6_NS0_8equal_toIhEEEE10hipError_tPvRmT2_T3_mT4_T5_T6_T7_T8_P12ihipStream_tbENKUlT_T0_E_clISt17integral_constantIbLb0EESY_IbLb1EEEEDaSU_SV_EUlSU_E_NS1_11comp_targetILNS1_3genE3ELNS1_11target_archE908ELNS1_3gpuE7ELNS1_3repE0EEENS1_30default_config_static_selectorELNS0_4arch9wavefront6targetE0EEEvT1_.uses_flat_scratch, 0
	.set _ZN7rocprim17ROCPRIM_400000_NS6detail17trampoline_kernelINS0_14default_configENS1_33run_length_encode_config_selectorIhjNS0_4plusIjEEEEZZNS1_33reduce_by_key_impl_wrapped_configILNS1_25lookback_scan_determinismE0ES3_S7_PKhNS0_17constant_iteratorIjlEEPhPlSF_S6_NS0_8equal_toIhEEEE10hipError_tPvRmT2_T3_mT4_T5_T6_T7_T8_P12ihipStream_tbENKUlT_T0_E_clISt17integral_constantIbLb0EESY_IbLb1EEEEDaSU_SV_EUlSU_E_NS1_11comp_targetILNS1_3genE3ELNS1_11target_archE908ELNS1_3gpuE7ELNS1_3repE0EEENS1_30default_config_static_selectorELNS0_4arch9wavefront6targetE0EEEvT1_.has_dyn_sized_stack, 0
	.set _ZN7rocprim17ROCPRIM_400000_NS6detail17trampoline_kernelINS0_14default_configENS1_33run_length_encode_config_selectorIhjNS0_4plusIjEEEEZZNS1_33reduce_by_key_impl_wrapped_configILNS1_25lookback_scan_determinismE0ES3_S7_PKhNS0_17constant_iteratorIjlEEPhPlSF_S6_NS0_8equal_toIhEEEE10hipError_tPvRmT2_T3_mT4_T5_T6_T7_T8_P12ihipStream_tbENKUlT_T0_E_clISt17integral_constantIbLb0EESY_IbLb1EEEEDaSU_SV_EUlSU_E_NS1_11comp_targetILNS1_3genE3ELNS1_11target_archE908ELNS1_3gpuE7ELNS1_3repE0EEENS1_30default_config_static_selectorELNS0_4arch9wavefront6targetE0EEEvT1_.has_recursion, 0
	.set _ZN7rocprim17ROCPRIM_400000_NS6detail17trampoline_kernelINS0_14default_configENS1_33run_length_encode_config_selectorIhjNS0_4plusIjEEEEZZNS1_33reduce_by_key_impl_wrapped_configILNS1_25lookback_scan_determinismE0ES3_S7_PKhNS0_17constant_iteratorIjlEEPhPlSF_S6_NS0_8equal_toIhEEEE10hipError_tPvRmT2_T3_mT4_T5_T6_T7_T8_P12ihipStream_tbENKUlT_T0_E_clISt17integral_constantIbLb0EESY_IbLb1EEEEDaSU_SV_EUlSU_E_NS1_11comp_targetILNS1_3genE3ELNS1_11target_archE908ELNS1_3gpuE7ELNS1_3repE0EEENS1_30default_config_static_selectorELNS0_4arch9wavefront6targetE0EEEvT1_.has_indirect_call, 0
	.section	.AMDGPU.csdata,"",@progbits
; Kernel info:
; codeLenInByte = 0
; TotalNumSgprs: 0
; NumVgprs: 0
; ScratchSize: 0
; MemoryBound: 0
; FloatMode: 240
; IeeeMode: 1
; LDSByteSize: 0 bytes/workgroup (compile time only)
; SGPRBlocks: 0
; VGPRBlocks: 0
; NumSGPRsForWavesPerEU: 1
; NumVGPRsForWavesPerEU: 1
; NamedBarCnt: 0
; Occupancy: 16
; WaveLimiterHint : 0
; COMPUTE_PGM_RSRC2:SCRATCH_EN: 0
; COMPUTE_PGM_RSRC2:USER_SGPR: 2
; COMPUTE_PGM_RSRC2:TRAP_HANDLER: 0
; COMPUTE_PGM_RSRC2:TGID_X_EN: 1
; COMPUTE_PGM_RSRC2:TGID_Y_EN: 0
; COMPUTE_PGM_RSRC2:TGID_Z_EN: 0
; COMPUTE_PGM_RSRC2:TIDIG_COMP_CNT: 0
	.section	.text._ZN7rocprim17ROCPRIM_400000_NS6detail17trampoline_kernelINS0_14default_configENS1_33run_length_encode_config_selectorIhjNS0_4plusIjEEEEZZNS1_33reduce_by_key_impl_wrapped_configILNS1_25lookback_scan_determinismE0ES3_S7_PKhNS0_17constant_iteratorIjlEEPhPlSF_S6_NS0_8equal_toIhEEEE10hipError_tPvRmT2_T3_mT4_T5_T6_T7_T8_P12ihipStream_tbENKUlT_T0_E_clISt17integral_constantIbLb0EESY_IbLb1EEEEDaSU_SV_EUlSU_E_NS1_11comp_targetILNS1_3genE2ELNS1_11target_archE906ELNS1_3gpuE6ELNS1_3repE0EEENS1_30default_config_static_selectorELNS0_4arch9wavefront6targetE0EEEvT1_,"axG",@progbits,_ZN7rocprim17ROCPRIM_400000_NS6detail17trampoline_kernelINS0_14default_configENS1_33run_length_encode_config_selectorIhjNS0_4plusIjEEEEZZNS1_33reduce_by_key_impl_wrapped_configILNS1_25lookback_scan_determinismE0ES3_S7_PKhNS0_17constant_iteratorIjlEEPhPlSF_S6_NS0_8equal_toIhEEEE10hipError_tPvRmT2_T3_mT4_T5_T6_T7_T8_P12ihipStream_tbENKUlT_T0_E_clISt17integral_constantIbLb0EESY_IbLb1EEEEDaSU_SV_EUlSU_E_NS1_11comp_targetILNS1_3genE2ELNS1_11target_archE906ELNS1_3gpuE6ELNS1_3repE0EEENS1_30default_config_static_selectorELNS0_4arch9wavefront6targetE0EEEvT1_,comdat
	.protected	_ZN7rocprim17ROCPRIM_400000_NS6detail17trampoline_kernelINS0_14default_configENS1_33run_length_encode_config_selectorIhjNS0_4plusIjEEEEZZNS1_33reduce_by_key_impl_wrapped_configILNS1_25lookback_scan_determinismE0ES3_S7_PKhNS0_17constant_iteratorIjlEEPhPlSF_S6_NS0_8equal_toIhEEEE10hipError_tPvRmT2_T3_mT4_T5_T6_T7_T8_P12ihipStream_tbENKUlT_T0_E_clISt17integral_constantIbLb0EESY_IbLb1EEEEDaSU_SV_EUlSU_E_NS1_11comp_targetILNS1_3genE2ELNS1_11target_archE906ELNS1_3gpuE6ELNS1_3repE0EEENS1_30default_config_static_selectorELNS0_4arch9wavefront6targetE0EEEvT1_ ; -- Begin function _ZN7rocprim17ROCPRIM_400000_NS6detail17trampoline_kernelINS0_14default_configENS1_33run_length_encode_config_selectorIhjNS0_4plusIjEEEEZZNS1_33reduce_by_key_impl_wrapped_configILNS1_25lookback_scan_determinismE0ES3_S7_PKhNS0_17constant_iteratorIjlEEPhPlSF_S6_NS0_8equal_toIhEEEE10hipError_tPvRmT2_T3_mT4_T5_T6_T7_T8_P12ihipStream_tbENKUlT_T0_E_clISt17integral_constantIbLb0EESY_IbLb1EEEEDaSU_SV_EUlSU_E_NS1_11comp_targetILNS1_3genE2ELNS1_11target_archE906ELNS1_3gpuE6ELNS1_3repE0EEENS1_30default_config_static_selectorELNS0_4arch9wavefront6targetE0EEEvT1_
	.globl	_ZN7rocprim17ROCPRIM_400000_NS6detail17trampoline_kernelINS0_14default_configENS1_33run_length_encode_config_selectorIhjNS0_4plusIjEEEEZZNS1_33reduce_by_key_impl_wrapped_configILNS1_25lookback_scan_determinismE0ES3_S7_PKhNS0_17constant_iteratorIjlEEPhPlSF_S6_NS0_8equal_toIhEEEE10hipError_tPvRmT2_T3_mT4_T5_T6_T7_T8_P12ihipStream_tbENKUlT_T0_E_clISt17integral_constantIbLb0EESY_IbLb1EEEEDaSU_SV_EUlSU_E_NS1_11comp_targetILNS1_3genE2ELNS1_11target_archE906ELNS1_3gpuE6ELNS1_3repE0EEENS1_30default_config_static_selectorELNS0_4arch9wavefront6targetE0EEEvT1_
	.p2align	8
	.type	_ZN7rocprim17ROCPRIM_400000_NS6detail17trampoline_kernelINS0_14default_configENS1_33run_length_encode_config_selectorIhjNS0_4plusIjEEEEZZNS1_33reduce_by_key_impl_wrapped_configILNS1_25lookback_scan_determinismE0ES3_S7_PKhNS0_17constant_iteratorIjlEEPhPlSF_S6_NS0_8equal_toIhEEEE10hipError_tPvRmT2_T3_mT4_T5_T6_T7_T8_P12ihipStream_tbENKUlT_T0_E_clISt17integral_constantIbLb0EESY_IbLb1EEEEDaSU_SV_EUlSU_E_NS1_11comp_targetILNS1_3genE2ELNS1_11target_archE906ELNS1_3gpuE6ELNS1_3repE0EEENS1_30default_config_static_selectorELNS0_4arch9wavefront6targetE0EEEvT1_,@function
_ZN7rocprim17ROCPRIM_400000_NS6detail17trampoline_kernelINS0_14default_configENS1_33run_length_encode_config_selectorIhjNS0_4plusIjEEEEZZNS1_33reduce_by_key_impl_wrapped_configILNS1_25lookback_scan_determinismE0ES3_S7_PKhNS0_17constant_iteratorIjlEEPhPlSF_S6_NS0_8equal_toIhEEEE10hipError_tPvRmT2_T3_mT4_T5_T6_T7_T8_P12ihipStream_tbENKUlT_T0_E_clISt17integral_constantIbLb0EESY_IbLb1EEEEDaSU_SV_EUlSU_E_NS1_11comp_targetILNS1_3genE2ELNS1_11target_archE906ELNS1_3gpuE6ELNS1_3repE0EEENS1_30default_config_static_selectorELNS0_4arch9wavefront6targetE0EEEvT1_: ; @_ZN7rocprim17ROCPRIM_400000_NS6detail17trampoline_kernelINS0_14default_configENS1_33run_length_encode_config_selectorIhjNS0_4plusIjEEEEZZNS1_33reduce_by_key_impl_wrapped_configILNS1_25lookback_scan_determinismE0ES3_S7_PKhNS0_17constant_iteratorIjlEEPhPlSF_S6_NS0_8equal_toIhEEEE10hipError_tPvRmT2_T3_mT4_T5_T6_T7_T8_P12ihipStream_tbENKUlT_T0_E_clISt17integral_constantIbLb0EESY_IbLb1EEEEDaSU_SV_EUlSU_E_NS1_11comp_targetILNS1_3genE2ELNS1_11target_archE906ELNS1_3gpuE6ELNS1_3repE0EEENS1_30default_config_static_selectorELNS0_4arch9wavefront6targetE0EEEvT1_
; %bb.0:
	.section	.rodata,"a",@progbits
	.p2align	6, 0x0
	.amdhsa_kernel _ZN7rocprim17ROCPRIM_400000_NS6detail17trampoline_kernelINS0_14default_configENS1_33run_length_encode_config_selectorIhjNS0_4plusIjEEEEZZNS1_33reduce_by_key_impl_wrapped_configILNS1_25lookback_scan_determinismE0ES3_S7_PKhNS0_17constant_iteratorIjlEEPhPlSF_S6_NS0_8equal_toIhEEEE10hipError_tPvRmT2_T3_mT4_T5_T6_T7_T8_P12ihipStream_tbENKUlT_T0_E_clISt17integral_constantIbLb0EESY_IbLb1EEEEDaSU_SV_EUlSU_E_NS1_11comp_targetILNS1_3genE2ELNS1_11target_archE906ELNS1_3gpuE6ELNS1_3repE0EEENS1_30default_config_static_selectorELNS0_4arch9wavefront6targetE0EEEvT1_
		.amdhsa_group_segment_fixed_size 0
		.amdhsa_private_segment_fixed_size 0
		.amdhsa_kernarg_size 128
		.amdhsa_user_sgpr_count 2
		.amdhsa_user_sgpr_dispatch_ptr 0
		.amdhsa_user_sgpr_queue_ptr 0
		.amdhsa_user_sgpr_kernarg_segment_ptr 1
		.amdhsa_user_sgpr_dispatch_id 0
		.amdhsa_user_sgpr_kernarg_preload_length 0
		.amdhsa_user_sgpr_kernarg_preload_offset 0
		.amdhsa_user_sgpr_private_segment_size 0
		.amdhsa_wavefront_size32 1
		.amdhsa_uses_dynamic_stack 0
		.amdhsa_enable_private_segment 0
		.amdhsa_system_sgpr_workgroup_id_x 1
		.amdhsa_system_sgpr_workgroup_id_y 0
		.amdhsa_system_sgpr_workgroup_id_z 0
		.amdhsa_system_sgpr_workgroup_info 0
		.amdhsa_system_vgpr_workitem_id 0
		.amdhsa_next_free_vgpr 1
		.amdhsa_next_free_sgpr 1
		.amdhsa_named_barrier_count 0
		.amdhsa_reserve_vcc 0
		.amdhsa_float_round_mode_32 0
		.amdhsa_float_round_mode_16_64 0
		.amdhsa_float_denorm_mode_32 3
		.amdhsa_float_denorm_mode_16_64 3
		.amdhsa_fp16_overflow 0
		.amdhsa_memory_ordered 1
		.amdhsa_forward_progress 1
		.amdhsa_inst_pref_size 0
		.amdhsa_round_robin_scheduling 0
		.amdhsa_exception_fp_ieee_invalid_op 0
		.amdhsa_exception_fp_denorm_src 0
		.amdhsa_exception_fp_ieee_div_zero 0
		.amdhsa_exception_fp_ieee_overflow 0
		.amdhsa_exception_fp_ieee_underflow 0
		.amdhsa_exception_fp_ieee_inexact 0
		.amdhsa_exception_int_div_zero 0
	.end_amdhsa_kernel
	.section	.text._ZN7rocprim17ROCPRIM_400000_NS6detail17trampoline_kernelINS0_14default_configENS1_33run_length_encode_config_selectorIhjNS0_4plusIjEEEEZZNS1_33reduce_by_key_impl_wrapped_configILNS1_25lookback_scan_determinismE0ES3_S7_PKhNS0_17constant_iteratorIjlEEPhPlSF_S6_NS0_8equal_toIhEEEE10hipError_tPvRmT2_T3_mT4_T5_T6_T7_T8_P12ihipStream_tbENKUlT_T0_E_clISt17integral_constantIbLb0EESY_IbLb1EEEEDaSU_SV_EUlSU_E_NS1_11comp_targetILNS1_3genE2ELNS1_11target_archE906ELNS1_3gpuE6ELNS1_3repE0EEENS1_30default_config_static_selectorELNS0_4arch9wavefront6targetE0EEEvT1_,"axG",@progbits,_ZN7rocprim17ROCPRIM_400000_NS6detail17trampoline_kernelINS0_14default_configENS1_33run_length_encode_config_selectorIhjNS0_4plusIjEEEEZZNS1_33reduce_by_key_impl_wrapped_configILNS1_25lookback_scan_determinismE0ES3_S7_PKhNS0_17constant_iteratorIjlEEPhPlSF_S6_NS0_8equal_toIhEEEE10hipError_tPvRmT2_T3_mT4_T5_T6_T7_T8_P12ihipStream_tbENKUlT_T0_E_clISt17integral_constantIbLb0EESY_IbLb1EEEEDaSU_SV_EUlSU_E_NS1_11comp_targetILNS1_3genE2ELNS1_11target_archE906ELNS1_3gpuE6ELNS1_3repE0EEENS1_30default_config_static_selectorELNS0_4arch9wavefront6targetE0EEEvT1_,comdat
.Lfunc_end197:
	.size	_ZN7rocprim17ROCPRIM_400000_NS6detail17trampoline_kernelINS0_14default_configENS1_33run_length_encode_config_selectorIhjNS0_4plusIjEEEEZZNS1_33reduce_by_key_impl_wrapped_configILNS1_25lookback_scan_determinismE0ES3_S7_PKhNS0_17constant_iteratorIjlEEPhPlSF_S6_NS0_8equal_toIhEEEE10hipError_tPvRmT2_T3_mT4_T5_T6_T7_T8_P12ihipStream_tbENKUlT_T0_E_clISt17integral_constantIbLb0EESY_IbLb1EEEEDaSU_SV_EUlSU_E_NS1_11comp_targetILNS1_3genE2ELNS1_11target_archE906ELNS1_3gpuE6ELNS1_3repE0EEENS1_30default_config_static_selectorELNS0_4arch9wavefront6targetE0EEEvT1_, .Lfunc_end197-_ZN7rocprim17ROCPRIM_400000_NS6detail17trampoline_kernelINS0_14default_configENS1_33run_length_encode_config_selectorIhjNS0_4plusIjEEEEZZNS1_33reduce_by_key_impl_wrapped_configILNS1_25lookback_scan_determinismE0ES3_S7_PKhNS0_17constant_iteratorIjlEEPhPlSF_S6_NS0_8equal_toIhEEEE10hipError_tPvRmT2_T3_mT4_T5_T6_T7_T8_P12ihipStream_tbENKUlT_T0_E_clISt17integral_constantIbLb0EESY_IbLb1EEEEDaSU_SV_EUlSU_E_NS1_11comp_targetILNS1_3genE2ELNS1_11target_archE906ELNS1_3gpuE6ELNS1_3repE0EEENS1_30default_config_static_selectorELNS0_4arch9wavefront6targetE0EEEvT1_
                                        ; -- End function
	.set _ZN7rocprim17ROCPRIM_400000_NS6detail17trampoline_kernelINS0_14default_configENS1_33run_length_encode_config_selectorIhjNS0_4plusIjEEEEZZNS1_33reduce_by_key_impl_wrapped_configILNS1_25lookback_scan_determinismE0ES3_S7_PKhNS0_17constant_iteratorIjlEEPhPlSF_S6_NS0_8equal_toIhEEEE10hipError_tPvRmT2_T3_mT4_T5_T6_T7_T8_P12ihipStream_tbENKUlT_T0_E_clISt17integral_constantIbLb0EESY_IbLb1EEEEDaSU_SV_EUlSU_E_NS1_11comp_targetILNS1_3genE2ELNS1_11target_archE906ELNS1_3gpuE6ELNS1_3repE0EEENS1_30default_config_static_selectorELNS0_4arch9wavefront6targetE0EEEvT1_.num_vgpr, 0
	.set _ZN7rocprim17ROCPRIM_400000_NS6detail17trampoline_kernelINS0_14default_configENS1_33run_length_encode_config_selectorIhjNS0_4plusIjEEEEZZNS1_33reduce_by_key_impl_wrapped_configILNS1_25lookback_scan_determinismE0ES3_S7_PKhNS0_17constant_iteratorIjlEEPhPlSF_S6_NS0_8equal_toIhEEEE10hipError_tPvRmT2_T3_mT4_T5_T6_T7_T8_P12ihipStream_tbENKUlT_T0_E_clISt17integral_constantIbLb0EESY_IbLb1EEEEDaSU_SV_EUlSU_E_NS1_11comp_targetILNS1_3genE2ELNS1_11target_archE906ELNS1_3gpuE6ELNS1_3repE0EEENS1_30default_config_static_selectorELNS0_4arch9wavefront6targetE0EEEvT1_.num_agpr, 0
	.set _ZN7rocprim17ROCPRIM_400000_NS6detail17trampoline_kernelINS0_14default_configENS1_33run_length_encode_config_selectorIhjNS0_4plusIjEEEEZZNS1_33reduce_by_key_impl_wrapped_configILNS1_25lookback_scan_determinismE0ES3_S7_PKhNS0_17constant_iteratorIjlEEPhPlSF_S6_NS0_8equal_toIhEEEE10hipError_tPvRmT2_T3_mT4_T5_T6_T7_T8_P12ihipStream_tbENKUlT_T0_E_clISt17integral_constantIbLb0EESY_IbLb1EEEEDaSU_SV_EUlSU_E_NS1_11comp_targetILNS1_3genE2ELNS1_11target_archE906ELNS1_3gpuE6ELNS1_3repE0EEENS1_30default_config_static_selectorELNS0_4arch9wavefront6targetE0EEEvT1_.numbered_sgpr, 0
	.set _ZN7rocprim17ROCPRIM_400000_NS6detail17trampoline_kernelINS0_14default_configENS1_33run_length_encode_config_selectorIhjNS0_4plusIjEEEEZZNS1_33reduce_by_key_impl_wrapped_configILNS1_25lookback_scan_determinismE0ES3_S7_PKhNS0_17constant_iteratorIjlEEPhPlSF_S6_NS0_8equal_toIhEEEE10hipError_tPvRmT2_T3_mT4_T5_T6_T7_T8_P12ihipStream_tbENKUlT_T0_E_clISt17integral_constantIbLb0EESY_IbLb1EEEEDaSU_SV_EUlSU_E_NS1_11comp_targetILNS1_3genE2ELNS1_11target_archE906ELNS1_3gpuE6ELNS1_3repE0EEENS1_30default_config_static_selectorELNS0_4arch9wavefront6targetE0EEEvT1_.num_named_barrier, 0
	.set _ZN7rocprim17ROCPRIM_400000_NS6detail17trampoline_kernelINS0_14default_configENS1_33run_length_encode_config_selectorIhjNS0_4plusIjEEEEZZNS1_33reduce_by_key_impl_wrapped_configILNS1_25lookback_scan_determinismE0ES3_S7_PKhNS0_17constant_iteratorIjlEEPhPlSF_S6_NS0_8equal_toIhEEEE10hipError_tPvRmT2_T3_mT4_T5_T6_T7_T8_P12ihipStream_tbENKUlT_T0_E_clISt17integral_constantIbLb0EESY_IbLb1EEEEDaSU_SV_EUlSU_E_NS1_11comp_targetILNS1_3genE2ELNS1_11target_archE906ELNS1_3gpuE6ELNS1_3repE0EEENS1_30default_config_static_selectorELNS0_4arch9wavefront6targetE0EEEvT1_.private_seg_size, 0
	.set _ZN7rocprim17ROCPRIM_400000_NS6detail17trampoline_kernelINS0_14default_configENS1_33run_length_encode_config_selectorIhjNS0_4plusIjEEEEZZNS1_33reduce_by_key_impl_wrapped_configILNS1_25lookback_scan_determinismE0ES3_S7_PKhNS0_17constant_iteratorIjlEEPhPlSF_S6_NS0_8equal_toIhEEEE10hipError_tPvRmT2_T3_mT4_T5_T6_T7_T8_P12ihipStream_tbENKUlT_T0_E_clISt17integral_constantIbLb0EESY_IbLb1EEEEDaSU_SV_EUlSU_E_NS1_11comp_targetILNS1_3genE2ELNS1_11target_archE906ELNS1_3gpuE6ELNS1_3repE0EEENS1_30default_config_static_selectorELNS0_4arch9wavefront6targetE0EEEvT1_.uses_vcc, 0
	.set _ZN7rocprim17ROCPRIM_400000_NS6detail17trampoline_kernelINS0_14default_configENS1_33run_length_encode_config_selectorIhjNS0_4plusIjEEEEZZNS1_33reduce_by_key_impl_wrapped_configILNS1_25lookback_scan_determinismE0ES3_S7_PKhNS0_17constant_iteratorIjlEEPhPlSF_S6_NS0_8equal_toIhEEEE10hipError_tPvRmT2_T3_mT4_T5_T6_T7_T8_P12ihipStream_tbENKUlT_T0_E_clISt17integral_constantIbLb0EESY_IbLb1EEEEDaSU_SV_EUlSU_E_NS1_11comp_targetILNS1_3genE2ELNS1_11target_archE906ELNS1_3gpuE6ELNS1_3repE0EEENS1_30default_config_static_selectorELNS0_4arch9wavefront6targetE0EEEvT1_.uses_flat_scratch, 0
	.set _ZN7rocprim17ROCPRIM_400000_NS6detail17trampoline_kernelINS0_14default_configENS1_33run_length_encode_config_selectorIhjNS0_4plusIjEEEEZZNS1_33reduce_by_key_impl_wrapped_configILNS1_25lookback_scan_determinismE0ES3_S7_PKhNS0_17constant_iteratorIjlEEPhPlSF_S6_NS0_8equal_toIhEEEE10hipError_tPvRmT2_T3_mT4_T5_T6_T7_T8_P12ihipStream_tbENKUlT_T0_E_clISt17integral_constantIbLb0EESY_IbLb1EEEEDaSU_SV_EUlSU_E_NS1_11comp_targetILNS1_3genE2ELNS1_11target_archE906ELNS1_3gpuE6ELNS1_3repE0EEENS1_30default_config_static_selectorELNS0_4arch9wavefront6targetE0EEEvT1_.has_dyn_sized_stack, 0
	.set _ZN7rocprim17ROCPRIM_400000_NS6detail17trampoline_kernelINS0_14default_configENS1_33run_length_encode_config_selectorIhjNS0_4plusIjEEEEZZNS1_33reduce_by_key_impl_wrapped_configILNS1_25lookback_scan_determinismE0ES3_S7_PKhNS0_17constant_iteratorIjlEEPhPlSF_S6_NS0_8equal_toIhEEEE10hipError_tPvRmT2_T3_mT4_T5_T6_T7_T8_P12ihipStream_tbENKUlT_T0_E_clISt17integral_constantIbLb0EESY_IbLb1EEEEDaSU_SV_EUlSU_E_NS1_11comp_targetILNS1_3genE2ELNS1_11target_archE906ELNS1_3gpuE6ELNS1_3repE0EEENS1_30default_config_static_selectorELNS0_4arch9wavefront6targetE0EEEvT1_.has_recursion, 0
	.set _ZN7rocprim17ROCPRIM_400000_NS6detail17trampoline_kernelINS0_14default_configENS1_33run_length_encode_config_selectorIhjNS0_4plusIjEEEEZZNS1_33reduce_by_key_impl_wrapped_configILNS1_25lookback_scan_determinismE0ES3_S7_PKhNS0_17constant_iteratorIjlEEPhPlSF_S6_NS0_8equal_toIhEEEE10hipError_tPvRmT2_T3_mT4_T5_T6_T7_T8_P12ihipStream_tbENKUlT_T0_E_clISt17integral_constantIbLb0EESY_IbLb1EEEEDaSU_SV_EUlSU_E_NS1_11comp_targetILNS1_3genE2ELNS1_11target_archE906ELNS1_3gpuE6ELNS1_3repE0EEENS1_30default_config_static_selectorELNS0_4arch9wavefront6targetE0EEEvT1_.has_indirect_call, 0
	.section	.AMDGPU.csdata,"",@progbits
; Kernel info:
; codeLenInByte = 0
; TotalNumSgprs: 0
; NumVgprs: 0
; ScratchSize: 0
; MemoryBound: 0
; FloatMode: 240
; IeeeMode: 1
; LDSByteSize: 0 bytes/workgroup (compile time only)
; SGPRBlocks: 0
; VGPRBlocks: 0
; NumSGPRsForWavesPerEU: 1
; NumVGPRsForWavesPerEU: 1
; NamedBarCnt: 0
; Occupancy: 16
; WaveLimiterHint : 0
; COMPUTE_PGM_RSRC2:SCRATCH_EN: 0
; COMPUTE_PGM_RSRC2:USER_SGPR: 2
; COMPUTE_PGM_RSRC2:TRAP_HANDLER: 0
; COMPUTE_PGM_RSRC2:TGID_X_EN: 1
; COMPUTE_PGM_RSRC2:TGID_Y_EN: 0
; COMPUTE_PGM_RSRC2:TGID_Z_EN: 0
; COMPUTE_PGM_RSRC2:TIDIG_COMP_CNT: 0
	.section	.text._ZN7rocprim17ROCPRIM_400000_NS6detail17trampoline_kernelINS0_14default_configENS1_33run_length_encode_config_selectorIhjNS0_4plusIjEEEEZZNS1_33reduce_by_key_impl_wrapped_configILNS1_25lookback_scan_determinismE0ES3_S7_PKhNS0_17constant_iteratorIjlEEPhPlSF_S6_NS0_8equal_toIhEEEE10hipError_tPvRmT2_T3_mT4_T5_T6_T7_T8_P12ihipStream_tbENKUlT_T0_E_clISt17integral_constantIbLb0EESY_IbLb1EEEEDaSU_SV_EUlSU_E_NS1_11comp_targetILNS1_3genE10ELNS1_11target_archE1201ELNS1_3gpuE5ELNS1_3repE0EEENS1_30default_config_static_selectorELNS0_4arch9wavefront6targetE0EEEvT1_,"axG",@progbits,_ZN7rocprim17ROCPRIM_400000_NS6detail17trampoline_kernelINS0_14default_configENS1_33run_length_encode_config_selectorIhjNS0_4plusIjEEEEZZNS1_33reduce_by_key_impl_wrapped_configILNS1_25lookback_scan_determinismE0ES3_S7_PKhNS0_17constant_iteratorIjlEEPhPlSF_S6_NS0_8equal_toIhEEEE10hipError_tPvRmT2_T3_mT4_T5_T6_T7_T8_P12ihipStream_tbENKUlT_T0_E_clISt17integral_constantIbLb0EESY_IbLb1EEEEDaSU_SV_EUlSU_E_NS1_11comp_targetILNS1_3genE10ELNS1_11target_archE1201ELNS1_3gpuE5ELNS1_3repE0EEENS1_30default_config_static_selectorELNS0_4arch9wavefront6targetE0EEEvT1_,comdat
	.protected	_ZN7rocprim17ROCPRIM_400000_NS6detail17trampoline_kernelINS0_14default_configENS1_33run_length_encode_config_selectorIhjNS0_4plusIjEEEEZZNS1_33reduce_by_key_impl_wrapped_configILNS1_25lookback_scan_determinismE0ES3_S7_PKhNS0_17constant_iteratorIjlEEPhPlSF_S6_NS0_8equal_toIhEEEE10hipError_tPvRmT2_T3_mT4_T5_T6_T7_T8_P12ihipStream_tbENKUlT_T0_E_clISt17integral_constantIbLb0EESY_IbLb1EEEEDaSU_SV_EUlSU_E_NS1_11comp_targetILNS1_3genE10ELNS1_11target_archE1201ELNS1_3gpuE5ELNS1_3repE0EEENS1_30default_config_static_selectorELNS0_4arch9wavefront6targetE0EEEvT1_ ; -- Begin function _ZN7rocprim17ROCPRIM_400000_NS6detail17trampoline_kernelINS0_14default_configENS1_33run_length_encode_config_selectorIhjNS0_4plusIjEEEEZZNS1_33reduce_by_key_impl_wrapped_configILNS1_25lookback_scan_determinismE0ES3_S7_PKhNS0_17constant_iteratorIjlEEPhPlSF_S6_NS0_8equal_toIhEEEE10hipError_tPvRmT2_T3_mT4_T5_T6_T7_T8_P12ihipStream_tbENKUlT_T0_E_clISt17integral_constantIbLb0EESY_IbLb1EEEEDaSU_SV_EUlSU_E_NS1_11comp_targetILNS1_3genE10ELNS1_11target_archE1201ELNS1_3gpuE5ELNS1_3repE0EEENS1_30default_config_static_selectorELNS0_4arch9wavefront6targetE0EEEvT1_
	.globl	_ZN7rocprim17ROCPRIM_400000_NS6detail17trampoline_kernelINS0_14default_configENS1_33run_length_encode_config_selectorIhjNS0_4plusIjEEEEZZNS1_33reduce_by_key_impl_wrapped_configILNS1_25lookback_scan_determinismE0ES3_S7_PKhNS0_17constant_iteratorIjlEEPhPlSF_S6_NS0_8equal_toIhEEEE10hipError_tPvRmT2_T3_mT4_T5_T6_T7_T8_P12ihipStream_tbENKUlT_T0_E_clISt17integral_constantIbLb0EESY_IbLb1EEEEDaSU_SV_EUlSU_E_NS1_11comp_targetILNS1_3genE10ELNS1_11target_archE1201ELNS1_3gpuE5ELNS1_3repE0EEENS1_30default_config_static_selectorELNS0_4arch9wavefront6targetE0EEEvT1_
	.p2align	8
	.type	_ZN7rocprim17ROCPRIM_400000_NS6detail17trampoline_kernelINS0_14default_configENS1_33run_length_encode_config_selectorIhjNS0_4plusIjEEEEZZNS1_33reduce_by_key_impl_wrapped_configILNS1_25lookback_scan_determinismE0ES3_S7_PKhNS0_17constant_iteratorIjlEEPhPlSF_S6_NS0_8equal_toIhEEEE10hipError_tPvRmT2_T3_mT4_T5_T6_T7_T8_P12ihipStream_tbENKUlT_T0_E_clISt17integral_constantIbLb0EESY_IbLb1EEEEDaSU_SV_EUlSU_E_NS1_11comp_targetILNS1_3genE10ELNS1_11target_archE1201ELNS1_3gpuE5ELNS1_3repE0EEENS1_30default_config_static_selectorELNS0_4arch9wavefront6targetE0EEEvT1_,@function
_ZN7rocprim17ROCPRIM_400000_NS6detail17trampoline_kernelINS0_14default_configENS1_33run_length_encode_config_selectorIhjNS0_4plusIjEEEEZZNS1_33reduce_by_key_impl_wrapped_configILNS1_25lookback_scan_determinismE0ES3_S7_PKhNS0_17constant_iteratorIjlEEPhPlSF_S6_NS0_8equal_toIhEEEE10hipError_tPvRmT2_T3_mT4_T5_T6_T7_T8_P12ihipStream_tbENKUlT_T0_E_clISt17integral_constantIbLb0EESY_IbLb1EEEEDaSU_SV_EUlSU_E_NS1_11comp_targetILNS1_3genE10ELNS1_11target_archE1201ELNS1_3gpuE5ELNS1_3repE0EEENS1_30default_config_static_selectorELNS0_4arch9wavefront6targetE0EEEvT1_: ; @_ZN7rocprim17ROCPRIM_400000_NS6detail17trampoline_kernelINS0_14default_configENS1_33run_length_encode_config_selectorIhjNS0_4plusIjEEEEZZNS1_33reduce_by_key_impl_wrapped_configILNS1_25lookback_scan_determinismE0ES3_S7_PKhNS0_17constant_iteratorIjlEEPhPlSF_S6_NS0_8equal_toIhEEEE10hipError_tPvRmT2_T3_mT4_T5_T6_T7_T8_P12ihipStream_tbENKUlT_T0_E_clISt17integral_constantIbLb0EESY_IbLb1EEEEDaSU_SV_EUlSU_E_NS1_11comp_targetILNS1_3genE10ELNS1_11target_archE1201ELNS1_3gpuE5ELNS1_3repE0EEENS1_30default_config_static_selectorELNS0_4arch9wavefront6targetE0EEEvT1_
; %bb.0:
	.section	.rodata,"a",@progbits
	.p2align	6, 0x0
	.amdhsa_kernel _ZN7rocprim17ROCPRIM_400000_NS6detail17trampoline_kernelINS0_14default_configENS1_33run_length_encode_config_selectorIhjNS0_4plusIjEEEEZZNS1_33reduce_by_key_impl_wrapped_configILNS1_25lookback_scan_determinismE0ES3_S7_PKhNS0_17constant_iteratorIjlEEPhPlSF_S6_NS0_8equal_toIhEEEE10hipError_tPvRmT2_T3_mT4_T5_T6_T7_T8_P12ihipStream_tbENKUlT_T0_E_clISt17integral_constantIbLb0EESY_IbLb1EEEEDaSU_SV_EUlSU_E_NS1_11comp_targetILNS1_3genE10ELNS1_11target_archE1201ELNS1_3gpuE5ELNS1_3repE0EEENS1_30default_config_static_selectorELNS0_4arch9wavefront6targetE0EEEvT1_
		.amdhsa_group_segment_fixed_size 0
		.amdhsa_private_segment_fixed_size 0
		.amdhsa_kernarg_size 128
		.amdhsa_user_sgpr_count 2
		.amdhsa_user_sgpr_dispatch_ptr 0
		.amdhsa_user_sgpr_queue_ptr 0
		.amdhsa_user_sgpr_kernarg_segment_ptr 1
		.amdhsa_user_sgpr_dispatch_id 0
		.amdhsa_user_sgpr_kernarg_preload_length 0
		.amdhsa_user_sgpr_kernarg_preload_offset 0
		.amdhsa_user_sgpr_private_segment_size 0
		.amdhsa_wavefront_size32 1
		.amdhsa_uses_dynamic_stack 0
		.amdhsa_enable_private_segment 0
		.amdhsa_system_sgpr_workgroup_id_x 1
		.amdhsa_system_sgpr_workgroup_id_y 0
		.amdhsa_system_sgpr_workgroup_id_z 0
		.amdhsa_system_sgpr_workgroup_info 0
		.amdhsa_system_vgpr_workitem_id 0
		.amdhsa_next_free_vgpr 1
		.amdhsa_next_free_sgpr 1
		.amdhsa_named_barrier_count 0
		.amdhsa_reserve_vcc 0
		.amdhsa_float_round_mode_32 0
		.amdhsa_float_round_mode_16_64 0
		.amdhsa_float_denorm_mode_32 3
		.amdhsa_float_denorm_mode_16_64 3
		.amdhsa_fp16_overflow 0
		.amdhsa_memory_ordered 1
		.amdhsa_forward_progress 1
		.amdhsa_inst_pref_size 0
		.amdhsa_round_robin_scheduling 0
		.amdhsa_exception_fp_ieee_invalid_op 0
		.amdhsa_exception_fp_denorm_src 0
		.amdhsa_exception_fp_ieee_div_zero 0
		.amdhsa_exception_fp_ieee_overflow 0
		.amdhsa_exception_fp_ieee_underflow 0
		.amdhsa_exception_fp_ieee_inexact 0
		.amdhsa_exception_int_div_zero 0
	.end_amdhsa_kernel
	.section	.text._ZN7rocprim17ROCPRIM_400000_NS6detail17trampoline_kernelINS0_14default_configENS1_33run_length_encode_config_selectorIhjNS0_4plusIjEEEEZZNS1_33reduce_by_key_impl_wrapped_configILNS1_25lookback_scan_determinismE0ES3_S7_PKhNS0_17constant_iteratorIjlEEPhPlSF_S6_NS0_8equal_toIhEEEE10hipError_tPvRmT2_T3_mT4_T5_T6_T7_T8_P12ihipStream_tbENKUlT_T0_E_clISt17integral_constantIbLb0EESY_IbLb1EEEEDaSU_SV_EUlSU_E_NS1_11comp_targetILNS1_3genE10ELNS1_11target_archE1201ELNS1_3gpuE5ELNS1_3repE0EEENS1_30default_config_static_selectorELNS0_4arch9wavefront6targetE0EEEvT1_,"axG",@progbits,_ZN7rocprim17ROCPRIM_400000_NS6detail17trampoline_kernelINS0_14default_configENS1_33run_length_encode_config_selectorIhjNS0_4plusIjEEEEZZNS1_33reduce_by_key_impl_wrapped_configILNS1_25lookback_scan_determinismE0ES3_S7_PKhNS0_17constant_iteratorIjlEEPhPlSF_S6_NS0_8equal_toIhEEEE10hipError_tPvRmT2_T3_mT4_T5_T6_T7_T8_P12ihipStream_tbENKUlT_T0_E_clISt17integral_constantIbLb0EESY_IbLb1EEEEDaSU_SV_EUlSU_E_NS1_11comp_targetILNS1_3genE10ELNS1_11target_archE1201ELNS1_3gpuE5ELNS1_3repE0EEENS1_30default_config_static_selectorELNS0_4arch9wavefront6targetE0EEEvT1_,comdat
.Lfunc_end198:
	.size	_ZN7rocprim17ROCPRIM_400000_NS6detail17trampoline_kernelINS0_14default_configENS1_33run_length_encode_config_selectorIhjNS0_4plusIjEEEEZZNS1_33reduce_by_key_impl_wrapped_configILNS1_25lookback_scan_determinismE0ES3_S7_PKhNS0_17constant_iteratorIjlEEPhPlSF_S6_NS0_8equal_toIhEEEE10hipError_tPvRmT2_T3_mT4_T5_T6_T7_T8_P12ihipStream_tbENKUlT_T0_E_clISt17integral_constantIbLb0EESY_IbLb1EEEEDaSU_SV_EUlSU_E_NS1_11comp_targetILNS1_3genE10ELNS1_11target_archE1201ELNS1_3gpuE5ELNS1_3repE0EEENS1_30default_config_static_selectorELNS0_4arch9wavefront6targetE0EEEvT1_, .Lfunc_end198-_ZN7rocprim17ROCPRIM_400000_NS6detail17trampoline_kernelINS0_14default_configENS1_33run_length_encode_config_selectorIhjNS0_4plusIjEEEEZZNS1_33reduce_by_key_impl_wrapped_configILNS1_25lookback_scan_determinismE0ES3_S7_PKhNS0_17constant_iteratorIjlEEPhPlSF_S6_NS0_8equal_toIhEEEE10hipError_tPvRmT2_T3_mT4_T5_T6_T7_T8_P12ihipStream_tbENKUlT_T0_E_clISt17integral_constantIbLb0EESY_IbLb1EEEEDaSU_SV_EUlSU_E_NS1_11comp_targetILNS1_3genE10ELNS1_11target_archE1201ELNS1_3gpuE5ELNS1_3repE0EEENS1_30default_config_static_selectorELNS0_4arch9wavefront6targetE0EEEvT1_
                                        ; -- End function
	.set _ZN7rocprim17ROCPRIM_400000_NS6detail17trampoline_kernelINS0_14default_configENS1_33run_length_encode_config_selectorIhjNS0_4plusIjEEEEZZNS1_33reduce_by_key_impl_wrapped_configILNS1_25lookback_scan_determinismE0ES3_S7_PKhNS0_17constant_iteratorIjlEEPhPlSF_S6_NS0_8equal_toIhEEEE10hipError_tPvRmT2_T3_mT4_T5_T6_T7_T8_P12ihipStream_tbENKUlT_T0_E_clISt17integral_constantIbLb0EESY_IbLb1EEEEDaSU_SV_EUlSU_E_NS1_11comp_targetILNS1_3genE10ELNS1_11target_archE1201ELNS1_3gpuE5ELNS1_3repE0EEENS1_30default_config_static_selectorELNS0_4arch9wavefront6targetE0EEEvT1_.num_vgpr, 0
	.set _ZN7rocprim17ROCPRIM_400000_NS6detail17trampoline_kernelINS0_14default_configENS1_33run_length_encode_config_selectorIhjNS0_4plusIjEEEEZZNS1_33reduce_by_key_impl_wrapped_configILNS1_25lookback_scan_determinismE0ES3_S7_PKhNS0_17constant_iteratorIjlEEPhPlSF_S6_NS0_8equal_toIhEEEE10hipError_tPvRmT2_T3_mT4_T5_T6_T7_T8_P12ihipStream_tbENKUlT_T0_E_clISt17integral_constantIbLb0EESY_IbLb1EEEEDaSU_SV_EUlSU_E_NS1_11comp_targetILNS1_3genE10ELNS1_11target_archE1201ELNS1_3gpuE5ELNS1_3repE0EEENS1_30default_config_static_selectorELNS0_4arch9wavefront6targetE0EEEvT1_.num_agpr, 0
	.set _ZN7rocprim17ROCPRIM_400000_NS6detail17trampoline_kernelINS0_14default_configENS1_33run_length_encode_config_selectorIhjNS0_4plusIjEEEEZZNS1_33reduce_by_key_impl_wrapped_configILNS1_25lookback_scan_determinismE0ES3_S7_PKhNS0_17constant_iteratorIjlEEPhPlSF_S6_NS0_8equal_toIhEEEE10hipError_tPvRmT2_T3_mT4_T5_T6_T7_T8_P12ihipStream_tbENKUlT_T0_E_clISt17integral_constantIbLb0EESY_IbLb1EEEEDaSU_SV_EUlSU_E_NS1_11comp_targetILNS1_3genE10ELNS1_11target_archE1201ELNS1_3gpuE5ELNS1_3repE0EEENS1_30default_config_static_selectorELNS0_4arch9wavefront6targetE0EEEvT1_.numbered_sgpr, 0
	.set _ZN7rocprim17ROCPRIM_400000_NS6detail17trampoline_kernelINS0_14default_configENS1_33run_length_encode_config_selectorIhjNS0_4plusIjEEEEZZNS1_33reduce_by_key_impl_wrapped_configILNS1_25lookback_scan_determinismE0ES3_S7_PKhNS0_17constant_iteratorIjlEEPhPlSF_S6_NS0_8equal_toIhEEEE10hipError_tPvRmT2_T3_mT4_T5_T6_T7_T8_P12ihipStream_tbENKUlT_T0_E_clISt17integral_constantIbLb0EESY_IbLb1EEEEDaSU_SV_EUlSU_E_NS1_11comp_targetILNS1_3genE10ELNS1_11target_archE1201ELNS1_3gpuE5ELNS1_3repE0EEENS1_30default_config_static_selectorELNS0_4arch9wavefront6targetE0EEEvT1_.num_named_barrier, 0
	.set _ZN7rocprim17ROCPRIM_400000_NS6detail17trampoline_kernelINS0_14default_configENS1_33run_length_encode_config_selectorIhjNS0_4plusIjEEEEZZNS1_33reduce_by_key_impl_wrapped_configILNS1_25lookback_scan_determinismE0ES3_S7_PKhNS0_17constant_iteratorIjlEEPhPlSF_S6_NS0_8equal_toIhEEEE10hipError_tPvRmT2_T3_mT4_T5_T6_T7_T8_P12ihipStream_tbENKUlT_T0_E_clISt17integral_constantIbLb0EESY_IbLb1EEEEDaSU_SV_EUlSU_E_NS1_11comp_targetILNS1_3genE10ELNS1_11target_archE1201ELNS1_3gpuE5ELNS1_3repE0EEENS1_30default_config_static_selectorELNS0_4arch9wavefront6targetE0EEEvT1_.private_seg_size, 0
	.set _ZN7rocprim17ROCPRIM_400000_NS6detail17trampoline_kernelINS0_14default_configENS1_33run_length_encode_config_selectorIhjNS0_4plusIjEEEEZZNS1_33reduce_by_key_impl_wrapped_configILNS1_25lookback_scan_determinismE0ES3_S7_PKhNS0_17constant_iteratorIjlEEPhPlSF_S6_NS0_8equal_toIhEEEE10hipError_tPvRmT2_T3_mT4_T5_T6_T7_T8_P12ihipStream_tbENKUlT_T0_E_clISt17integral_constantIbLb0EESY_IbLb1EEEEDaSU_SV_EUlSU_E_NS1_11comp_targetILNS1_3genE10ELNS1_11target_archE1201ELNS1_3gpuE5ELNS1_3repE0EEENS1_30default_config_static_selectorELNS0_4arch9wavefront6targetE0EEEvT1_.uses_vcc, 0
	.set _ZN7rocprim17ROCPRIM_400000_NS6detail17trampoline_kernelINS0_14default_configENS1_33run_length_encode_config_selectorIhjNS0_4plusIjEEEEZZNS1_33reduce_by_key_impl_wrapped_configILNS1_25lookback_scan_determinismE0ES3_S7_PKhNS0_17constant_iteratorIjlEEPhPlSF_S6_NS0_8equal_toIhEEEE10hipError_tPvRmT2_T3_mT4_T5_T6_T7_T8_P12ihipStream_tbENKUlT_T0_E_clISt17integral_constantIbLb0EESY_IbLb1EEEEDaSU_SV_EUlSU_E_NS1_11comp_targetILNS1_3genE10ELNS1_11target_archE1201ELNS1_3gpuE5ELNS1_3repE0EEENS1_30default_config_static_selectorELNS0_4arch9wavefront6targetE0EEEvT1_.uses_flat_scratch, 0
	.set _ZN7rocprim17ROCPRIM_400000_NS6detail17trampoline_kernelINS0_14default_configENS1_33run_length_encode_config_selectorIhjNS0_4plusIjEEEEZZNS1_33reduce_by_key_impl_wrapped_configILNS1_25lookback_scan_determinismE0ES3_S7_PKhNS0_17constant_iteratorIjlEEPhPlSF_S6_NS0_8equal_toIhEEEE10hipError_tPvRmT2_T3_mT4_T5_T6_T7_T8_P12ihipStream_tbENKUlT_T0_E_clISt17integral_constantIbLb0EESY_IbLb1EEEEDaSU_SV_EUlSU_E_NS1_11comp_targetILNS1_3genE10ELNS1_11target_archE1201ELNS1_3gpuE5ELNS1_3repE0EEENS1_30default_config_static_selectorELNS0_4arch9wavefront6targetE0EEEvT1_.has_dyn_sized_stack, 0
	.set _ZN7rocprim17ROCPRIM_400000_NS6detail17trampoline_kernelINS0_14default_configENS1_33run_length_encode_config_selectorIhjNS0_4plusIjEEEEZZNS1_33reduce_by_key_impl_wrapped_configILNS1_25lookback_scan_determinismE0ES3_S7_PKhNS0_17constant_iteratorIjlEEPhPlSF_S6_NS0_8equal_toIhEEEE10hipError_tPvRmT2_T3_mT4_T5_T6_T7_T8_P12ihipStream_tbENKUlT_T0_E_clISt17integral_constantIbLb0EESY_IbLb1EEEEDaSU_SV_EUlSU_E_NS1_11comp_targetILNS1_3genE10ELNS1_11target_archE1201ELNS1_3gpuE5ELNS1_3repE0EEENS1_30default_config_static_selectorELNS0_4arch9wavefront6targetE0EEEvT1_.has_recursion, 0
	.set _ZN7rocprim17ROCPRIM_400000_NS6detail17trampoline_kernelINS0_14default_configENS1_33run_length_encode_config_selectorIhjNS0_4plusIjEEEEZZNS1_33reduce_by_key_impl_wrapped_configILNS1_25lookback_scan_determinismE0ES3_S7_PKhNS0_17constant_iteratorIjlEEPhPlSF_S6_NS0_8equal_toIhEEEE10hipError_tPvRmT2_T3_mT4_T5_T6_T7_T8_P12ihipStream_tbENKUlT_T0_E_clISt17integral_constantIbLb0EESY_IbLb1EEEEDaSU_SV_EUlSU_E_NS1_11comp_targetILNS1_3genE10ELNS1_11target_archE1201ELNS1_3gpuE5ELNS1_3repE0EEENS1_30default_config_static_selectorELNS0_4arch9wavefront6targetE0EEEvT1_.has_indirect_call, 0
	.section	.AMDGPU.csdata,"",@progbits
; Kernel info:
; codeLenInByte = 0
; TotalNumSgprs: 0
; NumVgprs: 0
; ScratchSize: 0
; MemoryBound: 0
; FloatMode: 240
; IeeeMode: 1
; LDSByteSize: 0 bytes/workgroup (compile time only)
; SGPRBlocks: 0
; VGPRBlocks: 0
; NumSGPRsForWavesPerEU: 1
; NumVGPRsForWavesPerEU: 1
; NamedBarCnt: 0
; Occupancy: 16
; WaveLimiterHint : 0
; COMPUTE_PGM_RSRC2:SCRATCH_EN: 0
; COMPUTE_PGM_RSRC2:USER_SGPR: 2
; COMPUTE_PGM_RSRC2:TRAP_HANDLER: 0
; COMPUTE_PGM_RSRC2:TGID_X_EN: 1
; COMPUTE_PGM_RSRC2:TGID_Y_EN: 0
; COMPUTE_PGM_RSRC2:TGID_Z_EN: 0
; COMPUTE_PGM_RSRC2:TIDIG_COMP_CNT: 0
	.section	.text._ZN7rocprim17ROCPRIM_400000_NS6detail17trampoline_kernelINS0_14default_configENS1_33run_length_encode_config_selectorIhjNS0_4plusIjEEEEZZNS1_33reduce_by_key_impl_wrapped_configILNS1_25lookback_scan_determinismE0ES3_S7_PKhNS0_17constant_iteratorIjlEEPhPlSF_S6_NS0_8equal_toIhEEEE10hipError_tPvRmT2_T3_mT4_T5_T6_T7_T8_P12ihipStream_tbENKUlT_T0_E_clISt17integral_constantIbLb0EESY_IbLb1EEEEDaSU_SV_EUlSU_E_NS1_11comp_targetILNS1_3genE10ELNS1_11target_archE1200ELNS1_3gpuE4ELNS1_3repE0EEENS1_30default_config_static_selectorELNS0_4arch9wavefront6targetE0EEEvT1_,"axG",@progbits,_ZN7rocprim17ROCPRIM_400000_NS6detail17trampoline_kernelINS0_14default_configENS1_33run_length_encode_config_selectorIhjNS0_4plusIjEEEEZZNS1_33reduce_by_key_impl_wrapped_configILNS1_25lookback_scan_determinismE0ES3_S7_PKhNS0_17constant_iteratorIjlEEPhPlSF_S6_NS0_8equal_toIhEEEE10hipError_tPvRmT2_T3_mT4_T5_T6_T7_T8_P12ihipStream_tbENKUlT_T0_E_clISt17integral_constantIbLb0EESY_IbLb1EEEEDaSU_SV_EUlSU_E_NS1_11comp_targetILNS1_3genE10ELNS1_11target_archE1200ELNS1_3gpuE4ELNS1_3repE0EEENS1_30default_config_static_selectorELNS0_4arch9wavefront6targetE0EEEvT1_,comdat
	.protected	_ZN7rocprim17ROCPRIM_400000_NS6detail17trampoline_kernelINS0_14default_configENS1_33run_length_encode_config_selectorIhjNS0_4plusIjEEEEZZNS1_33reduce_by_key_impl_wrapped_configILNS1_25lookback_scan_determinismE0ES3_S7_PKhNS0_17constant_iteratorIjlEEPhPlSF_S6_NS0_8equal_toIhEEEE10hipError_tPvRmT2_T3_mT4_T5_T6_T7_T8_P12ihipStream_tbENKUlT_T0_E_clISt17integral_constantIbLb0EESY_IbLb1EEEEDaSU_SV_EUlSU_E_NS1_11comp_targetILNS1_3genE10ELNS1_11target_archE1200ELNS1_3gpuE4ELNS1_3repE0EEENS1_30default_config_static_selectorELNS0_4arch9wavefront6targetE0EEEvT1_ ; -- Begin function _ZN7rocprim17ROCPRIM_400000_NS6detail17trampoline_kernelINS0_14default_configENS1_33run_length_encode_config_selectorIhjNS0_4plusIjEEEEZZNS1_33reduce_by_key_impl_wrapped_configILNS1_25lookback_scan_determinismE0ES3_S7_PKhNS0_17constant_iteratorIjlEEPhPlSF_S6_NS0_8equal_toIhEEEE10hipError_tPvRmT2_T3_mT4_T5_T6_T7_T8_P12ihipStream_tbENKUlT_T0_E_clISt17integral_constantIbLb0EESY_IbLb1EEEEDaSU_SV_EUlSU_E_NS1_11comp_targetILNS1_3genE10ELNS1_11target_archE1200ELNS1_3gpuE4ELNS1_3repE0EEENS1_30default_config_static_selectorELNS0_4arch9wavefront6targetE0EEEvT1_
	.globl	_ZN7rocprim17ROCPRIM_400000_NS6detail17trampoline_kernelINS0_14default_configENS1_33run_length_encode_config_selectorIhjNS0_4plusIjEEEEZZNS1_33reduce_by_key_impl_wrapped_configILNS1_25lookback_scan_determinismE0ES3_S7_PKhNS0_17constant_iteratorIjlEEPhPlSF_S6_NS0_8equal_toIhEEEE10hipError_tPvRmT2_T3_mT4_T5_T6_T7_T8_P12ihipStream_tbENKUlT_T0_E_clISt17integral_constantIbLb0EESY_IbLb1EEEEDaSU_SV_EUlSU_E_NS1_11comp_targetILNS1_3genE10ELNS1_11target_archE1200ELNS1_3gpuE4ELNS1_3repE0EEENS1_30default_config_static_selectorELNS0_4arch9wavefront6targetE0EEEvT1_
	.p2align	8
	.type	_ZN7rocprim17ROCPRIM_400000_NS6detail17trampoline_kernelINS0_14default_configENS1_33run_length_encode_config_selectorIhjNS0_4plusIjEEEEZZNS1_33reduce_by_key_impl_wrapped_configILNS1_25lookback_scan_determinismE0ES3_S7_PKhNS0_17constant_iteratorIjlEEPhPlSF_S6_NS0_8equal_toIhEEEE10hipError_tPvRmT2_T3_mT4_T5_T6_T7_T8_P12ihipStream_tbENKUlT_T0_E_clISt17integral_constantIbLb0EESY_IbLb1EEEEDaSU_SV_EUlSU_E_NS1_11comp_targetILNS1_3genE10ELNS1_11target_archE1200ELNS1_3gpuE4ELNS1_3repE0EEENS1_30default_config_static_selectorELNS0_4arch9wavefront6targetE0EEEvT1_,@function
_ZN7rocprim17ROCPRIM_400000_NS6detail17trampoline_kernelINS0_14default_configENS1_33run_length_encode_config_selectorIhjNS0_4plusIjEEEEZZNS1_33reduce_by_key_impl_wrapped_configILNS1_25lookback_scan_determinismE0ES3_S7_PKhNS0_17constant_iteratorIjlEEPhPlSF_S6_NS0_8equal_toIhEEEE10hipError_tPvRmT2_T3_mT4_T5_T6_T7_T8_P12ihipStream_tbENKUlT_T0_E_clISt17integral_constantIbLb0EESY_IbLb1EEEEDaSU_SV_EUlSU_E_NS1_11comp_targetILNS1_3genE10ELNS1_11target_archE1200ELNS1_3gpuE4ELNS1_3repE0EEENS1_30default_config_static_selectorELNS0_4arch9wavefront6targetE0EEEvT1_: ; @_ZN7rocprim17ROCPRIM_400000_NS6detail17trampoline_kernelINS0_14default_configENS1_33run_length_encode_config_selectorIhjNS0_4plusIjEEEEZZNS1_33reduce_by_key_impl_wrapped_configILNS1_25lookback_scan_determinismE0ES3_S7_PKhNS0_17constant_iteratorIjlEEPhPlSF_S6_NS0_8equal_toIhEEEE10hipError_tPvRmT2_T3_mT4_T5_T6_T7_T8_P12ihipStream_tbENKUlT_T0_E_clISt17integral_constantIbLb0EESY_IbLb1EEEEDaSU_SV_EUlSU_E_NS1_11comp_targetILNS1_3genE10ELNS1_11target_archE1200ELNS1_3gpuE4ELNS1_3repE0EEENS1_30default_config_static_selectorELNS0_4arch9wavefront6targetE0EEEvT1_
; %bb.0:
	.section	.rodata,"a",@progbits
	.p2align	6, 0x0
	.amdhsa_kernel _ZN7rocprim17ROCPRIM_400000_NS6detail17trampoline_kernelINS0_14default_configENS1_33run_length_encode_config_selectorIhjNS0_4plusIjEEEEZZNS1_33reduce_by_key_impl_wrapped_configILNS1_25lookback_scan_determinismE0ES3_S7_PKhNS0_17constant_iteratorIjlEEPhPlSF_S6_NS0_8equal_toIhEEEE10hipError_tPvRmT2_T3_mT4_T5_T6_T7_T8_P12ihipStream_tbENKUlT_T0_E_clISt17integral_constantIbLb0EESY_IbLb1EEEEDaSU_SV_EUlSU_E_NS1_11comp_targetILNS1_3genE10ELNS1_11target_archE1200ELNS1_3gpuE4ELNS1_3repE0EEENS1_30default_config_static_selectorELNS0_4arch9wavefront6targetE0EEEvT1_
		.amdhsa_group_segment_fixed_size 0
		.amdhsa_private_segment_fixed_size 0
		.amdhsa_kernarg_size 128
		.amdhsa_user_sgpr_count 2
		.amdhsa_user_sgpr_dispatch_ptr 0
		.amdhsa_user_sgpr_queue_ptr 0
		.amdhsa_user_sgpr_kernarg_segment_ptr 1
		.amdhsa_user_sgpr_dispatch_id 0
		.amdhsa_user_sgpr_kernarg_preload_length 0
		.amdhsa_user_sgpr_kernarg_preload_offset 0
		.amdhsa_user_sgpr_private_segment_size 0
		.amdhsa_wavefront_size32 1
		.amdhsa_uses_dynamic_stack 0
		.amdhsa_enable_private_segment 0
		.amdhsa_system_sgpr_workgroup_id_x 1
		.amdhsa_system_sgpr_workgroup_id_y 0
		.amdhsa_system_sgpr_workgroup_id_z 0
		.amdhsa_system_sgpr_workgroup_info 0
		.amdhsa_system_vgpr_workitem_id 0
		.amdhsa_next_free_vgpr 1
		.amdhsa_next_free_sgpr 1
		.amdhsa_named_barrier_count 0
		.amdhsa_reserve_vcc 0
		.amdhsa_float_round_mode_32 0
		.amdhsa_float_round_mode_16_64 0
		.amdhsa_float_denorm_mode_32 3
		.amdhsa_float_denorm_mode_16_64 3
		.amdhsa_fp16_overflow 0
		.amdhsa_memory_ordered 1
		.amdhsa_forward_progress 1
		.amdhsa_inst_pref_size 0
		.amdhsa_round_robin_scheduling 0
		.amdhsa_exception_fp_ieee_invalid_op 0
		.amdhsa_exception_fp_denorm_src 0
		.amdhsa_exception_fp_ieee_div_zero 0
		.amdhsa_exception_fp_ieee_overflow 0
		.amdhsa_exception_fp_ieee_underflow 0
		.amdhsa_exception_fp_ieee_inexact 0
		.amdhsa_exception_int_div_zero 0
	.end_amdhsa_kernel
	.section	.text._ZN7rocprim17ROCPRIM_400000_NS6detail17trampoline_kernelINS0_14default_configENS1_33run_length_encode_config_selectorIhjNS0_4plusIjEEEEZZNS1_33reduce_by_key_impl_wrapped_configILNS1_25lookback_scan_determinismE0ES3_S7_PKhNS0_17constant_iteratorIjlEEPhPlSF_S6_NS0_8equal_toIhEEEE10hipError_tPvRmT2_T3_mT4_T5_T6_T7_T8_P12ihipStream_tbENKUlT_T0_E_clISt17integral_constantIbLb0EESY_IbLb1EEEEDaSU_SV_EUlSU_E_NS1_11comp_targetILNS1_3genE10ELNS1_11target_archE1200ELNS1_3gpuE4ELNS1_3repE0EEENS1_30default_config_static_selectorELNS0_4arch9wavefront6targetE0EEEvT1_,"axG",@progbits,_ZN7rocprim17ROCPRIM_400000_NS6detail17trampoline_kernelINS0_14default_configENS1_33run_length_encode_config_selectorIhjNS0_4plusIjEEEEZZNS1_33reduce_by_key_impl_wrapped_configILNS1_25lookback_scan_determinismE0ES3_S7_PKhNS0_17constant_iteratorIjlEEPhPlSF_S6_NS0_8equal_toIhEEEE10hipError_tPvRmT2_T3_mT4_T5_T6_T7_T8_P12ihipStream_tbENKUlT_T0_E_clISt17integral_constantIbLb0EESY_IbLb1EEEEDaSU_SV_EUlSU_E_NS1_11comp_targetILNS1_3genE10ELNS1_11target_archE1200ELNS1_3gpuE4ELNS1_3repE0EEENS1_30default_config_static_selectorELNS0_4arch9wavefront6targetE0EEEvT1_,comdat
.Lfunc_end199:
	.size	_ZN7rocprim17ROCPRIM_400000_NS6detail17trampoline_kernelINS0_14default_configENS1_33run_length_encode_config_selectorIhjNS0_4plusIjEEEEZZNS1_33reduce_by_key_impl_wrapped_configILNS1_25lookback_scan_determinismE0ES3_S7_PKhNS0_17constant_iteratorIjlEEPhPlSF_S6_NS0_8equal_toIhEEEE10hipError_tPvRmT2_T3_mT4_T5_T6_T7_T8_P12ihipStream_tbENKUlT_T0_E_clISt17integral_constantIbLb0EESY_IbLb1EEEEDaSU_SV_EUlSU_E_NS1_11comp_targetILNS1_3genE10ELNS1_11target_archE1200ELNS1_3gpuE4ELNS1_3repE0EEENS1_30default_config_static_selectorELNS0_4arch9wavefront6targetE0EEEvT1_, .Lfunc_end199-_ZN7rocprim17ROCPRIM_400000_NS6detail17trampoline_kernelINS0_14default_configENS1_33run_length_encode_config_selectorIhjNS0_4plusIjEEEEZZNS1_33reduce_by_key_impl_wrapped_configILNS1_25lookback_scan_determinismE0ES3_S7_PKhNS0_17constant_iteratorIjlEEPhPlSF_S6_NS0_8equal_toIhEEEE10hipError_tPvRmT2_T3_mT4_T5_T6_T7_T8_P12ihipStream_tbENKUlT_T0_E_clISt17integral_constantIbLb0EESY_IbLb1EEEEDaSU_SV_EUlSU_E_NS1_11comp_targetILNS1_3genE10ELNS1_11target_archE1200ELNS1_3gpuE4ELNS1_3repE0EEENS1_30default_config_static_selectorELNS0_4arch9wavefront6targetE0EEEvT1_
                                        ; -- End function
	.set _ZN7rocprim17ROCPRIM_400000_NS6detail17trampoline_kernelINS0_14default_configENS1_33run_length_encode_config_selectorIhjNS0_4plusIjEEEEZZNS1_33reduce_by_key_impl_wrapped_configILNS1_25lookback_scan_determinismE0ES3_S7_PKhNS0_17constant_iteratorIjlEEPhPlSF_S6_NS0_8equal_toIhEEEE10hipError_tPvRmT2_T3_mT4_T5_T6_T7_T8_P12ihipStream_tbENKUlT_T0_E_clISt17integral_constantIbLb0EESY_IbLb1EEEEDaSU_SV_EUlSU_E_NS1_11comp_targetILNS1_3genE10ELNS1_11target_archE1200ELNS1_3gpuE4ELNS1_3repE0EEENS1_30default_config_static_selectorELNS0_4arch9wavefront6targetE0EEEvT1_.num_vgpr, 0
	.set _ZN7rocprim17ROCPRIM_400000_NS6detail17trampoline_kernelINS0_14default_configENS1_33run_length_encode_config_selectorIhjNS0_4plusIjEEEEZZNS1_33reduce_by_key_impl_wrapped_configILNS1_25lookback_scan_determinismE0ES3_S7_PKhNS0_17constant_iteratorIjlEEPhPlSF_S6_NS0_8equal_toIhEEEE10hipError_tPvRmT2_T3_mT4_T5_T6_T7_T8_P12ihipStream_tbENKUlT_T0_E_clISt17integral_constantIbLb0EESY_IbLb1EEEEDaSU_SV_EUlSU_E_NS1_11comp_targetILNS1_3genE10ELNS1_11target_archE1200ELNS1_3gpuE4ELNS1_3repE0EEENS1_30default_config_static_selectorELNS0_4arch9wavefront6targetE0EEEvT1_.num_agpr, 0
	.set _ZN7rocprim17ROCPRIM_400000_NS6detail17trampoline_kernelINS0_14default_configENS1_33run_length_encode_config_selectorIhjNS0_4plusIjEEEEZZNS1_33reduce_by_key_impl_wrapped_configILNS1_25lookback_scan_determinismE0ES3_S7_PKhNS0_17constant_iteratorIjlEEPhPlSF_S6_NS0_8equal_toIhEEEE10hipError_tPvRmT2_T3_mT4_T5_T6_T7_T8_P12ihipStream_tbENKUlT_T0_E_clISt17integral_constantIbLb0EESY_IbLb1EEEEDaSU_SV_EUlSU_E_NS1_11comp_targetILNS1_3genE10ELNS1_11target_archE1200ELNS1_3gpuE4ELNS1_3repE0EEENS1_30default_config_static_selectorELNS0_4arch9wavefront6targetE0EEEvT1_.numbered_sgpr, 0
	.set _ZN7rocprim17ROCPRIM_400000_NS6detail17trampoline_kernelINS0_14default_configENS1_33run_length_encode_config_selectorIhjNS0_4plusIjEEEEZZNS1_33reduce_by_key_impl_wrapped_configILNS1_25lookback_scan_determinismE0ES3_S7_PKhNS0_17constant_iteratorIjlEEPhPlSF_S6_NS0_8equal_toIhEEEE10hipError_tPvRmT2_T3_mT4_T5_T6_T7_T8_P12ihipStream_tbENKUlT_T0_E_clISt17integral_constantIbLb0EESY_IbLb1EEEEDaSU_SV_EUlSU_E_NS1_11comp_targetILNS1_3genE10ELNS1_11target_archE1200ELNS1_3gpuE4ELNS1_3repE0EEENS1_30default_config_static_selectorELNS0_4arch9wavefront6targetE0EEEvT1_.num_named_barrier, 0
	.set _ZN7rocprim17ROCPRIM_400000_NS6detail17trampoline_kernelINS0_14default_configENS1_33run_length_encode_config_selectorIhjNS0_4plusIjEEEEZZNS1_33reduce_by_key_impl_wrapped_configILNS1_25lookback_scan_determinismE0ES3_S7_PKhNS0_17constant_iteratorIjlEEPhPlSF_S6_NS0_8equal_toIhEEEE10hipError_tPvRmT2_T3_mT4_T5_T6_T7_T8_P12ihipStream_tbENKUlT_T0_E_clISt17integral_constantIbLb0EESY_IbLb1EEEEDaSU_SV_EUlSU_E_NS1_11comp_targetILNS1_3genE10ELNS1_11target_archE1200ELNS1_3gpuE4ELNS1_3repE0EEENS1_30default_config_static_selectorELNS0_4arch9wavefront6targetE0EEEvT1_.private_seg_size, 0
	.set _ZN7rocprim17ROCPRIM_400000_NS6detail17trampoline_kernelINS0_14default_configENS1_33run_length_encode_config_selectorIhjNS0_4plusIjEEEEZZNS1_33reduce_by_key_impl_wrapped_configILNS1_25lookback_scan_determinismE0ES3_S7_PKhNS0_17constant_iteratorIjlEEPhPlSF_S6_NS0_8equal_toIhEEEE10hipError_tPvRmT2_T3_mT4_T5_T6_T7_T8_P12ihipStream_tbENKUlT_T0_E_clISt17integral_constantIbLb0EESY_IbLb1EEEEDaSU_SV_EUlSU_E_NS1_11comp_targetILNS1_3genE10ELNS1_11target_archE1200ELNS1_3gpuE4ELNS1_3repE0EEENS1_30default_config_static_selectorELNS0_4arch9wavefront6targetE0EEEvT1_.uses_vcc, 0
	.set _ZN7rocprim17ROCPRIM_400000_NS6detail17trampoline_kernelINS0_14default_configENS1_33run_length_encode_config_selectorIhjNS0_4plusIjEEEEZZNS1_33reduce_by_key_impl_wrapped_configILNS1_25lookback_scan_determinismE0ES3_S7_PKhNS0_17constant_iteratorIjlEEPhPlSF_S6_NS0_8equal_toIhEEEE10hipError_tPvRmT2_T3_mT4_T5_T6_T7_T8_P12ihipStream_tbENKUlT_T0_E_clISt17integral_constantIbLb0EESY_IbLb1EEEEDaSU_SV_EUlSU_E_NS1_11comp_targetILNS1_3genE10ELNS1_11target_archE1200ELNS1_3gpuE4ELNS1_3repE0EEENS1_30default_config_static_selectorELNS0_4arch9wavefront6targetE0EEEvT1_.uses_flat_scratch, 0
	.set _ZN7rocprim17ROCPRIM_400000_NS6detail17trampoline_kernelINS0_14default_configENS1_33run_length_encode_config_selectorIhjNS0_4plusIjEEEEZZNS1_33reduce_by_key_impl_wrapped_configILNS1_25lookback_scan_determinismE0ES3_S7_PKhNS0_17constant_iteratorIjlEEPhPlSF_S6_NS0_8equal_toIhEEEE10hipError_tPvRmT2_T3_mT4_T5_T6_T7_T8_P12ihipStream_tbENKUlT_T0_E_clISt17integral_constantIbLb0EESY_IbLb1EEEEDaSU_SV_EUlSU_E_NS1_11comp_targetILNS1_3genE10ELNS1_11target_archE1200ELNS1_3gpuE4ELNS1_3repE0EEENS1_30default_config_static_selectorELNS0_4arch9wavefront6targetE0EEEvT1_.has_dyn_sized_stack, 0
	.set _ZN7rocprim17ROCPRIM_400000_NS6detail17trampoline_kernelINS0_14default_configENS1_33run_length_encode_config_selectorIhjNS0_4plusIjEEEEZZNS1_33reduce_by_key_impl_wrapped_configILNS1_25lookback_scan_determinismE0ES3_S7_PKhNS0_17constant_iteratorIjlEEPhPlSF_S6_NS0_8equal_toIhEEEE10hipError_tPvRmT2_T3_mT4_T5_T6_T7_T8_P12ihipStream_tbENKUlT_T0_E_clISt17integral_constantIbLb0EESY_IbLb1EEEEDaSU_SV_EUlSU_E_NS1_11comp_targetILNS1_3genE10ELNS1_11target_archE1200ELNS1_3gpuE4ELNS1_3repE0EEENS1_30default_config_static_selectorELNS0_4arch9wavefront6targetE0EEEvT1_.has_recursion, 0
	.set _ZN7rocprim17ROCPRIM_400000_NS6detail17trampoline_kernelINS0_14default_configENS1_33run_length_encode_config_selectorIhjNS0_4plusIjEEEEZZNS1_33reduce_by_key_impl_wrapped_configILNS1_25lookback_scan_determinismE0ES3_S7_PKhNS0_17constant_iteratorIjlEEPhPlSF_S6_NS0_8equal_toIhEEEE10hipError_tPvRmT2_T3_mT4_T5_T6_T7_T8_P12ihipStream_tbENKUlT_T0_E_clISt17integral_constantIbLb0EESY_IbLb1EEEEDaSU_SV_EUlSU_E_NS1_11comp_targetILNS1_3genE10ELNS1_11target_archE1200ELNS1_3gpuE4ELNS1_3repE0EEENS1_30default_config_static_selectorELNS0_4arch9wavefront6targetE0EEEvT1_.has_indirect_call, 0
	.section	.AMDGPU.csdata,"",@progbits
; Kernel info:
; codeLenInByte = 0
; TotalNumSgprs: 0
; NumVgprs: 0
; ScratchSize: 0
; MemoryBound: 0
; FloatMode: 240
; IeeeMode: 1
; LDSByteSize: 0 bytes/workgroup (compile time only)
; SGPRBlocks: 0
; VGPRBlocks: 0
; NumSGPRsForWavesPerEU: 1
; NumVGPRsForWavesPerEU: 1
; NamedBarCnt: 0
; Occupancy: 16
; WaveLimiterHint : 0
; COMPUTE_PGM_RSRC2:SCRATCH_EN: 0
; COMPUTE_PGM_RSRC2:USER_SGPR: 2
; COMPUTE_PGM_RSRC2:TRAP_HANDLER: 0
; COMPUTE_PGM_RSRC2:TGID_X_EN: 1
; COMPUTE_PGM_RSRC2:TGID_Y_EN: 0
; COMPUTE_PGM_RSRC2:TGID_Z_EN: 0
; COMPUTE_PGM_RSRC2:TIDIG_COMP_CNT: 0
	.section	.text._ZN7rocprim17ROCPRIM_400000_NS6detail17trampoline_kernelINS0_14default_configENS1_33run_length_encode_config_selectorIhjNS0_4plusIjEEEEZZNS1_33reduce_by_key_impl_wrapped_configILNS1_25lookback_scan_determinismE0ES3_S7_PKhNS0_17constant_iteratorIjlEEPhPlSF_S6_NS0_8equal_toIhEEEE10hipError_tPvRmT2_T3_mT4_T5_T6_T7_T8_P12ihipStream_tbENKUlT_T0_E_clISt17integral_constantIbLb0EESY_IbLb1EEEEDaSU_SV_EUlSU_E_NS1_11comp_targetILNS1_3genE9ELNS1_11target_archE1100ELNS1_3gpuE3ELNS1_3repE0EEENS1_30default_config_static_selectorELNS0_4arch9wavefront6targetE0EEEvT1_,"axG",@progbits,_ZN7rocprim17ROCPRIM_400000_NS6detail17trampoline_kernelINS0_14default_configENS1_33run_length_encode_config_selectorIhjNS0_4plusIjEEEEZZNS1_33reduce_by_key_impl_wrapped_configILNS1_25lookback_scan_determinismE0ES3_S7_PKhNS0_17constant_iteratorIjlEEPhPlSF_S6_NS0_8equal_toIhEEEE10hipError_tPvRmT2_T3_mT4_T5_T6_T7_T8_P12ihipStream_tbENKUlT_T0_E_clISt17integral_constantIbLb0EESY_IbLb1EEEEDaSU_SV_EUlSU_E_NS1_11comp_targetILNS1_3genE9ELNS1_11target_archE1100ELNS1_3gpuE3ELNS1_3repE0EEENS1_30default_config_static_selectorELNS0_4arch9wavefront6targetE0EEEvT1_,comdat
	.protected	_ZN7rocprim17ROCPRIM_400000_NS6detail17trampoline_kernelINS0_14default_configENS1_33run_length_encode_config_selectorIhjNS0_4plusIjEEEEZZNS1_33reduce_by_key_impl_wrapped_configILNS1_25lookback_scan_determinismE0ES3_S7_PKhNS0_17constant_iteratorIjlEEPhPlSF_S6_NS0_8equal_toIhEEEE10hipError_tPvRmT2_T3_mT4_T5_T6_T7_T8_P12ihipStream_tbENKUlT_T0_E_clISt17integral_constantIbLb0EESY_IbLb1EEEEDaSU_SV_EUlSU_E_NS1_11comp_targetILNS1_3genE9ELNS1_11target_archE1100ELNS1_3gpuE3ELNS1_3repE0EEENS1_30default_config_static_selectorELNS0_4arch9wavefront6targetE0EEEvT1_ ; -- Begin function _ZN7rocprim17ROCPRIM_400000_NS6detail17trampoline_kernelINS0_14default_configENS1_33run_length_encode_config_selectorIhjNS0_4plusIjEEEEZZNS1_33reduce_by_key_impl_wrapped_configILNS1_25lookback_scan_determinismE0ES3_S7_PKhNS0_17constant_iteratorIjlEEPhPlSF_S6_NS0_8equal_toIhEEEE10hipError_tPvRmT2_T3_mT4_T5_T6_T7_T8_P12ihipStream_tbENKUlT_T0_E_clISt17integral_constantIbLb0EESY_IbLb1EEEEDaSU_SV_EUlSU_E_NS1_11comp_targetILNS1_3genE9ELNS1_11target_archE1100ELNS1_3gpuE3ELNS1_3repE0EEENS1_30default_config_static_selectorELNS0_4arch9wavefront6targetE0EEEvT1_
	.globl	_ZN7rocprim17ROCPRIM_400000_NS6detail17trampoline_kernelINS0_14default_configENS1_33run_length_encode_config_selectorIhjNS0_4plusIjEEEEZZNS1_33reduce_by_key_impl_wrapped_configILNS1_25lookback_scan_determinismE0ES3_S7_PKhNS0_17constant_iteratorIjlEEPhPlSF_S6_NS0_8equal_toIhEEEE10hipError_tPvRmT2_T3_mT4_T5_T6_T7_T8_P12ihipStream_tbENKUlT_T0_E_clISt17integral_constantIbLb0EESY_IbLb1EEEEDaSU_SV_EUlSU_E_NS1_11comp_targetILNS1_3genE9ELNS1_11target_archE1100ELNS1_3gpuE3ELNS1_3repE0EEENS1_30default_config_static_selectorELNS0_4arch9wavefront6targetE0EEEvT1_
	.p2align	8
	.type	_ZN7rocprim17ROCPRIM_400000_NS6detail17trampoline_kernelINS0_14default_configENS1_33run_length_encode_config_selectorIhjNS0_4plusIjEEEEZZNS1_33reduce_by_key_impl_wrapped_configILNS1_25lookback_scan_determinismE0ES3_S7_PKhNS0_17constant_iteratorIjlEEPhPlSF_S6_NS0_8equal_toIhEEEE10hipError_tPvRmT2_T3_mT4_T5_T6_T7_T8_P12ihipStream_tbENKUlT_T0_E_clISt17integral_constantIbLb0EESY_IbLb1EEEEDaSU_SV_EUlSU_E_NS1_11comp_targetILNS1_3genE9ELNS1_11target_archE1100ELNS1_3gpuE3ELNS1_3repE0EEENS1_30default_config_static_selectorELNS0_4arch9wavefront6targetE0EEEvT1_,@function
_ZN7rocprim17ROCPRIM_400000_NS6detail17trampoline_kernelINS0_14default_configENS1_33run_length_encode_config_selectorIhjNS0_4plusIjEEEEZZNS1_33reduce_by_key_impl_wrapped_configILNS1_25lookback_scan_determinismE0ES3_S7_PKhNS0_17constant_iteratorIjlEEPhPlSF_S6_NS0_8equal_toIhEEEE10hipError_tPvRmT2_T3_mT4_T5_T6_T7_T8_P12ihipStream_tbENKUlT_T0_E_clISt17integral_constantIbLb0EESY_IbLb1EEEEDaSU_SV_EUlSU_E_NS1_11comp_targetILNS1_3genE9ELNS1_11target_archE1100ELNS1_3gpuE3ELNS1_3repE0EEENS1_30default_config_static_selectorELNS0_4arch9wavefront6targetE0EEEvT1_: ; @_ZN7rocprim17ROCPRIM_400000_NS6detail17trampoline_kernelINS0_14default_configENS1_33run_length_encode_config_selectorIhjNS0_4plusIjEEEEZZNS1_33reduce_by_key_impl_wrapped_configILNS1_25lookback_scan_determinismE0ES3_S7_PKhNS0_17constant_iteratorIjlEEPhPlSF_S6_NS0_8equal_toIhEEEE10hipError_tPvRmT2_T3_mT4_T5_T6_T7_T8_P12ihipStream_tbENKUlT_T0_E_clISt17integral_constantIbLb0EESY_IbLb1EEEEDaSU_SV_EUlSU_E_NS1_11comp_targetILNS1_3genE9ELNS1_11target_archE1100ELNS1_3gpuE3ELNS1_3repE0EEENS1_30default_config_static_selectorELNS0_4arch9wavefront6targetE0EEEvT1_
; %bb.0:
	.section	.rodata,"a",@progbits
	.p2align	6, 0x0
	.amdhsa_kernel _ZN7rocprim17ROCPRIM_400000_NS6detail17trampoline_kernelINS0_14default_configENS1_33run_length_encode_config_selectorIhjNS0_4plusIjEEEEZZNS1_33reduce_by_key_impl_wrapped_configILNS1_25lookback_scan_determinismE0ES3_S7_PKhNS0_17constant_iteratorIjlEEPhPlSF_S6_NS0_8equal_toIhEEEE10hipError_tPvRmT2_T3_mT4_T5_T6_T7_T8_P12ihipStream_tbENKUlT_T0_E_clISt17integral_constantIbLb0EESY_IbLb1EEEEDaSU_SV_EUlSU_E_NS1_11comp_targetILNS1_3genE9ELNS1_11target_archE1100ELNS1_3gpuE3ELNS1_3repE0EEENS1_30default_config_static_selectorELNS0_4arch9wavefront6targetE0EEEvT1_
		.amdhsa_group_segment_fixed_size 0
		.amdhsa_private_segment_fixed_size 0
		.amdhsa_kernarg_size 128
		.amdhsa_user_sgpr_count 2
		.amdhsa_user_sgpr_dispatch_ptr 0
		.amdhsa_user_sgpr_queue_ptr 0
		.amdhsa_user_sgpr_kernarg_segment_ptr 1
		.amdhsa_user_sgpr_dispatch_id 0
		.amdhsa_user_sgpr_kernarg_preload_length 0
		.amdhsa_user_sgpr_kernarg_preload_offset 0
		.amdhsa_user_sgpr_private_segment_size 0
		.amdhsa_wavefront_size32 1
		.amdhsa_uses_dynamic_stack 0
		.amdhsa_enable_private_segment 0
		.amdhsa_system_sgpr_workgroup_id_x 1
		.amdhsa_system_sgpr_workgroup_id_y 0
		.amdhsa_system_sgpr_workgroup_id_z 0
		.amdhsa_system_sgpr_workgroup_info 0
		.amdhsa_system_vgpr_workitem_id 0
		.amdhsa_next_free_vgpr 1
		.amdhsa_next_free_sgpr 1
		.amdhsa_named_barrier_count 0
		.amdhsa_reserve_vcc 0
		.amdhsa_float_round_mode_32 0
		.amdhsa_float_round_mode_16_64 0
		.amdhsa_float_denorm_mode_32 3
		.amdhsa_float_denorm_mode_16_64 3
		.amdhsa_fp16_overflow 0
		.amdhsa_memory_ordered 1
		.amdhsa_forward_progress 1
		.amdhsa_inst_pref_size 0
		.amdhsa_round_robin_scheduling 0
		.amdhsa_exception_fp_ieee_invalid_op 0
		.amdhsa_exception_fp_denorm_src 0
		.amdhsa_exception_fp_ieee_div_zero 0
		.amdhsa_exception_fp_ieee_overflow 0
		.amdhsa_exception_fp_ieee_underflow 0
		.amdhsa_exception_fp_ieee_inexact 0
		.amdhsa_exception_int_div_zero 0
	.end_amdhsa_kernel
	.section	.text._ZN7rocprim17ROCPRIM_400000_NS6detail17trampoline_kernelINS0_14default_configENS1_33run_length_encode_config_selectorIhjNS0_4plusIjEEEEZZNS1_33reduce_by_key_impl_wrapped_configILNS1_25lookback_scan_determinismE0ES3_S7_PKhNS0_17constant_iteratorIjlEEPhPlSF_S6_NS0_8equal_toIhEEEE10hipError_tPvRmT2_T3_mT4_T5_T6_T7_T8_P12ihipStream_tbENKUlT_T0_E_clISt17integral_constantIbLb0EESY_IbLb1EEEEDaSU_SV_EUlSU_E_NS1_11comp_targetILNS1_3genE9ELNS1_11target_archE1100ELNS1_3gpuE3ELNS1_3repE0EEENS1_30default_config_static_selectorELNS0_4arch9wavefront6targetE0EEEvT1_,"axG",@progbits,_ZN7rocprim17ROCPRIM_400000_NS6detail17trampoline_kernelINS0_14default_configENS1_33run_length_encode_config_selectorIhjNS0_4plusIjEEEEZZNS1_33reduce_by_key_impl_wrapped_configILNS1_25lookback_scan_determinismE0ES3_S7_PKhNS0_17constant_iteratorIjlEEPhPlSF_S6_NS0_8equal_toIhEEEE10hipError_tPvRmT2_T3_mT4_T5_T6_T7_T8_P12ihipStream_tbENKUlT_T0_E_clISt17integral_constantIbLb0EESY_IbLb1EEEEDaSU_SV_EUlSU_E_NS1_11comp_targetILNS1_3genE9ELNS1_11target_archE1100ELNS1_3gpuE3ELNS1_3repE0EEENS1_30default_config_static_selectorELNS0_4arch9wavefront6targetE0EEEvT1_,comdat
.Lfunc_end200:
	.size	_ZN7rocprim17ROCPRIM_400000_NS6detail17trampoline_kernelINS0_14default_configENS1_33run_length_encode_config_selectorIhjNS0_4plusIjEEEEZZNS1_33reduce_by_key_impl_wrapped_configILNS1_25lookback_scan_determinismE0ES3_S7_PKhNS0_17constant_iteratorIjlEEPhPlSF_S6_NS0_8equal_toIhEEEE10hipError_tPvRmT2_T3_mT4_T5_T6_T7_T8_P12ihipStream_tbENKUlT_T0_E_clISt17integral_constantIbLb0EESY_IbLb1EEEEDaSU_SV_EUlSU_E_NS1_11comp_targetILNS1_3genE9ELNS1_11target_archE1100ELNS1_3gpuE3ELNS1_3repE0EEENS1_30default_config_static_selectorELNS0_4arch9wavefront6targetE0EEEvT1_, .Lfunc_end200-_ZN7rocprim17ROCPRIM_400000_NS6detail17trampoline_kernelINS0_14default_configENS1_33run_length_encode_config_selectorIhjNS0_4plusIjEEEEZZNS1_33reduce_by_key_impl_wrapped_configILNS1_25lookback_scan_determinismE0ES3_S7_PKhNS0_17constant_iteratorIjlEEPhPlSF_S6_NS0_8equal_toIhEEEE10hipError_tPvRmT2_T3_mT4_T5_T6_T7_T8_P12ihipStream_tbENKUlT_T0_E_clISt17integral_constantIbLb0EESY_IbLb1EEEEDaSU_SV_EUlSU_E_NS1_11comp_targetILNS1_3genE9ELNS1_11target_archE1100ELNS1_3gpuE3ELNS1_3repE0EEENS1_30default_config_static_selectorELNS0_4arch9wavefront6targetE0EEEvT1_
                                        ; -- End function
	.set _ZN7rocprim17ROCPRIM_400000_NS6detail17trampoline_kernelINS0_14default_configENS1_33run_length_encode_config_selectorIhjNS0_4plusIjEEEEZZNS1_33reduce_by_key_impl_wrapped_configILNS1_25lookback_scan_determinismE0ES3_S7_PKhNS0_17constant_iteratorIjlEEPhPlSF_S6_NS0_8equal_toIhEEEE10hipError_tPvRmT2_T3_mT4_T5_T6_T7_T8_P12ihipStream_tbENKUlT_T0_E_clISt17integral_constantIbLb0EESY_IbLb1EEEEDaSU_SV_EUlSU_E_NS1_11comp_targetILNS1_3genE9ELNS1_11target_archE1100ELNS1_3gpuE3ELNS1_3repE0EEENS1_30default_config_static_selectorELNS0_4arch9wavefront6targetE0EEEvT1_.num_vgpr, 0
	.set _ZN7rocprim17ROCPRIM_400000_NS6detail17trampoline_kernelINS0_14default_configENS1_33run_length_encode_config_selectorIhjNS0_4plusIjEEEEZZNS1_33reduce_by_key_impl_wrapped_configILNS1_25lookback_scan_determinismE0ES3_S7_PKhNS0_17constant_iteratorIjlEEPhPlSF_S6_NS0_8equal_toIhEEEE10hipError_tPvRmT2_T3_mT4_T5_T6_T7_T8_P12ihipStream_tbENKUlT_T0_E_clISt17integral_constantIbLb0EESY_IbLb1EEEEDaSU_SV_EUlSU_E_NS1_11comp_targetILNS1_3genE9ELNS1_11target_archE1100ELNS1_3gpuE3ELNS1_3repE0EEENS1_30default_config_static_selectorELNS0_4arch9wavefront6targetE0EEEvT1_.num_agpr, 0
	.set _ZN7rocprim17ROCPRIM_400000_NS6detail17trampoline_kernelINS0_14default_configENS1_33run_length_encode_config_selectorIhjNS0_4plusIjEEEEZZNS1_33reduce_by_key_impl_wrapped_configILNS1_25lookback_scan_determinismE0ES3_S7_PKhNS0_17constant_iteratorIjlEEPhPlSF_S6_NS0_8equal_toIhEEEE10hipError_tPvRmT2_T3_mT4_T5_T6_T7_T8_P12ihipStream_tbENKUlT_T0_E_clISt17integral_constantIbLb0EESY_IbLb1EEEEDaSU_SV_EUlSU_E_NS1_11comp_targetILNS1_3genE9ELNS1_11target_archE1100ELNS1_3gpuE3ELNS1_3repE0EEENS1_30default_config_static_selectorELNS0_4arch9wavefront6targetE0EEEvT1_.numbered_sgpr, 0
	.set _ZN7rocprim17ROCPRIM_400000_NS6detail17trampoline_kernelINS0_14default_configENS1_33run_length_encode_config_selectorIhjNS0_4plusIjEEEEZZNS1_33reduce_by_key_impl_wrapped_configILNS1_25lookback_scan_determinismE0ES3_S7_PKhNS0_17constant_iteratorIjlEEPhPlSF_S6_NS0_8equal_toIhEEEE10hipError_tPvRmT2_T3_mT4_T5_T6_T7_T8_P12ihipStream_tbENKUlT_T0_E_clISt17integral_constantIbLb0EESY_IbLb1EEEEDaSU_SV_EUlSU_E_NS1_11comp_targetILNS1_3genE9ELNS1_11target_archE1100ELNS1_3gpuE3ELNS1_3repE0EEENS1_30default_config_static_selectorELNS0_4arch9wavefront6targetE0EEEvT1_.num_named_barrier, 0
	.set _ZN7rocprim17ROCPRIM_400000_NS6detail17trampoline_kernelINS0_14default_configENS1_33run_length_encode_config_selectorIhjNS0_4plusIjEEEEZZNS1_33reduce_by_key_impl_wrapped_configILNS1_25lookback_scan_determinismE0ES3_S7_PKhNS0_17constant_iteratorIjlEEPhPlSF_S6_NS0_8equal_toIhEEEE10hipError_tPvRmT2_T3_mT4_T5_T6_T7_T8_P12ihipStream_tbENKUlT_T0_E_clISt17integral_constantIbLb0EESY_IbLb1EEEEDaSU_SV_EUlSU_E_NS1_11comp_targetILNS1_3genE9ELNS1_11target_archE1100ELNS1_3gpuE3ELNS1_3repE0EEENS1_30default_config_static_selectorELNS0_4arch9wavefront6targetE0EEEvT1_.private_seg_size, 0
	.set _ZN7rocprim17ROCPRIM_400000_NS6detail17trampoline_kernelINS0_14default_configENS1_33run_length_encode_config_selectorIhjNS0_4plusIjEEEEZZNS1_33reduce_by_key_impl_wrapped_configILNS1_25lookback_scan_determinismE0ES3_S7_PKhNS0_17constant_iteratorIjlEEPhPlSF_S6_NS0_8equal_toIhEEEE10hipError_tPvRmT2_T3_mT4_T5_T6_T7_T8_P12ihipStream_tbENKUlT_T0_E_clISt17integral_constantIbLb0EESY_IbLb1EEEEDaSU_SV_EUlSU_E_NS1_11comp_targetILNS1_3genE9ELNS1_11target_archE1100ELNS1_3gpuE3ELNS1_3repE0EEENS1_30default_config_static_selectorELNS0_4arch9wavefront6targetE0EEEvT1_.uses_vcc, 0
	.set _ZN7rocprim17ROCPRIM_400000_NS6detail17trampoline_kernelINS0_14default_configENS1_33run_length_encode_config_selectorIhjNS0_4plusIjEEEEZZNS1_33reduce_by_key_impl_wrapped_configILNS1_25lookback_scan_determinismE0ES3_S7_PKhNS0_17constant_iteratorIjlEEPhPlSF_S6_NS0_8equal_toIhEEEE10hipError_tPvRmT2_T3_mT4_T5_T6_T7_T8_P12ihipStream_tbENKUlT_T0_E_clISt17integral_constantIbLb0EESY_IbLb1EEEEDaSU_SV_EUlSU_E_NS1_11comp_targetILNS1_3genE9ELNS1_11target_archE1100ELNS1_3gpuE3ELNS1_3repE0EEENS1_30default_config_static_selectorELNS0_4arch9wavefront6targetE0EEEvT1_.uses_flat_scratch, 0
	.set _ZN7rocprim17ROCPRIM_400000_NS6detail17trampoline_kernelINS0_14default_configENS1_33run_length_encode_config_selectorIhjNS0_4plusIjEEEEZZNS1_33reduce_by_key_impl_wrapped_configILNS1_25lookback_scan_determinismE0ES3_S7_PKhNS0_17constant_iteratorIjlEEPhPlSF_S6_NS0_8equal_toIhEEEE10hipError_tPvRmT2_T3_mT4_T5_T6_T7_T8_P12ihipStream_tbENKUlT_T0_E_clISt17integral_constantIbLb0EESY_IbLb1EEEEDaSU_SV_EUlSU_E_NS1_11comp_targetILNS1_3genE9ELNS1_11target_archE1100ELNS1_3gpuE3ELNS1_3repE0EEENS1_30default_config_static_selectorELNS0_4arch9wavefront6targetE0EEEvT1_.has_dyn_sized_stack, 0
	.set _ZN7rocprim17ROCPRIM_400000_NS6detail17trampoline_kernelINS0_14default_configENS1_33run_length_encode_config_selectorIhjNS0_4plusIjEEEEZZNS1_33reduce_by_key_impl_wrapped_configILNS1_25lookback_scan_determinismE0ES3_S7_PKhNS0_17constant_iteratorIjlEEPhPlSF_S6_NS0_8equal_toIhEEEE10hipError_tPvRmT2_T3_mT4_T5_T6_T7_T8_P12ihipStream_tbENKUlT_T0_E_clISt17integral_constantIbLb0EESY_IbLb1EEEEDaSU_SV_EUlSU_E_NS1_11comp_targetILNS1_3genE9ELNS1_11target_archE1100ELNS1_3gpuE3ELNS1_3repE0EEENS1_30default_config_static_selectorELNS0_4arch9wavefront6targetE0EEEvT1_.has_recursion, 0
	.set _ZN7rocprim17ROCPRIM_400000_NS6detail17trampoline_kernelINS0_14default_configENS1_33run_length_encode_config_selectorIhjNS0_4plusIjEEEEZZNS1_33reduce_by_key_impl_wrapped_configILNS1_25lookback_scan_determinismE0ES3_S7_PKhNS0_17constant_iteratorIjlEEPhPlSF_S6_NS0_8equal_toIhEEEE10hipError_tPvRmT2_T3_mT4_T5_T6_T7_T8_P12ihipStream_tbENKUlT_T0_E_clISt17integral_constantIbLb0EESY_IbLb1EEEEDaSU_SV_EUlSU_E_NS1_11comp_targetILNS1_3genE9ELNS1_11target_archE1100ELNS1_3gpuE3ELNS1_3repE0EEENS1_30default_config_static_selectorELNS0_4arch9wavefront6targetE0EEEvT1_.has_indirect_call, 0
	.section	.AMDGPU.csdata,"",@progbits
; Kernel info:
; codeLenInByte = 0
; TotalNumSgprs: 0
; NumVgprs: 0
; ScratchSize: 0
; MemoryBound: 0
; FloatMode: 240
; IeeeMode: 1
; LDSByteSize: 0 bytes/workgroup (compile time only)
; SGPRBlocks: 0
; VGPRBlocks: 0
; NumSGPRsForWavesPerEU: 1
; NumVGPRsForWavesPerEU: 1
; NamedBarCnt: 0
; Occupancy: 16
; WaveLimiterHint : 0
; COMPUTE_PGM_RSRC2:SCRATCH_EN: 0
; COMPUTE_PGM_RSRC2:USER_SGPR: 2
; COMPUTE_PGM_RSRC2:TRAP_HANDLER: 0
; COMPUTE_PGM_RSRC2:TGID_X_EN: 1
; COMPUTE_PGM_RSRC2:TGID_Y_EN: 0
; COMPUTE_PGM_RSRC2:TGID_Z_EN: 0
; COMPUTE_PGM_RSRC2:TIDIG_COMP_CNT: 0
	.section	.text._ZN7rocprim17ROCPRIM_400000_NS6detail17trampoline_kernelINS0_14default_configENS1_33run_length_encode_config_selectorIhjNS0_4plusIjEEEEZZNS1_33reduce_by_key_impl_wrapped_configILNS1_25lookback_scan_determinismE0ES3_S7_PKhNS0_17constant_iteratorIjlEEPhPlSF_S6_NS0_8equal_toIhEEEE10hipError_tPvRmT2_T3_mT4_T5_T6_T7_T8_P12ihipStream_tbENKUlT_T0_E_clISt17integral_constantIbLb0EESY_IbLb1EEEEDaSU_SV_EUlSU_E_NS1_11comp_targetILNS1_3genE8ELNS1_11target_archE1030ELNS1_3gpuE2ELNS1_3repE0EEENS1_30default_config_static_selectorELNS0_4arch9wavefront6targetE0EEEvT1_,"axG",@progbits,_ZN7rocprim17ROCPRIM_400000_NS6detail17trampoline_kernelINS0_14default_configENS1_33run_length_encode_config_selectorIhjNS0_4plusIjEEEEZZNS1_33reduce_by_key_impl_wrapped_configILNS1_25lookback_scan_determinismE0ES3_S7_PKhNS0_17constant_iteratorIjlEEPhPlSF_S6_NS0_8equal_toIhEEEE10hipError_tPvRmT2_T3_mT4_T5_T6_T7_T8_P12ihipStream_tbENKUlT_T0_E_clISt17integral_constantIbLb0EESY_IbLb1EEEEDaSU_SV_EUlSU_E_NS1_11comp_targetILNS1_3genE8ELNS1_11target_archE1030ELNS1_3gpuE2ELNS1_3repE0EEENS1_30default_config_static_selectorELNS0_4arch9wavefront6targetE0EEEvT1_,comdat
	.protected	_ZN7rocprim17ROCPRIM_400000_NS6detail17trampoline_kernelINS0_14default_configENS1_33run_length_encode_config_selectorIhjNS0_4plusIjEEEEZZNS1_33reduce_by_key_impl_wrapped_configILNS1_25lookback_scan_determinismE0ES3_S7_PKhNS0_17constant_iteratorIjlEEPhPlSF_S6_NS0_8equal_toIhEEEE10hipError_tPvRmT2_T3_mT4_T5_T6_T7_T8_P12ihipStream_tbENKUlT_T0_E_clISt17integral_constantIbLb0EESY_IbLb1EEEEDaSU_SV_EUlSU_E_NS1_11comp_targetILNS1_3genE8ELNS1_11target_archE1030ELNS1_3gpuE2ELNS1_3repE0EEENS1_30default_config_static_selectorELNS0_4arch9wavefront6targetE0EEEvT1_ ; -- Begin function _ZN7rocprim17ROCPRIM_400000_NS6detail17trampoline_kernelINS0_14default_configENS1_33run_length_encode_config_selectorIhjNS0_4plusIjEEEEZZNS1_33reduce_by_key_impl_wrapped_configILNS1_25lookback_scan_determinismE0ES3_S7_PKhNS0_17constant_iteratorIjlEEPhPlSF_S6_NS0_8equal_toIhEEEE10hipError_tPvRmT2_T3_mT4_T5_T6_T7_T8_P12ihipStream_tbENKUlT_T0_E_clISt17integral_constantIbLb0EESY_IbLb1EEEEDaSU_SV_EUlSU_E_NS1_11comp_targetILNS1_3genE8ELNS1_11target_archE1030ELNS1_3gpuE2ELNS1_3repE0EEENS1_30default_config_static_selectorELNS0_4arch9wavefront6targetE0EEEvT1_
	.globl	_ZN7rocprim17ROCPRIM_400000_NS6detail17trampoline_kernelINS0_14default_configENS1_33run_length_encode_config_selectorIhjNS0_4plusIjEEEEZZNS1_33reduce_by_key_impl_wrapped_configILNS1_25lookback_scan_determinismE0ES3_S7_PKhNS0_17constant_iteratorIjlEEPhPlSF_S6_NS0_8equal_toIhEEEE10hipError_tPvRmT2_T3_mT4_T5_T6_T7_T8_P12ihipStream_tbENKUlT_T0_E_clISt17integral_constantIbLb0EESY_IbLb1EEEEDaSU_SV_EUlSU_E_NS1_11comp_targetILNS1_3genE8ELNS1_11target_archE1030ELNS1_3gpuE2ELNS1_3repE0EEENS1_30default_config_static_selectorELNS0_4arch9wavefront6targetE0EEEvT1_
	.p2align	8
	.type	_ZN7rocprim17ROCPRIM_400000_NS6detail17trampoline_kernelINS0_14default_configENS1_33run_length_encode_config_selectorIhjNS0_4plusIjEEEEZZNS1_33reduce_by_key_impl_wrapped_configILNS1_25lookback_scan_determinismE0ES3_S7_PKhNS0_17constant_iteratorIjlEEPhPlSF_S6_NS0_8equal_toIhEEEE10hipError_tPvRmT2_T3_mT4_T5_T6_T7_T8_P12ihipStream_tbENKUlT_T0_E_clISt17integral_constantIbLb0EESY_IbLb1EEEEDaSU_SV_EUlSU_E_NS1_11comp_targetILNS1_3genE8ELNS1_11target_archE1030ELNS1_3gpuE2ELNS1_3repE0EEENS1_30default_config_static_selectorELNS0_4arch9wavefront6targetE0EEEvT1_,@function
_ZN7rocprim17ROCPRIM_400000_NS6detail17trampoline_kernelINS0_14default_configENS1_33run_length_encode_config_selectorIhjNS0_4plusIjEEEEZZNS1_33reduce_by_key_impl_wrapped_configILNS1_25lookback_scan_determinismE0ES3_S7_PKhNS0_17constant_iteratorIjlEEPhPlSF_S6_NS0_8equal_toIhEEEE10hipError_tPvRmT2_T3_mT4_T5_T6_T7_T8_P12ihipStream_tbENKUlT_T0_E_clISt17integral_constantIbLb0EESY_IbLb1EEEEDaSU_SV_EUlSU_E_NS1_11comp_targetILNS1_3genE8ELNS1_11target_archE1030ELNS1_3gpuE2ELNS1_3repE0EEENS1_30default_config_static_selectorELNS0_4arch9wavefront6targetE0EEEvT1_: ; @_ZN7rocprim17ROCPRIM_400000_NS6detail17trampoline_kernelINS0_14default_configENS1_33run_length_encode_config_selectorIhjNS0_4plusIjEEEEZZNS1_33reduce_by_key_impl_wrapped_configILNS1_25lookback_scan_determinismE0ES3_S7_PKhNS0_17constant_iteratorIjlEEPhPlSF_S6_NS0_8equal_toIhEEEE10hipError_tPvRmT2_T3_mT4_T5_T6_T7_T8_P12ihipStream_tbENKUlT_T0_E_clISt17integral_constantIbLb0EESY_IbLb1EEEEDaSU_SV_EUlSU_E_NS1_11comp_targetILNS1_3genE8ELNS1_11target_archE1030ELNS1_3gpuE2ELNS1_3repE0EEENS1_30default_config_static_selectorELNS0_4arch9wavefront6targetE0EEEvT1_
; %bb.0:
	.section	.rodata,"a",@progbits
	.p2align	6, 0x0
	.amdhsa_kernel _ZN7rocprim17ROCPRIM_400000_NS6detail17trampoline_kernelINS0_14default_configENS1_33run_length_encode_config_selectorIhjNS0_4plusIjEEEEZZNS1_33reduce_by_key_impl_wrapped_configILNS1_25lookback_scan_determinismE0ES3_S7_PKhNS0_17constant_iteratorIjlEEPhPlSF_S6_NS0_8equal_toIhEEEE10hipError_tPvRmT2_T3_mT4_T5_T6_T7_T8_P12ihipStream_tbENKUlT_T0_E_clISt17integral_constantIbLb0EESY_IbLb1EEEEDaSU_SV_EUlSU_E_NS1_11comp_targetILNS1_3genE8ELNS1_11target_archE1030ELNS1_3gpuE2ELNS1_3repE0EEENS1_30default_config_static_selectorELNS0_4arch9wavefront6targetE0EEEvT1_
		.amdhsa_group_segment_fixed_size 0
		.amdhsa_private_segment_fixed_size 0
		.amdhsa_kernarg_size 128
		.amdhsa_user_sgpr_count 2
		.amdhsa_user_sgpr_dispatch_ptr 0
		.amdhsa_user_sgpr_queue_ptr 0
		.amdhsa_user_sgpr_kernarg_segment_ptr 1
		.amdhsa_user_sgpr_dispatch_id 0
		.amdhsa_user_sgpr_kernarg_preload_length 0
		.amdhsa_user_sgpr_kernarg_preload_offset 0
		.amdhsa_user_sgpr_private_segment_size 0
		.amdhsa_wavefront_size32 1
		.amdhsa_uses_dynamic_stack 0
		.amdhsa_enable_private_segment 0
		.amdhsa_system_sgpr_workgroup_id_x 1
		.amdhsa_system_sgpr_workgroup_id_y 0
		.amdhsa_system_sgpr_workgroup_id_z 0
		.amdhsa_system_sgpr_workgroup_info 0
		.amdhsa_system_vgpr_workitem_id 0
		.amdhsa_next_free_vgpr 1
		.amdhsa_next_free_sgpr 1
		.amdhsa_named_barrier_count 0
		.amdhsa_reserve_vcc 0
		.amdhsa_float_round_mode_32 0
		.amdhsa_float_round_mode_16_64 0
		.amdhsa_float_denorm_mode_32 3
		.amdhsa_float_denorm_mode_16_64 3
		.amdhsa_fp16_overflow 0
		.amdhsa_memory_ordered 1
		.amdhsa_forward_progress 1
		.amdhsa_inst_pref_size 0
		.amdhsa_round_robin_scheduling 0
		.amdhsa_exception_fp_ieee_invalid_op 0
		.amdhsa_exception_fp_denorm_src 0
		.amdhsa_exception_fp_ieee_div_zero 0
		.amdhsa_exception_fp_ieee_overflow 0
		.amdhsa_exception_fp_ieee_underflow 0
		.amdhsa_exception_fp_ieee_inexact 0
		.amdhsa_exception_int_div_zero 0
	.end_amdhsa_kernel
	.section	.text._ZN7rocprim17ROCPRIM_400000_NS6detail17trampoline_kernelINS0_14default_configENS1_33run_length_encode_config_selectorIhjNS0_4plusIjEEEEZZNS1_33reduce_by_key_impl_wrapped_configILNS1_25lookback_scan_determinismE0ES3_S7_PKhNS0_17constant_iteratorIjlEEPhPlSF_S6_NS0_8equal_toIhEEEE10hipError_tPvRmT2_T3_mT4_T5_T6_T7_T8_P12ihipStream_tbENKUlT_T0_E_clISt17integral_constantIbLb0EESY_IbLb1EEEEDaSU_SV_EUlSU_E_NS1_11comp_targetILNS1_3genE8ELNS1_11target_archE1030ELNS1_3gpuE2ELNS1_3repE0EEENS1_30default_config_static_selectorELNS0_4arch9wavefront6targetE0EEEvT1_,"axG",@progbits,_ZN7rocprim17ROCPRIM_400000_NS6detail17trampoline_kernelINS0_14default_configENS1_33run_length_encode_config_selectorIhjNS0_4plusIjEEEEZZNS1_33reduce_by_key_impl_wrapped_configILNS1_25lookback_scan_determinismE0ES3_S7_PKhNS0_17constant_iteratorIjlEEPhPlSF_S6_NS0_8equal_toIhEEEE10hipError_tPvRmT2_T3_mT4_T5_T6_T7_T8_P12ihipStream_tbENKUlT_T0_E_clISt17integral_constantIbLb0EESY_IbLb1EEEEDaSU_SV_EUlSU_E_NS1_11comp_targetILNS1_3genE8ELNS1_11target_archE1030ELNS1_3gpuE2ELNS1_3repE0EEENS1_30default_config_static_selectorELNS0_4arch9wavefront6targetE0EEEvT1_,comdat
.Lfunc_end201:
	.size	_ZN7rocprim17ROCPRIM_400000_NS6detail17trampoline_kernelINS0_14default_configENS1_33run_length_encode_config_selectorIhjNS0_4plusIjEEEEZZNS1_33reduce_by_key_impl_wrapped_configILNS1_25lookback_scan_determinismE0ES3_S7_PKhNS0_17constant_iteratorIjlEEPhPlSF_S6_NS0_8equal_toIhEEEE10hipError_tPvRmT2_T3_mT4_T5_T6_T7_T8_P12ihipStream_tbENKUlT_T0_E_clISt17integral_constantIbLb0EESY_IbLb1EEEEDaSU_SV_EUlSU_E_NS1_11comp_targetILNS1_3genE8ELNS1_11target_archE1030ELNS1_3gpuE2ELNS1_3repE0EEENS1_30default_config_static_selectorELNS0_4arch9wavefront6targetE0EEEvT1_, .Lfunc_end201-_ZN7rocprim17ROCPRIM_400000_NS6detail17trampoline_kernelINS0_14default_configENS1_33run_length_encode_config_selectorIhjNS0_4plusIjEEEEZZNS1_33reduce_by_key_impl_wrapped_configILNS1_25lookback_scan_determinismE0ES3_S7_PKhNS0_17constant_iteratorIjlEEPhPlSF_S6_NS0_8equal_toIhEEEE10hipError_tPvRmT2_T3_mT4_T5_T6_T7_T8_P12ihipStream_tbENKUlT_T0_E_clISt17integral_constantIbLb0EESY_IbLb1EEEEDaSU_SV_EUlSU_E_NS1_11comp_targetILNS1_3genE8ELNS1_11target_archE1030ELNS1_3gpuE2ELNS1_3repE0EEENS1_30default_config_static_selectorELNS0_4arch9wavefront6targetE0EEEvT1_
                                        ; -- End function
	.set _ZN7rocprim17ROCPRIM_400000_NS6detail17trampoline_kernelINS0_14default_configENS1_33run_length_encode_config_selectorIhjNS0_4plusIjEEEEZZNS1_33reduce_by_key_impl_wrapped_configILNS1_25lookback_scan_determinismE0ES3_S7_PKhNS0_17constant_iteratorIjlEEPhPlSF_S6_NS0_8equal_toIhEEEE10hipError_tPvRmT2_T3_mT4_T5_T6_T7_T8_P12ihipStream_tbENKUlT_T0_E_clISt17integral_constantIbLb0EESY_IbLb1EEEEDaSU_SV_EUlSU_E_NS1_11comp_targetILNS1_3genE8ELNS1_11target_archE1030ELNS1_3gpuE2ELNS1_3repE0EEENS1_30default_config_static_selectorELNS0_4arch9wavefront6targetE0EEEvT1_.num_vgpr, 0
	.set _ZN7rocprim17ROCPRIM_400000_NS6detail17trampoline_kernelINS0_14default_configENS1_33run_length_encode_config_selectorIhjNS0_4plusIjEEEEZZNS1_33reduce_by_key_impl_wrapped_configILNS1_25lookback_scan_determinismE0ES3_S7_PKhNS0_17constant_iteratorIjlEEPhPlSF_S6_NS0_8equal_toIhEEEE10hipError_tPvRmT2_T3_mT4_T5_T6_T7_T8_P12ihipStream_tbENKUlT_T0_E_clISt17integral_constantIbLb0EESY_IbLb1EEEEDaSU_SV_EUlSU_E_NS1_11comp_targetILNS1_3genE8ELNS1_11target_archE1030ELNS1_3gpuE2ELNS1_3repE0EEENS1_30default_config_static_selectorELNS0_4arch9wavefront6targetE0EEEvT1_.num_agpr, 0
	.set _ZN7rocprim17ROCPRIM_400000_NS6detail17trampoline_kernelINS0_14default_configENS1_33run_length_encode_config_selectorIhjNS0_4plusIjEEEEZZNS1_33reduce_by_key_impl_wrapped_configILNS1_25lookback_scan_determinismE0ES3_S7_PKhNS0_17constant_iteratorIjlEEPhPlSF_S6_NS0_8equal_toIhEEEE10hipError_tPvRmT2_T3_mT4_T5_T6_T7_T8_P12ihipStream_tbENKUlT_T0_E_clISt17integral_constantIbLb0EESY_IbLb1EEEEDaSU_SV_EUlSU_E_NS1_11comp_targetILNS1_3genE8ELNS1_11target_archE1030ELNS1_3gpuE2ELNS1_3repE0EEENS1_30default_config_static_selectorELNS0_4arch9wavefront6targetE0EEEvT1_.numbered_sgpr, 0
	.set _ZN7rocprim17ROCPRIM_400000_NS6detail17trampoline_kernelINS0_14default_configENS1_33run_length_encode_config_selectorIhjNS0_4plusIjEEEEZZNS1_33reduce_by_key_impl_wrapped_configILNS1_25lookback_scan_determinismE0ES3_S7_PKhNS0_17constant_iteratorIjlEEPhPlSF_S6_NS0_8equal_toIhEEEE10hipError_tPvRmT2_T3_mT4_T5_T6_T7_T8_P12ihipStream_tbENKUlT_T0_E_clISt17integral_constantIbLb0EESY_IbLb1EEEEDaSU_SV_EUlSU_E_NS1_11comp_targetILNS1_3genE8ELNS1_11target_archE1030ELNS1_3gpuE2ELNS1_3repE0EEENS1_30default_config_static_selectorELNS0_4arch9wavefront6targetE0EEEvT1_.num_named_barrier, 0
	.set _ZN7rocprim17ROCPRIM_400000_NS6detail17trampoline_kernelINS0_14default_configENS1_33run_length_encode_config_selectorIhjNS0_4plusIjEEEEZZNS1_33reduce_by_key_impl_wrapped_configILNS1_25lookback_scan_determinismE0ES3_S7_PKhNS0_17constant_iteratorIjlEEPhPlSF_S6_NS0_8equal_toIhEEEE10hipError_tPvRmT2_T3_mT4_T5_T6_T7_T8_P12ihipStream_tbENKUlT_T0_E_clISt17integral_constantIbLb0EESY_IbLb1EEEEDaSU_SV_EUlSU_E_NS1_11comp_targetILNS1_3genE8ELNS1_11target_archE1030ELNS1_3gpuE2ELNS1_3repE0EEENS1_30default_config_static_selectorELNS0_4arch9wavefront6targetE0EEEvT1_.private_seg_size, 0
	.set _ZN7rocprim17ROCPRIM_400000_NS6detail17trampoline_kernelINS0_14default_configENS1_33run_length_encode_config_selectorIhjNS0_4plusIjEEEEZZNS1_33reduce_by_key_impl_wrapped_configILNS1_25lookback_scan_determinismE0ES3_S7_PKhNS0_17constant_iteratorIjlEEPhPlSF_S6_NS0_8equal_toIhEEEE10hipError_tPvRmT2_T3_mT4_T5_T6_T7_T8_P12ihipStream_tbENKUlT_T0_E_clISt17integral_constantIbLb0EESY_IbLb1EEEEDaSU_SV_EUlSU_E_NS1_11comp_targetILNS1_3genE8ELNS1_11target_archE1030ELNS1_3gpuE2ELNS1_3repE0EEENS1_30default_config_static_selectorELNS0_4arch9wavefront6targetE0EEEvT1_.uses_vcc, 0
	.set _ZN7rocprim17ROCPRIM_400000_NS6detail17trampoline_kernelINS0_14default_configENS1_33run_length_encode_config_selectorIhjNS0_4plusIjEEEEZZNS1_33reduce_by_key_impl_wrapped_configILNS1_25lookback_scan_determinismE0ES3_S7_PKhNS0_17constant_iteratorIjlEEPhPlSF_S6_NS0_8equal_toIhEEEE10hipError_tPvRmT2_T3_mT4_T5_T6_T7_T8_P12ihipStream_tbENKUlT_T0_E_clISt17integral_constantIbLb0EESY_IbLb1EEEEDaSU_SV_EUlSU_E_NS1_11comp_targetILNS1_3genE8ELNS1_11target_archE1030ELNS1_3gpuE2ELNS1_3repE0EEENS1_30default_config_static_selectorELNS0_4arch9wavefront6targetE0EEEvT1_.uses_flat_scratch, 0
	.set _ZN7rocprim17ROCPRIM_400000_NS6detail17trampoline_kernelINS0_14default_configENS1_33run_length_encode_config_selectorIhjNS0_4plusIjEEEEZZNS1_33reduce_by_key_impl_wrapped_configILNS1_25lookback_scan_determinismE0ES3_S7_PKhNS0_17constant_iteratorIjlEEPhPlSF_S6_NS0_8equal_toIhEEEE10hipError_tPvRmT2_T3_mT4_T5_T6_T7_T8_P12ihipStream_tbENKUlT_T0_E_clISt17integral_constantIbLb0EESY_IbLb1EEEEDaSU_SV_EUlSU_E_NS1_11comp_targetILNS1_3genE8ELNS1_11target_archE1030ELNS1_3gpuE2ELNS1_3repE0EEENS1_30default_config_static_selectorELNS0_4arch9wavefront6targetE0EEEvT1_.has_dyn_sized_stack, 0
	.set _ZN7rocprim17ROCPRIM_400000_NS6detail17trampoline_kernelINS0_14default_configENS1_33run_length_encode_config_selectorIhjNS0_4plusIjEEEEZZNS1_33reduce_by_key_impl_wrapped_configILNS1_25lookback_scan_determinismE0ES3_S7_PKhNS0_17constant_iteratorIjlEEPhPlSF_S6_NS0_8equal_toIhEEEE10hipError_tPvRmT2_T3_mT4_T5_T6_T7_T8_P12ihipStream_tbENKUlT_T0_E_clISt17integral_constantIbLb0EESY_IbLb1EEEEDaSU_SV_EUlSU_E_NS1_11comp_targetILNS1_3genE8ELNS1_11target_archE1030ELNS1_3gpuE2ELNS1_3repE0EEENS1_30default_config_static_selectorELNS0_4arch9wavefront6targetE0EEEvT1_.has_recursion, 0
	.set _ZN7rocprim17ROCPRIM_400000_NS6detail17trampoline_kernelINS0_14default_configENS1_33run_length_encode_config_selectorIhjNS0_4plusIjEEEEZZNS1_33reduce_by_key_impl_wrapped_configILNS1_25lookback_scan_determinismE0ES3_S7_PKhNS0_17constant_iteratorIjlEEPhPlSF_S6_NS0_8equal_toIhEEEE10hipError_tPvRmT2_T3_mT4_T5_T6_T7_T8_P12ihipStream_tbENKUlT_T0_E_clISt17integral_constantIbLb0EESY_IbLb1EEEEDaSU_SV_EUlSU_E_NS1_11comp_targetILNS1_3genE8ELNS1_11target_archE1030ELNS1_3gpuE2ELNS1_3repE0EEENS1_30default_config_static_selectorELNS0_4arch9wavefront6targetE0EEEvT1_.has_indirect_call, 0
	.section	.AMDGPU.csdata,"",@progbits
; Kernel info:
; codeLenInByte = 0
; TotalNumSgprs: 0
; NumVgprs: 0
; ScratchSize: 0
; MemoryBound: 0
; FloatMode: 240
; IeeeMode: 1
; LDSByteSize: 0 bytes/workgroup (compile time only)
; SGPRBlocks: 0
; VGPRBlocks: 0
; NumSGPRsForWavesPerEU: 1
; NumVGPRsForWavesPerEU: 1
; NamedBarCnt: 0
; Occupancy: 16
; WaveLimiterHint : 0
; COMPUTE_PGM_RSRC2:SCRATCH_EN: 0
; COMPUTE_PGM_RSRC2:USER_SGPR: 2
; COMPUTE_PGM_RSRC2:TRAP_HANDLER: 0
; COMPUTE_PGM_RSRC2:TGID_X_EN: 1
; COMPUTE_PGM_RSRC2:TGID_Y_EN: 0
; COMPUTE_PGM_RSRC2:TGID_Z_EN: 0
; COMPUTE_PGM_RSRC2:TIDIG_COMP_CNT: 0
	.section	.text._ZN2at6native8internal12_GLOBAL__N_126adjacent_difference_kernelIPKaEEvlT_Pi,"axG",@progbits,_ZN2at6native8internal12_GLOBAL__N_126adjacent_difference_kernelIPKaEEvlT_Pi,comdat
	.globl	_ZN2at6native8internal12_GLOBAL__N_126adjacent_difference_kernelIPKaEEvlT_Pi ; -- Begin function _ZN2at6native8internal12_GLOBAL__N_126adjacent_difference_kernelIPKaEEvlT_Pi
	.p2align	8
	.type	_ZN2at6native8internal12_GLOBAL__N_126adjacent_difference_kernelIPKaEEvlT_Pi,@function
_ZN2at6native8internal12_GLOBAL__N_126adjacent_difference_kernelIPKaEEvlT_Pi: ; @_ZN2at6native8internal12_GLOBAL__N_126adjacent_difference_kernelIPKaEEvlT_Pi
; %bb.0:
	s_clause 0x1
	s_load_b32 s2, s[0:1], 0x24
	s_load_b128 s[4:7], s[0:1], 0x0
	s_bfe_u32 s9, ttmp6, 0x4000c
	s_and_b32 s8, ttmp6, 15
	s_add_co_i32 s9, s9, 1
	s_getreg_b32 s10, hwreg(HW_REG_IB_STS2, 6, 4)
	s_mul_i32 s9, ttmp9, s9
	s_mov_b32 s3, 0
	s_add_co_i32 s8, s8, s9
	s_cmp_eq_u32 s10, 0
	v_mov_b32_e32 v1, 0
	s_mov_b32 s15, s3
	s_cselect_b32 s14, ttmp9, s8
	s_mov_b32 s13, s3
	s_wait_kmcnt 0x0
	s_and_b32 s12, s2, 0xffff
	s_mov_b32 s2, exec_lo
	s_mul_u64 s[8:9], s[12:13], s[14:15]
	s_delay_alu instid0(SALU_CYCLE_1) | instskip(NEXT) | instid1(VALU_DEP_1)
	v_add_nc_u64_e32 v[4:5], s[8:9], v[0:1]
	v_cmpx_gt_i64_e64 s[4:5], v[4:5]
	s_cbranch_execz .LBB202_5
; %bb.1:
	s_add_nc_u64 s[16:17], s[0:1], 24
	v_dual_mov_b32 v2, v1 :: v_dual_mov_b32 v3, v4
	s_load_b32 s2, s[16:17], 0x0
	s_load_b64 s[10:11], s[0:1], 0x10
	v_mov_b64_e32 v[4:5], v[0:1]
	s_mul_i32 s13, s14, s12
	s_wait_xcnt 0x0
	s_mov_b32 s0, s3
	s_wait_kmcnt 0x0
	s_mul_i32 s2, s2, s12
	s_mov_b32 s12, s3
	s_mov_b32 s1, s2
	s_branch .LBB202_3
.LBB202_2:                              ;   in Loop: Header=BB202_3 Depth=1
	s_or_b32 exec_lo, exec_lo, s14
	v_add_nc_u64_e32 v[4:5], s[2:3], v[4:5]
	v_ashrrev_i64 v[8:9], 30, v[2:3]
	v_add_nc_u64_e32 v[2:3], s[0:1], v[2:3]
	s_delay_alu instid0(VALU_DEP_3) | instskip(NEXT) | instid1(VALU_DEP_1)
	v_add_nc_u64_e32 v[6:7], s[8:9], v[4:5]
	v_cmp_le_i64_e32 vcc_lo, s[4:5], v[6:7]
	s_delay_alu instid0(VALU_DEP_4)
	v_add_nc_u64_e32 v[6:7], s[10:11], v[8:9]
	s_or_b32 s12, vcc_lo, s12
	global_store_b32 v[6:7], v0, off
	s_wait_xcnt 0x0
	s_and_not1_b32 exec_lo, exec_lo, s12
	s_cbranch_execz .LBB202_5
.LBB202_3:                              ; =>This Inner Loop Header: Depth=1
	v_dual_add_nc_u32 v6, s13, v4 :: v_dual_mov_b32 v0, 0
	s_mov_b32 s14, exec_lo
	s_delay_alu instid0(VALU_DEP_1)
	v_cmpx_lt_i32_e32 0, v6
	s_cbranch_execz .LBB202_2
; %bb.4:                                ;   in Loop: Header=BB202_3 Depth=1
	v_add_nc_u32_e32 v8, s8, v4
	s_delay_alu instid0(VALU_DEP_1) | instskip(NEXT) | instid1(VALU_DEP_1)
	v_and_b32_e32 v0, 0x7fffffff, v8
	v_add_nc_u64_e32 v[6:7], s[6:7], v[0:1]
	v_add_nc_u32_e32 v0, -1, v8
	s_clause 0x1
	global_load_u8 v8, v[6:7], off
	global_load_u8 v9, v0, s[6:7]
	s_wait_loadcnt 0x0
	v_cmp_ne_u16_e32 vcc_lo, v8, v9
	s_wait_xcnt 0x0
	v_cndmask_b32_e64 v0, 0, 1, vcc_lo
	s_branch .LBB202_2
.LBB202_5:
	s_endpgm
	.section	.rodata,"a",@progbits
	.p2align	6, 0x0
	.amdhsa_kernel _ZN2at6native8internal12_GLOBAL__N_126adjacent_difference_kernelIPKaEEvlT_Pi
		.amdhsa_group_segment_fixed_size 0
		.amdhsa_private_segment_fixed_size 0
		.amdhsa_kernarg_size 280
		.amdhsa_user_sgpr_count 2
		.amdhsa_user_sgpr_dispatch_ptr 0
		.amdhsa_user_sgpr_queue_ptr 0
		.amdhsa_user_sgpr_kernarg_segment_ptr 1
		.amdhsa_user_sgpr_dispatch_id 0
		.amdhsa_user_sgpr_kernarg_preload_length 0
		.amdhsa_user_sgpr_kernarg_preload_offset 0
		.amdhsa_user_sgpr_private_segment_size 0
		.amdhsa_wavefront_size32 1
		.amdhsa_uses_dynamic_stack 0
		.amdhsa_enable_private_segment 0
		.amdhsa_system_sgpr_workgroup_id_x 1
		.amdhsa_system_sgpr_workgroup_id_y 0
		.amdhsa_system_sgpr_workgroup_id_z 0
		.amdhsa_system_sgpr_workgroup_info 0
		.amdhsa_system_vgpr_workitem_id 0
		.amdhsa_next_free_vgpr 10
		.amdhsa_next_free_sgpr 18
		.amdhsa_named_barrier_count 0
		.amdhsa_reserve_vcc 1
		.amdhsa_float_round_mode_32 0
		.amdhsa_float_round_mode_16_64 0
		.amdhsa_float_denorm_mode_32 3
		.amdhsa_float_denorm_mode_16_64 3
		.amdhsa_fp16_overflow 0
		.amdhsa_memory_ordered 1
		.amdhsa_forward_progress 1
		.amdhsa_inst_pref_size 3
		.amdhsa_round_robin_scheduling 0
		.amdhsa_exception_fp_ieee_invalid_op 0
		.amdhsa_exception_fp_denorm_src 0
		.amdhsa_exception_fp_ieee_div_zero 0
		.amdhsa_exception_fp_ieee_overflow 0
		.amdhsa_exception_fp_ieee_underflow 0
		.amdhsa_exception_fp_ieee_inexact 0
		.amdhsa_exception_int_div_zero 0
	.end_amdhsa_kernel
	.section	.text._ZN2at6native8internal12_GLOBAL__N_126adjacent_difference_kernelIPKaEEvlT_Pi,"axG",@progbits,_ZN2at6native8internal12_GLOBAL__N_126adjacent_difference_kernelIPKaEEvlT_Pi,comdat
.Lfunc_end202:
	.size	_ZN2at6native8internal12_GLOBAL__N_126adjacent_difference_kernelIPKaEEvlT_Pi, .Lfunc_end202-_ZN2at6native8internal12_GLOBAL__N_126adjacent_difference_kernelIPKaEEvlT_Pi
                                        ; -- End function
	.set _ZN2at6native8internal12_GLOBAL__N_126adjacent_difference_kernelIPKaEEvlT_Pi.num_vgpr, 10
	.set _ZN2at6native8internal12_GLOBAL__N_126adjacent_difference_kernelIPKaEEvlT_Pi.num_agpr, 0
	.set _ZN2at6native8internal12_GLOBAL__N_126adjacent_difference_kernelIPKaEEvlT_Pi.numbered_sgpr, 18
	.set _ZN2at6native8internal12_GLOBAL__N_126adjacent_difference_kernelIPKaEEvlT_Pi.num_named_barrier, 0
	.set _ZN2at6native8internal12_GLOBAL__N_126adjacent_difference_kernelIPKaEEvlT_Pi.private_seg_size, 0
	.set _ZN2at6native8internal12_GLOBAL__N_126adjacent_difference_kernelIPKaEEvlT_Pi.uses_vcc, 1
	.set _ZN2at6native8internal12_GLOBAL__N_126adjacent_difference_kernelIPKaEEvlT_Pi.uses_flat_scratch, 0
	.set _ZN2at6native8internal12_GLOBAL__N_126adjacent_difference_kernelIPKaEEvlT_Pi.has_dyn_sized_stack, 0
	.set _ZN2at6native8internal12_GLOBAL__N_126adjacent_difference_kernelIPKaEEvlT_Pi.has_recursion, 0
	.set _ZN2at6native8internal12_GLOBAL__N_126adjacent_difference_kernelIPKaEEvlT_Pi.has_indirect_call, 0
	.section	.AMDGPU.csdata,"",@progbits
; Kernel info:
; codeLenInByte = 352
; TotalNumSgprs: 20
; NumVgprs: 10
; ScratchSize: 0
; MemoryBound: 0
; FloatMode: 240
; IeeeMode: 1
; LDSByteSize: 0 bytes/workgroup (compile time only)
; SGPRBlocks: 0
; VGPRBlocks: 0
; NumSGPRsForWavesPerEU: 20
; NumVGPRsForWavesPerEU: 10
; NamedBarCnt: 0
; Occupancy: 16
; WaveLimiterHint : 0
; COMPUTE_PGM_RSRC2:SCRATCH_EN: 0
; COMPUTE_PGM_RSRC2:USER_SGPR: 2
; COMPUTE_PGM_RSRC2:TRAP_HANDLER: 0
; COMPUTE_PGM_RSRC2:TGID_X_EN: 1
; COMPUTE_PGM_RSRC2:TGID_Y_EN: 0
; COMPUTE_PGM_RSRC2:TGID_Z_EN: 0
; COMPUTE_PGM_RSRC2:TIDIG_COMP_CNT: 0
	.section	.text._ZN7rocprim17ROCPRIM_400000_NS6detail17trampoline_kernelINS0_14default_configENS1_25partition_config_selectorILNS1_17partition_subalgoE8EaNS0_10empty_typeEbEEZZNS1_14partition_implILS5_8ELb0ES3_jPKaPS6_PKS6_NS0_5tupleIJPaS6_EEENSE_IJSB_SB_EEENS0_18inequality_wrapperIN6hipcub16HIPCUB_304000_NS8EqualityEEEPlJS6_EEE10hipError_tPvRmT3_T4_T5_T6_T7_T9_mT8_P12ihipStream_tbDpT10_ENKUlT_T0_E_clISt17integral_constantIbLb0EES17_EEDaS12_S13_EUlS12_E_NS1_11comp_targetILNS1_3genE0ELNS1_11target_archE4294967295ELNS1_3gpuE0ELNS1_3repE0EEENS1_30default_config_static_selectorELNS0_4arch9wavefront6targetE0EEEvT1_,"axG",@progbits,_ZN7rocprim17ROCPRIM_400000_NS6detail17trampoline_kernelINS0_14default_configENS1_25partition_config_selectorILNS1_17partition_subalgoE8EaNS0_10empty_typeEbEEZZNS1_14partition_implILS5_8ELb0ES3_jPKaPS6_PKS6_NS0_5tupleIJPaS6_EEENSE_IJSB_SB_EEENS0_18inequality_wrapperIN6hipcub16HIPCUB_304000_NS8EqualityEEEPlJS6_EEE10hipError_tPvRmT3_T4_T5_T6_T7_T9_mT8_P12ihipStream_tbDpT10_ENKUlT_T0_E_clISt17integral_constantIbLb0EES17_EEDaS12_S13_EUlS12_E_NS1_11comp_targetILNS1_3genE0ELNS1_11target_archE4294967295ELNS1_3gpuE0ELNS1_3repE0EEENS1_30default_config_static_selectorELNS0_4arch9wavefront6targetE0EEEvT1_,comdat
	.protected	_ZN7rocprim17ROCPRIM_400000_NS6detail17trampoline_kernelINS0_14default_configENS1_25partition_config_selectorILNS1_17partition_subalgoE8EaNS0_10empty_typeEbEEZZNS1_14partition_implILS5_8ELb0ES3_jPKaPS6_PKS6_NS0_5tupleIJPaS6_EEENSE_IJSB_SB_EEENS0_18inequality_wrapperIN6hipcub16HIPCUB_304000_NS8EqualityEEEPlJS6_EEE10hipError_tPvRmT3_T4_T5_T6_T7_T9_mT8_P12ihipStream_tbDpT10_ENKUlT_T0_E_clISt17integral_constantIbLb0EES17_EEDaS12_S13_EUlS12_E_NS1_11comp_targetILNS1_3genE0ELNS1_11target_archE4294967295ELNS1_3gpuE0ELNS1_3repE0EEENS1_30default_config_static_selectorELNS0_4arch9wavefront6targetE0EEEvT1_ ; -- Begin function _ZN7rocprim17ROCPRIM_400000_NS6detail17trampoline_kernelINS0_14default_configENS1_25partition_config_selectorILNS1_17partition_subalgoE8EaNS0_10empty_typeEbEEZZNS1_14partition_implILS5_8ELb0ES3_jPKaPS6_PKS6_NS0_5tupleIJPaS6_EEENSE_IJSB_SB_EEENS0_18inequality_wrapperIN6hipcub16HIPCUB_304000_NS8EqualityEEEPlJS6_EEE10hipError_tPvRmT3_T4_T5_T6_T7_T9_mT8_P12ihipStream_tbDpT10_ENKUlT_T0_E_clISt17integral_constantIbLb0EES17_EEDaS12_S13_EUlS12_E_NS1_11comp_targetILNS1_3genE0ELNS1_11target_archE4294967295ELNS1_3gpuE0ELNS1_3repE0EEENS1_30default_config_static_selectorELNS0_4arch9wavefront6targetE0EEEvT1_
	.globl	_ZN7rocprim17ROCPRIM_400000_NS6detail17trampoline_kernelINS0_14default_configENS1_25partition_config_selectorILNS1_17partition_subalgoE8EaNS0_10empty_typeEbEEZZNS1_14partition_implILS5_8ELb0ES3_jPKaPS6_PKS6_NS0_5tupleIJPaS6_EEENSE_IJSB_SB_EEENS0_18inequality_wrapperIN6hipcub16HIPCUB_304000_NS8EqualityEEEPlJS6_EEE10hipError_tPvRmT3_T4_T5_T6_T7_T9_mT8_P12ihipStream_tbDpT10_ENKUlT_T0_E_clISt17integral_constantIbLb0EES17_EEDaS12_S13_EUlS12_E_NS1_11comp_targetILNS1_3genE0ELNS1_11target_archE4294967295ELNS1_3gpuE0ELNS1_3repE0EEENS1_30default_config_static_selectorELNS0_4arch9wavefront6targetE0EEEvT1_
	.p2align	8
	.type	_ZN7rocprim17ROCPRIM_400000_NS6detail17trampoline_kernelINS0_14default_configENS1_25partition_config_selectorILNS1_17partition_subalgoE8EaNS0_10empty_typeEbEEZZNS1_14partition_implILS5_8ELb0ES3_jPKaPS6_PKS6_NS0_5tupleIJPaS6_EEENSE_IJSB_SB_EEENS0_18inequality_wrapperIN6hipcub16HIPCUB_304000_NS8EqualityEEEPlJS6_EEE10hipError_tPvRmT3_T4_T5_T6_T7_T9_mT8_P12ihipStream_tbDpT10_ENKUlT_T0_E_clISt17integral_constantIbLb0EES17_EEDaS12_S13_EUlS12_E_NS1_11comp_targetILNS1_3genE0ELNS1_11target_archE4294967295ELNS1_3gpuE0ELNS1_3repE0EEENS1_30default_config_static_selectorELNS0_4arch9wavefront6targetE0EEEvT1_,@function
_ZN7rocprim17ROCPRIM_400000_NS6detail17trampoline_kernelINS0_14default_configENS1_25partition_config_selectorILNS1_17partition_subalgoE8EaNS0_10empty_typeEbEEZZNS1_14partition_implILS5_8ELb0ES3_jPKaPS6_PKS6_NS0_5tupleIJPaS6_EEENSE_IJSB_SB_EEENS0_18inequality_wrapperIN6hipcub16HIPCUB_304000_NS8EqualityEEEPlJS6_EEE10hipError_tPvRmT3_T4_T5_T6_T7_T9_mT8_P12ihipStream_tbDpT10_ENKUlT_T0_E_clISt17integral_constantIbLb0EES17_EEDaS12_S13_EUlS12_E_NS1_11comp_targetILNS1_3genE0ELNS1_11target_archE4294967295ELNS1_3gpuE0ELNS1_3repE0EEENS1_30default_config_static_selectorELNS0_4arch9wavefront6targetE0EEEvT1_: ; @_ZN7rocprim17ROCPRIM_400000_NS6detail17trampoline_kernelINS0_14default_configENS1_25partition_config_selectorILNS1_17partition_subalgoE8EaNS0_10empty_typeEbEEZZNS1_14partition_implILS5_8ELb0ES3_jPKaPS6_PKS6_NS0_5tupleIJPaS6_EEENSE_IJSB_SB_EEENS0_18inequality_wrapperIN6hipcub16HIPCUB_304000_NS8EqualityEEEPlJS6_EEE10hipError_tPvRmT3_T4_T5_T6_T7_T9_mT8_P12ihipStream_tbDpT10_ENKUlT_T0_E_clISt17integral_constantIbLb0EES17_EEDaS12_S13_EUlS12_E_NS1_11comp_targetILNS1_3genE0ELNS1_11target_archE4294967295ELNS1_3gpuE0ELNS1_3repE0EEENS1_30default_config_static_selectorELNS0_4arch9wavefront6targetE0EEEvT1_
; %bb.0:
	s_clause 0x3
	s_load_b128 s[4:7], s[0:1], 0x8
	s_load_b128 s[36:39], s[0:1], 0x40
	s_load_b32 s12, s[0:1], 0x68
	s_load_b64 s[2:3], s[0:1], 0x50
	s_bfe_u32 s8, ttmp6, 0x4000c
	s_and_b32 s10, ttmp6, 15
	s_add_co_i32 s8, s8, 1
	s_mov_b32 s9, 0
	s_mul_i32 s8, ttmp9, s8
	s_getreg_b32 s11, hwreg(HW_REG_IB_STS2, 6, 4)
	s_add_co_i32 s13, s10, s8
	s_cmp_eq_u32 s11, 0
	v_mov_b32_e32 v22, v0
	s_cselect_b32 s34, ttmp9, s13
	s_wait_kmcnt 0x0
	s_add_nc_u64 s[10:11], s[4:5], s[6:7]
	s_load_b64 s[30:31], s[38:39], 0x0
	s_mul_i32 s8, s12, 0x1c00
	s_add_co_i32 s12, s12, -1
	s_add_nc_u64 s[4:5], s[6:7], s[8:9]
	s_add_co_i32 s8, s8, s6
	v_cmp_le_u64_e64 s3, s[2:3], s[4:5]
	s_sub_co_i32 s35, s2, s8
	s_cmp_eq_u32 s34, s12
	s_mul_i32 s8, s34, 0x1c00
	s_cselect_b32 s29, -1, 0
	s_mov_b32 s4, -1
	s_wait_xcnt 0x0
	s_and_b32 s38, s29, s3
	s_add_nc_u64 s[2:3], s[10:11], s[8:9]
	s_xor_b32 s33, s38, -1
	s_delay_alu instid0(SALU_CYCLE_1)
	s_and_b32 vcc_lo, exec_lo, s33
	s_cbranch_vccz .LBB203_2
; %bb.1:
	s_clause 0x1b
	global_load_u8 v1, v0, s[2:3]
	global_load_u8 v2, v0, s[2:3] offset:256
	global_load_u8 v3, v0, s[2:3] offset:512
	;; [unrolled: 1-line block ×27, first 2 shown]
	s_mov_b32 s4, 0
	s_wait_loadcnt 0x1b
	ds_store_b8 v0, v1
	s_wait_loadcnt 0x1a
	ds_store_b8 v0, v2 offset:256
	s_wait_loadcnt 0x19
	ds_store_b8 v0, v3 offset:512
	;; [unrolled: 2-line block ×27, first 2 shown]
	s_wait_dscnt 0x0
	s_barrier_signal -1
	s_barrier_wait -1
.LBB203_2:
	s_and_not1_b32 vcc_lo, exec_lo, s4
	s_addk_co_i32 s35, 0x1c00
	s_cbranch_vccnz .LBB203_60
; %bb.3:
	v_mov_b32_e32 v2, 0
	s_mov_b32 s4, exec_lo
	s_delay_alu instid0(VALU_DEP_1)
	v_dual_mov_b32 v3, v2 :: v_dual_mov_b32 v4, v2
	v_dual_mov_b32 v5, v2 :: v_dual_mov_b32 v6, v2
	;; [unrolled: 1-line block ×3, first 2 shown]
	v_cmpx_gt_u32_e64 s35, v0
	s_cbranch_execz .LBB203_5
; %bb.4:
	global_load_u8 v4, v0, s[2:3]
	v_dual_mov_b32 v9, v2 :: v_dual_mov_b32 v10, v2
	v_dual_mov_b32 v5, v2 :: v_dual_mov_b32 v6, v2
	;; [unrolled: 1-line block ×3, first 2 shown]
	s_wait_loadcnt 0x0
	v_mov_b32_e32 v2, v4
	s_delay_alu instid0(VALU_DEP_3) | instskip(NEXT) | instid1(VALU_DEP_3)
	v_dual_mov_b32 v3, v5 :: v_dual_mov_b32 v4, v6
	v_mov_b32_e32 v5, v7
	v_mov_b32_e32 v6, v8
	;; [unrolled: 1-line block ×4, first 2 shown]
.LBB203_5:
	s_or_b32 exec_lo, exec_lo, s4
	v_or_b32_e32 v1, 0x100, v0
	s_mov_b32 s4, exec_lo
	s_delay_alu instid0(VALU_DEP_1)
	v_cmpx_gt_u32_e64 s35, v1
	s_cbranch_execz .LBB203_7
; %bb.6:
	global_load_u8 v1, v0, s[2:3] offset:256
	s_wait_loadcnt 0x0
	v_perm_b32 v2, v2, v1, 0x7060004
.LBB203_7:
	s_or_b32 exec_lo, exec_lo, s4
	v_or_b32_e32 v1, 0x200, v0
	s_mov_b32 s4, exec_lo
	s_delay_alu instid0(VALU_DEP_1)
	v_cmpx_gt_u32_e64 s35, v1
	s_cbranch_execz .LBB203_9
; %bb.8:
	global_load_u8 v1, v0, s[2:3] offset:512
	s_wait_loadcnt 0x0
	v_perm_b32 v2, v2, v1, 0x7000504
.LBB203_9:
	;; [unrolled: 11-line block ×27, first 2 shown]
	s_or_b32 exec_lo, exec_lo, s4
	v_dual_lshrrev_b32 v1, 8, v2 :: v_dual_lshrrev_b32 v9, 24, v2
	v_dual_lshrrev_b32 v10, 8, v3 :: v_dual_lshrrev_b32 v11, 24, v3
	ds_store_b8 v0, v2
	ds_store_b8 v0, v1 offset:256
	ds_store_b8_d16_hi v0, v2 offset:512
	ds_store_b8 v0, v9 offset:768
	ds_store_b8 v0, v3 offset:1024
	;; [unrolled: 1-line block ×3, first 2 shown]
	ds_store_b8_d16_hi v0, v3 offset:1536
	ds_store_b8 v0, v11 offset:1792
	v_dual_lshrrev_b32 v1, 8, v4 :: v_dual_lshrrev_b32 v2, 24, v4
	v_dual_lshrrev_b32 v3, 8, v5 :: v_dual_lshrrev_b32 v9, 24, v5
	ds_store_b8 v0, v4 offset:2048
	ds_store_b8 v0, v1 offset:2304
	ds_store_b8_d16_hi v0, v4 offset:2560
	ds_store_b8 v0, v2 offset:2816
	ds_store_b8 v0, v5 offset:3072
	ds_store_b8 v0, v3 offset:3328
	ds_store_b8_d16_hi v0, v5 offset:3584
	ds_store_b8 v0, v9 offset:3840
	v_dual_lshrrev_b32 v1, 8, v6 :: v_dual_lshrrev_b32 v2, 24, v6
	v_dual_lshrrev_b32 v3, 8, v7 :: v_dual_lshrrev_b32 v4, 24, v7
	;; [unrolled: 1-line block ×3, first 2 shown]
	ds_store_b8 v0, v6 offset:4096
	ds_store_b8 v0, v1 offset:4352
	ds_store_b8_d16_hi v0, v6 offset:4608
	ds_store_b8 v0, v2 offset:4864
	ds_store_b8 v0, v7 offset:5120
	ds_store_b8 v0, v3 offset:5376
	ds_store_b8_d16_hi v0, v7 offset:5632
	ds_store_b8 v0, v4 offset:5888
	;; [unrolled: 4-line block ×3, first 2 shown]
	s_wait_dscnt 0x0
	s_barrier_signal -1
	s_barrier_wait -1
.LBB203_60:
	v_mul_u32_u24_e32 v8, 28, v0
	s_cmp_lg_u32 s34, 0
	s_mov_b32 s40, 0
	s_cselect_b32 s39, -1, 0
	ds_load_2addr_b32 v[6:7], v8 offset1:1
	ds_load_2addr_b32 v[4:5], v8 offset0:2 offset1:3
	ds_load_2addr_b32 v[2:3], v8 offset0:4 offset1:5
	ds_load_b32 v20, v8 offset:24
	s_cmp_lg_u64 s[6:7], 0
	s_wait_dscnt 0x0
	s_cselect_b32 s4, -1, 0
	s_barrier_signal -1
	s_or_b32 s4, s39, s4
	s_barrier_wait -1
	s_and_b32 vcc_lo, exec_lo, s4
	v_dual_lshrrev_b32 v40, 8, v6 :: v_dual_lshrrev_b32 v39, 16, v6
	v_dual_lshrrev_b32 v38, 24, v6 :: v_dual_lshrrev_b32 v37, 8, v7
	;; [unrolled: 1-line block ×10, first 2 shown]
	v_lshrrev_b32_e32 v1, 24, v20
	s_cbranch_vccz .LBB203_65
; %bb.61:
	v_mov_b32_e32 v9, 0
	s_and_b32 vcc_lo, exec_lo, s33
	ds_store_b8 v0, v1
	global_load_u8 v9, v9, s[2:3] offset:-1
	s_cbranch_vccz .LBB203_66
; %bb.62:
	s_wait_loadcnt 0x0
	v_mov_b32_e32 v10, v9
	s_mov_b32 s2, 0
	s_mov_b32 s3, exec_lo
	s_wait_dscnt 0x0
	s_barrier_signal -1
	s_barrier_wait -1
	v_cmpx_ne_u32_e32 0, v0
; %bb.63:
	v_add_nc_u32_e32 v10, -1, v0
	ds_load_u8 v10, v10
; %bb.64:
	s_or_b32 exec_lo, exec_lo, s3
	v_and_b32_e32 v11, 0xff, v19
	v_and_b32_e32 v12, 0xff, v21
	v_and_b32_e32 v13, 0xff, v20
	s_wait_dscnt 0x0
	v_and_b32_e32 v10, 0xff, v10
	v_cmp_ne_u16_e32 vcc_lo, v11, v1
	v_cndmask_b32_e64 v41, 0, 1, vcc_lo
	v_cmp_ne_u16_e32 vcc_lo, v12, v11
	v_and_b32_e32 v11, 0xff, v24
	v_cndmask_b32_e64 v42, 0, 1, vcc_lo
	v_cmp_ne_u16_e32 vcc_lo, v13, v12
	v_and_b32_e32 v12, 0xff, v25
	v_cndmask_b32_e64 v43, 0, 1, vcc_lo
	v_cmp_ne_u16_e32 vcc_lo, v23, v13
	v_and_b32_e32 v13, 0xff, v3
	v_cndmask_b32_e64 v44, 0, 1, vcc_lo
	v_cmp_ne_u16_e32 vcc_lo, v11, v23
	v_cndmask_b32_e64 v45, 0, 1, vcc_lo
	v_cmp_ne_u16_e32 vcc_lo, v12, v11
	v_and_b32_e32 v11, 0xff, v27
	v_cndmask_b32_e64 v46, 0, 1, vcc_lo
	v_cmp_ne_u16_e32 vcc_lo, v13, v12
	v_and_b32_e32 v12, 0xff, v28
	v_cndmask_b32_e64 v47, 0, 1, vcc_lo
	v_cmp_ne_u16_e32 vcc_lo, v26, v13
	v_and_b32_e32 v13, 0xff, v2
	v_cndmask_b32_e64 v48, 0, 1, vcc_lo
	;; [unrolled: 11-line block ×6, first 2 shown]
	v_cmp_ne_u16_e32 vcc_lo, v11, v38
	s_delay_alu instid0(VALU_DEP_3)
	v_cmp_ne_u16_e64 s41, v10, v13
	v_cndmask_b32_e64 v65, 0, 1, vcc_lo
	v_cmp_ne_u16_e32 vcc_lo, v12, v11
	v_cndmask_b32_e64 v66, 0, 1, vcc_lo
	v_cmp_ne_u16_e32 vcc_lo, v13, v12
	v_cndmask_b32_e64 v67, 0, 1, vcc_lo
	s_and_b32 vcc_lo, exec_lo, s2
	s_cbranch_vccnz .LBB203_67
	s_branch .LBB203_70
.LBB203_65:
                                        ; implicit-def: $sgpr41
                                        ; implicit-def: $vgpr41
                                        ; implicit-def: $vgpr42
                                        ; implicit-def: $vgpr43
                                        ; implicit-def: $vgpr44
                                        ; implicit-def: $vgpr45
                                        ; implicit-def: $vgpr46
                                        ; implicit-def: $vgpr47
                                        ; implicit-def: $vgpr48
                                        ; implicit-def: $vgpr67
                                        ; implicit-def: $vgpr66
                                        ; implicit-def: $vgpr65
                                        ; implicit-def: $vgpr64
                                        ; implicit-def: $vgpr63
                                        ; implicit-def: $vgpr62
                                        ; implicit-def: $vgpr61
                                        ; implicit-def: $vgpr60
                                        ; implicit-def: $vgpr59
                                        ; implicit-def: $vgpr58
                                        ; implicit-def: $vgpr57
                                        ; implicit-def: $vgpr56
                                        ; implicit-def: $vgpr55
                                        ; implicit-def: $vgpr54
                                        ; implicit-def: $vgpr53
                                        ; implicit-def: $vgpr52
                                        ; implicit-def: $vgpr51
                                        ; implicit-def: $vgpr50
                                        ; implicit-def: $vgpr49
	s_branch .LBB203_71
.LBB203_66:
	s_wait_xcnt 0x0
                                        ; implicit-def: $sgpr41
                                        ; implicit-def: $vgpr41
                                        ; implicit-def: $vgpr42
                                        ; implicit-def: $vgpr43
                                        ; implicit-def: $vgpr44
                                        ; implicit-def: $vgpr45
                                        ; implicit-def: $vgpr46
                                        ; implicit-def: $vgpr47
                                        ; implicit-def: $vgpr48
                                        ; implicit-def: $vgpr67
                                        ; implicit-def: $vgpr66
                                        ; implicit-def: $vgpr65
                                        ; implicit-def: $vgpr64
                                        ; implicit-def: $vgpr63
                                        ; implicit-def: $vgpr62
                                        ; implicit-def: $vgpr61
                                        ; implicit-def: $vgpr60
                                        ; implicit-def: $vgpr59
                                        ; implicit-def: $vgpr58
                                        ; implicit-def: $vgpr57
                                        ; implicit-def: $vgpr56
                                        ; implicit-def: $vgpr55
                                        ; implicit-def: $vgpr54
                                        ; implicit-def: $vgpr53
                                        ; implicit-def: $vgpr52
                                        ; implicit-def: $vgpr51
                                        ; implicit-def: $vgpr50
                                        ; implicit-def: $vgpr49
	s_cbranch_execz .LBB203_70
.LBB203_67:
	s_mov_b32 s2, exec_lo
	s_wait_loadcnt_dscnt 0x0
	s_barrier_signal -1
	s_barrier_wait -1
	v_cmpx_ne_u32_e32 0, v0
; %bb.68:
	v_add_nc_u32_e32 v9, -1, v0
	ds_load_u8 v9, v9
; %bb.69:
	s_or_b32 exec_lo, exec_lo, s2
	v_dual_add_nc_u32 v10, 27, v8 :: v_dual_add_nc_u32 v13, 26, v8
	v_and_b32_e32 v11, 0xff, v19
	v_and_b32_e32 v12, 0xff, v1
	v_and_b32_e32 v14, 0xff, v21
	s_delay_alu instid0(VALU_DEP_4)
	v_cmp_gt_u32_e32 vcc_lo, s35, v10
	v_add_nc_u32_e32 v10, 25, v8
	v_cmp_gt_u32_e64 s3, s35, v13
	v_cmp_ne_u16_e64 s2, v11, v12
	v_and_b32_e32 v12, 0xff, v20
	v_add_nc_u32_e32 v13, 23, v8
	v_cmp_ne_u16_e64 s4, v14, v11
	v_and_b32_e32 v11, 0xff, v23
	s_and_b32 s2, vcc_lo, s2
	v_cmp_gt_u32_e32 vcc_lo, s35, v10
	v_cndmask_b32_e64 v41, 0, 1, s2
	v_cmp_ne_u16_e64 s2, v12, v14
	v_add_nc_u32_e32 v10, 24, v8
	s_and_b32 s3, s3, s4
	v_and_b32_e32 v14, 0xff, v40
	v_cndmask_b32_e64 v42, 0, 1, s3
	s_and_b32 s2, vcc_lo, s2
	v_cmp_gt_u32_e64 s3, s35, v13
	v_cndmask_b32_e64 v43, 0, 1, s2
	v_cmp_ne_u16_e64 s2, v11, v12
	v_add_nc_u32_e32 v12, 22, v8
	v_cmp_gt_u32_e32 vcc_lo, s35, v10
	v_and_b32_e32 v10, 0xff, v24
	v_and_b32_e32 v13, 0xff, v25
	s_wait_dscnt 0x0
	v_and_b32_e32 v9, 0xff, v9
	s_and_b32 s2, vcc_lo, s2
	v_cmp_gt_u32_e32 vcc_lo, s35, v12
	v_cndmask_b32_e64 v44, 0, 1, s2
	v_cmp_ne_u16_e64 s2, v13, v10
	v_cmp_ne_u16_e64 s4, v10, v11
	v_dual_add_nc_u32 v10, 21, v8 :: v_dual_add_nc_u32 v12, 20, v8
	v_and_b32_e32 v11, 0xff, v3
	s_and_b32 s2, vcc_lo, s2
	s_and_b32 s3, s3, s4
	v_cndmask_b32_e64 v46, 0, 1, s2
	v_cmp_gt_u32_e32 vcc_lo, s35, v10
	v_cmp_ne_u16_e64 s2, v11, v13
	v_cndmask_b32_e64 v45, 0, 1, s3
	v_and_b32_e32 v10, 0xff, v26
	v_cmp_gt_u32_e64 s3, s35, v12
	v_add_nc_u32_e32 v12, 19, v8
	v_and_b32_e32 v13, 0xff, v27
	s_and_b32 s2, vcc_lo, s2
	v_cmp_ne_u16_e64 s4, v10, v11
	v_cndmask_b32_e64 v47, 0, 1, s2
	v_and_b32_e32 v11, 0xff, v28
	v_cmp_ne_u16_e64 s2, v13, v10
	v_add_nc_u32_e32 v10, 18, v8
	v_cmp_gt_u32_e32 vcc_lo, s35, v12
	v_add_nc_u32_e32 v12, 17, v8
	s_and_b32 s3, s3, s4
	s_delay_alu instid0(SALU_CYCLE_1)
	v_cndmask_b32_e64 v48, 0, 1, s3
	s_and_b32 s2, vcc_lo, s2
	v_cmp_gt_u32_e32 vcc_lo, s35, v10
	v_cndmask_b32_e64 v49, 0, 1, s2
	v_cmp_ne_u16_e64 s2, v11, v13
	v_and_b32_e32 v10, 0xff, v2
	v_and_b32_e32 v13, 0xff, v29
	s_and_b32 s2, vcc_lo, s2
	s_delay_alu instid0(VALU_DEP_2) | instskip(SKIP_1) | instid1(VALU_DEP_3)
	v_cmp_ne_u16_e64 s4, v10, v11
	v_cndmask_b32_e64 v50, 0, 1, s2
	v_cmp_ne_u16_e64 s2, v13, v10
	v_add_nc_u32_e32 v10, 15, v8
	v_cmp_gt_u32_e64 s3, s35, v12
	v_add_nc_u32_e32 v12, 16, v8
	v_and_b32_e32 v11, 0xff, v30
	s_and_b32 s3, s3, s4
	s_delay_alu instid0(VALU_DEP_2)
	v_cmp_gt_u32_e32 vcc_lo, s35, v12
	v_add_nc_u32_e32 v12, 14, v8
	v_cndmask_b32_e64 v51, 0, 1, s3
	s_and_b32 s2, vcc_lo, s2
	v_cmp_gt_u32_e32 vcc_lo, s35, v10
	v_cndmask_b32_e64 v52, 0, 1, s2
	v_cmp_ne_u16_e64 s2, v11, v13
	v_and_b32_e32 v10, 0xff, v31
	v_cmp_gt_u32_e64 s3, s35, v12
	v_add_nc_u32_e32 v12, 13, v8
	v_and_b32_e32 v13, 0xff, v5
	s_and_b32 s2, vcc_lo, s2
	v_cmp_ne_u16_e64 s4, v10, v11
	v_cndmask_b32_e64 v53, 0, 1, s2
	v_cmp_gt_u32_e32 vcc_lo, s35, v12
	v_cmp_ne_u16_e64 s2, v13, v10
	v_add_nc_u32_e32 v10, 12, v8
	v_and_b32_e32 v11, 0xff, v32
	v_add_nc_u32_e32 v12, 11, v8
	s_and_b32 s3, s3, s4
	s_and_b32 s2, vcc_lo, s2
	v_cmp_gt_u32_e32 vcc_lo, s35, v10
	v_cndmask_b32_e64 v55, 0, 1, s2
	v_cmp_ne_u16_e64 s2, v11, v13
	v_cndmask_b32_e64 v54, 0, 1, s3
	v_and_b32_e32 v10, 0xff, v33
	v_cmp_gt_u32_e64 s3, s35, v12
	v_add_nc_u32_e32 v12, 10, v8
	v_and_b32_e32 v13, 0xff, v34
	s_and_b32 s2, vcc_lo, s2
	v_cmp_ne_u16_e64 s4, v10, v11
	v_cndmask_b32_e64 v56, 0, 1, s2
	v_cmp_gt_u32_e32 vcc_lo, s35, v12
	v_cmp_ne_u16_e64 s2, v13, v10
	v_add_nc_u32_e32 v10, 9, v8
	v_and_b32_e32 v11, 0xff, v4
	v_add_nc_u32_e32 v12, 8, v8
	s_and_b32 s3, s3, s4
	s_and_b32 s2, vcc_lo, s2
	v_cmp_gt_u32_e32 vcc_lo, s35, v10
	v_cndmask_b32_e64 v58, 0, 1, s2
	v_cmp_ne_u16_e64 s2, v11, v13
	v_cndmask_b32_e64 v57, 0, 1, s3
	;; [unrolled: 18-line block ×3, first 2 shown]
	v_and_b32_e32 v10, 0xff, v7
	v_cmp_gt_u32_e64 s3, s35, v12
	v_add_nc_u32_e32 v12, 4, v8
	v_and_b32_e32 v13, 0xff, v38
	s_and_b32 s2, vcc_lo, s2
	v_cmp_ne_u16_e64 s4, v10, v11
	v_cndmask_b32_e64 v62, 0, 1, s2
	v_cmp_gt_u32_e32 vcc_lo, s35, v12
	v_cmp_ne_u16_e64 s2, v13, v10
	v_or_b32_e32 v10, 3, v8
	v_and_b32_e32 v11, 0xff, v39
	v_or_b32_e32 v12, 2, v8
	s_and_b32 s3, s3, s4
	s_and_b32 s2, vcc_lo, s2
	v_cmp_gt_u32_e32 vcc_lo, s35, v10
	v_cndmask_b32_e64 v64, 0, 1, s2
	v_cmp_ne_u16_e64 s2, v11, v13
	v_or_b32_e32 v10, 1, v8
	v_cmp_ne_u16_e64 s4, v14, v11
	v_and_b32_e32 v11, 0xff, v6
	v_cndmask_b32_e64 v63, 0, 1, s3
	v_cmp_gt_u32_e64 s3, s35, v12
	s_and_b32 s2, vcc_lo, s2
	v_cmp_gt_u32_e32 vcc_lo, s35, v10
	v_cndmask_b32_e64 v65, 0, 1, s2
	v_cmp_ne_u16_e64 s2, v11, v14
	s_and_b32 s3, s3, s4
	v_cmp_ne_u16_e64 s4, v9, v11
	v_cndmask_b32_e64 v66, 0, 1, s3
	v_cmp_gt_u32_e64 s3, s35, v8
	s_and_b32 s2, vcc_lo, s2
	s_delay_alu instid0(SALU_CYCLE_1)
	v_cndmask_b32_e64 v67, 0, 1, s2
	s_and_b32 s41, s3, s4
.LBB203_70:
	s_mov_b32 s40, -1
	s_cbranch_execnz .LBB203_79
.LBB203_71:
	s_delay_alu instid0(VALU_DEP_2)
	v_and_b32_e32 v78, 0xff, v19
	v_and_b32_e32 v77, 0xff, v21
	;; [unrolled: 1-line block ×20, first 2 shown]
	s_wait_loadcnt 0x0
	v_and_b32_e32 v9, 0xff, v6
	s_and_b32 vcc_lo, exec_lo, s33
	ds_store_b8 v0, v1
	s_cbranch_vccz .LBB203_75
; %bb.72:
	v_cmp_ne_u16_e64 s2, v77, v78
	v_cmp_ne_u16_e64 s3, v76, v77
	;; [unrolled: 1-line block ×26, first 2 shown]
	v_cmp_ne_u32_e64 s28, 0, v0
	s_mov_b32 s42, 0
	v_cmp_ne_u16_e32 vcc_lo, v78, v1
	s_wait_dscnt 0x0
	s_barrier_signal -1
	s_barrier_wait -1
                                        ; implicit-def: $sgpr41
	s_and_saveexec_b32 s43, s28
	s_delay_alu instid0(SALU_CYCLE_1)
	s_xor_b32 s28, exec_lo, s43
	s_cbranch_execz .LBB203_74
; %bb.73:
	v_add_nc_u32_e32 v41, -1, v0
	s_or_b32 s40, s40, exec_lo
	ds_load_u8 v41, v41
	s_wait_dscnt 0x0
	v_cmp_ne_u16_e64 s41, v41, v9
.LBB203_74:
	s_or_b32 exec_lo, exec_lo, s28
	v_cndmask_b32_e64 v41, 0, 1, vcc_lo
	v_cndmask_b32_e64 v42, 0, 1, s2
	v_cndmask_b32_e64 v43, 0, 1, s3
	;; [unrolled: 1-line block ×26, first 2 shown]
	s_and_b32 vcc_lo, exec_lo, s42
	s_cbranch_vccnz .LBB203_76
	s_branch .LBB203_79
.LBB203_75:
                                        ; implicit-def: $sgpr41
                                        ; implicit-def: $vgpr41
                                        ; implicit-def: $vgpr42
                                        ; implicit-def: $vgpr43
                                        ; implicit-def: $vgpr44
                                        ; implicit-def: $vgpr45
                                        ; implicit-def: $vgpr46
                                        ; implicit-def: $vgpr47
                                        ; implicit-def: $vgpr48
                                        ; implicit-def: $vgpr67
                                        ; implicit-def: $vgpr66
                                        ; implicit-def: $vgpr65
                                        ; implicit-def: $vgpr64
                                        ; implicit-def: $vgpr63
                                        ; implicit-def: $vgpr62
                                        ; implicit-def: $vgpr61
                                        ; implicit-def: $vgpr60
                                        ; implicit-def: $vgpr59
                                        ; implicit-def: $vgpr58
                                        ; implicit-def: $vgpr57
                                        ; implicit-def: $vgpr56
                                        ; implicit-def: $vgpr55
                                        ; implicit-def: $vgpr54
                                        ; implicit-def: $vgpr53
                                        ; implicit-def: $vgpr52
                                        ; implicit-def: $vgpr51
                                        ; implicit-def: $vgpr50
                                        ; implicit-def: $vgpr49
	s_cbranch_execz .LBB203_79
.LBB203_76:
	v_dual_add_nc_u32 v41, 27, v8 :: v_dual_add_nc_u32 v43, 26, v8
	v_and_b32_e32 v42, 0xff, v1
	v_add_nc_u32_e32 v44, 25, v8
	v_cmp_ne_u16_e64 s3, v77, v78
	s_delay_alu instid0(VALU_DEP_4)
	v_cmp_gt_u32_e32 vcc_lo, s35, v41
	v_add_nc_u32_e32 v41, 24, v8
	v_cmp_ne_u16_e64 s2, v78, v42
	v_cmp_gt_u32_e64 s4, s35, v43
	v_cmp_gt_u32_e64 s5, s35, v44
	v_and_b32_e32 v42, 0xff, v23
	v_dual_add_nc_u32 v43, 23, v8 :: v_dual_add_nc_u32 v44, 22, v8
	s_and_b32 s11, vcc_lo, s2
	v_cmp_ne_u16_e32 vcc_lo, v76, v77
	v_cmp_gt_u32_e64 s2, s35, v41
	v_add_nc_u32_e32 v41, 21, v8
	s_and_b32 s12, s4, s3
	v_cmp_ne_u16_e64 s3, v42, v76
	v_cmp_gt_u32_e64 s4, s35, v43
	s_and_b32 s13, s5, vcc_lo
	v_add_nc_u32_e32 v43, 19, v8
	v_cmp_gt_u32_e32 vcc_lo, s35, v41
	v_add_nc_u32_e32 v41, 20, v8
	v_cmp_ne_u16_e64 s6, v75, v42
	v_cmp_gt_u32_e64 s7, s35, v44
	s_and_b32 s14, s2, s3
	v_and_b32_e32 v42, 0xff, v26
	v_cmp_ne_u16_e64 s2, v73, v74
	v_add_nc_u32_e32 v44, 18, v8
	v_cmp_gt_u32_e64 s3, s35, v41
	v_add_nc_u32_e32 v41, 17, v8
	v_cmp_ne_u16_e64 s8, v74, v75
	s_and_b32 s15, s4, s6
	v_cmp_ne_u16_e64 s4, v42, v73
	v_cmp_gt_u32_e64 s5, s35, v43
	s_and_b32 s17, vcc_lo, s2
	v_add_nc_u32_e32 v43, 15, v8
	v_cmp_gt_u32_e32 vcc_lo, s35, v41
	v_add_nc_u32_e32 v41, 16, v8
	s_and_b32 s16, s7, s8
	v_cmp_ne_u16_e64 s6, v72, v42
	v_cmp_gt_u32_e64 s7, s35, v44
	v_cmp_ne_u16_e64 s8, v71, v72
	s_and_b32 s18, s3, s4
	v_and_b32_e32 v42, 0xff, v29
	v_cmp_ne_u16_e64 s2, v70, v71
	v_add_nc_u32_e32 v44, 14, v8
	v_cmp_gt_u32_e64 s3, s35, v41
	v_add_nc_u32_e32 v41, 13, v8
	s_and_b32 s19, s5, s6
	s_and_b32 s20, s7, s8
	v_cmp_ne_u16_e64 s4, v42, v70
	v_cmp_gt_u32_e64 s5, s35, v43
	v_cmp_ne_u16_e64 s6, v69, v42
	v_cmp_gt_u32_e64 s7, s35, v44
	v_cmp_ne_u16_e64 s8, v68, v69
	s_and_b32 s21, vcc_lo, s2
	v_and_b32_e32 v42, 0xff, v32
	v_add_nc_u32_e32 v43, 11, v8
	v_cmp_gt_u32_e32 vcc_lo, s35, v41
	v_dual_add_nc_u32 v41, 12, v8 :: v_dual_add_nc_u32 v44, 10, v8
	s_and_b32 s22, s3, s4
	s_and_b32 s23, s5, s6
	;; [unrolled: 1-line block ×3, first 2 shown]
	v_cmp_ne_u16_e64 s2, v18, v68
	v_cmp_ne_u16_e64 s4, v42, v18
	v_cmp_gt_u32_e64 s5, s35, v43
	v_cmp_ne_u16_e64 s6, v17, v42
	v_cmp_gt_u32_e64 s7, s35, v44
	v_cmp_ne_u16_e64 s8, v16, v17
	v_add_nc_u32_e32 v17, 9, v8
	v_and_b32_e32 v18, 0xff, v35
	v_cmp_gt_u32_e64 s3, s35, v41
	s_and_b32 s25, vcc_lo, s2
	s_and_b32 s27, s5, s6
	s_and_b32 s28, s7, s8
	v_add_nc_u32_e32 v41, 7, v8
	v_cmp_gt_u32_e32 vcc_lo, s35, v17
	v_add_nc_u32_e32 v17, 8, v8
	v_cmp_ne_u16_e64 s2, v15, v16
	v_cmp_ne_u16_e64 s6, v14, v18
	;; [unrolled: 1-line block ×3, first 2 shown]
	v_add_nc_u32_e32 v14, 5, v8
	s_and_b32 s26, s3, s4
	v_add_nc_u32_e32 v16, 6, v8
	v_cmp_gt_u32_e64 s3, s35, v17
	v_cmp_ne_u16_e64 s4, v18, v15
	s_and_b32 s42, vcc_lo, s2
	v_add_nc_u32_e32 v15, 4, v8
	v_cmp_gt_u32_e32 vcc_lo, s35, v14
	v_and_b32_e32 v14, 0xff, v38
	v_cmp_gt_u32_e64 s5, s35, v41
	v_cmp_gt_u32_e64 s7, s35, v16
	s_and_b32 s43, s3, s4
	v_cmp_ne_u16_e64 s2, v12, v13
	v_or_b32_e32 v13, 3, v8
	v_cmp_gt_u32_e64 s3, s35, v15
	v_or_b32_e32 v15, 2, v8
	v_cmp_ne_u16_e64 s4, v14, v12
	v_or_b32_e32 v12, 1, v8
	s_and_b32 s44, s5, s6
	s_and_b32 s45, s7, s8
	v_cmp_gt_u32_e64 s5, s35, v13
	v_cmp_ne_u16_e64 s6, v11, v14
	v_cmp_gt_u32_e64 s7, s35, v15
	v_cmp_ne_u16_e64 s8, v10, v11
	;; [unrolled: 2-line block ×3, first 2 shown]
	s_and_b32 s46, vcc_lo, s2
	s_and_b32 s3, s3, s4
	s_and_b32 s4, s5, s6
	;; [unrolled: 1-line block ×4, first 2 shown]
	s_mov_b32 s7, exec_lo
	s_wait_dscnt 0x0
	s_barrier_signal -1
	s_barrier_wait -1
                                        ; implicit-def: $sgpr41
	v_cmpx_ne_u32_e32 0, v0
	s_cbranch_execz .LBB203_78
; %bb.77:
	v_add_nc_u32_e32 v10, -1, v0
	v_cmp_gt_u32_e32 vcc_lo, s35, v8
	s_or_b32 s40, s40, exec_lo
	ds_load_u8 v10, v10
	s_wait_dscnt 0x0
	v_and_b32_e32 v10, 0xff, v10
	s_delay_alu instid0(VALU_DEP_1)
	v_cmp_ne_u16_e64 s2, v10, v9
	s_and_b32 s41, vcc_lo, s2
.LBB203_78:
	s_or_b32 exec_lo, exec_lo, s7
	v_cndmask_b32_e64 v41, 0, 1, s11
	v_cndmask_b32_e64 v42, 0, 1, s12
	;; [unrolled: 1-line block ×27, first 2 shown]
.LBB203_79:
	v_mov_b32_e32 v68, 1
	s_and_saveexec_b32 s2, s40
; %bb.80:
	v_cndmask_b32_e64 v68, 0, 1, s41
; %bb.81:
	s_or_b32 exec_lo, exec_lo, s2
	s_load_b64 s[10:11], s[0:1], 0x60
	s_and_not1_b32 vcc_lo, exec_lo, s38
	s_cbranch_vccnz .LBB203_83
; %bb.82:
	s_wait_loadcnt 0x0
	v_or_b32_e32 v9, 1, v8
	v_cmp_gt_u32_e32 vcc_lo, s35, v8
	v_or_b32_e32 v10, 2, v8
	v_or_b32_e32 v11, 3, v8
	v_cndmask_b32_e32 v68, 0, v68, vcc_lo
	v_cmp_gt_u32_e32 vcc_lo, s35, v9
	v_dual_add_nc_u32 v9, 4, v8 :: v_dual_cndmask_b32 v67, 0, v67, vcc_lo
	v_cmp_gt_u32_e32 vcc_lo, s35, v10
	v_dual_add_nc_u32 v10, 5, v8 :: v_dual_cndmask_b32 v66, 0, v66, vcc_lo
	;; [unrolled: 2-line block ×3, first 2 shown]
	v_cmp_gt_u32_e32 vcc_lo, s35, v9
	v_cndmask_b32_e32 v64, 0, v64, vcc_lo
	v_cmp_gt_u32_e32 vcc_lo, s35, v10
	v_cndmask_b32_e32 v63, 0, v63, vcc_lo
	v_cmp_gt_u32_e32 vcc_lo, s35, v11
	v_dual_add_nc_u32 v9, 7, v8 :: v_dual_add_nc_u32 v11, 10, v8
	v_cndmask_b32_e32 v62, 0, v62, vcc_lo
	s_delay_alu instid0(VALU_DEP_2) | instskip(SKIP_2) | instid1(VALU_DEP_2)
	v_cmp_gt_u32_e32 vcc_lo, s35, v9
	v_dual_add_nc_u32 v10, 8, v8 :: v_dual_add_nc_u32 v9, 9, v8
	v_cndmask_b32_e32 v61, 0, v61, vcc_lo
	v_cmp_gt_u32_e32 vcc_lo, s35, v10
	v_cndmask_b32_e32 v60, 0, v60, vcc_lo
	s_delay_alu instid0(VALU_DEP_4) | instskip(SKIP_4) | instid1(VALU_DEP_2)
	v_cmp_gt_u32_e32 vcc_lo, s35, v9
	v_cndmask_b32_e32 v59, 0, v59, vcc_lo
	v_cmp_gt_u32_e32 vcc_lo, s35, v11
	v_dual_add_nc_u32 v10, 11, v8 :: v_dual_add_nc_u32 v11, 14, v8
	v_cndmask_b32_e32 v58, 0, v58, vcc_lo
	v_cmp_gt_u32_e32 vcc_lo, s35, v10
	v_dual_add_nc_u32 v9, 12, v8 :: v_dual_add_nc_u32 v10, 13, v8
	v_cndmask_b32_e32 v57, 0, v57, vcc_lo
	s_delay_alu instid0(VALU_DEP_2) | instskip(SKIP_1) | instid1(VALU_DEP_4)
	v_cmp_gt_u32_e32 vcc_lo, s35, v9
	v_cndmask_b32_e32 v56, 0, v56, vcc_lo
	v_cmp_gt_u32_e32 vcc_lo, s35, v10
	v_cndmask_b32_e32 v55, 0, v55, vcc_lo
	v_cmp_gt_u32_e32 vcc_lo, s35, v11
	v_dual_add_nc_u32 v9, 15, v8 :: v_dual_add_nc_u32 v11, 18, v8
	v_cndmask_b32_e32 v54, 0, v54, vcc_lo
	s_delay_alu instid0(VALU_DEP_2) | instskip(SKIP_2) | instid1(VALU_DEP_2)
	v_cmp_gt_u32_e32 vcc_lo, s35, v9
	v_dual_add_nc_u32 v10, 16, v8 :: v_dual_add_nc_u32 v9, 17, v8
	v_cndmask_b32_e32 v53, 0, v53, vcc_lo
	v_cmp_gt_u32_e32 vcc_lo, s35, v10
	v_cndmask_b32_e32 v52, 0, v52, vcc_lo
	s_delay_alu instid0(VALU_DEP_4) | instskip(SKIP_4) | instid1(VALU_DEP_2)
	v_cmp_gt_u32_e32 vcc_lo, s35, v9
	v_cndmask_b32_e32 v51, 0, v51, vcc_lo
	v_cmp_gt_u32_e32 vcc_lo, s35, v11
	v_dual_add_nc_u32 v10, 19, v8 :: v_dual_add_nc_u32 v11, 22, v8
	v_cndmask_b32_e32 v50, 0, v50, vcc_lo
	v_cmp_gt_u32_e32 vcc_lo, s35, v10
	v_dual_add_nc_u32 v9, 20, v8 :: v_dual_add_nc_u32 v10, 21, v8
	v_cndmask_b32_e32 v49, 0, v49, vcc_lo
	s_delay_alu instid0(VALU_DEP_2) | instskip(SKIP_1) | instid1(VALU_DEP_4)
	v_cmp_gt_u32_e32 vcc_lo, s35, v9
	v_cndmask_b32_e32 v48, 0, v48, vcc_lo
	v_cmp_gt_u32_e32 vcc_lo, s35, v10
	v_cndmask_b32_e32 v47, 0, v47, vcc_lo
	v_cmp_gt_u32_e32 vcc_lo, s35, v11
	v_dual_add_nc_u32 v9, 23, v8 :: v_dual_add_nc_u32 v11, 26, v8
	v_cndmask_b32_e32 v46, 0, v46, vcc_lo
	s_delay_alu instid0(VALU_DEP_2) | instskip(SKIP_2) | instid1(VALU_DEP_2)
	v_cmp_gt_u32_e32 vcc_lo, s35, v9
	v_dual_add_nc_u32 v10, 24, v8 :: v_dual_add_nc_u32 v9, 25, v8
	v_cndmask_b32_e32 v45, 0, v45, vcc_lo
	v_cmp_gt_u32_e32 vcc_lo, s35, v10
	v_cndmask_b32_e32 v44, 0, v44, vcc_lo
	s_delay_alu instid0(VALU_DEP_4) | instskip(SKIP_3) | instid1(VALU_DEP_1)
	v_cmp_gt_u32_e32 vcc_lo, s35, v9
	v_cndmask_b32_e32 v43, 0, v43, vcc_lo
	v_cmp_gt_u32_e32 vcc_lo, s35, v11
	v_dual_add_nc_u32 v8, 27, v8 :: v_dual_cndmask_b32 v42, 0, v42, vcc_lo
	v_cmp_gt_u32_e32 vcc_lo, s35, v8
	v_cndmask_b32_e32 v41, 0, v41, vcc_lo
.LBB203_83:
	v_and_b32_e32 v75, 0xff, v50
	v_and_b32_e32 v76, 0xff, v49
	;; [unrolled: 1-line block ×4, first 2 shown]
	v_mbcnt_lo_u32_b32 v97, -1, 0
	v_and_b32_e32 v70, 0xff, v54
	v_add_nc_u32_e32 v8, v75, v76
	v_and_b32_e32 v71, 0xff, v53
	v_and_b32_e32 v72, 0xff, v56
	v_and_b32_e32 v11, 15, v97
	v_and_b32_e32 v73, 0xff, v55
	v_add3_u32 v8, v8, v77, v69
	v_and_b32_e32 v74, 0xff, v58
	v_and_b32_e32 v78, 0xff, v57
	v_and_b32_e32 v79, 0xff, v60
	v_and_b32_e32 v80, 0xff, v59
	v_add3_u32 v8, v8, v71, v70
	v_and_b32_e32 v81, 0xff, v62
	v_and_b32_e32 v82, 0xff, v61
	v_and_b32_e32 v89, 0xff, v64
	v_and_b32_e32 v90, 0xff, v63
	v_add3_u32 v8, v8, v73, v72
	v_and_b32_e32 v92, 0xff, v66
	v_and_b32_e32 v93, 0xff, v65
	v_and_b32_e32 v94, 0xffff, v68
	v_and_b32_e32 v95, 0xff, v67
	v_add3_u32 v8, v8, v78, v74
	v_and_b32_e32 v83, 0xff, v48
	v_and_b32_e32 v84, 0xff, v47
	v_and_b32_e32 v85, 0xff, v46
	v_and_b32_e32 v86, 0xff, v45
	v_add3_u32 v8, v8, v80, v79
	v_and_b32_e32 v87, 0xff, v44
	v_and_b32_e32 v88, 0xff, v43
	;; [unrolled: 1-line block ×3, first 2 shown]
	s_wait_loadcnt 0x0
	v_and_b32_e32 v9, 0xff, v41
	v_add3_u32 v8, v8, v82, v81
	v_dual_lshrrev_b32 v98, 5, v0 :: v_dual_bitop2_b32 v10, 31, v0 bitop3:0x54
	v_and_b32_e32 v12, 16, v97
	v_cmp_eq_u32_e64 s7, 0, v11
	s_delay_alu instid0(VALU_DEP_4) | instskip(NEXT) | instid1(VALU_DEP_4)
	v_add3_u32 v8, v8, v90, v89
	v_cmp_eq_u32_e64 s2, v0, v10
	v_cmp_lt_u32_e64 s6, 1, v11
	v_cmp_lt_u32_e64 s5, 3, v11
	;; [unrolled: 1-line block ×3, first 2 shown]
	v_add3_u32 v8, v8, v93, v92
	v_cmp_eq_u32_e64 s3, 0, v12
	s_and_b32 vcc_lo, exec_lo, s39
	s_mov_b32 s8, -1
	s_wait_dscnt 0x0
	v_add3_u32 v8, v8, v95, v94
	s_barrier_signal -1
	s_barrier_wait -1
	s_delay_alu instid0(VALU_DEP_1) | instskip(NEXT) | instid1(VALU_DEP_1)
	v_add3_u32 v8, v8, v83, v84
	v_add3_u32 v8, v8, v85, v86
	s_delay_alu instid0(VALU_DEP_1) | instskip(NEXT) | instid1(VALU_DEP_1)
	v_add3_u32 v8, v8, v87, v88
	v_add3_u32 v99, v8, v91, v9
	s_cbranch_vccz .LBB203_105
; %bb.84:
	s_delay_alu instid0(VALU_DEP_1) | instskip(NEXT) | instid1(VALU_DEP_1)
	v_mov_b32_dpp v8, v99 row_shr:1 row_mask:0xf bank_mask:0xf
	v_cndmask_b32_e64 v8, v8, 0, s7
	s_delay_alu instid0(VALU_DEP_1) | instskip(NEXT) | instid1(VALU_DEP_1)
	v_add_nc_u32_e32 v8, v8, v99
	v_mov_b32_dpp v9, v8 row_shr:2 row_mask:0xf bank_mask:0xf
	s_delay_alu instid0(VALU_DEP_1) | instskip(NEXT) | instid1(VALU_DEP_1)
	v_cndmask_b32_e64 v9, 0, v9, s6
	v_add_nc_u32_e32 v8, v8, v9
	s_delay_alu instid0(VALU_DEP_1) | instskip(NEXT) | instid1(VALU_DEP_1)
	v_mov_b32_dpp v9, v8 row_shr:4 row_mask:0xf bank_mask:0xf
	v_cndmask_b32_e64 v9, 0, v9, s5
	s_delay_alu instid0(VALU_DEP_1) | instskip(NEXT) | instid1(VALU_DEP_1)
	v_add_nc_u32_e32 v8, v8, v9
	v_mov_b32_dpp v9, v8 row_shr:8 row_mask:0xf bank_mask:0xf
	s_delay_alu instid0(VALU_DEP_1) | instskip(NEXT) | instid1(VALU_DEP_1)
	v_cndmask_b32_e64 v9, 0, v9, s4
	v_add_nc_u32_e32 v8, v8, v9
	ds_swizzle_b32 v9, v8 offset:swizzle(BROADCAST,32,15)
	s_wait_dscnt 0x0
	v_cndmask_b32_e64 v9, v9, 0, s3
	s_delay_alu instid0(VALU_DEP_1)
	v_add_nc_u32_e32 v8, v8, v9
	s_and_saveexec_b32 s8, s2
; %bb.85:
	v_lshlrev_b32_e32 v9, 2, v98
	ds_store_b32 v9, v8
; %bb.86:
	s_or_b32 exec_lo, exec_lo, s8
	s_delay_alu instid0(SALU_CYCLE_1)
	s_mov_b32 s8, exec_lo
	s_wait_dscnt 0x0
	s_barrier_signal -1
	s_barrier_wait -1
	v_cmpx_gt_u32_e32 8, v0
	s_cbranch_execz .LBB203_88
; %bb.87:
	v_dual_lshlrev_b32 v9, 2, v0 :: v_dual_bitop2_b32 v11, 7, v97 bitop3:0x40
	ds_load_b32 v10, v9
	v_cmp_ne_u32_e32 vcc_lo, 0, v11
	s_wait_dscnt 0x0
	v_mov_b32_dpp v12, v10 row_shr:1 row_mask:0xf bank_mask:0xf
	s_delay_alu instid0(VALU_DEP_1) | instskip(SKIP_1) | instid1(VALU_DEP_2)
	v_cndmask_b32_e32 v12, 0, v12, vcc_lo
	v_cmp_lt_u32_e32 vcc_lo, 1, v11
	v_add_nc_u32_e32 v10, v12, v10
	s_delay_alu instid0(VALU_DEP_1) | instskip(NEXT) | instid1(VALU_DEP_1)
	v_mov_b32_dpp v12, v10 row_shr:2 row_mask:0xf bank_mask:0xf
	v_cndmask_b32_e32 v12, 0, v12, vcc_lo
	v_cmp_lt_u32_e32 vcc_lo, 3, v11
	s_delay_alu instid0(VALU_DEP_2) | instskip(NEXT) | instid1(VALU_DEP_1)
	v_add_nc_u32_e32 v10, v10, v12
	v_mov_b32_dpp v12, v10 row_shr:4 row_mask:0xf bank_mask:0xf
	s_delay_alu instid0(VALU_DEP_1) | instskip(NEXT) | instid1(VALU_DEP_1)
	v_cndmask_b32_e32 v11, 0, v12, vcc_lo
	v_add_nc_u32_e32 v10, v10, v11
	ds_store_b32 v9, v10
.LBB203_88:
	s_or_b32 exec_lo, exec_lo, s8
	s_delay_alu instid0(SALU_CYCLE_1)
	s_mov_b32 s9, exec_lo
	v_cmp_gt_u32_e32 vcc_lo, 32, v0
	s_wait_dscnt 0x0
	s_barrier_signal -1
	s_barrier_wait -1
                                        ; implicit-def: $vgpr18
	v_cmpx_lt_u32_e32 31, v0
	s_cbranch_execz .LBB203_90
; %bb.89:
	v_lshl_add_u32 v9, v98, 2, -4
	ds_load_b32 v18, v9
	s_wait_dscnt 0x0
	v_add_nc_u32_e32 v8, v18, v8
.LBB203_90:
	s_or_b32 exec_lo, exec_lo, s9
	v_sub_co_u32 v9, s8, v97, 1
	s_delay_alu instid0(VALU_DEP_1) | instskip(NEXT) | instid1(VALU_DEP_1)
	v_cmp_gt_i32_e64 s9, 0, v9
	v_cndmask_b32_e64 v9, v9, v97, s9
	s_delay_alu instid0(VALU_DEP_1)
	v_lshlrev_b32_e32 v9, 2, v9
	ds_bpermute_b32 v96, v9, v8
	s_and_saveexec_b32 s9, vcc_lo
	s_cbranch_execz .LBB203_110
; %bb.91:
	v_mov_b32_e32 v15, 0
	ds_load_b32 v8, v15 offset:28
	s_and_saveexec_b32 s12, s8
	s_cbranch_execz .LBB203_93
; %bb.92:
	s_add_co_i32 s13, s34, 32
	s_delay_alu instid0(SALU_CYCLE_1)
	v_dual_mov_b32 v9, 1 :: v_dual_mov_b32 v10, s13
	s_wait_xcnt 0x0
	s_wait_dscnt 0x0
	s_wait_kmcnt 0x0
	global_store_b64 v10, v[8:9], s[10:11] scale_offset scope:SCOPE_DEV
.LBB203_93:
	s_wait_xcnt 0x0
	s_or_b32 exec_lo, exec_lo, s12
	v_xad_u32 v10, v97, -1, s34
	s_mov_b32 s13, 0
	s_mov_b32 s12, exec_lo
	s_delay_alu instid0(VALU_DEP_1)
	v_add_nc_u32_e32 v14, 32, v10
	s_wait_kmcnt 0x0
	global_load_b64 v[12:13], v14, s[10:11] scale_offset scope:SCOPE_DEV
	s_wait_loadcnt 0x0
	v_and_b32_e32 v9, 0xff, v13
	s_wait_xcnt 0x0
	s_delay_alu instid0(VALU_DEP_1)
	v_cmpx_eq_u16_e32 0, v9
	s_cbranch_execz .LBB203_97
; %bb.94:
	v_lshl_add_u64 v[14:15], v[14:15], 3, s[10:11]
.LBB203_95:                             ; =>This Inner Loop Header: Depth=1
	global_load_b64 v[12:13], v[14:15], off scope:SCOPE_DEV
	s_wait_loadcnt 0x0
	v_and_b32_e32 v9, 0xff, v13
	s_delay_alu instid0(VALU_DEP_1)
	v_cmp_ne_u16_e32 vcc_lo, 0, v9
	s_or_b32 s13, vcc_lo, s13
	s_wait_xcnt 0x0
	s_and_not1_b32 exec_lo, exec_lo, s13
	s_cbranch_execnz .LBB203_95
; %bb.96:
	s_or_b32 exec_lo, exec_lo, s13
.LBB203_97:
	s_delay_alu instid0(SALU_CYCLE_1)
	s_or_b32 exec_lo, exec_lo, s12
	v_cmp_ne_u32_e32 vcc_lo, 31, v97
	v_lshlrev_b32_e64 v17, v97, -1
	v_lshl_or_b32 v106, v97, 2, 64
	v_dual_add_nc_u32 v101, 2, v97 :: v_dual_add_nc_u32 v103, 4, v97
	v_add_co_ci_u32_e64 v9, null, 0, v97, vcc_lo
	v_dual_add_nc_u32 v105, 8, v97 :: v_dual_add_nc_u32 v107, 16, v97
	s_delay_alu instid0(VALU_DEP_2)
	v_lshlrev_b32_e32 v16, 2, v9
	v_and_b32_e32 v9, 0xff, v13
	ds_bpermute_b32 v11, v16, v12
	v_cmp_eq_u16_e32 vcc_lo, 2, v9
	v_and_or_b32 v9, vcc_lo, v17, 0x80000000
	v_cmp_gt_u32_e32 vcc_lo, 30, v97
	s_delay_alu instid0(VALU_DEP_2) | instskip(SKIP_1) | instid1(VALU_DEP_2)
	v_ctz_i32_b32_e32 v9, v9
	v_cndmask_b32_e64 v14, 0, 2, vcc_lo
	v_cmp_lt_u32_e32 vcc_lo, v97, v9
	s_delay_alu instid0(VALU_DEP_2) | instskip(SKIP_3) | instid1(VALU_DEP_2)
	v_add_lshl_u32 v100, v14, v97, 2
	s_wait_dscnt 0x0
	v_cndmask_b32_e32 v11, 0, v11, vcc_lo
	v_cmp_gt_u32_e32 vcc_lo, 28, v97
	v_add_nc_u32_e32 v11, v11, v12
	v_cndmask_b32_e64 v14, 0, 4, vcc_lo
	v_cmp_le_u32_e32 vcc_lo, v101, v9
	ds_bpermute_b32 v12, v100, v11
	v_add_lshl_u32 v102, v14, v97, 2
	s_wait_dscnt 0x0
	v_cndmask_b32_e32 v12, 0, v12, vcc_lo
	v_cmp_gt_u32_e32 vcc_lo, 24, v97
	v_cndmask_b32_e64 v14, 0, 8, vcc_lo
	v_cmp_le_u32_e32 vcc_lo, v103, v9
	s_delay_alu instid0(VALU_DEP_4) | instskip(NEXT) | instid1(VALU_DEP_3)
	v_add_nc_u32_e32 v11, v11, v12
	v_add_lshl_u32 v104, v14, v97, 2
	ds_bpermute_b32 v12, v102, v11
	s_wait_dscnt 0x0
	v_cndmask_b32_e32 v12, 0, v12, vcc_lo
	v_cmp_le_u32_e32 vcc_lo, v105, v9
	s_delay_alu instid0(VALU_DEP_2) | instskip(SKIP_4) | instid1(VALU_DEP_2)
	v_add_nc_u32_e32 v11, v11, v12
	ds_bpermute_b32 v12, v104, v11
	s_wait_dscnt 0x0
	v_cndmask_b32_e32 v12, 0, v12, vcc_lo
	v_cmp_le_u32_e32 vcc_lo, v107, v9
	v_add_nc_u32_e32 v11, v11, v12
	ds_bpermute_b32 v12, v106, v11
	s_wait_dscnt 0x0
	v_cndmask_b32_e32 v9, 0, v12, vcc_lo
	s_delay_alu instid0(VALU_DEP_1)
	v_dual_mov_b32 v11, 0 :: v_dual_add_nc_u32 v12, v11, v9
	s_branch .LBB203_100
.LBB203_98:                             ;   in Loop: Header=BB203_100 Depth=1
	s_or_b32 exec_lo, exec_lo, s12
	v_and_b32_e32 v14, 0xff, v13
	ds_bpermute_b32 v15, v16, v12
	v_subrev_nc_u32_e32 v10, 32, v10
	s_mov_b32 s12, 0
	v_cmp_eq_u16_e32 vcc_lo, 2, v14
	v_and_or_b32 v14, vcc_lo, v17, 0x80000000
	s_delay_alu instid0(VALU_DEP_1) | instskip(NEXT) | instid1(VALU_DEP_1)
	v_ctz_i32_b32_e32 v14, v14
	v_cmp_lt_u32_e32 vcc_lo, v97, v14
	s_wait_dscnt 0x0
	v_cndmask_b32_e32 v15, 0, v15, vcc_lo
	v_cmp_le_u32_e32 vcc_lo, v101, v14
	s_delay_alu instid0(VALU_DEP_2) | instskip(SKIP_4) | instid1(VALU_DEP_2)
	v_add_nc_u32_e32 v12, v15, v12
	ds_bpermute_b32 v15, v100, v12
	s_wait_dscnt 0x0
	v_cndmask_b32_e32 v15, 0, v15, vcc_lo
	v_cmp_le_u32_e32 vcc_lo, v103, v14
	v_add_nc_u32_e32 v12, v12, v15
	ds_bpermute_b32 v15, v102, v12
	s_wait_dscnt 0x0
	v_cndmask_b32_e32 v15, 0, v15, vcc_lo
	v_cmp_le_u32_e32 vcc_lo, v105, v14
	s_delay_alu instid0(VALU_DEP_2) | instskip(SKIP_4) | instid1(VALU_DEP_2)
	v_add_nc_u32_e32 v12, v12, v15
	ds_bpermute_b32 v15, v104, v12
	s_wait_dscnt 0x0
	v_cndmask_b32_e32 v15, 0, v15, vcc_lo
	v_cmp_le_u32_e32 vcc_lo, v107, v14
	v_add_nc_u32_e32 v12, v12, v15
	ds_bpermute_b32 v15, v106, v12
	s_wait_dscnt 0x0
	v_cndmask_b32_e32 v14, 0, v15, vcc_lo
	s_delay_alu instid0(VALU_DEP_1)
	v_add3_u32 v12, v14, v9, v12
.LBB203_99:                             ;   in Loop: Header=BB203_100 Depth=1
	s_and_b32 vcc_lo, exec_lo, s12
	s_cbranch_vccnz .LBB203_106
.LBB203_100:                            ; =>This Loop Header: Depth=1
                                        ;     Child Loop BB203_103 Depth 2
	v_and_b32_e32 v9, 0xff, v13
	s_mov_b32 s12, -1
                                        ; implicit-def: $vgpr13
	s_delay_alu instid0(VALU_DEP_1)
	v_cmp_ne_u16_e32 vcc_lo, 2, v9
	v_mov_b32_e32 v9, v12
                                        ; implicit-def: $vgpr12
	s_cmp_lg_u32 vcc_lo, exec_lo
	s_cbranch_scc1 .LBB203_99
; %bb.101:                              ;   in Loop: Header=BB203_100 Depth=1
	global_load_b64 v[12:13], v10, s[10:11] scale_offset scope:SCOPE_DEV
	s_mov_b32 s12, exec_lo
	s_wait_loadcnt 0x0
	v_and_b32_e32 v14, 0xff, v13
	s_wait_xcnt 0x0
	s_delay_alu instid0(VALU_DEP_1)
	v_cmpx_eq_u16_e32 0, v14
	s_cbranch_execz .LBB203_98
; %bb.102:                              ;   in Loop: Header=BB203_100 Depth=1
	v_lshl_add_u64 v[14:15], v[10:11], 3, s[10:11]
	s_mov_b32 s13, 0
.LBB203_103:                            ;   Parent Loop BB203_100 Depth=1
                                        ; =>  This Inner Loop Header: Depth=2
	global_load_b64 v[12:13], v[14:15], off scope:SCOPE_DEV
	s_wait_loadcnt 0x0
	v_and_b32_e32 v108, 0xff, v13
	s_delay_alu instid0(VALU_DEP_1)
	v_cmp_ne_u16_e32 vcc_lo, 0, v108
	s_or_b32 s13, vcc_lo, s13
	s_wait_xcnt 0x0
	s_and_not1_b32 exec_lo, exec_lo, s13
	s_cbranch_execnz .LBB203_103
; %bb.104:                              ;   in Loop: Header=BB203_100 Depth=1
	s_or_b32 exec_lo, exec_lo, s13
	s_branch .LBB203_98
.LBB203_105:
                                        ; implicit-def: $vgpr18
                                        ; implicit-def: $vgpr16
                                        ; implicit-def: $vgpr96
	s_and_b32 vcc_lo, exec_lo, s8
	s_cbranch_vccnz .LBB203_111
	s_branch .LBB203_120
.LBB203_106:
	s_and_saveexec_b32 s12, s8
	s_cbranch_execz .LBB203_108
; %bb.107:
	s_add_co_i32 s13, s34, 32
	v_dual_mov_b32 v11, 2 :: v_dual_add_nc_u32 v10, v9, v8
	v_dual_mov_b32 v12, s13 :: v_dual_mov_b32 v13, 0
	global_store_b64 v12, v[10:11], s[10:11] scale_offset scope:SCOPE_DEV
	ds_store_b64 v13, v[8:9] offset:7168
.LBB203_108:
	s_wait_xcnt 0x0
	s_or_b32 exec_lo, exec_lo, s12
	v_cmp_eq_u32_e32 vcc_lo, 0, v0
	s_and_b32 exec_lo, exec_lo, vcc_lo
; %bb.109:
	v_mov_b32_e32 v8, 0
	ds_store_b32 v8, v9 offset:28
.LBB203_110:
	s_or_b32 exec_lo, exec_lo, s9
	v_mov_b32_e32 v8, 0
	s_wait_storecnt_dscnt 0x0
	s_barrier_signal -1
	s_barrier_wait -1
	ds_load_b32 v9, v8 offset:28
	s_wait_dscnt 0x0
	s_barrier_signal -1
	s_barrier_wait -1
	ds_load_b64 v[16:17], v8 offset:7168
	v_cndmask_b32_e64 v8, v96, v18, s8
	v_cmp_ne_u32_e32 vcc_lo, 0, v0
	s_delay_alu instid0(VALU_DEP_2) | instskip(NEXT) | instid1(VALU_DEP_1)
	v_cndmask_b32_e32 v8, 0, v8, vcc_lo
	v_add_nc_u32_e32 v96, v9, v8
	s_wait_dscnt 0x0
	v_mov_b32_e32 v18, v17
	s_branch .LBB203_120
.LBB203_111:
	v_mov_b32_dpp v8, v99 row_shr:1 row_mask:0xf bank_mask:0xf
	s_delay_alu instid0(VALU_DEP_1) | instskip(NEXT) | instid1(VALU_DEP_1)
	v_cndmask_b32_e64 v8, v8, 0, s7
	v_add_nc_u32_e32 v8, v8, v99
	s_delay_alu instid0(VALU_DEP_1) | instskip(NEXT) | instid1(VALU_DEP_1)
	v_mov_b32_dpp v9, v8 row_shr:2 row_mask:0xf bank_mask:0xf
	v_cndmask_b32_e64 v9, 0, v9, s6
	s_delay_alu instid0(VALU_DEP_1) | instskip(NEXT) | instid1(VALU_DEP_1)
	v_add_nc_u32_e32 v8, v8, v9
	v_mov_b32_dpp v9, v8 row_shr:4 row_mask:0xf bank_mask:0xf
	s_delay_alu instid0(VALU_DEP_1) | instskip(NEXT) | instid1(VALU_DEP_1)
	v_cndmask_b32_e64 v9, 0, v9, s5
	v_add_nc_u32_e32 v8, v8, v9
	s_delay_alu instid0(VALU_DEP_1) | instskip(NEXT) | instid1(VALU_DEP_1)
	v_mov_b32_dpp v9, v8 row_shr:8 row_mask:0xf bank_mask:0xf
	v_cndmask_b32_e64 v9, 0, v9, s4
	s_delay_alu instid0(VALU_DEP_1) | instskip(SKIP_3) | instid1(VALU_DEP_1)
	v_add_nc_u32_e32 v8, v8, v9
	ds_swizzle_b32 v9, v8 offset:swizzle(BROADCAST,32,15)
	s_wait_dscnt 0x0
	v_cndmask_b32_e64 v9, v9, 0, s3
	v_add_nc_u32_e32 v8, v8, v9
	s_and_saveexec_b32 s3, s2
; %bb.112:
	v_lshlrev_b32_e32 v9, 2, v98
	ds_store_b32 v9, v8
; %bb.113:
	s_or_b32 exec_lo, exec_lo, s3
	s_delay_alu instid0(SALU_CYCLE_1)
	s_mov_b32 s2, exec_lo
	s_wait_dscnt 0x0
	s_barrier_signal -1
	s_barrier_wait -1
	v_cmpx_gt_u32_e32 8, v0
	s_cbranch_execz .LBB203_115
; %bb.114:
	v_dual_lshlrev_b32 v9, 2, v0 :: v_dual_bitop2_b32 v11, 7, v97 bitop3:0x40
	ds_load_b32 v10, v9
	v_cmp_ne_u32_e32 vcc_lo, 0, v11
	s_wait_dscnt 0x0
	v_mov_b32_dpp v12, v10 row_shr:1 row_mask:0xf bank_mask:0xf
	s_delay_alu instid0(VALU_DEP_1) | instskip(SKIP_1) | instid1(VALU_DEP_2)
	v_cndmask_b32_e32 v12, 0, v12, vcc_lo
	v_cmp_lt_u32_e32 vcc_lo, 1, v11
	v_add_nc_u32_e32 v10, v12, v10
	s_delay_alu instid0(VALU_DEP_1) | instskip(NEXT) | instid1(VALU_DEP_1)
	v_mov_b32_dpp v12, v10 row_shr:2 row_mask:0xf bank_mask:0xf
	v_cndmask_b32_e32 v12, 0, v12, vcc_lo
	v_cmp_lt_u32_e32 vcc_lo, 3, v11
	s_delay_alu instid0(VALU_DEP_2) | instskip(NEXT) | instid1(VALU_DEP_1)
	v_add_nc_u32_e32 v10, v10, v12
	v_mov_b32_dpp v12, v10 row_shr:4 row_mask:0xf bank_mask:0xf
	s_delay_alu instid0(VALU_DEP_1) | instskip(NEXT) | instid1(VALU_DEP_1)
	v_cndmask_b32_e32 v11, 0, v12, vcc_lo
	v_add_nc_u32_e32 v10, v10, v11
	ds_store_b32 v9, v10
.LBB203_115:
	s_or_b32 exec_lo, exec_lo, s2
	v_dual_mov_b32 v10, 0 :: v_dual_mov_b32 v9, 0
	s_mov_b32 s2, exec_lo
	s_wait_dscnt 0x0
	s_barrier_signal -1
	s_barrier_wait -1
	v_cmpx_lt_u32_e32 31, v0
; %bb.116:
	v_lshl_add_u32 v9, v98, 2, -4
	ds_load_b32 v9, v9
; %bb.117:
	s_or_b32 exec_lo, exec_lo, s2
	v_sub_co_u32 v11, vcc_lo, v97, 1
	ds_load_b32 v16, v10 offset:28
	s_wait_dscnt 0x1
	v_add_nc_u32_e32 v8, v9, v8
	v_cmp_gt_i32_e64 s2, 0, v11
	s_delay_alu instid0(VALU_DEP_1) | instskip(SKIP_1) | instid1(VALU_DEP_2)
	v_cndmask_b32_e64 v11, v11, v97, s2
	v_cmp_eq_u32_e64 s2, 0, v0
	v_lshlrev_b32_e32 v11, 2, v11
	ds_bpermute_b32 v8, v11, v8
	s_and_saveexec_b32 s3, s2
	s_cbranch_execz .LBB203_119
; %bb.118:
	v_dual_mov_b32 v10, 0 :: v_dual_mov_b32 v17, 2
	s_wait_xcnt 0x0
	s_wait_dscnt 0x1
	s_wait_kmcnt 0x0
	global_store_b64 v10, v[16:17], s[10:11] offset:256 scope:SCOPE_DEV
.LBB203_119:
	s_wait_xcnt 0x0
	s_or_b32 exec_lo, exec_lo, s3
	s_wait_dscnt 0x0
	v_dual_cndmask_b32 v8, v8, v9, vcc_lo :: v_dual_mov_b32 v18, 0
	s_wait_storecnt 0x0
	s_barrier_signal -1
	s_barrier_wait -1
	s_delay_alu instid0(VALU_DEP_1)
	v_cndmask_b32_e64 v96, v8, 0, s2
.LBB203_120:
	s_delay_alu instid0(VALU_DEP_1)
	v_add_nc_u32_e32 v97, v96, v94
	s_wait_xcnt 0x0
	s_load_b64 s[0:1], s[0:1], 0x28
	v_cmp_gt_u32_e32 vcc_lo, 0x101, v16
	s_mov_b32 s4, -1
	v_dual_add_nc_u32 v95, v97, v95 :: v_dual_bitop2_b32 v68, 1, v68 bitop3:0x40
	s_and_b32 vcc_lo, exec_lo, vcc_lo
	s_delay_alu instid0(VALU_DEP_1) | instskip(NEXT) | instid1(VALU_DEP_1)
	v_add_nc_u32_e32 v94, v95, v92
	v_add_nc_u32_e32 v93, v94, v93
	s_delay_alu instid0(VALU_DEP_1) | instskip(SKIP_2) | instid1(VALU_DEP_1)
	v_add_nc_u32_e32 v92, v93, v89
	s_wait_kmcnt 0x0
	s_add_nc_u64 s[2:3], s[0:1], s[30:31]
	v_add_nc_u32_e32 v90, v92, v90
	s_delay_alu instid0(VALU_DEP_1) | instskip(NEXT) | instid1(VALU_DEP_1)
	v_add_nc_u32_e32 v89, v90, v81
	v_add_nc_u32_e32 v82, v89, v82
	s_delay_alu instid0(VALU_DEP_1) | instskip(NEXT) | instid1(VALU_DEP_1)
	v_add_nc_u32_e32 v81, v82, v79
	;; [unrolled: 3-line block ×10, first 2 shown]
	v_add_nc_u32_e32 v9, v10, v88
	s_delay_alu instid0(VALU_DEP_1)
	v_add_nc_u32_e32 v8, v9, v91
	s_cbranch_vccnz .LBB203_124
; %bb.121:
	s_and_b32 vcc_lo, exec_lo, s4
	s_cbranch_vccnz .LBB203_181
.LBB203_122:
	v_cmp_eq_u32_e32 vcc_lo, 0, v0
	s_and_b32 s0, vcc_lo, s29
	s_delay_alu instid0(SALU_CYCLE_1)
	s_and_saveexec_b32 s1, s0
	s_cbranch_execnz .LBB203_251
.LBB203_123:
	s_sendmsg sendmsg(MSG_DEALLOC_VGPRS)
	s_endpgm
.LBB203_124:
	v_add_nc_u32_e32 v75, v18, v16
	v_cmp_eq_u32_e64 s0, 1, v68
	s_delay_alu instid0(VALU_DEP_2) | instskip(SKIP_1) | instid1(SALU_CYCLE_1)
	v_cmp_lt_u32_e32 vcc_lo, v96, v75
	s_or_b32 s1, s33, vcc_lo
	s_and_b32 s1, s1, s0
	s_delay_alu instid0(SALU_CYCLE_1)
	s_and_saveexec_b32 s0, s1
	s_cbranch_execz .LBB203_126
; %bb.125:
	global_store_b8 v96, v6, s[2:3]
.LBB203_126:
	s_wait_xcnt 0x0
	s_or_b32 exec_lo, exec_lo, s0
	v_and_b32_e32 v76, 1, v67
	v_cmp_lt_u32_e32 vcc_lo, v97, v75
	s_delay_alu instid0(VALU_DEP_2) | instskip(SKIP_1) | instid1(SALU_CYCLE_1)
	v_cmp_eq_u32_e64 s0, 1, v76
	s_or_b32 s1, s33, vcc_lo
	s_and_b32 s1, s1, s0
	s_delay_alu instid0(SALU_CYCLE_1)
	s_and_saveexec_b32 s0, s1
	s_cbranch_execz .LBB203_128
; %bb.127:
	global_store_b8 v97, v40, s[2:3]
.LBB203_128:
	s_wait_xcnt 0x0
	s_or_b32 exec_lo, exec_lo, s0
	v_and_b32_e32 v76, 1, v66
	v_cmp_lt_u32_e32 vcc_lo, v95, v75
	s_delay_alu instid0(VALU_DEP_2) | instskip(SKIP_1) | instid1(SALU_CYCLE_1)
	v_cmp_eq_u32_e64 s0, 1, v76
	;; [unrolled: 14-line block ×27, first 2 shown]
	s_or_b32 s1, s33, vcc_lo
	s_and_b32 s1, s1, s0
	s_delay_alu instid0(SALU_CYCLE_1)
	s_and_saveexec_b32 s0, s1
	s_cbranch_execz .LBB203_180
; %bb.179:
	global_store_b8 v8, v1, s[2:3]
.LBB203_180:
	s_wait_xcnt 0x0
	s_or_b32 exec_lo, exec_lo, s0
	s_branch .LBB203_122
.LBB203_181:
	s_mov_b32 s0, exec_lo
	v_cmpx_eq_u32_e32 1, v68
; %bb.182:
	v_sub_nc_u32_e32 v68, v96, v18
	ds_store_b8 v68, v6
; %bb.183:
	s_or_b32 exec_lo, exec_lo, s0
	v_and_b32_e32 v6, 1, v67
	s_mov_b32 s0, exec_lo
	s_delay_alu instid0(VALU_DEP_1)
	v_cmpx_eq_u32_e32 1, v6
; %bb.184:
	v_sub_nc_u32_e32 v6, v97, v18
	ds_store_b8 v6, v40
; %bb.185:
	s_or_b32 exec_lo, exec_lo, s0
	v_and_b32_e32 v6, 1, v66
	s_mov_b32 s0, exec_lo
	s_delay_alu instid0(VALU_DEP_1)
	;; [unrolled: 9-line block ×27, first 2 shown]
	v_cmpx_eq_u32_e32 1, v2
; %bb.236:
	v_sub_nc_u32_e32 v2, v8, v18
	ds_store_b8 v2, v1
; %bb.237:
	s_or_b32 exec_lo, exec_lo, s0
	v_or_b32_e32 v1, 0x100, v0
	v_mov_b32_e32 v19, 0
	s_mov_b32 s1, exec_lo
	s_wait_storecnt_dscnt 0x0
	s_barrier_signal -1
	v_max_u32_e32 v3, v16, v1
	v_add_nc_u64_e32 v[20:21], s[2:3], v[18:19]
	s_mov_b32 s3, -1
	s_barrier_wait -1
	s_delay_alu instid0(VALU_DEP_2) | instskip(NEXT) | instid1(VALU_DEP_1)
	v_xad_u32 v2, v0, -1, v3
	v_cmp_gt_u32_e64 s0, 0x1f00, v2
	v_cmpx_lt_u32_e32 0x1eff, v2
	s_cbranch_execz .LBB203_247
; %bb.238:
	v_sub_nc_u32_e32 v3, v0, v3
	s_mov_b32 s2, exec_lo
	s_delay_alu instid0(VALU_DEP_1) | instskip(NEXT) | instid1(VALU_DEP_1)
	v_or_b32_e32 v3, 0xff, v3
	v_cmpx_ge_u32_e64 v3, v0
	s_cbranch_execz .LBB203_246
; %bb.239:
	v_or_b32_e32 v7, 0x700, v0
	v_or_b32_e32 v6, 0x600, v0
	v_dual_mov_b32 v22, 0 :: v_dual_lshrrev_b32 v17, 8, v2
	v_or_b32_e32 v5, 0x500, v0
	v_or_b32_e32 v4, 0x400, v0
	;; [unrolled: 1-line block ×4, first 2 shown]
	v_mov_b64_e32 v[14:15], v[6:7]
	v_mov_b64_e32 v[8:9], v[0:1]
	;; [unrolled: 1-line block ×3, first 2 shown]
	v_add_nc_u32_e32 v19, -7, v17
	v_mov_b64_e32 v[10:11], v[2:3]
	s_mov_b32 s3, exec_lo
	s_delay_alu instid0(VALU_DEP_2)
	v_cmpx_lt_u32_e32 7, v19
	s_cbranch_execz .LBB203_243
; %bb.240:
	v_dual_mov_b32 v23, 0 :: v_dual_lshrrev_b32 v8, 3, v19
	s_mov_b32 s4, 0
	s_mov_b32 s5, 0
	s_delay_alu instid0(VALU_DEP_1) | instskip(NEXT) | instid1(VALU_DEP_1)
	v_dual_mov_b32 v24, v0 :: v_dual_add_nc_u32 v8, 1, v8
	v_and_b32_e32 v25, 0x3ffffffe, v8
	v_mov_b64_e32 v[14:15], v[6:7]
	v_mov_b64_e32 v[12:13], v[4:5]
	;; [unrolled: 1-line block ×4, first 2 shown]
.LBB203_241:                            ; =>This Inner Loop Header: Depth=1
	s_delay_alu instid0(VALU_DEP_1)
	v_dual_mov_b32 v22, v8 :: v_dual_mov_b32 v33, v23
	v_add_nc_u32_e32 v25, -2, v25
	s_add_co_i32 s5, s5, 16
	s_delay_alu instid0(VALU_DEP_3) | instid1(SALU_CYCLE_1)
	v_dual_mov_b32 v1, s5 :: v_dual_add_nc_u32 v32, 0x800, v9
	s_delay_alu instid0(VALU_DEP_3)
	v_add_nc_u64_e32 v[34:35], v[20:21], v[22:23]
	v_dual_mov_b32 v22, v9 :: v_dual_add_nc_u32 v9, 0x1000, v9
	ds_load_u8 v42, v24
	ds_load_u8 v43, v24 offset:256
	ds_load_u8 v44, v24 offset:512
	;; [unrolled: 1-line block ×7, first 2 shown]
	v_dual_mov_b32 v5, v23 :: v_dual_add_nc_u32 v28, 0x800, v11
	v_add_nc_u64_e32 v[36:37], v[20:21], v[22:23]
	v_mov_b32_e32 v22, v10
	ds_load_u8 v50, v24 offset:2048
	ds_load_u8 v51, v24 offset:2304
	;; [unrolled: 1-line block ×8, first 2 shown]
	v_dual_mov_b32 v31, v23 :: v_dual_add_nc_u32 v2, 0x800, v15
	s_wait_dscnt 0xf
	global_store_b8 v[34:35], v42, off
	s_wait_dscnt 0xe
	global_store_b8 v[36:37], v43, off
	v_add_nc_u64_e32 v[38:39], v[20:21], v[22:23]
	v_dual_mov_b32 v22, v11 :: v_dual_add_nc_u32 v11, 0x1000, v11
	v_dual_mov_b32 v3, v23 :: v_dual_add_nc_u32 v30, 0x800, v10
	;; [unrolled: 1-line block ×3, first 2 shown]
	s_delay_alu instid0(VALU_DEP_3)
	v_add_nc_u64_e32 v[40:41], v[20:21], v[22:23]
	v_mov_b32_e32 v22, v12
	s_wait_dscnt 0xd
	global_store_b8 v[38:39], v44, off
	v_dual_mov_b32 v27, v23 :: v_dual_add_nc_u32 v6, 0x800, v13
	v_dual_mov_b32 v7, v23 :: v_dual_add_nc_u32 v26, 0x800, v12
	s_wait_xcnt 0x2
	v_add_nc_u64_e32 v[34:35], v[20:21], v[22:23]
	v_mov_b32_e32 v22, v13
	s_wait_dscnt 0xc
	global_store_b8 v[40:41], v45, off
	v_cmp_eq_u32_e32 vcc_lo, 0, v25
	v_add_nc_u32_e32 v24, 0x1000, v24
	v_add_nc_u64_e32 v[32:33], v[20:21], v[32:33]
	s_wait_xcnt 0x2
	v_add_nc_u64_e32 v[36:37], v[20:21], v[22:23]
	v_mov_b32_e32 v22, v14
	s_wait_dscnt 0xb
	global_store_b8 v[34:35], v46, off
	v_add_nc_u32_e32 v10, 0x1000, v10
	v_add_nc_u32_e32 v12, 0x1000, v12
	;; [unrolled: 1-line block ×3, first 2 shown]
	s_wait_xcnt 0x0
	v_add_nc_u64_e32 v[34:35], v[20:21], v[22:23]
	v_mov_b32_e32 v22, v15
	s_wait_dscnt 0xa
	global_store_b8 v[36:37], v47, off
	v_add_nc_u32_e32 v14, 0x1000, v14
	v_add_nc_u32_e32 v15, 0x1000, v15
	v_add_nc_u64_e32 v[30:31], v[20:21], v[30:31]
	s_wait_xcnt 0x0
	v_add_nc_u64_e32 v[36:37], v[20:21], v[22:23]
	v_add_nc_u32_e32 v22, 0x800, v8
	s_wait_dscnt 0x9
	global_store_b8 v[34:35], v48, off
	v_add_nc_u32_e32 v8, 0x1000, v8
	v_add_nc_u64_e32 v[28:29], v[20:21], v[28:29]
	v_add_nc_u64_e32 v[26:27], v[20:21], v[26:27]
	s_wait_xcnt 0x0
	v_add_nc_u64_e32 v[34:35], v[20:21], v[22:23]
	s_or_b32 s4, vcc_lo, s4
	v_add_nc_u64_e32 v[6:7], v[20:21], v[6:7]
	v_add_nc_u64_e32 v[4:5], v[20:21], v[4:5]
	;; [unrolled: 1-line block ×3, first 2 shown]
	s_wait_dscnt 0x8
	global_store_b8 v[36:37], v49, off
	s_wait_dscnt 0x7
	global_store_b8 v[34:35], v50, off
	;; [unrolled: 2-line block ×9, first 2 shown]
	s_wait_xcnt 0x0
	s_and_not1_b32 exec_lo, exec_lo, s4
	s_cbranch_execnz .LBB203_241
; %bb.242:
	s_or_b32 exec_lo, exec_lo, s4
	v_lshlrev_b32_e32 v22, 8, v1
.LBB203_243:
	s_or_b32 exec_lo, exec_lo, s3
	v_and_b32_e32 v1, 8, v19
	s_mov_b32 s3, exec_lo
	s_delay_alu instid0(VALU_DEP_1)
	v_cmpx_eq_u32_e32 0, v1
	s_cbranch_execz .LBB203_245
; %bb.244:
	v_dual_mov_b32 v3, 0 :: v_dual_mov_b32 v2, v8
	v_or_b32_e32 v1, v0, v22
	ds_load_u8 v19, v1
	ds_load_u8 v26, v1 offset:256
	ds_load_u8 v27, v1 offset:512
	ds_load_u8 v28, v1 offset:768
	ds_load_u8 v29, v1 offset:1024
	ds_load_u8 v30, v1 offset:1280
	ds_load_u8 v31, v1 offset:1536
	ds_load_u8 v1, v1 offset:1792
	v_add_nc_u64_e32 v[4:5], v[20:21], v[2:3]
	v_mov_b32_e32 v2, v9
	s_delay_alu instid0(VALU_DEP_1) | instskip(SKIP_1) | instid1(VALU_DEP_1)
	v_add_nc_u64_e32 v[6:7], v[20:21], v[2:3]
	v_mov_b32_e32 v2, v10
	v_add_nc_u64_e32 v[8:9], v[20:21], v[2:3]
	v_mov_b32_e32 v2, v11
	s_delay_alu instid0(VALU_DEP_1) | instskip(SKIP_1) | instid1(VALU_DEP_1)
	v_add_nc_u64_e32 v[10:11], v[20:21], v[2:3]
	v_mov_b32_e32 v2, v12
	;; [unrolled: 5-line block ×3, first 2 shown]
	v_add_nc_u64_e32 v[24:25], v[20:21], v[2:3]
	v_mov_b32_e32 v2, v15
	s_delay_alu instid0(VALU_DEP_1)
	v_add_nc_u64_e32 v[2:3], v[20:21], v[2:3]
	s_wait_dscnt 0x7
	global_store_b8 v[4:5], v19, off
	s_wait_dscnt 0x6
	global_store_b8 v[6:7], v26, off
	;; [unrolled: 2-line block ×8, first 2 shown]
.LBB203_245:
	s_wait_xcnt 0x0
	s_or_b32 exec_lo, exec_lo, s3
	v_add_nc_u32_e32 v1, 1, v17
	s_delay_alu instid0(VALU_DEP_1) | instskip(NEXT) | instid1(VALU_DEP_1)
	v_and_b32_e32 v2, 0x1fffff8, v1
	v_cmp_ne_u32_e32 vcc_lo, v1, v2
	v_lshl_or_b32 v22, v2, 8, v0
	s_or_not1_b32 s3, vcc_lo, exec_lo
.LBB203_246:
	s_or_b32 exec_lo, exec_lo, s2
	s_delay_alu instid0(SALU_CYCLE_1) | instskip(SKIP_1) | instid1(SALU_CYCLE_1)
	s_and_not1_b32 s0, s0, exec_lo
	s_and_b32 s2, s3, exec_lo
	s_or_b32 s0, s0, s2
.LBB203_247:
	s_or_b32 exec_lo, exec_lo, s1
	s_and_saveexec_b32 s1, s0
	s_cbranch_execz .LBB203_250
; %bb.248:
	s_mov_b32 s0, 0
.LBB203_249:                            ; =>This Inner Loop Header: Depth=1
	ds_load_u8 v1, v22
	v_readfirstlane_b32 s2, v20
	v_readfirstlane_b32 s3, v21
	s_wait_dscnt 0x0
	global_store_b8 v22, v1, s[2:3]
	s_wait_xcnt 0x0
	v_add_nc_u32_e32 v22, 0x100, v22
	s_delay_alu instid0(VALU_DEP_1) | instskip(SKIP_1) | instid1(SALU_CYCLE_1)
	v_cmp_ge_u32_e32 vcc_lo, v22, v16
	s_or_b32 s0, vcc_lo, s0
	s_and_not1_b32 exec_lo, exec_lo, s0
	s_cbranch_execnz .LBB203_249
.LBB203_250:
	s_or_b32 exec_lo, exec_lo, s1
	v_cmp_eq_u32_e32 vcc_lo, 0, v0
	s_and_b32 s0, vcc_lo, s29
	s_delay_alu instid0(SALU_CYCLE_1)
	s_and_saveexec_b32 s1, s0
	s_cbranch_execz .LBB203_123
.LBB203_251:
	v_mov_b32_e32 v17, 0
	s_delay_alu instid0(VALU_DEP_1) | instskip(SKIP_1) | instid1(VALU_DEP_1)
	v_add_nc_u64_e32 v[0:1], s[30:31], v[16:17]
	v_mov_b32_e32 v19, v17
	v_add_nc_u64_e32 v[0:1], v[0:1], v[18:19]
	global_store_b64 v17, v[0:1], s[36:37]
	s_sendmsg sendmsg(MSG_DEALLOC_VGPRS)
	s_endpgm
	.section	.rodata,"a",@progbits
	.p2align	6, 0x0
	.amdhsa_kernel _ZN7rocprim17ROCPRIM_400000_NS6detail17trampoline_kernelINS0_14default_configENS1_25partition_config_selectorILNS1_17partition_subalgoE8EaNS0_10empty_typeEbEEZZNS1_14partition_implILS5_8ELb0ES3_jPKaPS6_PKS6_NS0_5tupleIJPaS6_EEENSE_IJSB_SB_EEENS0_18inequality_wrapperIN6hipcub16HIPCUB_304000_NS8EqualityEEEPlJS6_EEE10hipError_tPvRmT3_T4_T5_T6_T7_T9_mT8_P12ihipStream_tbDpT10_ENKUlT_T0_E_clISt17integral_constantIbLb0EES17_EEDaS12_S13_EUlS12_E_NS1_11comp_targetILNS1_3genE0ELNS1_11target_archE4294967295ELNS1_3gpuE0ELNS1_3repE0EEENS1_30default_config_static_selectorELNS0_4arch9wavefront6targetE0EEEvT1_
		.amdhsa_group_segment_fixed_size 7176
		.amdhsa_private_segment_fixed_size 0
		.amdhsa_kernarg_size 112
		.amdhsa_user_sgpr_count 2
		.amdhsa_user_sgpr_dispatch_ptr 0
		.amdhsa_user_sgpr_queue_ptr 0
		.amdhsa_user_sgpr_kernarg_segment_ptr 1
		.amdhsa_user_sgpr_dispatch_id 0
		.amdhsa_user_sgpr_kernarg_preload_length 0
		.amdhsa_user_sgpr_kernarg_preload_offset 0
		.amdhsa_user_sgpr_private_segment_size 0
		.amdhsa_wavefront_size32 1
		.amdhsa_uses_dynamic_stack 0
		.amdhsa_enable_private_segment 0
		.amdhsa_system_sgpr_workgroup_id_x 1
		.amdhsa_system_sgpr_workgroup_id_y 0
		.amdhsa_system_sgpr_workgroup_id_z 0
		.amdhsa_system_sgpr_workgroup_info 0
		.amdhsa_system_vgpr_workitem_id 0
		.amdhsa_next_free_vgpr 109
		.amdhsa_next_free_sgpr 47
		.amdhsa_named_barrier_count 0
		.amdhsa_reserve_vcc 1
		.amdhsa_float_round_mode_32 0
		.amdhsa_float_round_mode_16_64 0
		.amdhsa_float_denorm_mode_32 3
		.amdhsa_float_denorm_mode_16_64 3
		.amdhsa_fp16_overflow 0
		.amdhsa_memory_ordered 1
		.amdhsa_forward_progress 1
		.amdhsa_inst_pref_size 107
		.amdhsa_round_robin_scheduling 0
		.amdhsa_exception_fp_ieee_invalid_op 0
		.amdhsa_exception_fp_denorm_src 0
		.amdhsa_exception_fp_ieee_div_zero 0
		.amdhsa_exception_fp_ieee_overflow 0
		.amdhsa_exception_fp_ieee_underflow 0
		.amdhsa_exception_fp_ieee_inexact 0
		.amdhsa_exception_int_div_zero 0
	.end_amdhsa_kernel
	.section	.text._ZN7rocprim17ROCPRIM_400000_NS6detail17trampoline_kernelINS0_14default_configENS1_25partition_config_selectorILNS1_17partition_subalgoE8EaNS0_10empty_typeEbEEZZNS1_14partition_implILS5_8ELb0ES3_jPKaPS6_PKS6_NS0_5tupleIJPaS6_EEENSE_IJSB_SB_EEENS0_18inequality_wrapperIN6hipcub16HIPCUB_304000_NS8EqualityEEEPlJS6_EEE10hipError_tPvRmT3_T4_T5_T6_T7_T9_mT8_P12ihipStream_tbDpT10_ENKUlT_T0_E_clISt17integral_constantIbLb0EES17_EEDaS12_S13_EUlS12_E_NS1_11comp_targetILNS1_3genE0ELNS1_11target_archE4294967295ELNS1_3gpuE0ELNS1_3repE0EEENS1_30default_config_static_selectorELNS0_4arch9wavefront6targetE0EEEvT1_,"axG",@progbits,_ZN7rocprim17ROCPRIM_400000_NS6detail17trampoline_kernelINS0_14default_configENS1_25partition_config_selectorILNS1_17partition_subalgoE8EaNS0_10empty_typeEbEEZZNS1_14partition_implILS5_8ELb0ES3_jPKaPS6_PKS6_NS0_5tupleIJPaS6_EEENSE_IJSB_SB_EEENS0_18inequality_wrapperIN6hipcub16HIPCUB_304000_NS8EqualityEEEPlJS6_EEE10hipError_tPvRmT3_T4_T5_T6_T7_T9_mT8_P12ihipStream_tbDpT10_ENKUlT_T0_E_clISt17integral_constantIbLb0EES17_EEDaS12_S13_EUlS12_E_NS1_11comp_targetILNS1_3genE0ELNS1_11target_archE4294967295ELNS1_3gpuE0ELNS1_3repE0EEENS1_30default_config_static_selectorELNS0_4arch9wavefront6targetE0EEEvT1_,comdat
.Lfunc_end203:
	.size	_ZN7rocprim17ROCPRIM_400000_NS6detail17trampoline_kernelINS0_14default_configENS1_25partition_config_selectorILNS1_17partition_subalgoE8EaNS0_10empty_typeEbEEZZNS1_14partition_implILS5_8ELb0ES3_jPKaPS6_PKS6_NS0_5tupleIJPaS6_EEENSE_IJSB_SB_EEENS0_18inequality_wrapperIN6hipcub16HIPCUB_304000_NS8EqualityEEEPlJS6_EEE10hipError_tPvRmT3_T4_T5_T6_T7_T9_mT8_P12ihipStream_tbDpT10_ENKUlT_T0_E_clISt17integral_constantIbLb0EES17_EEDaS12_S13_EUlS12_E_NS1_11comp_targetILNS1_3genE0ELNS1_11target_archE4294967295ELNS1_3gpuE0ELNS1_3repE0EEENS1_30default_config_static_selectorELNS0_4arch9wavefront6targetE0EEEvT1_, .Lfunc_end203-_ZN7rocprim17ROCPRIM_400000_NS6detail17trampoline_kernelINS0_14default_configENS1_25partition_config_selectorILNS1_17partition_subalgoE8EaNS0_10empty_typeEbEEZZNS1_14partition_implILS5_8ELb0ES3_jPKaPS6_PKS6_NS0_5tupleIJPaS6_EEENSE_IJSB_SB_EEENS0_18inequality_wrapperIN6hipcub16HIPCUB_304000_NS8EqualityEEEPlJS6_EEE10hipError_tPvRmT3_T4_T5_T6_T7_T9_mT8_P12ihipStream_tbDpT10_ENKUlT_T0_E_clISt17integral_constantIbLb0EES17_EEDaS12_S13_EUlS12_E_NS1_11comp_targetILNS1_3genE0ELNS1_11target_archE4294967295ELNS1_3gpuE0ELNS1_3repE0EEENS1_30default_config_static_selectorELNS0_4arch9wavefront6targetE0EEEvT1_
                                        ; -- End function
	.set _ZN7rocprim17ROCPRIM_400000_NS6detail17trampoline_kernelINS0_14default_configENS1_25partition_config_selectorILNS1_17partition_subalgoE8EaNS0_10empty_typeEbEEZZNS1_14partition_implILS5_8ELb0ES3_jPKaPS6_PKS6_NS0_5tupleIJPaS6_EEENSE_IJSB_SB_EEENS0_18inequality_wrapperIN6hipcub16HIPCUB_304000_NS8EqualityEEEPlJS6_EEE10hipError_tPvRmT3_T4_T5_T6_T7_T9_mT8_P12ihipStream_tbDpT10_ENKUlT_T0_E_clISt17integral_constantIbLb0EES17_EEDaS12_S13_EUlS12_E_NS1_11comp_targetILNS1_3genE0ELNS1_11target_archE4294967295ELNS1_3gpuE0ELNS1_3repE0EEENS1_30default_config_static_selectorELNS0_4arch9wavefront6targetE0EEEvT1_.num_vgpr, 109
	.set _ZN7rocprim17ROCPRIM_400000_NS6detail17trampoline_kernelINS0_14default_configENS1_25partition_config_selectorILNS1_17partition_subalgoE8EaNS0_10empty_typeEbEEZZNS1_14partition_implILS5_8ELb0ES3_jPKaPS6_PKS6_NS0_5tupleIJPaS6_EEENSE_IJSB_SB_EEENS0_18inequality_wrapperIN6hipcub16HIPCUB_304000_NS8EqualityEEEPlJS6_EEE10hipError_tPvRmT3_T4_T5_T6_T7_T9_mT8_P12ihipStream_tbDpT10_ENKUlT_T0_E_clISt17integral_constantIbLb0EES17_EEDaS12_S13_EUlS12_E_NS1_11comp_targetILNS1_3genE0ELNS1_11target_archE4294967295ELNS1_3gpuE0ELNS1_3repE0EEENS1_30default_config_static_selectorELNS0_4arch9wavefront6targetE0EEEvT1_.num_agpr, 0
	.set _ZN7rocprim17ROCPRIM_400000_NS6detail17trampoline_kernelINS0_14default_configENS1_25partition_config_selectorILNS1_17partition_subalgoE8EaNS0_10empty_typeEbEEZZNS1_14partition_implILS5_8ELb0ES3_jPKaPS6_PKS6_NS0_5tupleIJPaS6_EEENSE_IJSB_SB_EEENS0_18inequality_wrapperIN6hipcub16HIPCUB_304000_NS8EqualityEEEPlJS6_EEE10hipError_tPvRmT3_T4_T5_T6_T7_T9_mT8_P12ihipStream_tbDpT10_ENKUlT_T0_E_clISt17integral_constantIbLb0EES17_EEDaS12_S13_EUlS12_E_NS1_11comp_targetILNS1_3genE0ELNS1_11target_archE4294967295ELNS1_3gpuE0ELNS1_3repE0EEENS1_30default_config_static_selectorELNS0_4arch9wavefront6targetE0EEEvT1_.numbered_sgpr, 47
	.set _ZN7rocprim17ROCPRIM_400000_NS6detail17trampoline_kernelINS0_14default_configENS1_25partition_config_selectorILNS1_17partition_subalgoE8EaNS0_10empty_typeEbEEZZNS1_14partition_implILS5_8ELb0ES3_jPKaPS6_PKS6_NS0_5tupleIJPaS6_EEENSE_IJSB_SB_EEENS0_18inequality_wrapperIN6hipcub16HIPCUB_304000_NS8EqualityEEEPlJS6_EEE10hipError_tPvRmT3_T4_T5_T6_T7_T9_mT8_P12ihipStream_tbDpT10_ENKUlT_T0_E_clISt17integral_constantIbLb0EES17_EEDaS12_S13_EUlS12_E_NS1_11comp_targetILNS1_3genE0ELNS1_11target_archE4294967295ELNS1_3gpuE0ELNS1_3repE0EEENS1_30default_config_static_selectorELNS0_4arch9wavefront6targetE0EEEvT1_.num_named_barrier, 0
	.set _ZN7rocprim17ROCPRIM_400000_NS6detail17trampoline_kernelINS0_14default_configENS1_25partition_config_selectorILNS1_17partition_subalgoE8EaNS0_10empty_typeEbEEZZNS1_14partition_implILS5_8ELb0ES3_jPKaPS6_PKS6_NS0_5tupleIJPaS6_EEENSE_IJSB_SB_EEENS0_18inequality_wrapperIN6hipcub16HIPCUB_304000_NS8EqualityEEEPlJS6_EEE10hipError_tPvRmT3_T4_T5_T6_T7_T9_mT8_P12ihipStream_tbDpT10_ENKUlT_T0_E_clISt17integral_constantIbLb0EES17_EEDaS12_S13_EUlS12_E_NS1_11comp_targetILNS1_3genE0ELNS1_11target_archE4294967295ELNS1_3gpuE0ELNS1_3repE0EEENS1_30default_config_static_selectorELNS0_4arch9wavefront6targetE0EEEvT1_.private_seg_size, 0
	.set _ZN7rocprim17ROCPRIM_400000_NS6detail17trampoline_kernelINS0_14default_configENS1_25partition_config_selectorILNS1_17partition_subalgoE8EaNS0_10empty_typeEbEEZZNS1_14partition_implILS5_8ELb0ES3_jPKaPS6_PKS6_NS0_5tupleIJPaS6_EEENSE_IJSB_SB_EEENS0_18inequality_wrapperIN6hipcub16HIPCUB_304000_NS8EqualityEEEPlJS6_EEE10hipError_tPvRmT3_T4_T5_T6_T7_T9_mT8_P12ihipStream_tbDpT10_ENKUlT_T0_E_clISt17integral_constantIbLb0EES17_EEDaS12_S13_EUlS12_E_NS1_11comp_targetILNS1_3genE0ELNS1_11target_archE4294967295ELNS1_3gpuE0ELNS1_3repE0EEENS1_30default_config_static_selectorELNS0_4arch9wavefront6targetE0EEEvT1_.uses_vcc, 1
	.set _ZN7rocprim17ROCPRIM_400000_NS6detail17trampoline_kernelINS0_14default_configENS1_25partition_config_selectorILNS1_17partition_subalgoE8EaNS0_10empty_typeEbEEZZNS1_14partition_implILS5_8ELb0ES3_jPKaPS6_PKS6_NS0_5tupleIJPaS6_EEENSE_IJSB_SB_EEENS0_18inequality_wrapperIN6hipcub16HIPCUB_304000_NS8EqualityEEEPlJS6_EEE10hipError_tPvRmT3_T4_T5_T6_T7_T9_mT8_P12ihipStream_tbDpT10_ENKUlT_T0_E_clISt17integral_constantIbLb0EES17_EEDaS12_S13_EUlS12_E_NS1_11comp_targetILNS1_3genE0ELNS1_11target_archE4294967295ELNS1_3gpuE0ELNS1_3repE0EEENS1_30default_config_static_selectorELNS0_4arch9wavefront6targetE0EEEvT1_.uses_flat_scratch, 0
	.set _ZN7rocprim17ROCPRIM_400000_NS6detail17trampoline_kernelINS0_14default_configENS1_25partition_config_selectorILNS1_17partition_subalgoE8EaNS0_10empty_typeEbEEZZNS1_14partition_implILS5_8ELb0ES3_jPKaPS6_PKS6_NS0_5tupleIJPaS6_EEENSE_IJSB_SB_EEENS0_18inequality_wrapperIN6hipcub16HIPCUB_304000_NS8EqualityEEEPlJS6_EEE10hipError_tPvRmT3_T4_T5_T6_T7_T9_mT8_P12ihipStream_tbDpT10_ENKUlT_T0_E_clISt17integral_constantIbLb0EES17_EEDaS12_S13_EUlS12_E_NS1_11comp_targetILNS1_3genE0ELNS1_11target_archE4294967295ELNS1_3gpuE0ELNS1_3repE0EEENS1_30default_config_static_selectorELNS0_4arch9wavefront6targetE0EEEvT1_.has_dyn_sized_stack, 0
	.set _ZN7rocprim17ROCPRIM_400000_NS6detail17trampoline_kernelINS0_14default_configENS1_25partition_config_selectorILNS1_17partition_subalgoE8EaNS0_10empty_typeEbEEZZNS1_14partition_implILS5_8ELb0ES3_jPKaPS6_PKS6_NS0_5tupleIJPaS6_EEENSE_IJSB_SB_EEENS0_18inequality_wrapperIN6hipcub16HIPCUB_304000_NS8EqualityEEEPlJS6_EEE10hipError_tPvRmT3_T4_T5_T6_T7_T9_mT8_P12ihipStream_tbDpT10_ENKUlT_T0_E_clISt17integral_constantIbLb0EES17_EEDaS12_S13_EUlS12_E_NS1_11comp_targetILNS1_3genE0ELNS1_11target_archE4294967295ELNS1_3gpuE0ELNS1_3repE0EEENS1_30default_config_static_selectorELNS0_4arch9wavefront6targetE0EEEvT1_.has_recursion, 0
	.set _ZN7rocprim17ROCPRIM_400000_NS6detail17trampoline_kernelINS0_14default_configENS1_25partition_config_selectorILNS1_17partition_subalgoE8EaNS0_10empty_typeEbEEZZNS1_14partition_implILS5_8ELb0ES3_jPKaPS6_PKS6_NS0_5tupleIJPaS6_EEENSE_IJSB_SB_EEENS0_18inequality_wrapperIN6hipcub16HIPCUB_304000_NS8EqualityEEEPlJS6_EEE10hipError_tPvRmT3_T4_T5_T6_T7_T9_mT8_P12ihipStream_tbDpT10_ENKUlT_T0_E_clISt17integral_constantIbLb0EES17_EEDaS12_S13_EUlS12_E_NS1_11comp_targetILNS1_3genE0ELNS1_11target_archE4294967295ELNS1_3gpuE0ELNS1_3repE0EEENS1_30default_config_static_selectorELNS0_4arch9wavefront6targetE0EEEvT1_.has_indirect_call, 0
	.section	.AMDGPU.csdata,"",@progbits
; Kernel info:
; codeLenInByte = 13688
; TotalNumSgprs: 49
; NumVgprs: 109
; ScratchSize: 0
; MemoryBound: 0
; FloatMode: 240
; IeeeMode: 1
; LDSByteSize: 7176 bytes/workgroup (compile time only)
; SGPRBlocks: 0
; VGPRBlocks: 6
; NumSGPRsForWavesPerEU: 49
; NumVGPRsForWavesPerEU: 109
; NamedBarCnt: 0
; Occupancy: 9
; WaveLimiterHint : 1
; COMPUTE_PGM_RSRC2:SCRATCH_EN: 0
; COMPUTE_PGM_RSRC2:USER_SGPR: 2
; COMPUTE_PGM_RSRC2:TRAP_HANDLER: 0
; COMPUTE_PGM_RSRC2:TGID_X_EN: 1
; COMPUTE_PGM_RSRC2:TGID_Y_EN: 0
; COMPUTE_PGM_RSRC2:TGID_Z_EN: 0
; COMPUTE_PGM_RSRC2:TIDIG_COMP_CNT: 0
	.section	.text._ZN7rocprim17ROCPRIM_400000_NS6detail17trampoline_kernelINS0_14default_configENS1_25partition_config_selectorILNS1_17partition_subalgoE8EaNS0_10empty_typeEbEEZZNS1_14partition_implILS5_8ELb0ES3_jPKaPS6_PKS6_NS0_5tupleIJPaS6_EEENSE_IJSB_SB_EEENS0_18inequality_wrapperIN6hipcub16HIPCUB_304000_NS8EqualityEEEPlJS6_EEE10hipError_tPvRmT3_T4_T5_T6_T7_T9_mT8_P12ihipStream_tbDpT10_ENKUlT_T0_E_clISt17integral_constantIbLb0EES17_EEDaS12_S13_EUlS12_E_NS1_11comp_targetILNS1_3genE5ELNS1_11target_archE942ELNS1_3gpuE9ELNS1_3repE0EEENS1_30default_config_static_selectorELNS0_4arch9wavefront6targetE0EEEvT1_,"axG",@progbits,_ZN7rocprim17ROCPRIM_400000_NS6detail17trampoline_kernelINS0_14default_configENS1_25partition_config_selectorILNS1_17partition_subalgoE8EaNS0_10empty_typeEbEEZZNS1_14partition_implILS5_8ELb0ES3_jPKaPS6_PKS6_NS0_5tupleIJPaS6_EEENSE_IJSB_SB_EEENS0_18inequality_wrapperIN6hipcub16HIPCUB_304000_NS8EqualityEEEPlJS6_EEE10hipError_tPvRmT3_T4_T5_T6_T7_T9_mT8_P12ihipStream_tbDpT10_ENKUlT_T0_E_clISt17integral_constantIbLb0EES17_EEDaS12_S13_EUlS12_E_NS1_11comp_targetILNS1_3genE5ELNS1_11target_archE942ELNS1_3gpuE9ELNS1_3repE0EEENS1_30default_config_static_selectorELNS0_4arch9wavefront6targetE0EEEvT1_,comdat
	.protected	_ZN7rocprim17ROCPRIM_400000_NS6detail17trampoline_kernelINS0_14default_configENS1_25partition_config_selectorILNS1_17partition_subalgoE8EaNS0_10empty_typeEbEEZZNS1_14partition_implILS5_8ELb0ES3_jPKaPS6_PKS6_NS0_5tupleIJPaS6_EEENSE_IJSB_SB_EEENS0_18inequality_wrapperIN6hipcub16HIPCUB_304000_NS8EqualityEEEPlJS6_EEE10hipError_tPvRmT3_T4_T5_T6_T7_T9_mT8_P12ihipStream_tbDpT10_ENKUlT_T0_E_clISt17integral_constantIbLb0EES17_EEDaS12_S13_EUlS12_E_NS1_11comp_targetILNS1_3genE5ELNS1_11target_archE942ELNS1_3gpuE9ELNS1_3repE0EEENS1_30default_config_static_selectorELNS0_4arch9wavefront6targetE0EEEvT1_ ; -- Begin function _ZN7rocprim17ROCPRIM_400000_NS6detail17trampoline_kernelINS0_14default_configENS1_25partition_config_selectorILNS1_17partition_subalgoE8EaNS0_10empty_typeEbEEZZNS1_14partition_implILS5_8ELb0ES3_jPKaPS6_PKS6_NS0_5tupleIJPaS6_EEENSE_IJSB_SB_EEENS0_18inequality_wrapperIN6hipcub16HIPCUB_304000_NS8EqualityEEEPlJS6_EEE10hipError_tPvRmT3_T4_T5_T6_T7_T9_mT8_P12ihipStream_tbDpT10_ENKUlT_T0_E_clISt17integral_constantIbLb0EES17_EEDaS12_S13_EUlS12_E_NS1_11comp_targetILNS1_3genE5ELNS1_11target_archE942ELNS1_3gpuE9ELNS1_3repE0EEENS1_30default_config_static_selectorELNS0_4arch9wavefront6targetE0EEEvT1_
	.globl	_ZN7rocprim17ROCPRIM_400000_NS6detail17trampoline_kernelINS0_14default_configENS1_25partition_config_selectorILNS1_17partition_subalgoE8EaNS0_10empty_typeEbEEZZNS1_14partition_implILS5_8ELb0ES3_jPKaPS6_PKS6_NS0_5tupleIJPaS6_EEENSE_IJSB_SB_EEENS0_18inequality_wrapperIN6hipcub16HIPCUB_304000_NS8EqualityEEEPlJS6_EEE10hipError_tPvRmT3_T4_T5_T6_T7_T9_mT8_P12ihipStream_tbDpT10_ENKUlT_T0_E_clISt17integral_constantIbLb0EES17_EEDaS12_S13_EUlS12_E_NS1_11comp_targetILNS1_3genE5ELNS1_11target_archE942ELNS1_3gpuE9ELNS1_3repE0EEENS1_30default_config_static_selectorELNS0_4arch9wavefront6targetE0EEEvT1_
	.p2align	8
	.type	_ZN7rocprim17ROCPRIM_400000_NS6detail17trampoline_kernelINS0_14default_configENS1_25partition_config_selectorILNS1_17partition_subalgoE8EaNS0_10empty_typeEbEEZZNS1_14partition_implILS5_8ELb0ES3_jPKaPS6_PKS6_NS0_5tupleIJPaS6_EEENSE_IJSB_SB_EEENS0_18inequality_wrapperIN6hipcub16HIPCUB_304000_NS8EqualityEEEPlJS6_EEE10hipError_tPvRmT3_T4_T5_T6_T7_T9_mT8_P12ihipStream_tbDpT10_ENKUlT_T0_E_clISt17integral_constantIbLb0EES17_EEDaS12_S13_EUlS12_E_NS1_11comp_targetILNS1_3genE5ELNS1_11target_archE942ELNS1_3gpuE9ELNS1_3repE0EEENS1_30default_config_static_selectorELNS0_4arch9wavefront6targetE0EEEvT1_,@function
_ZN7rocprim17ROCPRIM_400000_NS6detail17trampoline_kernelINS0_14default_configENS1_25partition_config_selectorILNS1_17partition_subalgoE8EaNS0_10empty_typeEbEEZZNS1_14partition_implILS5_8ELb0ES3_jPKaPS6_PKS6_NS0_5tupleIJPaS6_EEENSE_IJSB_SB_EEENS0_18inequality_wrapperIN6hipcub16HIPCUB_304000_NS8EqualityEEEPlJS6_EEE10hipError_tPvRmT3_T4_T5_T6_T7_T9_mT8_P12ihipStream_tbDpT10_ENKUlT_T0_E_clISt17integral_constantIbLb0EES17_EEDaS12_S13_EUlS12_E_NS1_11comp_targetILNS1_3genE5ELNS1_11target_archE942ELNS1_3gpuE9ELNS1_3repE0EEENS1_30default_config_static_selectorELNS0_4arch9wavefront6targetE0EEEvT1_: ; @_ZN7rocprim17ROCPRIM_400000_NS6detail17trampoline_kernelINS0_14default_configENS1_25partition_config_selectorILNS1_17partition_subalgoE8EaNS0_10empty_typeEbEEZZNS1_14partition_implILS5_8ELb0ES3_jPKaPS6_PKS6_NS0_5tupleIJPaS6_EEENSE_IJSB_SB_EEENS0_18inequality_wrapperIN6hipcub16HIPCUB_304000_NS8EqualityEEEPlJS6_EEE10hipError_tPvRmT3_T4_T5_T6_T7_T9_mT8_P12ihipStream_tbDpT10_ENKUlT_T0_E_clISt17integral_constantIbLb0EES17_EEDaS12_S13_EUlS12_E_NS1_11comp_targetILNS1_3genE5ELNS1_11target_archE942ELNS1_3gpuE9ELNS1_3repE0EEENS1_30default_config_static_selectorELNS0_4arch9wavefront6targetE0EEEvT1_
; %bb.0:
	.section	.rodata,"a",@progbits
	.p2align	6, 0x0
	.amdhsa_kernel _ZN7rocprim17ROCPRIM_400000_NS6detail17trampoline_kernelINS0_14default_configENS1_25partition_config_selectorILNS1_17partition_subalgoE8EaNS0_10empty_typeEbEEZZNS1_14partition_implILS5_8ELb0ES3_jPKaPS6_PKS6_NS0_5tupleIJPaS6_EEENSE_IJSB_SB_EEENS0_18inequality_wrapperIN6hipcub16HIPCUB_304000_NS8EqualityEEEPlJS6_EEE10hipError_tPvRmT3_T4_T5_T6_T7_T9_mT8_P12ihipStream_tbDpT10_ENKUlT_T0_E_clISt17integral_constantIbLb0EES17_EEDaS12_S13_EUlS12_E_NS1_11comp_targetILNS1_3genE5ELNS1_11target_archE942ELNS1_3gpuE9ELNS1_3repE0EEENS1_30default_config_static_selectorELNS0_4arch9wavefront6targetE0EEEvT1_
		.amdhsa_group_segment_fixed_size 0
		.amdhsa_private_segment_fixed_size 0
		.amdhsa_kernarg_size 112
		.amdhsa_user_sgpr_count 2
		.amdhsa_user_sgpr_dispatch_ptr 0
		.amdhsa_user_sgpr_queue_ptr 0
		.amdhsa_user_sgpr_kernarg_segment_ptr 1
		.amdhsa_user_sgpr_dispatch_id 0
		.amdhsa_user_sgpr_kernarg_preload_length 0
		.amdhsa_user_sgpr_kernarg_preload_offset 0
		.amdhsa_user_sgpr_private_segment_size 0
		.amdhsa_wavefront_size32 1
		.amdhsa_uses_dynamic_stack 0
		.amdhsa_enable_private_segment 0
		.amdhsa_system_sgpr_workgroup_id_x 1
		.amdhsa_system_sgpr_workgroup_id_y 0
		.amdhsa_system_sgpr_workgroup_id_z 0
		.amdhsa_system_sgpr_workgroup_info 0
		.amdhsa_system_vgpr_workitem_id 0
		.amdhsa_next_free_vgpr 1
		.amdhsa_next_free_sgpr 1
		.amdhsa_named_barrier_count 0
		.amdhsa_reserve_vcc 0
		.amdhsa_float_round_mode_32 0
		.amdhsa_float_round_mode_16_64 0
		.amdhsa_float_denorm_mode_32 3
		.amdhsa_float_denorm_mode_16_64 3
		.amdhsa_fp16_overflow 0
		.amdhsa_memory_ordered 1
		.amdhsa_forward_progress 1
		.amdhsa_inst_pref_size 0
		.amdhsa_round_robin_scheduling 0
		.amdhsa_exception_fp_ieee_invalid_op 0
		.amdhsa_exception_fp_denorm_src 0
		.amdhsa_exception_fp_ieee_div_zero 0
		.amdhsa_exception_fp_ieee_overflow 0
		.amdhsa_exception_fp_ieee_underflow 0
		.amdhsa_exception_fp_ieee_inexact 0
		.amdhsa_exception_int_div_zero 0
	.end_amdhsa_kernel
	.section	.text._ZN7rocprim17ROCPRIM_400000_NS6detail17trampoline_kernelINS0_14default_configENS1_25partition_config_selectorILNS1_17partition_subalgoE8EaNS0_10empty_typeEbEEZZNS1_14partition_implILS5_8ELb0ES3_jPKaPS6_PKS6_NS0_5tupleIJPaS6_EEENSE_IJSB_SB_EEENS0_18inequality_wrapperIN6hipcub16HIPCUB_304000_NS8EqualityEEEPlJS6_EEE10hipError_tPvRmT3_T4_T5_T6_T7_T9_mT8_P12ihipStream_tbDpT10_ENKUlT_T0_E_clISt17integral_constantIbLb0EES17_EEDaS12_S13_EUlS12_E_NS1_11comp_targetILNS1_3genE5ELNS1_11target_archE942ELNS1_3gpuE9ELNS1_3repE0EEENS1_30default_config_static_selectorELNS0_4arch9wavefront6targetE0EEEvT1_,"axG",@progbits,_ZN7rocprim17ROCPRIM_400000_NS6detail17trampoline_kernelINS0_14default_configENS1_25partition_config_selectorILNS1_17partition_subalgoE8EaNS0_10empty_typeEbEEZZNS1_14partition_implILS5_8ELb0ES3_jPKaPS6_PKS6_NS0_5tupleIJPaS6_EEENSE_IJSB_SB_EEENS0_18inequality_wrapperIN6hipcub16HIPCUB_304000_NS8EqualityEEEPlJS6_EEE10hipError_tPvRmT3_T4_T5_T6_T7_T9_mT8_P12ihipStream_tbDpT10_ENKUlT_T0_E_clISt17integral_constantIbLb0EES17_EEDaS12_S13_EUlS12_E_NS1_11comp_targetILNS1_3genE5ELNS1_11target_archE942ELNS1_3gpuE9ELNS1_3repE0EEENS1_30default_config_static_selectorELNS0_4arch9wavefront6targetE0EEEvT1_,comdat
.Lfunc_end204:
	.size	_ZN7rocprim17ROCPRIM_400000_NS6detail17trampoline_kernelINS0_14default_configENS1_25partition_config_selectorILNS1_17partition_subalgoE8EaNS0_10empty_typeEbEEZZNS1_14partition_implILS5_8ELb0ES3_jPKaPS6_PKS6_NS0_5tupleIJPaS6_EEENSE_IJSB_SB_EEENS0_18inequality_wrapperIN6hipcub16HIPCUB_304000_NS8EqualityEEEPlJS6_EEE10hipError_tPvRmT3_T4_T5_T6_T7_T9_mT8_P12ihipStream_tbDpT10_ENKUlT_T0_E_clISt17integral_constantIbLb0EES17_EEDaS12_S13_EUlS12_E_NS1_11comp_targetILNS1_3genE5ELNS1_11target_archE942ELNS1_3gpuE9ELNS1_3repE0EEENS1_30default_config_static_selectorELNS0_4arch9wavefront6targetE0EEEvT1_, .Lfunc_end204-_ZN7rocprim17ROCPRIM_400000_NS6detail17trampoline_kernelINS0_14default_configENS1_25partition_config_selectorILNS1_17partition_subalgoE8EaNS0_10empty_typeEbEEZZNS1_14partition_implILS5_8ELb0ES3_jPKaPS6_PKS6_NS0_5tupleIJPaS6_EEENSE_IJSB_SB_EEENS0_18inequality_wrapperIN6hipcub16HIPCUB_304000_NS8EqualityEEEPlJS6_EEE10hipError_tPvRmT3_T4_T5_T6_T7_T9_mT8_P12ihipStream_tbDpT10_ENKUlT_T0_E_clISt17integral_constantIbLb0EES17_EEDaS12_S13_EUlS12_E_NS1_11comp_targetILNS1_3genE5ELNS1_11target_archE942ELNS1_3gpuE9ELNS1_3repE0EEENS1_30default_config_static_selectorELNS0_4arch9wavefront6targetE0EEEvT1_
                                        ; -- End function
	.set _ZN7rocprim17ROCPRIM_400000_NS6detail17trampoline_kernelINS0_14default_configENS1_25partition_config_selectorILNS1_17partition_subalgoE8EaNS0_10empty_typeEbEEZZNS1_14partition_implILS5_8ELb0ES3_jPKaPS6_PKS6_NS0_5tupleIJPaS6_EEENSE_IJSB_SB_EEENS0_18inequality_wrapperIN6hipcub16HIPCUB_304000_NS8EqualityEEEPlJS6_EEE10hipError_tPvRmT3_T4_T5_T6_T7_T9_mT8_P12ihipStream_tbDpT10_ENKUlT_T0_E_clISt17integral_constantIbLb0EES17_EEDaS12_S13_EUlS12_E_NS1_11comp_targetILNS1_3genE5ELNS1_11target_archE942ELNS1_3gpuE9ELNS1_3repE0EEENS1_30default_config_static_selectorELNS0_4arch9wavefront6targetE0EEEvT1_.num_vgpr, 0
	.set _ZN7rocprim17ROCPRIM_400000_NS6detail17trampoline_kernelINS0_14default_configENS1_25partition_config_selectorILNS1_17partition_subalgoE8EaNS0_10empty_typeEbEEZZNS1_14partition_implILS5_8ELb0ES3_jPKaPS6_PKS6_NS0_5tupleIJPaS6_EEENSE_IJSB_SB_EEENS0_18inequality_wrapperIN6hipcub16HIPCUB_304000_NS8EqualityEEEPlJS6_EEE10hipError_tPvRmT3_T4_T5_T6_T7_T9_mT8_P12ihipStream_tbDpT10_ENKUlT_T0_E_clISt17integral_constantIbLb0EES17_EEDaS12_S13_EUlS12_E_NS1_11comp_targetILNS1_3genE5ELNS1_11target_archE942ELNS1_3gpuE9ELNS1_3repE0EEENS1_30default_config_static_selectorELNS0_4arch9wavefront6targetE0EEEvT1_.num_agpr, 0
	.set _ZN7rocprim17ROCPRIM_400000_NS6detail17trampoline_kernelINS0_14default_configENS1_25partition_config_selectorILNS1_17partition_subalgoE8EaNS0_10empty_typeEbEEZZNS1_14partition_implILS5_8ELb0ES3_jPKaPS6_PKS6_NS0_5tupleIJPaS6_EEENSE_IJSB_SB_EEENS0_18inequality_wrapperIN6hipcub16HIPCUB_304000_NS8EqualityEEEPlJS6_EEE10hipError_tPvRmT3_T4_T5_T6_T7_T9_mT8_P12ihipStream_tbDpT10_ENKUlT_T0_E_clISt17integral_constantIbLb0EES17_EEDaS12_S13_EUlS12_E_NS1_11comp_targetILNS1_3genE5ELNS1_11target_archE942ELNS1_3gpuE9ELNS1_3repE0EEENS1_30default_config_static_selectorELNS0_4arch9wavefront6targetE0EEEvT1_.numbered_sgpr, 0
	.set _ZN7rocprim17ROCPRIM_400000_NS6detail17trampoline_kernelINS0_14default_configENS1_25partition_config_selectorILNS1_17partition_subalgoE8EaNS0_10empty_typeEbEEZZNS1_14partition_implILS5_8ELb0ES3_jPKaPS6_PKS6_NS0_5tupleIJPaS6_EEENSE_IJSB_SB_EEENS0_18inequality_wrapperIN6hipcub16HIPCUB_304000_NS8EqualityEEEPlJS6_EEE10hipError_tPvRmT3_T4_T5_T6_T7_T9_mT8_P12ihipStream_tbDpT10_ENKUlT_T0_E_clISt17integral_constantIbLb0EES17_EEDaS12_S13_EUlS12_E_NS1_11comp_targetILNS1_3genE5ELNS1_11target_archE942ELNS1_3gpuE9ELNS1_3repE0EEENS1_30default_config_static_selectorELNS0_4arch9wavefront6targetE0EEEvT1_.num_named_barrier, 0
	.set _ZN7rocprim17ROCPRIM_400000_NS6detail17trampoline_kernelINS0_14default_configENS1_25partition_config_selectorILNS1_17partition_subalgoE8EaNS0_10empty_typeEbEEZZNS1_14partition_implILS5_8ELb0ES3_jPKaPS6_PKS6_NS0_5tupleIJPaS6_EEENSE_IJSB_SB_EEENS0_18inequality_wrapperIN6hipcub16HIPCUB_304000_NS8EqualityEEEPlJS6_EEE10hipError_tPvRmT3_T4_T5_T6_T7_T9_mT8_P12ihipStream_tbDpT10_ENKUlT_T0_E_clISt17integral_constantIbLb0EES17_EEDaS12_S13_EUlS12_E_NS1_11comp_targetILNS1_3genE5ELNS1_11target_archE942ELNS1_3gpuE9ELNS1_3repE0EEENS1_30default_config_static_selectorELNS0_4arch9wavefront6targetE0EEEvT1_.private_seg_size, 0
	.set _ZN7rocprim17ROCPRIM_400000_NS6detail17trampoline_kernelINS0_14default_configENS1_25partition_config_selectorILNS1_17partition_subalgoE8EaNS0_10empty_typeEbEEZZNS1_14partition_implILS5_8ELb0ES3_jPKaPS6_PKS6_NS0_5tupleIJPaS6_EEENSE_IJSB_SB_EEENS0_18inequality_wrapperIN6hipcub16HIPCUB_304000_NS8EqualityEEEPlJS6_EEE10hipError_tPvRmT3_T4_T5_T6_T7_T9_mT8_P12ihipStream_tbDpT10_ENKUlT_T0_E_clISt17integral_constantIbLb0EES17_EEDaS12_S13_EUlS12_E_NS1_11comp_targetILNS1_3genE5ELNS1_11target_archE942ELNS1_3gpuE9ELNS1_3repE0EEENS1_30default_config_static_selectorELNS0_4arch9wavefront6targetE0EEEvT1_.uses_vcc, 0
	.set _ZN7rocprim17ROCPRIM_400000_NS6detail17trampoline_kernelINS0_14default_configENS1_25partition_config_selectorILNS1_17partition_subalgoE8EaNS0_10empty_typeEbEEZZNS1_14partition_implILS5_8ELb0ES3_jPKaPS6_PKS6_NS0_5tupleIJPaS6_EEENSE_IJSB_SB_EEENS0_18inequality_wrapperIN6hipcub16HIPCUB_304000_NS8EqualityEEEPlJS6_EEE10hipError_tPvRmT3_T4_T5_T6_T7_T9_mT8_P12ihipStream_tbDpT10_ENKUlT_T0_E_clISt17integral_constantIbLb0EES17_EEDaS12_S13_EUlS12_E_NS1_11comp_targetILNS1_3genE5ELNS1_11target_archE942ELNS1_3gpuE9ELNS1_3repE0EEENS1_30default_config_static_selectorELNS0_4arch9wavefront6targetE0EEEvT1_.uses_flat_scratch, 0
	.set _ZN7rocprim17ROCPRIM_400000_NS6detail17trampoline_kernelINS0_14default_configENS1_25partition_config_selectorILNS1_17partition_subalgoE8EaNS0_10empty_typeEbEEZZNS1_14partition_implILS5_8ELb0ES3_jPKaPS6_PKS6_NS0_5tupleIJPaS6_EEENSE_IJSB_SB_EEENS0_18inequality_wrapperIN6hipcub16HIPCUB_304000_NS8EqualityEEEPlJS6_EEE10hipError_tPvRmT3_T4_T5_T6_T7_T9_mT8_P12ihipStream_tbDpT10_ENKUlT_T0_E_clISt17integral_constantIbLb0EES17_EEDaS12_S13_EUlS12_E_NS1_11comp_targetILNS1_3genE5ELNS1_11target_archE942ELNS1_3gpuE9ELNS1_3repE0EEENS1_30default_config_static_selectorELNS0_4arch9wavefront6targetE0EEEvT1_.has_dyn_sized_stack, 0
	.set _ZN7rocprim17ROCPRIM_400000_NS6detail17trampoline_kernelINS0_14default_configENS1_25partition_config_selectorILNS1_17partition_subalgoE8EaNS0_10empty_typeEbEEZZNS1_14partition_implILS5_8ELb0ES3_jPKaPS6_PKS6_NS0_5tupleIJPaS6_EEENSE_IJSB_SB_EEENS0_18inequality_wrapperIN6hipcub16HIPCUB_304000_NS8EqualityEEEPlJS6_EEE10hipError_tPvRmT3_T4_T5_T6_T7_T9_mT8_P12ihipStream_tbDpT10_ENKUlT_T0_E_clISt17integral_constantIbLb0EES17_EEDaS12_S13_EUlS12_E_NS1_11comp_targetILNS1_3genE5ELNS1_11target_archE942ELNS1_3gpuE9ELNS1_3repE0EEENS1_30default_config_static_selectorELNS0_4arch9wavefront6targetE0EEEvT1_.has_recursion, 0
	.set _ZN7rocprim17ROCPRIM_400000_NS6detail17trampoline_kernelINS0_14default_configENS1_25partition_config_selectorILNS1_17partition_subalgoE8EaNS0_10empty_typeEbEEZZNS1_14partition_implILS5_8ELb0ES3_jPKaPS6_PKS6_NS0_5tupleIJPaS6_EEENSE_IJSB_SB_EEENS0_18inequality_wrapperIN6hipcub16HIPCUB_304000_NS8EqualityEEEPlJS6_EEE10hipError_tPvRmT3_T4_T5_T6_T7_T9_mT8_P12ihipStream_tbDpT10_ENKUlT_T0_E_clISt17integral_constantIbLb0EES17_EEDaS12_S13_EUlS12_E_NS1_11comp_targetILNS1_3genE5ELNS1_11target_archE942ELNS1_3gpuE9ELNS1_3repE0EEENS1_30default_config_static_selectorELNS0_4arch9wavefront6targetE0EEEvT1_.has_indirect_call, 0
	.section	.AMDGPU.csdata,"",@progbits
; Kernel info:
; codeLenInByte = 0
; TotalNumSgprs: 0
; NumVgprs: 0
; ScratchSize: 0
; MemoryBound: 0
; FloatMode: 240
; IeeeMode: 1
; LDSByteSize: 0 bytes/workgroup (compile time only)
; SGPRBlocks: 0
; VGPRBlocks: 0
; NumSGPRsForWavesPerEU: 1
; NumVGPRsForWavesPerEU: 1
; NamedBarCnt: 0
; Occupancy: 16
; WaveLimiterHint : 0
; COMPUTE_PGM_RSRC2:SCRATCH_EN: 0
; COMPUTE_PGM_RSRC2:USER_SGPR: 2
; COMPUTE_PGM_RSRC2:TRAP_HANDLER: 0
; COMPUTE_PGM_RSRC2:TGID_X_EN: 1
; COMPUTE_PGM_RSRC2:TGID_Y_EN: 0
; COMPUTE_PGM_RSRC2:TGID_Z_EN: 0
; COMPUTE_PGM_RSRC2:TIDIG_COMP_CNT: 0
	.section	.text._ZN7rocprim17ROCPRIM_400000_NS6detail17trampoline_kernelINS0_14default_configENS1_25partition_config_selectorILNS1_17partition_subalgoE8EaNS0_10empty_typeEbEEZZNS1_14partition_implILS5_8ELb0ES3_jPKaPS6_PKS6_NS0_5tupleIJPaS6_EEENSE_IJSB_SB_EEENS0_18inequality_wrapperIN6hipcub16HIPCUB_304000_NS8EqualityEEEPlJS6_EEE10hipError_tPvRmT3_T4_T5_T6_T7_T9_mT8_P12ihipStream_tbDpT10_ENKUlT_T0_E_clISt17integral_constantIbLb0EES17_EEDaS12_S13_EUlS12_E_NS1_11comp_targetILNS1_3genE4ELNS1_11target_archE910ELNS1_3gpuE8ELNS1_3repE0EEENS1_30default_config_static_selectorELNS0_4arch9wavefront6targetE0EEEvT1_,"axG",@progbits,_ZN7rocprim17ROCPRIM_400000_NS6detail17trampoline_kernelINS0_14default_configENS1_25partition_config_selectorILNS1_17partition_subalgoE8EaNS0_10empty_typeEbEEZZNS1_14partition_implILS5_8ELb0ES3_jPKaPS6_PKS6_NS0_5tupleIJPaS6_EEENSE_IJSB_SB_EEENS0_18inequality_wrapperIN6hipcub16HIPCUB_304000_NS8EqualityEEEPlJS6_EEE10hipError_tPvRmT3_T4_T5_T6_T7_T9_mT8_P12ihipStream_tbDpT10_ENKUlT_T0_E_clISt17integral_constantIbLb0EES17_EEDaS12_S13_EUlS12_E_NS1_11comp_targetILNS1_3genE4ELNS1_11target_archE910ELNS1_3gpuE8ELNS1_3repE0EEENS1_30default_config_static_selectorELNS0_4arch9wavefront6targetE0EEEvT1_,comdat
	.protected	_ZN7rocprim17ROCPRIM_400000_NS6detail17trampoline_kernelINS0_14default_configENS1_25partition_config_selectorILNS1_17partition_subalgoE8EaNS0_10empty_typeEbEEZZNS1_14partition_implILS5_8ELb0ES3_jPKaPS6_PKS6_NS0_5tupleIJPaS6_EEENSE_IJSB_SB_EEENS0_18inequality_wrapperIN6hipcub16HIPCUB_304000_NS8EqualityEEEPlJS6_EEE10hipError_tPvRmT3_T4_T5_T6_T7_T9_mT8_P12ihipStream_tbDpT10_ENKUlT_T0_E_clISt17integral_constantIbLb0EES17_EEDaS12_S13_EUlS12_E_NS1_11comp_targetILNS1_3genE4ELNS1_11target_archE910ELNS1_3gpuE8ELNS1_3repE0EEENS1_30default_config_static_selectorELNS0_4arch9wavefront6targetE0EEEvT1_ ; -- Begin function _ZN7rocprim17ROCPRIM_400000_NS6detail17trampoline_kernelINS0_14default_configENS1_25partition_config_selectorILNS1_17partition_subalgoE8EaNS0_10empty_typeEbEEZZNS1_14partition_implILS5_8ELb0ES3_jPKaPS6_PKS6_NS0_5tupleIJPaS6_EEENSE_IJSB_SB_EEENS0_18inequality_wrapperIN6hipcub16HIPCUB_304000_NS8EqualityEEEPlJS6_EEE10hipError_tPvRmT3_T4_T5_T6_T7_T9_mT8_P12ihipStream_tbDpT10_ENKUlT_T0_E_clISt17integral_constantIbLb0EES17_EEDaS12_S13_EUlS12_E_NS1_11comp_targetILNS1_3genE4ELNS1_11target_archE910ELNS1_3gpuE8ELNS1_3repE0EEENS1_30default_config_static_selectorELNS0_4arch9wavefront6targetE0EEEvT1_
	.globl	_ZN7rocprim17ROCPRIM_400000_NS6detail17trampoline_kernelINS0_14default_configENS1_25partition_config_selectorILNS1_17partition_subalgoE8EaNS0_10empty_typeEbEEZZNS1_14partition_implILS5_8ELb0ES3_jPKaPS6_PKS6_NS0_5tupleIJPaS6_EEENSE_IJSB_SB_EEENS0_18inequality_wrapperIN6hipcub16HIPCUB_304000_NS8EqualityEEEPlJS6_EEE10hipError_tPvRmT3_T4_T5_T6_T7_T9_mT8_P12ihipStream_tbDpT10_ENKUlT_T0_E_clISt17integral_constantIbLb0EES17_EEDaS12_S13_EUlS12_E_NS1_11comp_targetILNS1_3genE4ELNS1_11target_archE910ELNS1_3gpuE8ELNS1_3repE0EEENS1_30default_config_static_selectorELNS0_4arch9wavefront6targetE0EEEvT1_
	.p2align	8
	.type	_ZN7rocprim17ROCPRIM_400000_NS6detail17trampoline_kernelINS0_14default_configENS1_25partition_config_selectorILNS1_17partition_subalgoE8EaNS0_10empty_typeEbEEZZNS1_14partition_implILS5_8ELb0ES3_jPKaPS6_PKS6_NS0_5tupleIJPaS6_EEENSE_IJSB_SB_EEENS0_18inequality_wrapperIN6hipcub16HIPCUB_304000_NS8EqualityEEEPlJS6_EEE10hipError_tPvRmT3_T4_T5_T6_T7_T9_mT8_P12ihipStream_tbDpT10_ENKUlT_T0_E_clISt17integral_constantIbLb0EES17_EEDaS12_S13_EUlS12_E_NS1_11comp_targetILNS1_3genE4ELNS1_11target_archE910ELNS1_3gpuE8ELNS1_3repE0EEENS1_30default_config_static_selectorELNS0_4arch9wavefront6targetE0EEEvT1_,@function
_ZN7rocprim17ROCPRIM_400000_NS6detail17trampoline_kernelINS0_14default_configENS1_25partition_config_selectorILNS1_17partition_subalgoE8EaNS0_10empty_typeEbEEZZNS1_14partition_implILS5_8ELb0ES3_jPKaPS6_PKS6_NS0_5tupleIJPaS6_EEENSE_IJSB_SB_EEENS0_18inequality_wrapperIN6hipcub16HIPCUB_304000_NS8EqualityEEEPlJS6_EEE10hipError_tPvRmT3_T4_T5_T6_T7_T9_mT8_P12ihipStream_tbDpT10_ENKUlT_T0_E_clISt17integral_constantIbLb0EES17_EEDaS12_S13_EUlS12_E_NS1_11comp_targetILNS1_3genE4ELNS1_11target_archE910ELNS1_3gpuE8ELNS1_3repE0EEENS1_30default_config_static_selectorELNS0_4arch9wavefront6targetE0EEEvT1_: ; @_ZN7rocprim17ROCPRIM_400000_NS6detail17trampoline_kernelINS0_14default_configENS1_25partition_config_selectorILNS1_17partition_subalgoE8EaNS0_10empty_typeEbEEZZNS1_14partition_implILS5_8ELb0ES3_jPKaPS6_PKS6_NS0_5tupleIJPaS6_EEENSE_IJSB_SB_EEENS0_18inequality_wrapperIN6hipcub16HIPCUB_304000_NS8EqualityEEEPlJS6_EEE10hipError_tPvRmT3_T4_T5_T6_T7_T9_mT8_P12ihipStream_tbDpT10_ENKUlT_T0_E_clISt17integral_constantIbLb0EES17_EEDaS12_S13_EUlS12_E_NS1_11comp_targetILNS1_3genE4ELNS1_11target_archE910ELNS1_3gpuE8ELNS1_3repE0EEENS1_30default_config_static_selectorELNS0_4arch9wavefront6targetE0EEEvT1_
; %bb.0:
	.section	.rodata,"a",@progbits
	.p2align	6, 0x0
	.amdhsa_kernel _ZN7rocprim17ROCPRIM_400000_NS6detail17trampoline_kernelINS0_14default_configENS1_25partition_config_selectorILNS1_17partition_subalgoE8EaNS0_10empty_typeEbEEZZNS1_14partition_implILS5_8ELb0ES3_jPKaPS6_PKS6_NS0_5tupleIJPaS6_EEENSE_IJSB_SB_EEENS0_18inequality_wrapperIN6hipcub16HIPCUB_304000_NS8EqualityEEEPlJS6_EEE10hipError_tPvRmT3_T4_T5_T6_T7_T9_mT8_P12ihipStream_tbDpT10_ENKUlT_T0_E_clISt17integral_constantIbLb0EES17_EEDaS12_S13_EUlS12_E_NS1_11comp_targetILNS1_3genE4ELNS1_11target_archE910ELNS1_3gpuE8ELNS1_3repE0EEENS1_30default_config_static_selectorELNS0_4arch9wavefront6targetE0EEEvT1_
		.amdhsa_group_segment_fixed_size 0
		.amdhsa_private_segment_fixed_size 0
		.amdhsa_kernarg_size 112
		.amdhsa_user_sgpr_count 2
		.amdhsa_user_sgpr_dispatch_ptr 0
		.amdhsa_user_sgpr_queue_ptr 0
		.amdhsa_user_sgpr_kernarg_segment_ptr 1
		.amdhsa_user_sgpr_dispatch_id 0
		.amdhsa_user_sgpr_kernarg_preload_length 0
		.amdhsa_user_sgpr_kernarg_preload_offset 0
		.amdhsa_user_sgpr_private_segment_size 0
		.amdhsa_wavefront_size32 1
		.amdhsa_uses_dynamic_stack 0
		.amdhsa_enable_private_segment 0
		.amdhsa_system_sgpr_workgroup_id_x 1
		.amdhsa_system_sgpr_workgroup_id_y 0
		.amdhsa_system_sgpr_workgroup_id_z 0
		.amdhsa_system_sgpr_workgroup_info 0
		.amdhsa_system_vgpr_workitem_id 0
		.amdhsa_next_free_vgpr 1
		.amdhsa_next_free_sgpr 1
		.amdhsa_named_barrier_count 0
		.amdhsa_reserve_vcc 0
		.amdhsa_float_round_mode_32 0
		.amdhsa_float_round_mode_16_64 0
		.amdhsa_float_denorm_mode_32 3
		.amdhsa_float_denorm_mode_16_64 3
		.amdhsa_fp16_overflow 0
		.amdhsa_memory_ordered 1
		.amdhsa_forward_progress 1
		.amdhsa_inst_pref_size 0
		.amdhsa_round_robin_scheduling 0
		.amdhsa_exception_fp_ieee_invalid_op 0
		.amdhsa_exception_fp_denorm_src 0
		.amdhsa_exception_fp_ieee_div_zero 0
		.amdhsa_exception_fp_ieee_overflow 0
		.amdhsa_exception_fp_ieee_underflow 0
		.amdhsa_exception_fp_ieee_inexact 0
		.amdhsa_exception_int_div_zero 0
	.end_amdhsa_kernel
	.section	.text._ZN7rocprim17ROCPRIM_400000_NS6detail17trampoline_kernelINS0_14default_configENS1_25partition_config_selectorILNS1_17partition_subalgoE8EaNS0_10empty_typeEbEEZZNS1_14partition_implILS5_8ELb0ES3_jPKaPS6_PKS6_NS0_5tupleIJPaS6_EEENSE_IJSB_SB_EEENS0_18inequality_wrapperIN6hipcub16HIPCUB_304000_NS8EqualityEEEPlJS6_EEE10hipError_tPvRmT3_T4_T5_T6_T7_T9_mT8_P12ihipStream_tbDpT10_ENKUlT_T0_E_clISt17integral_constantIbLb0EES17_EEDaS12_S13_EUlS12_E_NS1_11comp_targetILNS1_3genE4ELNS1_11target_archE910ELNS1_3gpuE8ELNS1_3repE0EEENS1_30default_config_static_selectorELNS0_4arch9wavefront6targetE0EEEvT1_,"axG",@progbits,_ZN7rocprim17ROCPRIM_400000_NS6detail17trampoline_kernelINS0_14default_configENS1_25partition_config_selectorILNS1_17partition_subalgoE8EaNS0_10empty_typeEbEEZZNS1_14partition_implILS5_8ELb0ES3_jPKaPS6_PKS6_NS0_5tupleIJPaS6_EEENSE_IJSB_SB_EEENS0_18inequality_wrapperIN6hipcub16HIPCUB_304000_NS8EqualityEEEPlJS6_EEE10hipError_tPvRmT3_T4_T5_T6_T7_T9_mT8_P12ihipStream_tbDpT10_ENKUlT_T0_E_clISt17integral_constantIbLb0EES17_EEDaS12_S13_EUlS12_E_NS1_11comp_targetILNS1_3genE4ELNS1_11target_archE910ELNS1_3gpuE8ELNS1_3repE0EEENS1_30default_config_static_selectorELNS0_4arch9wavefront6targetE0EEEvT1_,comdat
.Lfunc_end205:
	.size	_ZN7rocprim17ROCPRIM_400000_NS6detail17trampoline_kernelINS0_14default_configENS1_25partition_config_selectorILNS1_17partition_subalgoE8EaNS0_10empty_typeEbEEZZNS1_14partition_implILS5_8ELb0ES3_jPKaPS6_PKS6_NS0_5tupleIJPaS6_EEENSE_IJSB_SB_EEENS0_18inequality_wrapperIN6hipcub16HIPCUB_304000_NS8EqualityEEEPlJS6_EEE10hipError_tPvRmT3_T4_T5_T6_T7_T9_mT8_P12ihipStream_tbDpT10_ENKUlT_T0_E_clISt17integral_constantIbLb0EES17_EEDaS12_S13_EUlS12_E_NS1_11comp_targetILNS1_3genE4ELNS1_11target_archE910ELNS1_3gpuE8ELNS1_3repE0EEENS1_30default_config_static_selectorELNS0_4arch9wavefront6targetE0EEEvT1_, .Lfunc_end205-_ZN7rocprim17ROCPRIM_400000_NS6detail17trampoline_kernelINS0_14default_configENS1_25partition_config_selectorILNS1_17partition_subalgoE8EaNS0_10empty_typeEbEEZZNS1_14partition_implILS5_8ELb0ES3_jPKaPS6_PKS6_NS0_5tupleIJPaS6_EEENSE_IJSB_SB_EEENS0_18inequality_wrapperIN6hipcub16HIPCUB_304000_NS8EqualityEEEPlJS6_EEE10hipError_tPvRmT3_T4_T5_T6_T7_T9_mT8_P12ihipStream_tbDpT10_ENKUlT_T0_E_clISt17integral_constantIbLb0EES17_EEDaS12_S13_EUlS12_E_NS1_11comp_targetILNS1_3genE4ELNS1_11target_archE910ELNS1_3gpuE8ELNS1_3repE0EEENS1_30default_config_static_selectorELNS0_4arch9wavefront6targetE0EEEvT1_
                                        ; -- End function
	.set _ZN7rocprim17ROCPRIM_400000_NS6detail17trampoline_kernelINS0_14default_configENS1_25partition_config_selectorILNS1_17partition_subalgoE8EaNS0_10empty_typeEbEEZZNS1_14partition_implILS5_8ELb0ES3_jPKaPS6_PKS6_NS0_5tupleIJPaS6_EEENSE_IJSB_SB_EEENS0_18inequality_wrapperIN6hipcub16HIPCUB_304000_NS8EqualityEEEPlJS6_EEE10hipError_tPvRmT3_T4_T5_T6_T7_T9_mT8_P12ihipStream_tbDpT10_ENKUlT_T0_E_clISt17integral_constantIbLb0EES17_EEDaS12_S13_EUlS12_E_NS1_11comp_targetILNS1_3genE4ELNS1_11target_archE910ELNS1_3gpuE8ELNS1_3repE0EEENS1_30default_config_static_selectorELNS0_4arch9wavefront6targetE0EEEvT1_.num_vgpr, 0
	.set _ZN7rocprim17ROCPRIM_400000_NS6detail17trampoline_kernelINS0_14default_configENS1_25partition_config_selectorILNS1_17partition_subalgoE8EaNS0_10empty_typeEbEEZZNS1_14partition_implILS5_8ELb0ES3_jPKaPS6_PKS6_NS0_5tupleIJPaS6_EEENSE_IJSB_SB_EEENS0_18inequality_wrapperIN6hipcub16HIPCUB_304000_NS8EqualityEEEPlJS6_EEE10hipError_tPvRmT3_T4_T5_T6_T7_T9_mT8_P12ihipStream_tbDpT10_ENKUlT_T0_E_clISt17integral_constantIbLb0EES17_EEDaS12_S13_EUlS12_E_NS1_11comp_targetILNS1_3genE4ELNS1_11target_archE910ELNS1_3gpuE8ELNS1_3repE0EEENS1_30default_config_static_selectorELNS0_4arch9wavefront6targetE0EEEvT1_.num_agpr, 0
	.set _ZN7rocprim17ROCPRIM_400000_NS6detail17trampoline_kernelINS0_14default_configENS1_25partition_config_selectorILNS1_17partition_subalgoE8EaNS0_10empty_typeEbEEZZNS1_14partition_implILS5_8ELb0ES3_jPKaPS6_PKS6_NS0_5tupleIJPaS6_EEENSE_IJSB_SB_EEENS0_18inequality_wrapperIN6hipcub16HIPCUB_304000_NS8EqualityEEEPlJS6_EEE10hipError_tPvRmT3_T4_T5_T6_T7_T9_mT8_P12ihipStream_tbDpT10_ENKUlT_T0_E_clISt17integral_constantIbLb0EES17_EEDaS12_S13_EUlS12_E_NS1_11comp_targetILNS1_3genE4ELNS1_11target_archE910ELNS1_3gpuE8ELNS1_3repE0EEENS1_30default_config_static_selectorELNS0_4arch9wavefront6targetE0EEEvT1_.numbered_sgpr, 0
	.set _ZN7rocprim17ROCPRIM_400000_NS6detail17trampoline_kernelINS0_14default_configENS1_25partition_config_selectorILNS1_17partition_subalgoE8EaNS0_10empty_typeEbEEZZNS1_14partition_implILS5_8ELb0ES3_jPKaPS6_PKS6_NS0_5tupleIJPaS6_EEENSE_IJSB_SB_EEENS0_18inequality_wrapperIN6hipcub16HIPCUB_304000_NS8EqualityEEEPlJS6_EEE10hipError_tPvRmT3_T4_T5_T6_T7_T9_mT8_P12ihipStream_tbDpT10_ENKUlT_T0_E_clISt17integral_constantIbLb0EES17_EEDaS12_S13_EUlS12_E_NS1_11comp_targetILNS1_3genE4ELNS1_11target_archE910ELNS1_3gpuE8ELNS1_3repE0EEENS1_30default_config_static_selectorELNS0_4arch9wavefront6targetE0EEEvT1_.num_named_barrier, 0
	.set _ZN7rocprim17ROCPRIM_400000_NS6detail17trampoline_kernelINS0_14default_configENS1_25partition_config_selectorILNS1_17partition_subalgoE8EaNS0_10empty_typeEbEEZZNS1_14partition_implILS5_8ELb0ES3_jPKaPS6_PKS6_NS0_5tupleIJPaS6_EEENSE_IJSB_SB_EEENS0_18inequality_wrapperIN6hipcub16HIPCUB_304000_NS8EqualityEEEPlJS6_EEE10hipError_tPvRmT3_T4_T5_T6_T7_T9_mT8_P12ihipStream_tbDpT10_ENKUlT_T0_E_clISt17integral_constantIbLb0EES17_EEDaS12_S13_EUlS12_E_NS1_11comp_targetILNS1_3genE4ELNS1_11target_archE910ELNS1_3gpuE8ELNS1_3repE0EEENS1_30default_config_static_selectorELNS0_4arch9wavefront6targetE0EEEvT1_.private_seg_size, 0
	.set _ZN7rocprim17ROCPRIM_400000_NS6detail17trampoline_kernelINS0_14default_configENS1_25partition_config_selectorILNS1_17partition_subalgoE8EaNS0_10empty_typeEbEEZZNS1_14partition_implILS5_8ELb0ES3_jPKaPS6_PKS6_NS0_5tupleIJPaS6_EEENSE_IJSB_SB_EEENS0_18inequality_wrapperIN6hipcub16HIPCUB_304000_NS8EqualityEEEPlJS6_EEE10hipError_tPvRmT3_T4_T5_T6_T7_T9_mT8_P12ihipStream_tbDpT10_ENKUlT_T0_E_clISt17integral_constantIbLb0EES17_EEDaS12_S13_EUlS12_E_NS1_11comp_targetILNS1_3genE4ELNS1_11target_archE910ELNS1_3gpuE8ELNS1_3repE0EEENS1_30default_config_static_selectorELNS0_4arch9wavefront6targetE0EEEvT1_.uses_vcc, 0
	.set _ZN7rocprim17ROCPRIM_400000_NS6detail17trampoline_kernelINS0_14default_configENS1_25partition_config_selectorILNS1_17partition_subalgoE8EaNS0_10empty_typeEbEEZZNS1_14partition_implILS5_8ELb0ES3_jPKaPS6_PKS6_NS0_5tupleIJPaS6_EEENSE_IJSB_SB_EEENS0_18inequality_wrapperIN6hipcub16HIPCUB_304000_NS8EqualityEEEPlJS6_EEE10hipError_tPvRmT3_T4_T5_T6_T7_T9_mT8_P12ihipStream_tbDpT10_ENKUlT_T0_E_clISt17integral_constantIbLb0EES17_EEDaS12_S13_EUlS12_E_NS1_11comp_targetILNS1_3genE4ELNS1_11target_archE910ELNS1_3gpuE8ELNS1_3repE0EEENS1_30default_config_static_selectorELNS0_4arch9wavefront6targetE0EEEvT1_.uses_flat_scratch, 0
	.set _ZN7rocprim17ROCPRIM_400000_NS6detail17trampoline_kernelINS0_14default_configENS1_25partition_config_selectorILNS1_17partition_subalgoE8EaNS0_10empty_typeEbEEZZNS1_14partition_implILS5_8ELb0ES3_jPKaPS6_PKS6_NS0_5tupleIJPaS6_EEENSE_IJSB_SB_EEENS0_18inequality_wrapperIN6hipcub16HIPCUB_304000_NS8EqualityEEEPlJS6_EEE10hipError_tPvRmT3_T4_T5_T6_T7_T9_mT8_P12ihipStream_tbDpT10_ENKUlT_T0_E_clISt17integral_constantIbLb0EES17_EEDaS12_S13_EUlS12_E_NS1_11comp_targetILNS1_3genE4ELNS1_11target_archE910ELNS1_3gpuE8ELNS1_3repE0EEENS1_30default_config_static_selectorELNS0_4arch9wavefront6targetE0EEEvT1_.has_dyn_sized_stack, 0
	.set _ZN7rocprim17ROCPRIM_400000_NS6detail17trampoline_kernelINS0_14default_configENS1_25partition_config_selectorILNS1_17partition_subalgoE8EaNS0_10empty_typeEbEEZZNS1_14partition_implILS5_8ELb0ES3_jPKaPS6_PKS6_NS0_5tupleIJPaS6_EEENSE_IJSB_SB_EEENS0_18inequality_wrapperIN6hipcub16HIPCUB_304000_NS8EqualityEEEPlJS6_EEE10hipError_tPvRmT3_T4_T5_T6_T7_T9_mT8_P12ihipStream_tbDpT10_ENKUlT_T0_E_clISt17integral_constantIbLb0EES17_EEDaS12_S13_EUlS12_E_NS1_11comp_targetILNS1_3genE4ELNS1_11target_archE910ELNS1_3gpuE8ELNS1_3repE0EEENS1_30default_config_static_selectorELNS0_4arch9wavefront6targetE0EEEvT1_.has_recursion, 0
	.set _ZN7rocprim17ROCPRIM_400000_NS6detail17trampoline_kernelINS0_14default_configENS1_25partition_config_selectorILNS1_17partition_subalgoE8EaNS0_10empty_typeEbEEZZNS1_14partition_implILS5_8ELb0ES3_jPKaPS6_PKS6_NS0_5tupleIJPaS6_EEENSE_IJSB_SB_EEENS0_18inequality_wrapperIN6hipcub16HIPCUB_304000_NS8EqualityEEEPlJS6_EEE10hipError_tPvRmT3_T4_T5_T6_T7_T9_mT8_P12ihipStream_tbDpT10_ENKUlT_T0_E_clISt17integral_constantIbLb0EES17_EEDaS12_S13_EUlS12_E_NS1_11comp_targetILNS1_3genE4ELNS1_11target_archE910ELNS1_3gpuE8ELNS1_3repE0EEENS1_30default_config_static_selectorELNS0_4arch9wavefront6targetE0EEEvT1_.has_indirect_call, 0
	.section	.AMDGPU.csdata,"",@progbits
; Kernel info:
; codeLenInByte = 0
; TotalNumSgprs: 0
; NumVgprs: 0
; ScratchSize: 0
; MemoryBound: 0
; FloatMode: 240
; IeeeMode: 1
; LDSByteSize: 0 bytes/workgroup (compile time only)
; SGPRBlocks: 0
; VGPRBlocks: 0
; NumSGPRsForWavesPerEU: 1
; NumVGPRsForWavesPerEU: 1
; NamedBarCnt: 0
; Occupancy: 16
; WaveLimiterHint : 0
; COMPUTE_PGM_RSRC2:SCRATCH_EN: 0
; COMPUTE_PGM_RSRC2:USER_SGPR: 2
; COMPUTE_PGM_RSRC2:TRAP_HANDLER: 0
; COMPUTE_PGM_RSRC2:TGID_X_EN: 1
; COMPUTE_PGM_RSRC2:TGID_Y_EN: 0
; COMPUTE_PGM_RSRC2:TGID_Z_EN: 0
; COMPUTE_PGM_RSRC2:TIDIG_COMP_CNT: 0
	.section	.text._ZN7rocprim17ROCPRIM_400000_NS6detail17trampoline_kernelINS0_14default_configENS1_25partition_config_selectorILNS1_17partition_subalgoE8EaNS0_10empty_typeEbEEZZNS1_14partition_implILS5_8ELb0ES3_jPKaPS6_PKS6_NS0_5tupleIJPaS6_EEENSE_IJSB_SB_EEENS0_18inequality_wrapperIN6hipcub16HIPCUB_304000_NS8EqualityEEEPlJS6_EEE10hipError_tPvRmT3_T4_T5_T6_T7_T9_mT8_P12ihipStream_tbDpT10_ENKUlT_T0_E_clISt17integral_constantIbLb0EES17_EEDaS12_S13_EUlS12_E_NS1_11comp_targetILNS1_3genE3ELNS1_11target_archE908ELNS1_3gpuE7ELNS1_3repE0EEENS1_30default_config_static_selectorELNS0_4arch9wavefront6targetE0EEEvT1_,"axG",@progbits,_ZN7rocprim17ROCPRIM_400000_NS6detail17trampoline_kernelINS0_14default_configENS1_25partition_config_selectorILNS1_17partition_subalgoE8EaNS0_10empty_typeEbEEZZNS1_14partition_implILS5_8ELb0ES3_jPKaPS6_PKS6_NS0_5tupleIJPaS6_EEENSE_IJSB_SB_EEENS0_18inequality_wrapperIN6hipcub16HIPCUB_304000_NS8EqualityEEEPlJS6_EEE10hipError_tPvRmT3_T4_T5_T6_T7_T9_mT8_P12ihipStream_tbDpT10_ENKUlT_T0_E_clISt17integral_constantIbLb0EES17_EEDaS12_S13_EUlS12_E_NS1_11comp_targetILNS1_3genE3ELNS1_11target_archE908ELNS1_3gpuE7ELNS1_3repE0EEENS1_30default_config_static_selectorELNS0_4arch9wavefront6targetE0EEEvT1_,comdat
	.protected	_ZN7rocprim17ROCPRIM_400000_NS6detail17trampoline_kernelINS0_14default_configENS1_25partition_config_selectorILNS1_17partition_subalgoE8EaNS0_10empty_typeEbEEZZNS1_14partition_implILS5_8ELb0ES3_jPKaPS6_PKS6_NS0_5tupleIJPaS6_EEENSE_IJSB_SB_EEENS0_18inequality_wrapperIN6hipcub16HIPCUB_304000_NS8EqualityEEEPlJS6_EEE10hipError_tPvRmT3_T4_T5_T6_T7_T9_mT8_P12ihipStream_tbDpT10_ENKUlT_T0_E_clISt17integral_constantIbLb0EES17_EEDaS12_S13_EUlS12_E_NS1_11comp_targetILNS1_3genE3ELNS1_11target_archE908ELNS1_3gpuE7ELNS1_3repE0EEENS1_30default_config_static_selectorELNS0_4arch9wavefront6targetE0EEEvT1_ ; -- Begin function _ZN7rocprim17ROCPRIM_400000_NS6detail17trampoline_kernelINS0_14default_configENS1_25partition_config_selectorILNS1_17partition_subalgoE8EaNS0_10empty_typeEbEEZZNS1_14partition_implILS5_8ELb0ES3_jPKaPS6_PKS6_NS0_5tupleIJPaS6_EEENSE_IJSB_SB_EEENS0_18inequality_wrapperIN6hipcub16HIPCUB_304000_NS8EqualityEEEPlJS6_EEE10hipError_tPvRmT3_T4_T5_T6_T7_T9_mT8_P12ihipStream_tbDpT10_ENKUlT_T0_E_clISt17integral_constantIbLb0EES17_EEDaS12_S13_EUlS12_E_NS1_11comp_targetILNS1_3genE3ELNS1_11target_archE908ELNS1_3gpuE7ELNS1_3repE0EEENS1_30default_config_static_selectorELNS0_4arch9wavefront6targetE0EEEvT1_
	.globl	_ZN7rocprim17ROCPRIM_400000_NS6detail17trampoline_kernelINS0_14default_configENS1_25partition_config_selectorILNS1_17partition_subalgoE8EaNS0_10empty_typeEbEEZZNS1_14partition_implILS5_8ELb0ES3_jPKaPS6_PKS6_NS0_5tupleIJPaS6_EEENSE_IJSB_SB_EEENS0_18inequality_wrapperIN6hipcub16HIPCUB_304000_NS8EqualityEEEPlJS6_EEE10hipError_tPvRmT3_T4_T5_T6_T7_T9_mT8_P12ihipStream_tbDpT10_ENKUlT_T0_E_clISt17integral_constantIbLb0EES17_EEDaS12_S13_EUlS12_E_NS1_11comp_targetILNS1_3genE3ELNS1_11target_archE908ELNS1_3gpuE7ELNS1_3repE0EEENS1_30default_config_static_selectorELNS0_4arch9wavefront6targetE0EEEvT1_
	.p2align	8
	.type	_ZN7rocprim17ROCPRIM_400000_NS6detail17trampoline_kernelINS0_14default_configENS1_25partition_config_selectorILNS1_17partition_subalgoE8EaNS0_10empty_typeEbEEZZNS1_14partition_implILS5_8ELb0ES3_jPKaPS6_PKS6_NS0_5tupleIJPaS6_EEENSE_IJSB_SB_EEENS0_18inequality_wrapperIN6hipcub16HIPCUB_304000_NS8EqualityEEEPlJS6_EEE10hipError_tPvRmT3_T4_T5_T6_T7_T9_mT8_P12ihipStream_tbDpT10_ENKUlT_T0_E_clISt17integral_constantIbLb0EES17_EEDaS12_S13_EUlS12_E_NS1_11comp_targetILNS1_3genE3ELNS1_11target_archE908ELNS1_3gpuE7ELNS1_3repE0EEENS1_30default_config_static_selectorELNS0_4arch9wavefront6targetE0EEEvT1_,@function
_ZN7rocprim17ROCPRIM_400000_NS6detail17trampoline_kernelINS0_14default_configENS1_25partition_config_selectorILNS1_17partition_subalgoE8EaNS0_10empty_typeEbEEZZNS1_14partition_implILS5_8ELb0ES3_jPKaPS6_PKS6_NS0_5tupleIJPaS6_EEENSE_IJSB_SB_EEENS0_18inequality_wrapperIN6hipcub16HIPCUB_304000_NS8EqualityEEEPlJS6_EEE10hipError_tPvRmT3_T4_T5_T6_T7_T9_mT8_P12ihipStream_tbDpT10_ENKUlT_T0_E_clISt17integral_constantIbLb0EES17_EEDaS12_S13_EUlS12_E_NS1_11comp_targetILNS1_3genE3ELNS1_11target_archE908ELNS1_3gpuE7ELNS1_3repE0EEENS1_30default_config_static_selectorELNS0_4arch9wavefront6targetE0EEEvT1_: ; @_ZN7rocprim17ROCPRIM_400000_NS6detail17trampoline_kernelINS0_14default_configENS1_25partition_config_selectorILNS1_17partition_subalgoE8EaNS0_10empty_typeEbEEZZNS1_14partition_implILS5_8ELb0ES3_jPKaPS6_PKS6_NS0_5tupleIJPaS6_EEENSE_IJSB_SB_EEENS0_18inequality_wrapperIN6hipcub16HIPCUB_304000_NS8EqualityEEEPlJS6_EEE10hipError_tPvRmT3_T4_T5_T6_T7_T9_mT8_P12ihipStream_tbDpT10_ENKUlT_T0_E_clISt17integral_constantIbLb0EES17_EEDaS12_S13_EUlS12_E_NS1_11comp_targetILNS1_3genE3ELNS1_11target_archE908ELNS1_3gpuE7ELNS1_3repE0EEENS1_30default_config_static_selectorELNS0_4arch9wavefront6targetE0EEEvT1_
; %bb.0:
	.section	.rodata,"a",@progbits
	.p2align	6, 0x0
	.amdhsa_kernel _ZN7rocprim17ROCPRIM_400000_NS6detail17trampoline_kernelINS0_14default_configENS1_25partition_config_selectorILNS1_17partition_subalgoE8EaNS0_10empty_typeEbEEZZNS1_14partition_implILS5_8ELb0ES3_jPKaPS6_PKS6_NS0_5tupleIJPaS6_EEENSE_IJSB_SB_EEENS0_18inequality_wrapperIN6hipcub16HIPCUB_304000_NS8EqualityEEEPlJS6_EEE10hipError_tPvRmT3_T4_T5_T6_T7_T9_mT8_P12ihipStream_tbDpT10_ENKUlT_T0_E_clISt17integral_constantIbLb0EES17_EEDaS12_S13_EUlS12_E_NS1_11comp_targetILNS1_3genE3ELNS1_11target_archE908ELNS1_3gpuE7ELNS1_3repE0EEENS1_30default_config_static_selectorELNS0_4arch9wavefront6targetE0EEEvT1_
		.amdhsa_group_segment_fixed_size 0
		.amdhsa_private_segment_fixed_size 0
		.amdhsa_kernarg_size 112
		.amdhsa_user_sgpr_count 2
		.amdhsa_user_sgpr_dispatch_ptr 0
		.amdhsa_user_sgpr_queue_ptr 0
		.amdhsa_user_sgpr_kernarg_segment_ptr 1
		.amdhsa_user_sgpr_dispatch_id 0
		.amdhsa_user_sgpr_kernarg_preload_length 0
		.amdhsa_user_sgpr_kernarg_preload_offset 0
		.amdhsa_user_sgpr_private_segment_size 0
		.amdhsa_wavefront_size32 1
		.amdhsa_uses_dynamic_stack 0
		.amdhsa_enable_private_segment 0
		.amdhsa_system_sgpr_workgroup_id_x 1
		.amdhsa_system_sgpr_workgroup_id_y 0
		.amdhsa_system_sgpr_workgroup_id_z 0
		.amdhsa_system_sgpr_workgroup_info 0
		.amdhsa_system_vgpr_workitem_id 0
		.amdhsa_next_free_vgpr 1
		.amdhsa_next_free_sgpr 1
		.amdhsa_named_barrier_count 0
		.amdhsa_reserve_vcc 0
		.amdhsa_float_round_mode_32 0
		.amdhsa_float_round_mode_16_64 0
		.amdhsa_float_denorm_mode_32 3
		.amdhsa_float_denorm_mode_16_64 3
		.amdhsa_fp16_overflow 0
		.amdhsa_memory_ordered 1
		.amdhsa_forward_progress 1
		.amdhsa_inst_pref_size 0
		.amdhsa_round_robin_scheduling 0
		.amdhsa_exception_fp_ieee_invalid_op 0
		.amdhsa_exception_fp_denorm_src 0
		.amdhsa_exception_fp_ieee_div_zero 0
		.amdhsa_exception_fp_ieee_overflow 0
		.amdhsa_exception_fp_ieee_underflow 0
		.amdhsa_exception_fp_ieee_inexact 0
		.amdhsa_exception_int_div_zero 0
	.end_amdhsa_kernel
	.section	.text._ZN7rocprim17ROCPRIM_400000_NS6detail17trampoline_kernelINS0_14default_configENS1_25partition_config_selectorILNS1_17partition_subalgoE8EaNS0_10empty_typeEbEEZZNS1_14partition_implILS5_8ELb0ES3_jPKaPS6_PKS6_NS0_5tupleIJPaS6_EEENSE_IJSB_SB_EEENS0_18inequality_wrapperIN6hipcub16HIPCUB_304000_NS8EqualityEEEPlJS6_EEE10hipError_tPvRmT3_T4_T5_T6_T7_T9_mT8_P12ihipStream_tbDpT10_ENKUlT_T0_E_clISt17integral_constantIbLb0EES17_EEDaS12_S13_EUlS12_E_NS1_11comp_targetILNS1_3genE3ELNS1_11target_archE908ELNS1_3gpuE7ELNS1_3repE0EEENS1_30default_config_static_selectorELNS0_4arch9wavefront6targetE0EEEvT1_,"axG",@progbits,_ZN7rocprim17ROCPRIM_400000_NS6detail17trampoline_kernelINS0_14default_configENS1_25partition_config_selectorILNS1_17partition_subalgoE8EaNS0_10empty_typeEbEEZZNS1_14partition_implILS5_8ELb0ES3_jPKaPS6_PKS6_NS0_5tupleIJPaS6_EEENSE_IJSB_SB_EEENS0_18inequality_wrapperIN6hipcub16HIPCUB_304000_NS8EqualityEEEPlJS6_EEE10hipError_tPvRmT3_T4_T5_T6_T7_T9_mT8_P12ihipStream_tbDpT10_ENKUlT_T0_E_clISt17integral_constantIbLb0EES17_EEDaS12_S13_EUlS12_E_NS1_11comp_targetILNS1_3genE3ELNS1_11target_archE908ELNS1_3gpuE7ELNS1_3repE0EEENS1_30default_config_static_selectorELNS0_4arch9wavefront6targetE0EEEvT1_,comdat
.Lfunc_end206:
	.size	_ZN7rocprim17ROCPRIM_400000_NS6detail17trampoline_kernelINS0_14default_configENS1_25partition_config_selectorILNS1_17partition_subalgoE8EaNS0_10empty_typeEbEEZZNS1_14partition_implILS5_8ELb0ES3_jPKaPS6_PKS6_NS0_5tupleIJPaS6_EEENSE_IJSB_SB_EEENS0_18inequality_wrapperIN6hipcub16HIPCUB_304000_NS8EqualityEEEPlJS6_EEE10hipError_tPvRmT3_T4_T5_T6_T7_T9_mT8_P12ihipStream_tbDpT10_ENKUlT_T0_E_clISt17integral_constantIbLb0EES17_EEDaS12_S13_EUlS12_E_NS1_11comp_targetILNS1_3genE3ELNS1_11target_archE908ELNS1_3gpuE7ELNS1_3repE0EEENS1_30default_config_static_selectorELNS0_4arch9wavefront6targetE0EEEvT1_, .Lfunc_end206-_ZN7rocprim17ROCPRIM_400000_NS6detail17trampoline_kernelINS0_14default_configENS1_25partition_config_selectorILNS1_17partition_subalgoE8EaNS0_10empty_typeEbEEZZNS1_14partition_implILS5_8ELb0ES3_jPKaPS6_PKS6_NS0_5tupleIJPaS6_EEENSE_IJSB_SB_EEENS0_18inequality_wrapperIN6hipcub16HIPCUB_304000_NS8EqualityEEEPlJS6_EEE10hipError_tPvRmT3_T4_T5_T6_T7_T9_mT8_P12ihipStream_tbDpT10_ENKUlT_T0_E_clISt17integral_constantIbLb0EES17_EEDaS12_S13_EUlS12_E_NS1_11comp_targetILNS1_3genE3ELNS1_11target_archE908ELNS1_3gpuE7ELNS1_3repE0EEENS1_30default_config_static_selectorELNS0_4arch9wavefront6targetE0EEEvT1_
                                        ; -- End function
	.set _ZN7rocprim17ROCPRIM_400000_NS6detail17trampoline_kernelINS0_14default_configENS1_25partition_config_selectorILNS1_17partition_subalgoE8EaNS0_10empty_typeEbEEZZNS1_14partition_implILS5_8ELb0ES3_jPKaPS6_PKS6_NS0_5tupleIJPaS6_EEENSE_IJSB_SB_EEENS0_18inequality_wrapperIN6hipcub16HIPCUB_304000_NS8EqualityEEEPlJS6_EEE10hipError_tPvRmT3_T4_T5_T6_T7_T9_mT8_P12ihipStream_tbDpT10_ENKUlT_T0_E_clISt17integral_constantIbLb0EES17_EEDaS12_S13_EUlS12_E_NS1_11comp_targetILNS1_3genE3ELNS1_11target_archE908ELNS1_3gpuE7ELNS1_3repE0EEENS1_30default_config_static_selectorELNS0_4arch9wavefront6targetE0EEEvT1_.num_vgpr, 0
	.set _ZN7rocprim17ROCPRIM_400000_NS6detail17trampoline_kernelINS0_14default_configENS1_25partition_config_selectorILNS1_17partition_subalgoE8EaNS0_10empty_typeEbEEZZNS1_14partition_implILS5_8ELb0ES3_jPKaPS6_PKS6_NS0_5tupleIJPaS6_EEENSE_IJSB_SB_EEENS0_18inequality_wrapperIN6hipcub16HIPCUB_304000_NS8EqualityEEEPlJS6_EEE10hipError_tPvRmT3_T4_T5_T6_T7_T9_mT8_P12ihipStream_tbDpT10_ENKUlT_T0_E_clISt17integral_constantIbLb0EES17_EEDaS12_S13_EUlS12_E_NS1_11comp_targetILNS1_3genE3ELNS1_11target_archE908ELNS1_3gpuE7ELNS1_3repE0EEENS1_30default_config_static_selectorELNS0_4arch9wavefront6targetE0EEEvT1_.num_agpr, 0
	.set _ZN7rocprim17ROCPRIM_400000_NS6detail17trampoline_kernelINS0_14default_configENS1_25partition_config_selectorILNS1_17partition_subalgoE8EaNS0_10empty_typeEbEEZZNS1_14partition_implILS5_8ELb0ES3_jPKaPS6_PKS6_NS0_5tupleIJPaS6_EEENSE_IJSB_SB_EEENS0_18inequality_wrapperIN6hipcub16HIPCUB_304000_NS8EqualityEEEPlJS6_EEE10hipError_tPvRmT3_T4_T5_T6_T7_T9_mT8_P12ihipStream_tbDpT10_ENKUlT_T0_E_clISt17integral_constantIbLb0EES17_EEDaS12_S13_EUlS12_E_NS1_11comp_targetILNS1_3genE3ELNS1_11target_archE908ELNS1_3gpuE7ELNS1_3repE0EEENS1_30default_config_static_selectorELNS0_4arch9wavefront6targetE0EEEvT1_.numbered_sgpr, 0
	.set _ZN7rocprim17ROCPRIM_400000_NS6detail17trampoline_kernelINS0_14default_configENS1_25partition_config_selectorILNS1_17partition_subalgoE8EaNS0_10empty_typeEbEEZZNS1_14partition_implILS5_8ELb0ES3_jPKaPS6_PKS6_NS0_5tupleIJPaS6_EEENSE_IJSB_SB_EEENS0_18inequality_wrapperIN6hipcub16HIPCUB_304000_NS8EqualityEEEPlJS6_EEE10hipError_tPvRmT3_T4_T5_T6_T7_T9_mT8_P12ihipStream_tbDpT10_ENKUlT_T0_E_clISt17integral_constantIbLb0EES17_EEDaS12_S13_EUlS12_E_NS1_11comp_targetILNS1_3genE3ELNS1_11target_archE908ELNS1_3gpuE7ELNS1_3repE0EEENS1_30default_config_static_selectorELNS0_4arch9wavefront6targetE0EEEvT1_.num_named_barrier, 0
	.set _ZN7rocprim17ROCPRIM_400000_NS6detail17trampoline_kernelINS0_14default_configENS1_25partition_config_selectorILNS1_17partition_subalgoE8EaNS0_10empty_typeEbEEZZNS1_14partition_implILS5_8ELb0ES3_jPKaPS6_PKS6_NS0_5tupleIJPaS6_EEENSE_IJSB_SB_EEENS0_18inequality_wrapperIN6hipcub16HIPCUB_304000_NS8EqualityEEEPlJS6_EEE10hipError_tPvRmT3_T4_T5_T6_T7_T9_mT8_P12ihipStream_tbDpT10_ENKUlT_T0_E_clISt17integral_constantIbLb0EES17_EEDaS12_S13_EUlS12_E_NS1_11comp_targetILNS1_3genE3ELNS1_11target_archE908ELNS1_3gpuE7ELNS1_3repE0EEENS1_30default_config_static_selectorELNS0_4arch9wavefront6targetE0EEEvT1_.private_seg_size, 0
	.set _ZN7rocprim17ROCPRIM_400000_NS6detail17trampoline_kernelINS0_14default_configENS1_25partition_config_selectorILNS1_17partition_subalgoE8EaNS0_10empty_typeEbEEZZNS1_14partition_implILS5_8ELb0ES3_jPKaPS6_PKS6_NS0_5tupleIJPaS6_EEENSE_IJSB_SB_EEENS0_18inequality_wrapperIN6hipcub16HIPCUB_304000_NS8EqualityEEEPlJS6_EEE10hipError_tPvRmT3_T4_T5_T6_T7_T9_mT8_P12ihipStream_tbDpT10_ENKUlT_T0_E_clISt17integral_constantIbLb0EES17_EEDaS12_S13_EUlS12_E_NS1_11comp_targetILNS1_3genE3ELNS1_11target_archE908ELNS1_3gpuE7ELNS1_3repE0EEENS1_30default_config_static_selectorELNS0_4arch9wavefront6targetE0EEEvT1_.uses_vcc, 0
	.set _ZN7rocprim17ROCPRIM_400000_NS6detail17trampoline_kernelINS0_14default_configENS1_25partition_config_selectorILNS1_17partition_subalgoE8EaNS0_10empty_typeEbEEZZNS1_14partition_implILS5_8ELb0ES3_jPKaPS6_PKS6_NS0_5tupleIJPaS6_EEENSE_IJSB_SB_EEENS0_18inequality_wrapperIN6hipcub16HIPCUB_304000_NS8EqualityEEEPlJS6_EEE10hipError_tPvRmT3_T4_T5_T6_T7_T9_mT8_P12ihipStream_tbDpT10_ENKUlT_T0_E_clISt17integral_constantIbLb0EES17_EEDaS12_S13_EUlS12_E_NS1_11comp_targetILNS1_3genE3ELNS1_11target_archE908ELNS1_3gpuE7ELNS1_3repE0EEENS1_30default_config_static_selectorELNS0_4arch9wavefront6targetE0EEEvT1_.uses_flat_scratch, 0
	.set _ZN7rocprim17ROCPRIM_400000_NS6detail17trampoline_kernelINS0_14default_configENS1_25partition_config_selectorILNS1_17partition_subalgoE8EaNS0_10empty_typeEbEEZZNS1_14partition_implILS5_8ELb0ES3_jPKaPS6_PKS6_NS0_5tupleIJPaS6_EEENSE_IJSB_SB_EEENS0_18inequality_wrapperIN6hipcub16HIPCUB_304000_NS8EqualityEEEPlJS6_EEE10hipError_tPvRmT3_T4_T5_T6_T7_T9_mT8_P12ihipStream_tbDpT10_ENKUlT_T0_E_clISt17integral_constantIbLb0EES17_EEDaS12_S13_EUlS12_E_NS1_11comp_targetILNS1_3genE3ELNS1_11target_archE908ELNS1_3gpuE7ELNS1_3repE0EEENS1_30default_config_static_selectorELNS0_4arch9wavefront6targetE0EEEvT1_.has_dyn_sized_stack, 0
	.set _ZN7rocprim17ROCPRIM_400000_NS6detail17trampoline_kernelINS0_14default_configENS1_25partition_config_selectorILNS1_17partition_subalgoE8EaNS0_10empty_typeEbEEZZNS1_14partition_implILS5_8ELb0ES3_jPKaPS6_PKS6_NS0_5tupleIJPaS6_EEENSE_IJSB_SB_EEENS0_18inequality_wrapperIN6hipcub16HIPCUB_304000_NS8EqualityEEEPlJS6_EEE10hipError_tPvRmT3_T4_T5_T6_T7_T9_mT8_P12ihipStream_tbDpT10_ENKUlT_T0_E_clISt17integral_constantIbLb0EES17_EEDaS12_S13_EUlS12_E_NS1_11comp_targetILNS1_3genE3ELNS1_11target_archE908ELNS1_3gpuE7ELNS1_3repE0EEENS1_30default_config_static_selectorELNS0_4arch9wavefront6targetE0EEEvT1_.has_recursion, 0
	.set _ZN7rocprim17ROCPRIM_400000_NS6detail17trampoline_kernelINS0_14default_configENS1_25partition_config_selectorILNS1_17partition_subalgoE8EaNS0_10empty_typeEbEEZZNS1_14partition_implILS5_8ELb0ES3_jPKaPS6_PKS6_NS0_5tupleIJPaS6_EEENSE_IJSB_SB_EEENS0_18inequality_wrapperIN6hipcub16HIPCUB_304000_NS8EqualityEEEPlJS6_EEE10hipError_tPvRmT3_T4_T5_T6_T7_T9_mT8_P12ihipStream_tbDpT10_ENKUlT_T0_E_clISt17integral_constantIbLb0EES17_EEDaS12_S13_EUlS12_E_NS1_11comp_targetILNS1_3genE3ELNS1_11target_archE908ELNS1_3gpuE7ELNS1_3repE0EEENS1_30default_config_static_selectorELNS0_4arch9wavefront6targetE0EEEvT1_.has_indirect_call, 0
	.section	.AMDGPU.csdata,"",@progbits
; Kernel info:
; codeLenInByte = 0
; TotalNumSgprs: 0
; NumVgprs: 0
; ScratchSize: 0
; MemoryBound: 0
; FloatMode: 240
; IeeeMode: 1
; LDSByteSize: 0 bytes/workgroup (compile time only)
; SGPRBlocks: 0
; VGPRBlocks: 0
; NumSGPRsForWavesPerEU: 1
; NumVGPRsForWavesPerEU: 1
; NamedBarCnt: 0
; Occupancy: 16
; WaveLimiterHint : 0
; COMPUTE_PGM_RSRC2:SCRATCH_EN: 0
; COMPUTE_PGM_RSRC2:USER_SGPR: 2
; COMPUTE_PGM_RSRC2:TRAP_HANDLER: 0
; COMPUTE_PGM_RSRC2:TGID_X_EN: 1
; COMPUTE_PGM_RSRC2:TGID_Y_EN: 0
; COMPUTE_PGM_RSRC2:TGID_Z_EN: 0
; COMPUTE_PGM_RSRC2:TIDIG_COMP_CNT: 0
	.section	.text._ZN7rocprim17ROCPRIM_400000_NS6detail17trampoline_kernelINS0_14default_configENS1_25partition_config_selectorILNS1_17partition_subalgoE8EaNS0_10empty_typeEbEEZZNS1_14partition_implILS5_8ELb0ES3_jPKaPS6_PKS6_NS0_5tupleIJPaS6_EEENSE_IJSB_SB_EEENS0_18inequality_wrapperIN6hipcub16HIPCUB_304000_NS8EqualityEEEPlJS6_EEE10hipError_tPvRmT3_T4_T5_T6_T7_T9_mT8_P12ihipStream_tbDpT10_ENKUlT_T0_E_clISt17integral_constantIbLb0EES17_EEDaS12_S13_EUlS12_E_NS1_11comp_targetILNS1_3genE2ELNS1_11target_archE906ELNS1_3gpuE6ELNS1_3repE0EEENS1_30default_config_static_selectorELNS0_4arch9wavefront6targetE0EEEvT1_,"axG",@progbits,_ZN7rocprim17ROCPRIM_400000_NS6detail17trampoline_kernelINS0_14default_configENS1_25partition_config_selectorILNS1_17partition_subalgoE8EaNS0_10empty_typeEbEEZZNS1_14partition_implILS5_8ELb0ES3_jPKaPS6_PKS6_NS0_5tupleIJPaS6_EEENSE_IJSB_SB_EEENS0_18inequality_wrapperIN6hipcub16HIPCUB_304000_NS8EqualityEEEPlJS6_EEE10hipError_tPvRmT3_T4_T5_T6_T7_T9_mT8_P12ihipStream_tbDpT10_ENKUlT_T0_E_clISt17integral_constantIbLb0EES17_EEDaS12_S13_EUlS12_E_NS1_11comp_targetILNS1_3genE2ELNS1_11target_archE906ELNS1_3gpuE6ELNS1_3repE0EEENS1_30default_config_static_selectorELNS0_4arch9wavefront6targetE0EEEvT1_,comdat
	.protected	_ZN7rocprim17ROCPRIM_400000_NS6detail17trampoline_kernelINS0_14default_configENS1_25partition_config_selectorILNS1_17partition_subalgoE8EaNS0_10empty_typeEbEEZZNS1_14partition_implILS5_8ELb0ES3_jPKaPS6_PKS6_NS0_5tupleIJPaS6_EEENSE_IJSB_SB_EEENS0_18inequality_wrapperIN6hipcub16HIPCUB_304000_NS8EqualityEEEPlJS6_EEE10hipError_tPvRmT3_T4_T5_T6_T7_T9_mT8_P12ihipStream_tbDpT10_ENKUlT_T0_E_clISt17integral_constantIbLb0EES17_EEDaS12_S13_EUlS12_E_NS1_11comp_targetILNS1_3genE2ELNS1_11target_archE906ELNS1_3gpuE6ELNS1_3repE0EEENS1_30default_config_static_selectorELNS0_4arch9wavefront6targetE0EEEvT1_ ; -- Begin function _ZN7rocprim17ROCPRIM_400000_NS6detail17trampoline_kernelINS0_14default_configENS1_25partition_config_selectorILNS1_17partition_subalgoE8EaNS0_10empty_typeEbEEZZNS1_14partition_implILS5_8ELb0ES3_jPKaPS6_PKS6_NS0_5tupleIJPaS6_EEENSE_IJSB_SB_EEENS0_18inequality_wrapperIN6hipcub16HIPCUB_304000_NS8EqualityEEEPlJS6_EEE10hipError_tPvRmT3_T4_T5_T6_T7_T9_mT8_P12ihipStream_tbDpT10_ENKUlT_T0_E_clISt17integral_constantIbLb0EES17_EEDaS12_S13_EUlS12_E_NS1_11comp_targetILNS1_3genE2ELNS1_11target_archE906ELNS1_3gpuE6ELNS1_3repE0EEENS1_30default_config_static_selectorELNS0_4arch9wavefront6targetE0EEEvT1_
	.globl	_ZN7rocprim17ROCPRIM_400000_NS6detail17trampoline_kernelINS0_14default_configENS1_25partition_config_selectorILNS1_17partition_subalgoE8EaNS0_10empty_typeEbEEZZNS1_14partition_implILS5_8ELb0ES3_jPKaPS6_PKS6_NS0_5tupleIJPaS6_EEENSE_IJSB_SB_EEENS0_18inequality_wrapperIN6hipcub16HIPCUB_304000_NS8EqualityEEEPlJS6_EEE10hipError_tPvRmT3_T4_T5_T6_T7_T9_mT8_P12ihipStream_tbDpT10_ENKUlT_T0_E_clISt17integral_constantIbLb0EES17_EEDaS12_S13_EUlS12_E_NS1_11comp_targetILNS1_3genE2ELNS1_11target_archE906ELNS1_3gpuE6ELNS1_3repE0EEENS1_30default_config_static_selectorELNS0_4arch9wavefront6targetE0EEEvT1_
	.p2align	8
	.type	_ZN7rocprim17ROCPRIM_400000_NS6detail17trampoline_kernelINS0_14default_configENS1_25partition_config_selectorILNS1_17partition_subalgoE8EaNS0_10empty_typeEbEEZZNS1_14partition_implILS5_8ELb0ES3_jPKaPS6_PKS6_NS0_5tupleIJPaS6_EEENSE_IJSB_SB_EEENS0_18inequality_wrapperIN6hipcub16HIPCUB_304000_NS8EqualityEEEPlJS6_EEE10hipError_tPvRmT3_T4_T5_T6_T7_T9_mT8_P12ihipStream_tbDpT10_ENKUlT_T0_E_clISt17integral_constantIbLb0EES17_EEDaS12_S13_EUlS12_E_NS1_11comp_targetILNS1_3genE2ELNS1_11target_archE906ELNS1_3gpuE6ELNS1_3repE0EEENS1_30default_config_static_selectorELNS0_4arch9wavefront6targetE0EEEvT1_,@function
_ZN7rocprim17ROCPRIM_400000_NS6detail17trampoline_kernelINS0_14default_configENS1_25partition_config_selectorILNS1_17partition_subalgoE8EaNS0_10empty_typeEbEEZZNS1_14partition_implILS5_8ELb0ES3_jPKaPS6_PKS6_NS0_5tupleIJPaS6_EEENSE_IJSB_SB_EEENS0_18inequality_wrapperIN6hipcub16HIPCUB_304000_NS8EqualityEEEPlJS6_EEE10hipError_tPvRmT3_T4_T5_T6_T7_T9_mT8_P12ihipStream_tbDpT10_ENKUlT_T0_E_clISt17integral_constantIbLb0EES17_EEDaS12_S13_EUlS12_E_NS1_11comp_targetILNS1_3genE2ELNS1_11target_archE906ELNS1_3gpuE6ELNS1_3repE0EEENS1_30default_config_static_selectorELNS0_4arch9wavefront6targetE0EEEvT1_: ; @_ZN7rocprim17ROCPRIM_400000_NS6detail17trampoline_kernelINS0_14default_configENS1_25partition_config_selectorILNS1_17partition_subalgoE8EaNS0_10empty_typeEbEEZZNS1_14partition_implILS5_8ELb0ES3_jPKaPS6_PKS6_NS0_5tupleIJPaS6_EEENSE_IJSB_SB_EEENS0_18inequality_wrapperIN6hipcub16HIPCUB_304000_NS8EqualityEEEPlJS6_EEE10hipError_tPvRmT3_T4_T5_T6_T7_T9_mT8_P12ihipStream_tbDpT10_ENKUlT_T0_E_clISt17integral_constantIbLb0EES17_EEDaS12_S13_EUlS12_E_NS1_11comp_targetILNS1_3genE2ELNS1_11target_archE906ELNS1_3gpuE6ELNS1_3repE0EEENS1_30default_config_static_selectorELNS0_4arch9wavefront6targetE0EEEvT1_
; %bb.0:
	.section	.rodata,"a",@progbits
	.p2align	6, 0x0
	.amdhsa_kernel _ZN7rocprim17ROCPRIM_400000_NS6detail17trampoline_kernelINS0_14default_configENS1_25partition_config_selectorILNS1_17partition_subalgoE8EaNS0_10empty_typeEbEEZZNS1_14partition_implILS5_8ELb0ES3_jPKaPS6_PKS6_NS0_5tupleIJPaS6_EEENSE_IJSB_SB_EEENS0_18inequality_wrapperIN6hipcub16HIPCUB_304000_NS8EqualityEEEPlJS6_EEE10hipError_tPvRmT3_T4_T5_T6_T7_T9_mT8_P12ihipStream_tbDpT10_ENKUlT_T0_E_clISt17integral_constantIbLb0EES17_EEDaS12_S13_EUlS12_E_NS1_11comp_targetILNS1_3genE2ELNS1_11target_archE906ELNS1_3gpuE6ELNS1_3repE0EEENS1_30default_config_static_selectorELNS0_4arch9wavefront6targetE0EEEvT1_
		.amdhsa_group_segment_fixed_size 0
		.amdhsa_private_segment_fixed_size 0
		.amdhsa_kernarg_size 112
		.amdhsa_user_sgpr_count 2
		.amdhsa_user_sgpr_dispatch_ptr 0
		.amdhsa_user_sgpr_queue_ptr 0
		.amdhsa_user_sgpr_kernarg_segment_ptr 1
		.amdhsa_user_sgpr_dispatch_id 0
		.amdhsa_user_sgpr_kernarg_preload_length 0
		.amdhsa_user_sgpr_kernarg_preload_offset 0
		.amdhsa_user_sgpr_private_segment_size 0
		.amdhsa_wavefront_size32 1
		.amdhsa_uses_dynamic_stack 0
		.amdhsa_enable_private_segment 0
		.amdhsa_system_sgpr_workgroup_id_x 1
		.amdhsa_system_sgpr_workgroup_id_y 0
		.amdhsa_system_sgpr_workgroup_id_z 0
		.amdhsa_system_sgpr_workgroup_info 0
		.amdhsa_system_vgpr_workitem_id 0
		.amdhsa_next_free_vgpr 1
		.amdhsa_next_free_sgpr 1
		.amdhsa_named_barrier_count 0
		.amdhsa_reserve_vcc 0
		.amdhsa_float_round_mode_32 0
		.amdhsa_float_round_mode_16_64 0
		.amdhsa_float_denorm_mode_32 3
		.amdhsa_float_denorm_mode_16_64 3
		.amdhsa_fp16_overflow 0
		.amdhsa_memory_ordered 1
		.amdhsa_forward_progress 1
		.amdhsa_inst_pref_size 0
		.amdhsa_round_robin_scheduling 0
		.amdhsa_exception_fp_ieee_invalid_op 0
		.amdhsa_exception_fp_denorm_src 0
		.amdhsa_exception_fp_ieee_div_zero 0
		.amdhsa_exception_fp_ieee_overflow 0
		.amdhsa_exception_fp_ieee_underflow 0
		.amdhsa_exception_fp_ieee_inexact 0
		.amdhsa_exception_int_div_zero 0
	.end_amdhsa_kernel
	.section	.text._ZN7rocprim17ROCPRIM_400000_NS6detail17trampoline_kernelINS0_14default_configENS1_25partition_config_selectorILNS1_17partition_subalgoE8EaNS0_10empty_typeEbEEZZNS1_14partition_implILS5_8ELb0ES3_jPKaPS6_PKS6_NS0_5tupleIJPaS6_EEENSE_IJSB_SB_EEENS0_18inequality_wrapperIN6hipcub16HIPCUB_304000_NS8EqualityEEEPlJS6_EEE10hipError_tPvRmT3_T4_T5_T6_T7_T9_mT8_P12ihipStream_tbDpT10_ENKUlT_T0_E_clISt17integral_constantIbLb0EES17_EEDaS12_S13_EUlS12_E_NS1_11comp_targetILNS1_3genE2ELNS1_11target_archE906ELNS1_3gpuE6ELNS1_3repE0EEENS1_30default_config_static_selectorELNS0_4arch9wavefront6targetE0EEEvT1_,"axG",@progbits,_ZN7rocprim17ROCPRIM_400000_NS6detail17trampoline_kernelINS0_14default_configENS1_25partition_config_selectorILNS1_17partition_subalgoE8EaNS0_10empty_typeEbEEZZNS1_14partition_implILS5_8ELb0ES3_jPKaPS6_PKS6_NS0_5tupleIJPaS6_EEENSE_IJSB_SB_EEENS0_18inequality_wrapperIN6hipcub16HIPCUB_304000_NS8EqualityEEEPlJS6_EEE10hipError_tPvRmT3_T4_T5_T6_T7_T9_mT8_P12ihipStream_tbDpT10_ENKUlT_T0_E_clISt17integral_constantIbLb0EES17_EEDaS12_S13_EUlS12_E_NS1_11comp_targetILNS1_3genE2ELNS1_11target_archE906ELNS1_3gpuE6ELNS1_3repE0EEENS1_30default_config_static_selectorELNS0_4arch9wavefront6targetE0EEEvT1_,comdat
.Lfunc_end207:
	.size	_ZN7rocprim17ROCPRIM_400000_NS6detail17trampoline_kernelINS0_14default_configENS1_25partition_config_selectorILNS1_17partition_subalgoE8EaNS0_10empty_typeEbEEZZNS1_14partition_implILS5_8ELb0ES3_jPKaPS6_PKS6_NS0_5tupleIJPaS6_EEENSE_IJSB_SB_EEENS0_18inequality_wrapperIN6hipcub16HIPCUB_304000_NS8EqualityEEEPlJS6_EEE10hipError_tPvRmT3_T4_T5_T6_T7_T9_mT8_P12ihipStream_tbDpT10_ENKUlT_T0_E_clISt17integral_constantIbLb0EES17_EEDaS12_S13_EUlS12_E_NS1_11comp_targetILNS1_3genE2ELNS1_11target_archE906ELNS1_3gpuE6ELNS1_3repE0EEENS1_30default_config_static_selectorELNS0_4arch9wavefront6targetE0EEEvT1_, .Lfunc_end207-_ZN7rocprim17ROCPRIM_400000_NS6detail17trampoline_kernelINS0_14default_configENS1_25partition_config_selectorILNS1_17partition_subalgoE8EaNS0_10empty_typeEbEEZZNS1_14partition_implILS5_8ELb0ES3_jPKaPS6_PKS6_NS0_5tupleIJPaS6_EEENSE_IJSB_SB_EEENS0_18inequality_wrapperIN6hipcub16HIPCUB_304000_NS8EqualityEEEPlJS6_EEE10hipError_tPvRmT3_T4_T5_T6_T7_T9_mT8_P12ihipStream_tbDpT10_ENKUlT_T0_E_clISt17integral_constantIbLb0EES17_EEDaS12_S13_EUlS12_E_NS1_11comp_targetILNS1_3genE2ELNS1_11target_archE906ELNS1_3gpuE6ELNS1_3repE0EEENS1_30default_config_static_selectorELNS0_4arch9wavefront6targetE0EEEvT1_
                                        ; -- End function
	.set _ZN7rocprim17ROCPRIM_400000_NS6detail17trampoline_kernelINS0_14default_configENS1_25partition_config_selectorILNS1_17partition_subalgoE8EaNS0_10empty_typeEbEEZZNS1_14partition_implILS5_8ELb0ES3_jPKaPS6_PKS6_NS0_5tupleIJPaS6_EEENSE_IJSB_SB_EEENS0_18inequality_wrapperIN6hipcub16HIPCUB_304000_NS8EqualityEEEPlJS6_EEE10hipError_tPvRmT3_T4_T5_T6_T7_T9_mT8_P12ihipStream_tbDpT10_ENKUlT_T0_E_clISt17integral_constantIbLb0EES17_EEDaS12_S13_EUlS12_E_NS1_11comp_targetILNS1_3genE2ELNS1_11target_archE906ELNS1_3gpuE6ELNS1_3repE0EEENS1_30default_config_static_selectorELNS0_4arch9wavefront6targetE0EEEvT1_.num_vgpr, 0
	.set _ZN7rocprim17ROCPRIM_400000_NS6detail17trampoline_kernelINS0_14default_configENS1_25partition_config_selectorILNS1_17partition_subalgoE8EaNS0_10empty_typeEbEEZZNS1_14partition_implILS5_8ELb0ES3_jPKaPS6_PKS6_NS0_5tupleIJPaS6_EEENSE_IJSB_SB_EEENS0_18inequality_wrapperIN6hipcub16HIPCUB_304000_NS8EqualityEEEPlJS6_EEE10hipError_tPvRmT3_T4_T5_T6_T7_T9_mT8_P12ihipStream_tbDpT10_ENKUlT_T0_E_clISt17integral_constantIbLb0EES17_EEDaS12_S13_EUlS12_E_NS1_11comp_targetILNS1_3genE2ELNS1_11target_archE906ELNS1_3gpuE6ELNS1_3repE0EEENS1_30default_config_static_selectorELNS0_4arch9wavefront6targetE0EEEvT1_.num_agpr, 0
	.set _ZN7rocprim17ROCPRIM_400000_NS6detail17trampoline_kernelINS0_14default_configENS1_25partition_config_selectorILNS1_17partition_subalgoE8EaNS0_10empty_typeEbEEZZNS1_14partition_implILS5_8ELb0ES3_jPKaPS6_PKS6_NS0_5tupleIJPaS6_EEENSE_IJSB_SB_EEENS0_18inequality_wrapperIN6hipcub16HIPCUB_304000_NS8EqualityEEEPlJS6_EEE10hipError_tPvRmT3_T4_T5_T6_T7_T9_mT8_P12ihipStream_tbDpT10_ENKUlT_T0_E_clISt17integral_constantIbLb0EES17_EEDaS12_S13_EUlS12_E_NS1_11comp_targetILNS1_3genE2ELNS1_11target_archE906ELNS1_3gpuE6ELNS1_3repE0EEENS1_30default_config_static_selectorELNS0_4arch9wavefront6targetE0EEEvT1_.numbered_sgpr, 0
	.set _ZN7rocprim17ROCPRIM_400000_NS6detail17trampoline_kernelINS0_14default_configENS1_25partition_config_selectorILNS1_17partition_subalgoE8EaNS0_10empty_typeEbEEZZNS1_14partition_implILS5_8ELb0ES3_jPKaPS6_PKS6_NS0_5tupleIJPaS6_EEENSE_IJSB_SB_EEENS0_18inequality_wrapperIN6hipcub16HIPCUB_304000_NS8EqualityEEEPlJS6_EEE10hipError_tPvRmT3_T4_T5_T6_T7_T9_mT8_P12ihipStream_tbDpT10_ENKUlT_T0_E_clISt17integral_constantIbLb0EES17_EEDaS12_S13_EUlS12_E_NS1_11comp_targetILNS1_3genE2ELNS1_11target_archE906ELNS1_3gpuE6ELNS1_3repE0EEENS1_30default_config_static_selectorELNS0_4arch9wavefront6targetE0EEEvT1_.num_named_barrier, 0
	.set _ZN7rocprim17ROCPRIM_400000_NS6detail17trampoline_kernelINS0_14default_configENS1_25partition_config_selectorILNS1_17partition_subalgoE8EaNS0_10empty_typeEbEEZZNS1_14partition_implILS5_8ELb0ES3_jPKaPS6_PKS6_NS0_5tupleIJPaS6_EEENSE_IJSB_SB_EEENS0_18inequality_wrapperIN6hipcub16HIPCUB_304000_NS8EqualityEEEPlJS6_EEE10hipError_tPvRmT3_T4_T5_T6_T7_T9_mT8_P12ihipStream_tbDpT10_ENKUlT_T0_E_clISt17integral_constantIbLb0EES17_EEDaS12_S13_EUlS12_E_NS1_11comp_targetILNS1_3genE2ELNS1_11target_archE906ELNS1_3gpuE6ELNS1_3repE0EEENS1_30default_config_static_selectorELNS0_4arch9wavefront6targetE0EEEvT1_.private_seg_size, 0
	.set _ZN7rocprim17ROCPRIM_400000_NS6detail17trampoline_kernelINS0_14default_configENS1_25partition_config_selectorILNS1_17partition_subalgoE8EaNS0_10empty_typeEbEEZZNS1_14partition_implILS5_8ELb0ES3_jPKaPS6_PKS6_NS0_5tupleIJPaS6_EEENSE_IJSB_SB_EEENS0_18inequality_wrapperIN6hipcub16HIPCUB_304000_NS8EqualityEEEPlJS6_EEE10hipError_tPvRmT3_T4_T5_T6_T7_T9_mT8_P12ihipStream_tbDpT10_ENKUlT_T0_E_clISt17integral_constantIbLb0EES17_EEDaS12_S13_EUlS12_E_NS1_11comp_targetILNS1_3genE2ELNS1_11target_archE906ELNS1_3gpuE6ELNS1_3repE0EEENS1_30default_config_static_selectorELNS0_4arch9wavefront6targetE0EEEvT1_.uses_vcc, 0
	.set _ZN7rocprim17ROCPRIM_400000_NS6detail17trampoline_kernelINS0_14default_configENS1_25partition_config_selectorILNS1_17partition_subalgoE8EaNS0_10empty_typeEbEEZZNS1_14partition_implILS5_8ELb0ES3_jPKaPS6_PKS6_NS0_5tupleIJPaS6_EEENSE_IJSB_SB_EEENS0_18inequality_wrapperIN6hipcub16HIPCUB_304000_NS8EqualityEEEPlJS6_EEE10hipError_tPvRmT3_T4_T5_T6_T7_T9_mT8_P12ihipStream_tbDpT10_ENKUlT_T0_E_clISt17integral_constantIbLb0EES17_EEDaS12_S13_EUlS12_E_NS1_11comp_targetILNS1_3genE2ELNS1_11target_archE906ELNS1_3gpuE6ELNS1_3repE0EEENS1_30default_config_static_selectorELNS0_4arch9wavefront6targetE0EEEvT1_.uses_flat_scratch, 0
	.set _ZN7rocprim17ROCPRIM_400000_NS6detail17trampoline_kernelINS0_14default_configENS1_25partition_config_selectorILNS1_17partition_subalgoE8EaNS0_10empty_typeEbEEZZNS1_14partition_implILS5_8ELb0ES3_jPKaPS6_PKS6_NS0_5tupleIJPaS6_EEENSE_IJSB_SB_EEENS0_18inequality_wrapperIN6hipcub16HIPCUB_304000_NS8EqualityEEEPlJS6_EEE10hipError_tPvRmT3_T4_T5_T6_T7_T9_mT8_P12ihipStream_tbDpT10_ENKUlT_T0_E_clISt17integral_constantIbLb0EES17_EEDaS12_S13_EUlS12_E_NS1_11comp_targetILNS1_3genE2ELNS1_11target_archE906ELNS1_3gpuE6ELNS1_3repE0EEENS1_30default_config_static_selectorELNS0_4arch9wavefront6targetE0EEEvT1_.has_dyn_sized_stack, 0
	.set _ZN7rocprim17ROCPRIM_400000_NS6detail17trampoline_kernelINS0_14default_configENS1_25partition_config_selectorILNS1_17partition_subalgoE8EaNS0_10empty_typeEbEEZZNS1_14partition_implILS5_8ELb0ES3_jPKaPS6_PKS6_NS0_5tupleIJPaS6_EEENSE_IJSB_SB_EEENS0_18inequality_wrapperIN6hipcub16HIPCUB_304000_NS8EqualityEEEPlJS6_EEE10hipError_tPvRmT3_T4_T5_T6_T7_T9_mT8_P12ihipStream_tbDpT10_ENKUlT_T0_E_clISt17integral_constantIbLb0EES17_EEDaS12_S13_EUlS12_E_NS1_11comp_targetILNS1_3genE2ELNS1_11target_archE906ELNS1_3gpuE6ELNS1_3repE0EEENS1_30default_config_static_selectorELNS0_4arch9wavefront6targetE0EEEvT1_.has_recursion, 0
	.set _ZN7rocprim17ROCPRIM_400000_NS6detail17trampoline_kernelINS0_14default_configENS1_25partition_config_selectorILNS1_17partition_subalgoE8EaNS0_10empty_typeEbEEZZNS1_14partition_implILS5_8ELb0ES3_jPKaPS6_PKS6_NS0_5tupleIJPaS6_EEENSE_IJSB_SB_EEENS0_18inequality_wrapperIN6hipcub16HIPCUB_304000_NS8EqualityEEEPlJS6_EEE10hipError_tPvRmT3_T4_T5_T6_T7_T9_mT8_P12ihipStream_tbDpT10_ENKUlT_T0_E_clISt17integral_constantIbLb0EES17_EEDaS12_S13_EUlS12_E_NS1_11comp_targetILNS1_3genE2ELNS1_11target_archE906ELNS1_3gpuE6ELNS1_3repE0EEENS1_30default_config_static_selectorELNS0_4arch9wavefront6targetE0EEEvT1_.has_indirect_call, 0
	.section	.AMDGPU.csdata,"",@progbits
; Kernel info:
; codeLenInByte = 0
; TotalNumSgprs: 0
; NumVgprs: 0
; ScratchSize: 0
; MemoryBound: 0
; FloatMode: 240
; IeeeMode: 1
; LDSByteSize: 0 bytes/workgroup (compile time only)
; SGPRBlocks: 0
; VGPRBlocks: 0
; NumSGPRsForWavesPerEU: 1
; NumVGPRsForWavesPerEU: 1
; NamedBarCnt: 0
; Occupancy: 16
; WaveLimiterHint : 0
; COMPUTE_PGM_RSRC2:SCRATCH_EN: 0
; COMPUTE_PGM_RSRC2:USER_SGPR: 2
; COMPUTE_PGM_RSRC2:TRAP_HANDLER: 0
; COMPUTE_PGM_RSRC2:TGID_X_EN: 1
; COMPUTE_PGM_RSRC2:TGID_Y_EN: 0
; COMPUTE_PGM_RSRC2:TGID_Z_EN: 0
; COMPUTE_PGM_RSRC2:TIDIG_COMP_CNT: 0
	.section	.text._ZN7rocprim17ROCPRIM_400000_NS6detail17trampoline_kernelINS0_14default_configENS1_25partition_config_selectorILNS1_17partition_subalgoE8EaNS0_10empty_typeEbEEZZNS1_14partition_implILS5_8ELb0ES3_jPKaPS6_PKS6_NS0_5tupleIJPaS6_EEENSE_IJSB_SB_EEENS0_18inequality_wrapperIN6hipcub16HIPCUB_304000_NS8EqualityEEEPlJS6_EEE10hipError_tPvRmT3_T4_T5_T6_T7_T9_mT8_P12ihipStream_tbDpT10_ENKUlT_T0_E_clISt17integral_constantIbLb0EES17_EEDaS12_S13_EUlS12_E_NS1_11comp_targetILNS1_3genE10ELNS1_11target_archE1200ELNS1_3gpuE4ELNS1_3repE0EEENS1_30default_config_static_selectorELNS0_4arch9wavefront6targetE0EEEvT1_,"axG",@progbits,_ZN7rocprim17ROCPRIM_400000_NS6detail17trampoline_kernelINS0_14default_configENS1_25partition_config_selectorILNS1_17partition_subalgoE8EaNS0_10empty_typeEbEEZZNS1_14partition_implILS5_8ELb0ES3_jPKaPS6_PKS6_NS0_5tupleIJPaS6_EEENSE_IJSB_SB_EEENS0_18inequality_wrapperIN6hipcub16HIPCUB_304000_NS8EqualityEEEPlJS6_EEE10hipError_tPvRmT3_T4_T5_T6_T7_T9_mT8_P12ihipStream_tbDpT10_ENKUlT_T0_E_clISt17integral_constantIbLb0EES17_EEDaS12_S13_EUlS12_E_NS1_11comp_targetILNS1_3genE10ELNS1_11target_archE1200ELNS1_3gpuE4ELNS1_3repE0EEENS1_30default_config_static_selectorELNS0_4arch9wavefront6targetE0EEEvT1_,comdat
	.protected	_ZN7rocprim17ROCPRIM_400000_NS6detail17trampoline_kernelINS0_14default_configENS1_25partition_config_selectorILNS1_17partition_subalgoE8EaNS0_10empty_typeEbEEZZNS1_14partition_implILS5_8ELb0ES3_jPKaPS6_PKS6_NS0_5tupleIJPaS6_EEENSE_IJSB_SB_EEENS0_18inequality_wrapperIN6hipcub16HIPCUB_304000_NS8EqualityEEEPlJS6_EEE10hipError_tPvRmT3_T4_T5_T6_T7_T9_mT8_P12ihipStream_tbDpT10_ENKUlT_T0_E_clISt17integral_constantIbLb0EES17_EEDaS12_S13_EUlS12_E_NS1_11comp_targetILNS1_3genE10ELNS1_11target_archE1200ELNS1_3gpuE4ELNS1_3repE0EEENS1_30default_config_static_selectorELNS0_4arch9wavefront6targetE0EEEvT1_ ; -- Begin function _ZN7rocprim17ROCPRIM_400000_NS6detail17trampoline_kernelINS0_14default_configENS1_25partition_config_selectorILNS1_17partition_subalgoE8EaNS0_10empty_typeEbEEZZNS1_14partition_implILS5_8ELb0ES3_jPKaPS6_PKS6_NS0_5tupleIJPaS6_EEENSE_IJSB_SB_EEENS0_18inequality_wrapperIN6hipcub16HIPCUB_304000_NS8EqualityEEEPlJS6_EEE10hipError_tPvRmT3_T4_T5_T6_T7_T9_mT8_P12ihipStream_tbDpT10_ENKUlT_T0_E_clISt17integral_constantIbLb0EES17_EEDaS12_S13_EUlS12_E_NS1_11comp_targetILNS1_3genE10ELNS1_11target_archE1200ELNS1_3gpuE4ELNS1_3repE0EEENS1_30default_config_static_selectorELNS0_4arch9wavefront6targetE0EEEvT1_
	.globl	_ZN7rocprim17ROCPRIM_400000_NS6detail17trampoline_kernelINS0_14default_configENS1_25partition_config_selectorILNS1_17partition_subalgoE8EaNS0_10empty_typeEbEEZZNS1_14partition_implILS5_8ELb0ES3_jPKaPS6_PKS6_NS0_5tupleIJPaS6_EEENSE_IJSB_SB_EEENS0_18inequality_wrapperIN6hipcub16HIPCUB_304000_NS8EqualityEEEPlJS6_EEE10hipError_tPvRmT3_T4_T5_T6_T7_T9_mT8_P12ihipStream_tbDpT10_ENKUlT_T0_E_clISt17integral_constantIbLb0EES17_EEDaS12_S13_EUlS12_E_NS1_11comp_targetILNS1_3genE10ELNS1_11target_archE1200ELNS1_3gpuE4ELNS1_3repE0EEENS1_30default_config_static_selectorELNS0_4arch9wavefront6targetE0EEEvT1_
	.p2align	8
	.type	_ZN7rocprim17ROCPRIM_400000_NS6detail17trampoline_kernelINS0_14default_configENS1_25partition_config_selectorILNS1_17partition_subalgoE8EaNS0_10empty_typeEbEEZZNS1_14partition_implILS5_8ELb0ES3_jPKaPS6_PKS6_NS0_5tupleIJPaS6_EEENSE_IJSB_SB_EEENS0_18inequality_wrapperIN6hipcub16HIPCUB_304000_NS8EqualityEEEPlJS6_EEE10hipError_tPvRmT3_T4_T5_T6_T7_T9_mT8_P12ihipStream_tbDpT10_ENKUlT_T0_E_clISt17integral_constantIbLb0EES17_EEDaS12_S13_EUlS12_E_NS1_11comp_targetILNS1_3genE10ELNS1_11target_archE1200ELNS1_3gpuE4ELNS1_3repE0EEENS1_30default_config_static_selectorELNS0_4arch9wavefront6targetE0EEEvT1_,@function
_ZN7rocprim17ROCPRIM_400000_NS6detail17trampoline_kernelINS0_14default_configENS1_25partition_config_selectorILNS1_17partition_subalgoE8EaNS0_10empty_typeEbEEZZNS1_14partition_implILS5_8ELb0ES3_jPKaPS6_PKS6_NS0_5tupleIJPaS6_EEENSE_IJSB_SB_EEENS0_18inequality_wrapperIN6hipcub16HIPCUB_304000_NS8EqualityEEEPlJS6_EEE10hipError_tPvRmT3_T4_T5_T6_T7_T9_mT8_P12ihipStream_tbDpT10_ENKUlT_T0_E_clISt17integral_constantIbLb0EES17_EEDaS12_S13_EUlS12_E_NS1_11comp_targetILNS1_3genE10ELNS1_11target_archE1200ELNS1_3gpuE4ELNS1_3repE0EEENS1_30default_config_static_selectorELNS0_4arch9wavefront6targetE0EEEvT1_: ; @_ZN7rocprim17ROCPRIM_400000_NS6detail17trampoline_kernelINS0_14default_configENS1_25partition_config_selectorILNS1_17partition_subalgoE8EaNS0_10empty_typeEbEEZZNS1_14partition_implILS5_8ELb0ES3_jPKaPS6_PKS6_NS0_5tupleIJPaS6_EEENSE_IJSB_SB_EEENS0_18inequality_wrapperIN6hipcub16HIPCUB_304000_NS8EqualityEEEPlJS6_EEE10hipError_tPvRmT3_T4_T5_T6_T7_T9_mT8_P12ihipStream_tbDpT10_ENKUlT_T0_E_clISt17integral_constantIbLb0EES17_EEDaS12_S13_EUlS12_E_NS1_11comp_targetILNS1_3genE10ELNS1_11target_archE1200ELNS1_3gpuE4ELNS1_3repE0EEENS1_30default_config_static_selectorELNS0_4arch9wavefront6targetE0EEEvT1_
; %bb.0:
	.section	.rodata,"a",@progbits
	.p2align	6, 0x0
	.amdhsa_kernel _ZN7rocprim17ROCPRIM_400000_NS6detail17trampoline_kernelINS0_14default_configENS1_25partition_config_selectorILNS1_17partition_subalgoE8EaNS0_10empty_typeEbEEZZNS1_14partition_implILS5_8ELb0ES3_jPKaPS6_PKS6_NS0_5tupleIJPaS6_EEENSE_IJSB_SB_EEENS0_18inequality_wrapperIN6hipcub16HIPCUB_304000_NS8EqualityEEEPlJS6_EEE10hipError_tPvRmT3_T4_T5_T6_T7_T9_mT8_P12ihipStream_tbDpT10_ENKUlT_T0_E_clISt17integral_constantIbLb0EES17_EEDaS12_S13_EUlS12_E_NS1_11comp_targetILNS1_3genE10ELNS1_11target_archE1200ELNS1_3gpuE4ELNS1_3repE0EEENS1_30default_config_static_selectorELNS0_4arch9wavefront6targetE0EEEvT1_
		.amdhsa_group_segment_fixed_size 0
		.amdhsa_private_segment_fixed_size 0
		.amdhsa_kernarg_size 112
		.amdhsa_user_sgpr_count 2
		.amdhsa_user_sgpr_dispatch_ptr 0
		.amdhsa_user_sgpr_queue_ptr 0
		.amdhsa_user_sgpr_kernarg_segment_ptr 1
		.amdhsa_user_sgpr_dispatch_id 0
		.amdhsa_user_sgpr_kernarg_preload_length 0
		.amdhsa_user_sgpr_kernarg_preload_offset 0
		.amdhsa_user_sgpr_private_segment_size 0
		.amdhsa_wavefront_size32 1
		.amdhsa_uses_dynamic_stack 0
		.amdhsa_enable_private_segment 0
		.amdhsa_system_sgpr_workgroup_id_x 1
		.amdhsa_system_sgpr_workgroup_id_y 0
		.amdhsa_system_sgpr_workgroup_id_z 0
		.amdhsa_system_sgpr_workgroup_info 0
		.amdhsa_system_vgpr_workitem_id 0
		.amdhsa_next_free_vgpr 1
		.amdhsa_next_free_sgpr 1
		.amdhsa_named_barrier_count 0
		.amdhsa_reserve_vcc 0
		.amdhsa_float_round_mode_32 0
		.amdhsa_float_round_mode_16_64 0
		.amdhsa_float_denorm_mode_32 3
		.amdhsa_float_denorm_mode_16_64 3
		.amdhsa_fp16_overflow 0
		.amdhsa_memory_ordered 1
		.amdhsa_forward_progress 1
		.amdhsa_inst_pref_size 0
		.amdhsa_round_robin_scheduling 0
		.amdhsa_exception_fp_ieee_invalid_op 0
		.amdhsa_exception_fp_denorm_src 0
		.amdhsa_exception_fp_ieee_div_zero 0
		.amdhsa_exception_fp_ieee_overflow 0
		.amdhsa_exception_fp_ieee_underflow 0
		.amdhsa_exception_fp_ieee_inexact 0
		.amdhsa_exception_int_div_zero 0
	.end_amdhsa_kernel
	.section	.text._ZN7rocprim17ROCPRIM_400000_NS6detail17trampoline_kernelINS0_14default_configENS1_25partition_config_selectorILNS1_17partition_subalgoE8EaNS0_10empty_typeEbEEZZNS1_14partition_implILS5_8ELb0ES3_jPKaPS6_PKS6_NS0_5tupleIJPaS6_EEENSE_IJSB_SB_EEENS0_18inequality_wrapperIN6hipcub16HIPCUB_304000_NS8EqualityEEEPlJS6_EEE10hipError_tPvRmT3_T4_T5_T6_T7_T9_mT8_P12ihipStream_tbDpT10_ENKUlT_T0_E_clISt17integral_constantIbLb0EES17_EEDaS12_S13_EUlS12_E_NS1_11comp_targetILNS1_3genE10ELNS1_11target_archE1200ELNS1_3gpuE4ELNS1_3repE0EEENS1_30default_config_static_selectorELNS0_4arch9wavefront6targetE0EEEvT1_,"axG",@progbits,_ZN7rocprim17ROCPRIM_400000_NS6detail17trampoline_kernelINS0_14default_configENS1_25partition_config_selectorILNS1_17partition_subalgoE8EaNS0_10empty_typeEbEEZZNS1_14partition_implILS5_8ELb0ES3_jPKaPS6_PKS6_NS0_5tupleIJPaS6_EEENSE_IJSB_SB_EEENS0_18inequality_wrapperIN6hipcub16HIPCUB_304000_NS8EqualityEEEPlJS6_EEE10hipError_tPvRmT3_T4_T5_T6_T7_T9_mT8_P12ihipStream_tbDpT10_ENKUlT_T0_E_clISt17integral_constantIbLb0EES17_EEDaS12_S13_EUlS12_E_NS1_11comp_targetILNS1_3genE10ELNS1_11target_archE1200ELNS1_3gpuE4ELNS1_3repE0EEENS1_30default_config_static_selectorELNS0_4arch9wavefront6targetE0EEEvT1_,comdat
.Lfunc_end208:
	.size	_ZN7rocprim17ROCPRIM_400000_NS6detail17trampoline_kernelINS0_14default_configENS1_25partition_config_selectorILNS1_17partition_subalgoE8EaNS0_10empty_typeEbEEZZNS1_14partition_implILS5_8ELb0ES3_jPKaPS6_PKS6_NS0_5tupleIJPaS6_EEENSE_IJSB_SB_EEENS0_18inequality_wrapperIN6hipcub16HIPCUB_304000_NS8EqualityEEEPlJS6_EEE10hipError_tPvRmT3_T4_T5_T6_T7_T9_mT8_P12ihipStream_tbDpT10_ENKUlT_T0_E_clISt17integral_constantIbLb0EES17_EEDaS12_S13_EUlS12_E_NS1_11comp_targetILNS1_3genE10ELNS1_11target_archE1200ELNS1_3gpuE4ELNS1_3repE0EEENS1_30default_config_static_selectorELNS0_4arch9wavefront6targetE0EEEvT1_, .Lfunc_end208-_ZN7rocprim17ROCPRIM_400000_NS6detail17trampoline_kernelINS0_14default_configENS1_25partition_config_selectorILNS1_17partition_subalgoE8EaNS0_10empty_typeEbEEZZNS1_14partition_implILS5_8ELb0ES3_jPKaPS6_PKS6_NS0_5tupleIJPaS6_EEENSE_IJSB_SB_EEENS0_18inequality_wrapperIN6hipcub16HIPCUB_304000_NS8EqualityEEEPlJS6_EEE10hipError_tPvRmT3_T4_T5_T6_T7_T9_mT8_P12ihipStream_tbDpT10_ENKUlT_T0_E_clISt17integral_constantIbLb0EES17_EEDaS12_S13_EUlS12_E_NS1_11comp_targetILNS1_3genE10ELNS1_11target_archE1200ELNS1_3gpuE4ELNS1_3repE0EEENS1_30default_config_static_selectorELNS0_4arch9wavefront6targetE0EEEvT1_
                                        ; -- End function
	.set _ZN7rocprim17ROCPRIM_400000_NS6detail17trampoline_kernelINS0_14default_configENS1_25partition_config_selectorILNS1_17partition_subalgoE8EaNS0_10empty_typeEbEEZZNS1_14partition_implILS5_8ELb0ES3_jPKaPS6_PKS6_NS0_5tupleIJPaS6_EEENSE_IJSB_SB_EEENS0_18inequality_wrapperIN6hipcub16HIPCUB_304000_NS8EqualityEEEPlJS6_EEE10hipError_tPvRmT3_T4_T5_T6_T7_T9_mT8_P12ihipStream_tbDpT10_ENKUlT_T0_E_clISt17integral_constantIbLb0EES17_EEDaS12_S13_EUlS12_E_NS1_11comp_targetILNS1_3genE10ELNS1_11target_archE1200ELNS1_3gpuE4ELNS1_3repE0EEENS1_30default_config_static_selectorELNS0_4arch9wavefront6targetE0EEEvT1_.num_vgpr, 0
	.set _ZN7rocprim17ROCPRIM_400000_NS6detail17trampoline_kernelINS0_14default_configENS1_25partition_config_selectorILNS1_17partition_subalgoE8EaNS0_10empty_typeEbEEZZNS1_14partition_implILS5_8ELb0ES3_jPKaPS6_PKS6_NS0_5tupleIJPaS6_EEENSE_IJSB_SB_EEENS0_18inequality_wrapperIN6hipcub16HIPCUB_304000_NS8EqualityEEEPlJS6_EEE10hipError_tPvRmT3_T4_T5_T6_T7_T9_mT8_P12ihipStream_tbDpT10_ENKUlT_T0_E_clISt17integral_constantIbLb0EES17_EEDaS12_S13_EUlS12_E_NS1_11comp_targetILNS1_3genE10ELNS1_11target_archE1200ELNS1_3gpuE4ELNS1_3repE0EEENS1_30default_config_static_selectorELNS0_4arch9wavefront6targetE0EEEvT1_.num_agpr, 0
	.set _ZN7rocprim17ROCPRIM_400000_NS6detail17trampoline_kernelINS0_14default_configENS1_25partition_config_selectorILNS1_17partition_subalgoE8EaNS0_10empty_typeEbEEZZNS1_14partition_implILS5_8ELb0ES3_jPKaPS6_PKS6_NS0_5tupleIJPaS6_EEENSE_IJSB_SB_EEENS0_18inequality_wrapperIN6hipcub16HIPCUB_304000_NS8EqualityEEEPlJS6_EEE10hipError_tPvRmT3_T4_T5_T6_T7_T9_mT8_P12ihipStream_tbDpT10_ENKUlT_T0_E_clISt17integral_constantIbLb0EES17_EEDaS12_S13_EUlS12_E_NS1_11comp_targetILNS1_3genE10ELNS1_11target_archE1200ELNS1_3gpuE4ELNS1_3repE0EEENS1_30default_config_static_selectorELNS0_4arch9wavefront6targetE0EEEvT1_.numbered_sgpr, 0
	.set _ZN7rocprim17ROCPRIM_400000_NS6detail17trampoline_kernelINS0_14default_configENS1_25partition_config_selectorILNS1_17partition_subalgoE8EaNS0_10empty_typeEbEEZZNS1_14partition_implILS5_8ELb0ES3_jPKaPS6_PKS6_NS0_5tupleIJPaS6_EEENSE_IJSB_SB_EEENS0_18inequality_wrapperIN6hipcub16HIPCUB_304000_NS8EqualityEEEPlJS6_EEE10hipError_tPvRmT3_T4_T5_T6_T7_T9_mT8_P12ihipStream_tbDpT10_ENKUlT_T0_E_clISt17integral_constantIbLb0EES17_EEDaS12_S13_EUlS12_E_NS1_11comp_targetILNS1_3genE10ELNS1_11target_archE1200ELNS1_3gpuE4ELNS1_3repE0EEENS1_30default_config_static_selectorELNS0_4arch9wavefront6targetE0EEEvT1_.num_named_barrier, 0
	.set _ZN7rocprim17ROCPRIM_400000_NS6detail17trampoline_kernelINS0_14default_configENS1_25partition_config_selectorILNS1_17partition_subalgoE8EaNS0_10empty_typeEbEEZZNS1_14partition_implILS5_8ELb0ES3_jPKaPS6_PKS6_NS0_5tupleIJPaS6_EEENSE_IJSB_SB_EEENS0_18inequality_wrapperIN6hipcub16HIPCUB_304000_NS8EqualityEEEPlJS6_EEE10hipError_tPvRmT3_T4_T5_T6_T7_T9_mT8_P12ihipStream_tbDpT10_ENKUlT_T0_E_clISt17integral_constantIbLb0EES17_EEDaS12_S13_EUlS12_E_NS1_11comp_targetILNS1_3genE10ELNS1_11target_archE1200ELNS1_3gpuE4ELNS1_3repE0EEENS1_30default_config_static_selectorELNS0_4arch9wavefront6targetE0EEEvT1_.private_seg_size, 0
	.set _ZN7rocprim17ROCPRIM_400000_NS6detail17trampoline_kernelINS0_14default_configENS1_25partition_config_selectorILNS1_17partition_subalgoE8EaNS0_10empty_typeEbEEZZNS1_14partition_implILS5_8ELb0ES3_jPKaPS6_PKS6_NS0_5tupleIJPaS6_EEENSE_IJSB_SB_EEENS0_18inequality_wrapperIN6hipcub16HIPCUB_304000_NS8EqualityEEEPlJS6_EEE10hipError_tPvRmT3_T4_T5_T6_T7_T9_mT8_P12ihipStream_tbDpT10_ENKUlT_T0_E_clISt17integral_constantIbLb0EES17_EEDaS12_S13_EUlS12_E_NS1_11comp_targetILNS1_3genE10ELNS1_11target_archE1200ELNS1_3gpuE4ELNS1_3repE0EEENS1_30default_config_static_selectorELNS0_4arch9wavefront6targetE0EEEvT1_.uses_vcc, 0
	.set _ZN7rocprim17ROCPRIM_400000_NS6detail17trampoline_kernelINS0_14default_configENS1_25partition_config_selectorILNS1_17partition_subalgoE8EaNS0_10empty_typeEbEEZZNS1_14partition_implILS5_8ELb0ES3_jPKaPS6_PKS6_NS0_5tupleIJPaS6_EEENSE_IJSB_SB_EEENS0_18inequality_wrapperIN6hipcub16HIPCUB_304000_NS8EqualityEEEPlJS6_EEE10hipError_tPvRmT3_T4_T5_T6_T7_T9_mT8_P12ihipStream_tbDpT10_ENKUlT_T0_E_clISt17integral_constantIbLb0EES17_EEDaS12_S13_EUlS12_E_NS1_11comp_targetILNS1_3genE10ELNS1_11target_archE1200ELNS1_3gpuE4ELNS1_3repE0EEENS1_30default_config_static_selectorELNS0_4arch9wavefront6targetE0EEEvT1_.uses_flat_scratch, 0
	.set _ZN7rocprim17ROCPRIM_400000_NS6detail17trampoline_kernelINS0_14default_configENS1_25partition_config_selectorILNS1_17partition_subalgoE8EaNS0_10empty_typeEbEEZZNS1_14partition_implILS5_8ELb0ES3_jPKaPS6_PKS6_NS0_5tupleIJPaS6_EEENSE_IJSB_SB_EEENS0_18inequality_wrapperIN6hipcub16HIPCUB_304000_NS8EqualityEEEPlJS6_EEE10hipError_tPvRmT3_T4_T5_T6_T7_T9_mT8_P12ihipStream_tbDpT10_ENKUlT_T0_E_clISt17integral_constantIbLb0EES17_EEDaS12_S13_EUlS12_E_NS1_11comp_targetILNS1_3genE10ELNS1_11target_archE1200ELNS1_3gpuE4ELNS1_3repE0EEENS1_30default_config_static_selectorELNS0_4arch9wavefront6targetE0EEEvT1_.has_dyn_sized_stack, 0
	.set _ZN7rocprim17ROCPRIM_400000_NS6detail17trampoline_kernelINS0_14default_configENS1_25partition_config_selectorILNS1_17partition_subalgoE8EaNS0_10empty_typeEbEEZZNS1_14partition_implILS5_8ELb0ES3_jPKaPS6_PKS6_NS0_5tupleIJPaS6_EEENSE_IJSB_SB_EEENS0_18inequality_wrapperIN6hipcub16HIPCUB_304000_NS8EqualityEEEPlJS6_EEE10hipError_tPvRmT3_T4_T5_T6_T7_T9_mT8_P12ihipStream_tbDpT10_ENKUlT_T0_E_clISt17integral_constantIbLb0EES17_EEDaS12_S13_EUlS12_E_NS1_11comp_targetILNS1_3genE10ELNS1_11target_archE1200ELNS1_3gpuE4ELNS1_3repE0EEENS1_30default_config_static_selectorELNS0_4arch9wavefront6targetE0EEEvT1_.has_recursion, 0
	.set _ZN7rocprim17ROCPRIM_400000_NS6detail17trampoline_kernelINS0_14default_configENS1_25partition_config_selectorILNS1_17partition_subalgoE8EaNS0_10empty_typeEbEEZZNS1_14partition_implILS5_8ELb0ES3_jPKaPS6_PKS6_NS0_5tupleIJPaS6_EEENSE_IJSB_SB_EEENS0_18inequality_wrapperIN6hipcub16HIPCUB_304000_NS8EqualityEEEPlJS6_EEE10hipError_tPvRmT3_T4_T5_T6_T7_T9_mT8_P12ihipStream_tbDpT10_ENKUlT_T0_E_clISt17integral_constantIbLb0EES17_EEDaS12_S13_EUlS12_E_NS1_11comp_targetILNS1_3genE10ELNS1_11target_archE1200ELNS1_3gpuE4ELNS1_3repE0EEENS1_30default_config_static_selectorELNS0_4arch9wavefront6targetE0EEEvT1_.has_indirect_call, 0
	.section	.AMDGPU.csdata,"",@progbits
; Kernel info:
; codeLenInByte = 0
; TotalNumSgprs: 0
; NumVgprs: 0
; ScratchSize: 0
; MemoryBound: 0
; FloatMode: 240
; IeeeMode: 1
; LDSByteSize: 0 bytes/workgroup (compile time only)
; SGPRBlocks: 0
; VGPRBlocks: 0
; NumSGPRsForWavesPerEU: 1
; NumVGPRsForWavesPerEU: 1
; NamedBarCnt: 0
; Occupancy: 16
; WaveLimiterHint : 0
; COMPUTE_PGM_RSRC2:SCRATCH_EN: 0
; COMPUTE_PGM_RSRC2:USER_SGPR: 2
; COMPUTE_PGM_RSRC2:TRAP_HANDLER: 0
; COMPUTE_PGM_RSRC2:TGID_X_EN: 1
; COMPUTE_PGM_RSRC2:TGID_Y_EN: 0
; COMPUTE_PGM_RSRC2:TGID_Z_EN: 0
; COMPUTE_PGM_RSRC2:TIDIG_COMP_CNT: 0
	.section	.text._ZN7rocprim17ROCPRIM_400000_NS6detail17trampoline_kernelINS0_14default_configENS1_25partition_config_selectorILNS1_17partition_subalgoE8EaNS0_10empty_typeEbEEZZNS1_14partition_implILS5_8ELb0ES3_jPKaPS6_PKS6_NS0_5tupleIJPaS6_EEENSE_IJSB_SB_EEENS0_18inequality_wrapperIN6hipcub16HIPCUB_304000_NS8EqualityEEEPlJS6_EEE10hipError_tPvRmT3_T4_T5_T6_T7_T9_mT8_P12ihipStream_tbDpT10_ENKUlT_T0_E_clISt17integral_constantIbLb0EES17_EEDaS12_S13_EUlS12_E_NS1_11comp_targetILNS1_3genE9ELNS1_11target_archE1100ELNS1_3gpuE3ELNS1_3repE0EEENS1_30default_config_static_selectorELNS0_4arch9wavefront6targetE0EEEvT1_,"axG",@progbits,_ZN7rocprim17ROCPRIM_400000_NS6detail17trampoline_kernelINS0_14default_configENS1_25partition_config_selectorILNS1_17partition_subalgoE8EaNS0_10empty_typeEbEEZZNS1_14partition_implILS5_8ELb0ES3_jPKaPS6_PKS6_NS0_5tupleIJPaS6_EEENSE_IJSB_SB_EEENS0_18inequality_wrapperIN6hipcub16HIPCUB_304000_NS8EqualityEEEPlJS6_EEE10hipError_tPvRmT3_T4_T5_T6_T7_T9_mT8_P12ihipStream_tbDpT10_ENKUlT_T0_E_clISt17integral_constantIbLb0EES17_EEDaS12_S13_EUlS12_E_NS1_11comp_targetILNS1_3genE9ELNS1_11target_archE1100ELNS1_3gpuE3ELNS1_3repE0EEENS1_30default_config_static_selectorELNS0_4arch9wavefront6targetE0EEEvT1_,comdat
	.protected	_ZN7rocprim17ROCPRIM_400000_NS6detail17trampoline_kernelINS0_14default_configENS1_25partition_config_selectorILNS1_17partition_subalgoE8EaNS0_10empty_typeEbEEZZNS1_14partition_implILS5_8ELb0ES3_jPKaPS6_PKS6_NS0_5tupleIJPaS6_EEENSE_IJSB_SB_EEENS0_18inequality_wrapperIN6hipcub16HIPCUB_304000_NS8EqualityEEEPlJS6_EEE10hipError_tPvRmT3_T4_T5_T6_T7_T9_mT8_P12ihipStream_tbDpT10_ENKUlT_T0_E_clISt17integral_constantIbLb0EES17_EEDaS12_S13_EUlS12_E_NS1_11comp_targetILNS1_3genE9ELNS1_11target_archE1100ELNS1_3gpuE3ELNS1_3repE0EEENS1_30default_config_static_selectorELNS0_4arch9wavefront6targetE0EEEvT1_ ; -- Begin function _ZN7rocprim17ROCPRIM_400000_NS6detail17trampoline_kernelINS0_14default_configENS1_25partition_config_selectorILNS1_17partition_subalgoE8EaNS0_10empty_typeEbEEZZNS1_14partition_implILS5_8ELb0ES3_jPKaPS6_PKS6_NS0_5tupleIJPaS6_EEENSE_IJSB_SB_EEENS0_18inequality_wrapperIN6hipcub16HIPCUB_304000_NS8EqualityEEEPlJS6_EEE10hipError_tPvRmT3_T4_T5_T6_T7_T9_mT8_P12ihipStream_tbDpT10_ENKUlT_T0_E_clISt17integral_constantIbLb0EES17_EEDaS12_S13_EUlS12_E_NS1_11comp_targetILNS1_3genE9ELNS1_11target_archE1100ELNS1_3gpuE3ELNS1_3repE0EEENS1_30default_config_static_selectorELNS0_4arch9wavefront6targetE0EEEvT1_
	.globl	_ZN7rocprim17ROCPRIM_400000_NS6detail17trampoline_kernelINS0_14default_configENS1_25partition_config_selectorILNS1_17partition_subalgoE8EaNS0_10empty_typeEbEEZZNS1_14partition_implILS5_8ELb0ES3_jPKaPS6_PKS6_NS0_5tupleIJPaS6_EEENSE_IJSB_SB_EEENS0_18inequality_wrapperIN6hipcub16HIPCUB_304000_NS8EqualityEEEPlJS6_EEE10hipError_tPvRmT3_T4_T5_T6_T7_T9_mT8_P12ihipStream_tbDpT10_ENKUlT_T0_E_clISt17integral_constantIbLb0EES17_EEDaS12_S13_EUlS12_E_NS1_11comp_targetILNS1_3genE9ELNS1_11target_archE1100ELNS1_3gpuE3ELNS1_3repE0EEENS1_30default_config_static_selectorELNS0_4arch9wavefront6targetE0EEEvT1_
	.p2align	8
	.type	_ZN7rocprim17ROCPRIM_400000_NS6detail17trampoline_kernelINS0_14default_configENS1_25partition_config_selectorILNS1_17partition_subalgoE8EaNS0_10empty_typeEbEEZZNS1_14partition_implILS5_8ELb0ES3_jPKaPS6_PKS6_NS0_5tupleIJPaS6_EEENSE_IJSB_SB_EEENS0_18inequality_wrapperIN6hipcub16HIPCUB_304000_NS8EqualityEEEPlJS6_EEE10hipError_tPvRmT3_T4_T5_T6_T7_T9_mT8_P12ihipStream_tbDpT10_ENKUlT_T0_E_clISt17integral_constantIbLb0EES17_EEDaS12_S13_EUlS12_E_NS1_11comp_targetILNS1_3genE9ELNS1_11target_archE1100ELNS1_3gpuE3ELNS1_3repE0EEENS1_30default_config_static_selectorELNS0_4arch9wavefront6targetE0EEEvT1_,@function
_ZN7rocprim17ROCPRIM_400000_NS6detail17trampoline_kernelINS0_14default_configENS1_25partition_config_selectorILNS1_17partition_subalgoE8EaNS0_10empty_typeEbEEZZNS1_14partition_implILS5_8ELb0ES3_jPKaPS6_PKS6_NS0_5tupleIJPaS6_EEENSE_IJSB_SB_EEENS0_18inequality_wrapperIN6hipcub16HIPCUB_304000_NS8EqualityEEEPlJS6_EEE10hipError_tPvRmT3_T4_T5_T6_T7_T9_mT8_P12ihipStream_tbDpT10_ENKUlT_T0_E_clISt17integral_constantIbLb0EES17_EEDaS12_S13_EUlS12_E_NS1_11comp_targetILNS1_3genE9ELNS1_11target_archE1100ELNS1_3gpuE3ELNS1_3repE0EEENS1_30default_config_static_selectorELNS0_4arch9wavefront6targetE0EEEvT1_: ; @_ZN7rocprim17ROCPRIM_400000_NS6detail17trampoline_kernelINS0_14default_configENS1_25partition_config_selectorILNS1_17partition_subalgoE8EaNS0_10empty_typeEbEEZZNS1_14partition_implILS5_8ELb0ES3_jPKaPS6_PKS6_NS0_5tupleIJPaS6_EEENSE_IJSB_SB_EEENS0_18inequality_wrapperIN6hipcub16HIPCUB_304000_NS8EqualityEEEPlJS6_EEE10hipError_tPvRmT3_T4_T5_T6_T7_T9_mT8_P12ihipStream_tbDpT10_ENKUlT_T0_E_clISt17integral_constantIbLb0EES17_EEDaS12_S13_EUlS12_E_NS1_11comp_targetILNS1_3genE9ELNS1_11target_archE1100ELNS1_3gpuE3ELNS1_3repE0EEENS1_30default_config_static_selectorELNS0_4arch9wavefront6targetE0EEEvT1_
; %bb.0:
	.section	.rodata,"a",@progbits
	.p2align	6, 0x0
	.amdhsa_kernel _ZN7rocprim17ROCPRIM_400000_NS6detail17trampoline_kernelINS0_14default_configENS1_25partition_config_selectorILNS1_17partition_subalgoE8EaNS0_10empty_typeEbEEZZNS1_14partition_implILS5_8ELb0ES3_jPKaPS6_PKS6_NS0_5tupleIJPaS6_EEENSE_IJSB_SB_EEENS0_18inequality_wrapperIN6hipcub16HIPCUB_304000_NS8EqualityEEEPlJS6_EEE10hipError_tPvRmT3_T4_T5_T6_T7_T9_mT8_P12ihipStream_tbDpT10_ENKUlT_T0_E_clISt17integral_constantIbLb0EES17_EEDaS12_S13_EUlS12_E_NS1_11comp_targetILNS1_3genE9ELNS1_11target_archE1100ELNS1_3gpuE3ELNS1_3repE0EEENS1_30default_config_static_selectorELNS0_4arch9wavefront6targetE0EEEvT1_
		.amdhsa_group_segment_fixed_size 0
		.amdhsa_private_segment_fixed_size 0
		.amdhsa_kernarg_size 112
		.amdhsa_user_sgpr_count 2
		.amdhsa_user_sgpr_dispatch_ptr 0
		.amdhsa_user_sgpr_queue_ptr 0
		.amdhsa_user_sgpr_kernarg_segment_ptr 1
		.amdhsa_user_sgpr_dispatch_id 0
		.amdhsa_user_sgpr_kernarg_preload_length 0
		.amdhsa_user_sgpr_kernarg_preload_offset 0
		.amdhsa_user_sgpr_private_segment_size 0
		.amdhsa_wavefront_size32 1
		.amdhsa_uses_dynamic_stack 0
		.amdhsa_enable_private_segment 0
		.amdhsa_system_sgpr_workgroup_id_x 1
		.amdhsa_system_sgpr_workgroup_id_y 0
		.amdhsa_system_sgpr_workgroup_id_z 0
		.amdhsa_system_sgpr_workgroup_info 0
		.amdhsa_system_vgpr_workitem_id 0
		.amdhsa_next_free_vgpr 1
		.amdhsa_next_free_sgpr 1
		.amdhsa_named_barrier_count 0
		.amdhsa_reserve_vcc 0
		.amdhsa_float_round_mode_32 0
		.amdhsa_float_round_mode_16_64 0
		.amdhsa_float_denorm_mode_32 3
		.amdhsa_float_denorm_mode_16_64 3
		.amdhsa_fp16_overflow 0
		.amdhsa_memory_ordered 1
		.amdhsa_forward_progress 1
		.amdhsa_inst_pref_size 0
		.amdhsa_round_robin_scheduling 0
		.amdhsa_exception_fp_ieee_invalid_op 0
		.amdhsa_exception_fp_denorm_src 0
		.amdhsa_exception_fp_ieee_div_zero 0
		.amdhsa_exception_fp_ieee_overflow 0
		.amdhsa_exception_fp_ieee_underflow 0
		.amdhsa_exception_fp_ieee_inexact 0
		.amdhsa_exception_int_div_zero 0
	.end_amdhsa_kernel
	.section	.text._ZN7rocprim17ROCPRIM_400000_NS6detail17trampoline_kernelINS0_14default_configENS1_25partition_config_selectorILNS1_17partition_subalgoE8EaNS0_10empty_typeEbEEZZNS1_14partition_implILS5_8ELb0ES3_jPKaPS6_PKS6_NS0_5tupleIJPaS6_EEENSE_IJSB_SB_EEENS0_18inequality_wrapperIN6hipcub16HIPCUB_304000_NS8EqualityEEEPlJS6_EEE10hipError_tPvRmT3_T4_T5_T6_T7_T9_mT8_P12ihipStream_tbDpT10_ENKUlT_T0_E_clISt17integral_constantIbLb0EES17_EEDaS12_S13_EUlS12_E_NS1_11comp_targetILNS1_3genE9ELNS1_11target_archE1100ELNS1_3gpuE3ELNS1_3repE0EEENS1_30default_config_static_selectorELNS0_4arch9wavefront6targetE0EEEvT1_,"axG",@progbits,_ZN7rocprim17ROCPRIM_400000_NS6detail17trampoline_kernelINS0_14default_configENS1_25partition_config_selectorILNS1_17partition_subalgoE8EaNS0_10empty_typeEbEEZZNS1_14partition_implILS5_8ELb0ES3_jPKaPS6_PKS6_NS0_5tupleIJPaS6_EEENSE_IJSB_SB_EEENS0_18inequality_wrapperIN6hipcub16HIPCUB_304000_NS8EqualityEEEPlJS6_EEE10hipError_tPvRmT3_T4_T5_T6_T7_T9_mT8_P12ihipStream_tbDpT10_ENKUlT_T0_E_clISt17integral_constantIbLb0EES17_EEDaS12_S13_EUlS12_E_NS1_11comp_targetILNS1_3genE9ELNS1_11target_archE1100ELNS1_3gpuE3ELNS1_3repE0EEENS1_30default_config_static_selectorELNS0_4arch9wavefront6targetE0EEEvT1_,comdat
.Lfunc_end209:
	.size	_ZN7rocprim17ROCPRIM_400000_NS6detail17trampoline_kernelINS0_14default_configENS1_25partition_config_selectorILNS1_17partition_subalgoE8EaNS0_10empty_typeEbEEZZNS1_14partition_implILS5_8ELb0ES3_jPKaPS6_PKS6_NS0_5tupleIJPaS6_EEENSE_IJSB_SB_EEENS0_18inequality_wrapperIN6hipcub16HIPCUB_304000_NS8EqualityEEEPlJS6_EEE10hipError_tPvRmT3_T4_T5_T6_T7_T9_mT8_P12ihipStream_tbDpT10_ENKUlT_T0_E_clISt17integral_constantIbLb0EES17_EEDaS12_S13_EUlS12_E_NS1_11comp_targetILNS1_3genE9ELNS1_11target_archE1100ELNS1_3gpuE3ELNS1_3repE0EEENS1_30default_config_static_selectorELNS0_4arch9wavefront6targetE0EEEvT1_, .Lfunc_end209-_ZN7rocprim17ROCPRIM_400000_NS6detail17trampoline_kernelINS0_14default_configENS1_25partition_config_selectorILNS1_17partition_subalgoE8EaNS0_10empty_typeEbEEZZNS1_14partition_implILS5_8ELb0ES3_jPKaPS6_PKS6_NS0_5tupleIJPaS6_EEENSE_IJSB_SB_EEENS0_18inequality_wrapperIN6hipcub16HIPCUB_304000_NS8EqualityEEEPlJS6_EEE10hipError_tPvRmT3_T4_T5_T6_T7_T9_mT8_P12ihipStream_tbDpT10_ENKUlT_T0_E_clISt17integral_constantIbLb0EES17_EEDaS12_S13_EUlS12_E_NS1_11comp_targetILNS1_3genE9ELNS1_11target_archE1100ELNS1_3gpuE3ELNS1_3repE0EEENS1_30default_config_static_selectorELNS0_4arch9wavefront6targetE0EEEvT1_
                                        ; -- End function
	.set _ZN7rocprim17ROCPRIM_400000_NS6detail17trampoline_kernelINS0_14default_configENS1_25partition_config_selectorILNS1_17partition_subalgoE8EaNS0_10empty_typeEbEEZZNS1_14partition_implILS5_8ELb0ES3_jPKaPS6_PKS6_NS0_5tupleIJPaS6_EEENSE_IJSB_SB_EEENS0_18inequality_wrapperIN6hipcub16HIPCUB_304000_NS8EqualityEEEPlJS6_EEE10hipError_tPvRmT3_T4_T5_T6_T7_T9_mT8_P12ihipStream_tbDpT10_ENKUlT_T0_E_clISt17integral_constantIbLb0EES17_EEDaS12_S13_EUlS12_E_NS1_11comp_targetILNS1_3genE9ELNS1_11target_archE1100ELNS1_3gpuE3ELNS1_3repE0EEENS1_30default_config_static_selectorELNS0_4arch9wavefront6targetE0EEEvT1_.num_vgpr, 0
	.set _ZN7rocprim17ROCPRIM_400000_NS6detail17trampoline_kernelINS0_14default_configENS1_25partition_config_selectorILNS1_17partition_subalgoE8EaNS0_10empty_typeEbEEZZNS1_14partition_implILS5_8ELb0ES3_jPKaPS6_PKS6_NS0_5tupleIJPaS6_EEENSE_IJSB_SB_EEENS0_18inequality_wrapperIN6hipcub16HIPCUB_304000_NS8EqualityEEEPlJS6_EEE10hipError_tPvRmT3_T4_T5_T6_T7_T9_mT8_P12ihipStream_tbDpT10_ENKUlT_T0_E_clISt17integral_constantIbLb0EES17_EEDaS12_S13_EUlS12_E_NS1_11comp_targetILNS1_3genE9ELNS1_11target_archE1100ELNS1_3gpuE3ELNS1_3repE0EEENS1_30default_config_static_selectorELNS0_4arch9wavefront6targetE0EEEvT1_.num_agpr, 0
	.set _ZN7rocprim17ROCPRIM_400000_NS6detail17trampoline_kernelINS0_14default_configENS1_25partition_config_selectorILNS1_17partition_subalgoE8EaNS0_10empty_typeEbEEZZNS1_14partition_implILS5_8ELb0ES3_jPKaPS6_PKS6_NS0_5tupleIJPaS6_EEENSE_IJSB_SB_EEENS0_18inequality_wrapperIN6hipcub16HIPCUB_304000_NS8EqualityEEEPlJS6_EEE10hipError_tPvRmT3_T4_T5_T6_T7_T9_mT8_P12ihipStream_tbDpT10_ENKUlT_T0_E_clISt17integral_constantIbLb0EES17_EEDaS12_S13_EUlS12_E_NS1_11comp_targetILNS1_3genE9ELNS1_11target_archE1100ELNS1_3gpuE3ELNS1_3repE0EEENS1_30default_config_static_selectorELNS0_4arch9wavefront6targetE0EEEvT1_.numbered_sgpr, 0
	.set _ZN7rocprim17ROCPRIM_400000_NS6detail17trampoline_kernelINS0_14default_configENS1_25partition_config_selectorILNS1_17partition_subalgoE8EaNS0_10empty_typeEbEEZZNS1_14partition_implILS5_8ELb0ES3_jPKaPS6_PKS6_NS0_5tupleIJPaS6_EEENSE_IJSB_SB_EEENS0_18inequality_wrapperIN6hipcub16HIPCUB_304000_NS8EqualityEEEPlJS6_EEE10hipError_tPvRmT3_T4_T5_T6_T7_T9_mT8_P12ihipStream_tbDpT10_ENKUlT_T0_E_clISt17integral_constantIbLb0EES17_EEDaS12_S13_EUlS12_E_NS1_11comp_targetILNS1_3genE9ELNS1_11target_archE1100ELNS1_3gpuE3ELNS1_3repE0EEENS1_30default_config_static_selectorELNS0_4arch9wavefront6targetE0EEEvT1_.num_named_barrier, 0
	.set _ZN7rocprim17ROCPRIM_400000_NS6detail17trampoline_kernelINS0_14default_configENS1_25partition_config_selectorILNS1_17partition_subalgoE8EaNS0_10empty_typeEbEEZZNS1_14partition_implILS5_8ELb0ES3_jPKaPS6_PKS6_NS0_5tupleIJPaS6_EEENSE_IJSB_SB_EEENS0_18inequality_wrapperIN6hipcub16HIPCUB_304000_NS8EqualityEEEPlJS6_EEE10hipError_tPvRmT3_T4_T5_T6_T7_T9_mT8_P12ihipStream_tbDpT10_ENKUlT_T0_E_clISt17integral_constantIbLb0EES17_EEDaS12_S13_EUlS12_E_NS1_11comp_targetILNS1_3genE9ELNS1_11target_archE1100ELNS1_3gpuE3ELNS1_3repE0EEENS1_30default_config_static_selectorELNS0_4arch9wavefront6targetE0EEEvT1_.private_seg_size, 0
	.set _ZN7rocprim17ROCPRIM_400000_NS6detail17trampoline_kernelINS0_14default_configENS1_25partition_config_selectorILNS1_17partition_subalgoE8EaNS0_10empty_typeEbEEZZNS1_14partition_implILS5_8ELb0ES3_jPKaPS6_PKS6_NS0_5tupleIJPaS6_EEENSE_IJSB_SB_EEENS0_18inequality_wrapperIN6hipcub16HIPCUB_304000_NS8EqualityEEEPlJS6_EEE10hipError_tPvRmT3_T4_T5_T6_T7_T9_mT8_P12ihipStream_tbDpT10_ENKUlT_T0_E_clISt17integral_constantIbLb0EES17_EEDaS12_S13_EUlS12_E_NS1_11comp_targetILNS1_3genE9ELNS1_11target_archE1100ELNS1_3gpuE3ELNS1_3repE0EEENS1_30default_config_static_selectorELNS0_4arch9wavefront6targetE0EEEvT1_.uses_vcc, 0
	.set _ZN7rocprim17ROCPRIM_400000_NS6detail17trampoline_kernelINS0_14default_configENS1_25partition_config_selectorILNS1_17partition_subalgoE8EaNS0_10empty_typeEbEEZZNS1_14partition_implILS5_8ELb0ES3_jPKaPS6_PKS6_NS0_5tupleIJPaS6_EEENSE_IJSB_SB_EEENS0_18inequality_wrapperIN6hipcub16HIPCUB_304000_NS8EqualityEEEPlJS6_EEE10hipError_tPvRmT3_T4_T5_T6_T7_T9_mT8_P12ihipStream_tbDpT10_ENKUlT_T0_E_clISt17integral_constantIbLb0EES17_EEDaS12_S13_EUlS12_E_NS1_11comp_targetILNS1_3genE9ELNS1_11target_archE1100ELNS1_3gpuE3ELNS1_3repE0EEENS1_30default_config_static_selectorELNS0_4arch9wavefront6targetE0EEEvT1_.uses_flat_scratch, 0
	.set _ZN7rocprim17ROCPRIM_400000_NS6detail17trampoline_kernelINS0_14default_configENS1_25partition_config_selectorILNS1_17partition_subalgoE8EaNS0_10empty_typeEbEEZZNS1_14partition_implILS5_8ELb0ES3_jPKaPS6_PKS6_NS0_5tupleIJPaS6_EEENSE_IJSB_SB_EEENS0_18inequality_wrapperIN6hipcub16HIPCUB_304000_NS8EqualityEEEPlJS6_EEE10hipError_tPvRmT3_T4_T5_T6_T7_T9_mT8_P12ihipStream_tbDpT10_ENKUlT_T0_E_clISt17integral_constantIbLb0EES17_EEDaS12_S13_EUlS12_E_NS1_11comp_targetILNS1_3genE9ELNS1_11target_archE1100ELNS1_3gpuE3ELNS1_3repE0EEENS1_30default_config_static_selectorELNS0_4arch9wavefront6targetE0EEEvT1_.has_dyn_sized_stack, 0
	.set _ZN7rocprim17ROCPRIM_400000_NS6detail17trampoline_kernelINS0_14default_configENS1_25partition_config_selectorILNS1_17partition_subalgoE8EaNS0_10empty_typeEbEEZZNS1_14partition_implILS5_8ELb0ES3_jPKaPS6_PKS6_NS0_5tupleIJPaS6_EEENSE_IJSB_SB_EEENS0_18inequality_wrapperIN6hipcub16HIPCUB_304000_NS8EqualityEEEPlJS6_EEE10hipError_tPvRmT3_T4_T5_T6_T7_T9_mT8_P12ihipStream_tbDpT10_ENKUlT_T0_E_clISt17integral_constantIbLb0EES17_EEDaS12_S13_EUlS12_E_NS1_11comp_targetILNS1_3genE9ELNS1_11target_archE1100ELNS1_3gpuE3ELNS1_3repE0EEENS1_30default_config_static_selectorELNS0_4arch9wavefront6targetE0EEEvT1_.has_recursion, 0
	.set _ZN7rocprim17ROCPRIM_400000_NS6detail17trampoline_kernelINS0_14default_configENS1_25partition_config_selectorILNS1_17partition_subalgoE8EaNS0_10empty_typeEbEEZZNS1_14partition_implILS5_8ELb0ES3_jPKaPS6_PKS6_NS0_5tupleIJPaS6_EEENSE_IJSB_SB_EEENS0_18inequality_wrapperIN6hipcub16HIPCUB_304000_NS8EqualityEEEPlJS6_EEE10hipError_tPvRmT3_T4_T5_T6_T7_T9_mT8_P12ihipStream_tbDpT10_ENKUlT_T0_E_clISt17integral_constantIbLb0EES17_EEDaS12_S13_EUlS12_E_NS1_11comp_targetILNS1_3genE9ELNS1_11target_archE1100ELNS1_3gpuE3ELNS1_3repE0EEENS1_30default_config_static_selectorELNS0_4arch9wavefront6targetE0EEEvT1_.has_indirect_call, 0
	.section	.AMDGPU.csdata,"",@progbits
; Kernel info:
; codeLenInByte = 0
; TotalNumSgprs: 0
; NumVgprs: 0
; ScratchSize: 0
; MemoryBound: 0
; FloatMode: 240
; IeeeMode: 1
; LDSByteSize: 0 bytes/workgroup (compile time only)
; SGPRBlocks: 0
; VGPRBlocks: 0
; NumSGPRsForWavesPerEU: 1
; NumVGPRsForWavesPerEU: 1
; NamedBarCnt: 0
; Occupancy: 16
; WaveLimiterHint : 0
; COMPUTE_PGM_RSRC2:SCRATCH_EN: 0
; COMPUTE_PGM_RSRC2:USER_SGPR: 2
; COMPUTE_PGM_RSRC2:TRAP_HANDLER: 0
; COMPUTE_PGM_RSRC2:TGID_X_EN: 1
; COMPUTE_PGM_RSRC2:TGID_Y_EN: 0
; COMPUTE_PGM_RSRC2:TGID_Z_EN: 0
; COMPUTE_PGM_RSRC2:TIDIG_COMP_CNT: 0
	.section	.text._ZN7rocprim17ROCPRIM_400000_NS6detail17trampoline_kernelINS0_14default_configENS1_25partition_config_selectorILNS1_17partition_subalgoE8EaNS0_10empty_typeEbEEZZNS1_14partition_implILS5_8ELb0ES3_jPKaPS6_PKS6_NS0_5tupleIJPaS6_EEENSE_IJSB_SB_EEENS0_18inequality_wrapperIN6hipcub16HIPCUB_304000_NS8EqualityEEEPlJS6_EEE10hipError_tPvRmT3_T4_T5_T6_T7_T9_mT8_P12ihipStream_tbDpT10_ENKUlT_T0_E_clISt17integral_constantIbLb0EES17_EEDaS12_S13_EUlS12_E_NS1_11comp_targetILNS1_3genE8ELNS1_11target_archE1030ELNS1_3gpuE2ELNS1_3repE0EEENS1_30default_config_static_selectorELNS0_4arch9wavefront6targetE0EEEvT1_,"axG",@progbits,_ZN7rocprim17ROCPRIM_400000_NS6detail17trampoline_kernelINS0_14default_configENS1_25partition_config_selectorILNS1_17partition_subalgoE8EaNS0_10empty_typeEbEEZZNS1_14partition_implILS5_8ELb0ES3_jPKaPS6_PKS6_NS0_5tupleIJPaS6_EEENSE_IJSB_SB_EEENS0_18inequality_wrapperIN6hipcub16HIPCUB_304000_NS8EqualityEEEPlJS6_EEE10hipError_tPvRmT3_T4_T5_T6_T7_T9_mT8_P12ihipStream_tbDpT10_ENKUlT_T0_E_clISt17integral_constantIbLb0EES17_EEDaS12_S13_EUlS12_E_NS1_11comp_targetILNS1_3genE8ELNS1_11target_archE1030ELNS1_3gpuE2ELNS1_3repE0EEENS1_30default_config_static_selectorELNS0_4arch9wavefront6targetE0EEEvT1_,comdat
	.protected	_ZN7rocprim17ROCPRIM_400000_NS6detail17trampoline_kernelINS0_14default_configENS1_25partition_config_selectorILNS1_17partition_subalgoE8EaNS0_10empty_typeEbEEZZNS1_14partition_implILS5_8ELb0ES3_jPKaPS6_PKS6_NS0_5tupleIJPaS6_EEENSE_IJSB_SB_EEENS0_18inequality_wrapperIN6hipcub16HIPCUB_304000_NS8EqualityEEEPlJS6_EEE10hipError_tPvRmT3_T4_T5_T6_T7_T9_mT8_P12ihipStream_tbDpT10_ENKUlT_T0_E_clISt17integral_constantIbLb0EES17_EEDaS12_S13_EUlS12_E_NS1_11comp_targetILNS1_3genE8ELNS1_11target_archE1030ELNS1_3gpuE2ELNS1_3repE0EEENS1_30default_config_static_selectorELNS0_4arch9wavefront6targetE0EEEvT1_ ; -- Begin function _ZN7rocprim17ROCPRIM_400000_NS6detail17trampoline_kernelINS0_14default_configENS1_25partition_config_selectorILNS1_17partition_subalgoE8EaNS0_10empty_typeEbEEZZNS1_14partition_implILS5_8ELb0ES3_jPKaPS6_PKS6_NS0_5tupleIJPaS6_EEENSE_IJSB_SB_EEENS0_18inequality_wrapperIN6hipcub16HIPCUB_304000_NS8EqualityEEEPlJS6_EEE10hipError_tPvRmT3_T4_T5_T6_T7_T9_mT8_P12ihipStream_tbDpT10_ENKUlT_T0_E_clISt17integral_constantIbLb0EES17_EEDaS12_S13_EUlS12_E_NS1_11comp_targetILNS1_3genE8ELNS1_11target_archE1030ELNS1_3gpuE2ELNS1_3repE0EEENS1_30default_config_static_selectorELNS0_4arch9wavefront6targetE0EEEvT1_
	.globl	_ZN7rocprim17ROCPRIM_400000_NS6detail17trampoline_kernelINS0_14default_configENS1_25partition_config_selectorILNS1_17partition_subalgoE8EaNS0_10empty_typeEbEEZZNS1_14partition_implILS5_8ELb0ES3_jPKaPS6_PKS6_NS0_5tupleIJPaS6_EEENSE_IJSB_SB_EEENS0_18inequality_wrapperIN6hipcub16HIPCUB_304000_NS8EqualityEEEPlJS6_EEE10hipError_tPvRmT3_T4_T5_T6_T7_T9_mT8_P12ihipStream_tbDpT10_ENKUlT_T0_E_clISt17integral_constantIbLb0EES17_EEDaS12_S13_EUlS12_E_NS1_11comp_targetILNS1_3genE8ELNS1_11target_archE1030ELNS1_3gpuE2ELNS1_3repE0EEENS1_30default_config_static_selectorELNS0_4arch9wavefront6targetE0EEEvT1_
	.p2align	8
	.type	_ZN7rocprim17ROCPRIM_400000_NS6detail17trampoline_kernelINS0_14default_configENS1_25partition_config_selectorILNS1_17partition_subalgoE8EaNS0_10empty_typeEbEEZZNS1_14partition_implILS5_8ELb0ES3_jPKaPS6_PKS6_NS0_5tupleIJPaS6_EEENSE_IJSB_SB_EEENS0_18inequality_wrapperIN6hipcub16HIPCUB_304000_NS8EqualityEEEPlJS6_EEE10hipError_tPvRmT3_T4_T5_T6_T7_T9_mT8_P12ihipStream_tbDpT10_ENKUlT_T0_E_clISt17integral_constantIbLb0EES17_EEDaS12_S13_EUlS12_E_NS1_11comp_targetILNS1_3genE8ELNS1_11target_archE1030ELNS1_3gpuE2ELNS1_3repE0EEENS1_30default_config_static_selectorELNS0_4arch9wavefront6targetE0EEEvT1_,@function
_ZN7rocprim17ROCPRIM_400000_NS6detail17trampoline_kernelINS0_14default_configENS1_25partition_config_selectorILNS1_17partition_subalgoE8EaNS0_10empty_typeEbEEZZNS1_14partition_implILS5_8ELb0ES3_jPKaPS6_PKS6_NS0_5tupleIJPaS6_EEENSE_IJSB_SB_EEENS0_18inequality_wrapperIN6hipcub16HIPCUB_304000_NS8EqualityEEEPlJS6_EEE10hipError_tPvRmT3_T4_T5_T6_T7_T9_mT8_P12ihipStream_tbDpT10_ENKUlT_T0_E_clISt17integral_constantIbLb0EES17_EEDaS12_S13_EUlS12_E_NS1_11comp_targetILNS1_3genE8ELNS1_11target_archE1030ELNS1_3gpuE2ELNS1_3repE0EEENS1_30default_config_static_selectorELNS0_4arch9wavefront6targetE0EEEvT1_: ; @_ZN7rocprim17ROCPRIM_400000_NS6detail17trampoline_kernelINS0_14default_configENS1_25partition_config_selectorILNS1_17partition_subalgoE8EaNS0_10empty_typeEbEEZZNS1_14partition_implILS5_8ELb0ES3_jPKaPS6_PKS6_NS0_5tupleIJPaS6_EEENSE_IJSB_SB_EEENS0_18inequality_wrapperIN6hipcub16HIPCUB_304000_NS8EqualityEEEPlJS6_EEE10hipError_tPvRmT3_T4_T5_T6_T7_T9_mT8_P12ihipStream_tbDpT10_ENKUlT_T0_E_clISt17integral_constantIbLb0EES17_EEDaS12_S13_EUlS12_E_NS1_11comp_targetILNS1_3genE8ELNS1_11target_archE1030ELNS1_3gpuE2ELNS1_3repE0EEENS1_30default_config_static_selectorELNS0_4arch9wavefront6targetE0EEEvT1_
; %bb.0:
	.section	.rodata,"a",@progbits
	.p2align	6, 0x0
	.amdhsa_kernel _ZN7rocprim17ROCPRIM_400000_NS6detail17trampoline_kernelINS0_14default_configENS1_25partition_config_selectorILNS1_17partition_subalgoE8EaNS0_10empty_typeEbEEZZNS1_14partition_implILS5_8ELb0ES3_jPKaPS6_PKS6_NS0_5tupleIJPaS6_EEENSE_IJSB_SB_EEENS0_18inequality_wrapperIN6hipcub16HIPCUB_304000_NS8EqualityEEEPlJS6_EEE10hipError_tPvRmT3_T4_T5_T6_T7_T9_mT8_P12ihipStream_tbDpT10_ENKUlT_T0_E_clISt17integral_constantIbLb0EES17_EEDaS12_S13_EUlS12_E_NS1_11comp_targetILNS1_3genE8ELNS1_11target_archE1030ELNS1_3gpuE2ELNS1_3repE0EEENS1_30default_config_static_selectorELNS0_4arch9wavefront6targetE0EEEvT1_
		.amdhsa_group_segment_fixed_size 0
		.amdhsa_private_segment_fixed_size 0
		.amdhsa_kernarg_size 112
		.amdhsa_user_sgpr_count 2
		.amdhsa_user_sgpr_dispatch_ptr 0
		.amdhsa_user_sgpr_queue_ptr 0
		.amdhsa_user_sgpr_kernarg_segment_ptr 1
		.amdhsa_user_sgpr_dispatch_id 0
		.amdhsa_user_sgpr_kernarg_preload_length 0
		.amdhsa_user_sgpr_kernarg_preload_offset 0
		.amdhsa_user_sgpr_private_segment_size 0
		.amdhsa_wavefront_size32 1
		.amdhsa_uses_dynamic_stack 0
		.amdhsa_enable_private_segment 0
		.amdhsa_system_sgpr_workgroup_id_x 1
		.amdhsa_system_sgpr_workgroup_id_y 0
		.amdhsa_system_sgpr_workgroup_id_z 0
		.amdhsa_system_sgpr_workgroup_info 0
		.amdhsa_system_vgpr_workitem_id 0
		.amdhsa_next_free_vgpr 1
		.amdhsa_next_free_sgpr 1
		.amdhsa_named_barrier_count 0
		.amdhsa_reserve_vcc 0
		.amdhsa_float_round_mode_32 0
		.amdhsa_float_round_mode_16_64 0
		.amdhsa_float_denorm_mode_32 3
		.amdhsa_float_denorm_mode_16_64 3
		.amdhsa_fp16_overflow 0
		.amdhsa_memory_ordered 1
		.amdhsa_forward_progress 1
		.amdhsa_inst_pref_size 0
		.amdhsa_round_robin_scheduling 0
		.amdhsa_exception_fp_ieee_invalid_op 0
		.amdhsa_exception_fp_denorm_src 0
		.amdhsa_exception_fp_ieee_div_zero 0
		.amdhsa_exception_fp_ieee_overflow 0
		.amdhsa_exception_fp_ieee_underflow 0
		.amdhsa_exception_fp_ieee_inexact 0
		.amdhsa_exception_int_div_zero 0
	.end_amdhsa_kernel
	.section	.text._ZN7rocprim17ROCPRIM_400000_NS6detail17trampoline_kernelINS0_14default_configENS1_25partition_config_selectorILNS1_17partition_subalgoE8EaNS0_10empty_typeEbEEZZNS1_14partition_implILS5_8ELb0ES3_jPKaPS6_PKS6_NS0_5tupleIJPaS6_EEENSE_IJSB_SB_EEENS0_18inequality_wrapperIN6hipcub16HIPCUB_304000_NS8EqualityEEEPlJS6_EEE10hipError_tPvRmT3_T4_T5_T6_T7_T9_mT8_P12ihipStream_tbDpT10_ENKUlT_T0_E_clISt17integral_constantIbLb0EES17_EEDaS12_S13_EUlS12_E_NS1_11comp_targetILNS1_3genE8ELNS1_11target_archE1030ELNS1_3gpuE2ELNS1_3repE0EEENS1_30default_config_static_selectorELNS0_4arch9wavefront6targetE0EEEvT1_,"axG",@progbits,_ZN7rocprim17ROCPRIM_400000_NS6detail17trampoline_kernelINS0_14default_configENS1_25partition_config_selectorILNS1_17partition_subalgoE8EaNS0_10empty_typeEbEEZZNS1_14partition_implILS5_8ELb0ES3_jPKaPS6_PKS6_NS0_5tupleIJPaS6_EEENSE_IJSB_SB_EEENS0_18inequality_wrapperIN6hipcub16HIPCUB_304000_NS8EqualityEEEPlJS6_EEE10hipError_tPvRmT3_T4_T5_T6_T7_T9_mT8_P12ihipStream_tbDpT10_ENKUlT_T0_E_clISt17integral_constantIbLb0EES17_EEDaS12_S13_EUlS12_E_NS1_11comp_targetILNS1_3genE8ELNS1_11target_archE1030ELNS1_3gpuE2ELNS1_3repE0EEENS1_30default_config_static_selectorELNS0_4arch9wavefront6targetE0EEEvT1_,comdat
.Lfunc_end210:
	.size	_ZN7rocprim17ROCPRIM_400000_NS6detail17trampoline_kernelINS0_14default_configENS1_25partition_config_selectorILNS1_17partition_subalgoE8EaNS0_10empty_typeEbEEZZNS1_14partition_implILS5_8ELb0ES3_jPKaPS6_PKS6_NS0_5tupleIJPaS6_EEENSE_IJSB_SB_EEENS0_18inequality_wrapperIN6hipcub16HIPCUB_304000_NS8EqualityEEEPlJS6_EEE10hipError_tPvRmT3_T4_T5_T6_T7_T9_mT8_P12ihipStream_tbDpT10_ENKUlT_T0_E_clISt17integral_constantIbLb0EES17_EEDaS12_S13_EUlS12_E_NS1_11comp_targetILNS1_3genE8ELNS1_11target_archE1030ELNS1_3gpuE2ELNS1_3repE0EEENS1_30default_config_static_selectorELNS0_4arch9wavefront6targetE0EEEvT1_, .Lfunc_end210-_ZN7rocprim17ROCPRIM_400000_NS6detail17trampoline_kernelINS0_14default_configENS1_25partition_config_selectorILNS1_17partition_subalgoE8EaNS0_10empty_typeEbEEZZNS1_14partition_implILS5_8ELb0ES3_jPKaPS6_PKS6_NS0_5tupleIJPaS6_EEENSE_IJSB_SB_EEENS0_18inequality_wrapperIN6hipcub16HIPCUB_304000_NS8EqualityEEEPlJS6_EEE10hipError_tPvRmT3_T4_T5_T6_T7_T9_mT8_P12ihipStream_tbDpT10_ENKUlT_T0_E_clISt17integral_constantIbLb0EES17_EEDaS12_S13_EUlS12_E_NS1_11comp_targetILNS1_3genE8ELNS1_11target_archE1030ELNS1_3gpuE2ELNS1_3repE0EEENS1_30default_config_static_selectorELNS0_4arch9wavefront6targetE0EEEvT1_
                                        ; -- End function
	.set _ZN7rocprim17ROCPRIM_400000_NS6detail17trampoline_kernelINS0_14default_configENS1_25partition_config_selectorILNS1_17partition_subalgoE8EaNS0_10empty_typeEbEEZZNS1_14partition_implILS5_8ELb0ES3_jPKaPS6_PKS6_NS0_5tupleIJPaS6_EEENSE_IJSB_SB_EEENS0_18inequality_wrapperIN6hipcub16HIPCUB_304000_NS8EqualityEEEPlJS6_EEE10hipError_tPvRmT3_T4_T5_T6_T7_T9_mT8_P12ihipStream_tbDpT10_ENKUlT_T0_E_clISt17integral_constantIbLb0EES17_EEDaS12_S13_EUlS12_E_NS1_11comp_targetILNS1_3genE8ELNS1_11target_archE1030ELNS1_3gpuE2ELNS1_3repE0EEENS1_30default_config_static_selectorELNS0_4arch9wavefront6targetE0EEEvT1_.num_vgpr, 0
	.set _ZN7rocprim17ROCPRIM_400000_NS6detail17trampoline_kernelINS0_14default_configENS1_25partition_config_selectorILNS1_17partition_subalgoE8EaNS0_10empty_typeEbEEZZNS1_14partition_implILS5_8ELb0ES3_jPKaPS6_PKS6_NS0_5tupleIJPaS6_EEENSE_IJSB_SB_EEENS0_18inequality_wrapperIN6hipcub16HIPCUB_304000_NS8EqualityEEEPlJS6_EEE10hipError_tPvRmT3_T4_T5_T6_T7_T9_mT8_P12ihipStream_tbDpT10_ENKUlT_T0_E_clISt17integral_constantIbLb0EES17_EEDaS12_S13_EUlS12_E_NS1_11comp_targetILNS1_3genE8ELNS1_11target_archE1030ELNS1_3gpuE2ELNS1_3repE0EEENS1_30default_config_static_selectorELNS0_4arch9wavefront6targetE0EEEvT1_.num_agpr, 0
	.set _ZN7rocprim17ROCPRIM_400000_NS6detail17trampoline_kernelINS0_14default_configENS1_25partition_config_selectorILNS1_17partition_subalgoE8EaNS0_10empty_typeEbEEZZNS1_14partition_implILS5_8ELb0ES3_jPKaPS6_PKS6_NS0_5tupleIJPaS6_EEENSE_IJSB_SB_EEENS0_18inequality_wrapperIN6hipcub16HIPCUB_304000_NS8EqualityEEEPlJS6_EEE10hipError_tPvRmT3_T4_T5_T6_T7_T9_mT8_P12ihipStream_tbDpT10_ENKUlT_T0_E_clISt17integral_constantIbLb0EES17_EEDaS12_S13_EUlS12_E_NS1_11comp_targetILNS1_3genE8ELNS1_11target_archE1030ELNS1_3gpuE2ELNS1_3repE0EEENS1_30default_config_static_selectorELNS0_4arch9wavefront6targetE0EEEvT1_.numbered_sgpr, 0
	.set _ZN7rocprim17ROCPRIM_400000_NS6detail17trampoline_kernelINS0_14default_configENS1_25partition_config_selectorILNS1_17partition_subalgoE8EaNS0_10empty_typeEbEEZZNS1_14partition_implILS5_8ELb0ES3_jPKaPS6_PKS6_NS0_5tupleIJPaS6_EEENSE_IJSB_SB_EEENS0_18inequality_wrapperIN6hipcub16HIPCUB_304000_NS8EqualityEEEPlJS6_EEE10hipError_tPvRmT3_T4_T5_T6_T7_T9_mT8_P12ihipStream_tbDpT10_ENKUlT_T0_E_clISt17integral_constantIbLb0EES17_EEDaS12_S13_EUlS12_E_NS1_11comp_targetILNS1_3genE8ELNS1_11target_archE1030ELNS1_3gpuE2ELNS1_3repE0EEENS1_30default_config_static_selectorELNS0_4arch9wavefront6targetE0EEEvT1_.num_named_barrier, 0
	.set _ZN7rocprim17ROCPRIM_400000_NS6detail17trampoline_kernelINS0_14default_configENS1_25partition_config_selectorILNS1_17partition_subalgoE8EaNS0_10empty_typeEbEEZZNS1_14partition_implILS5_8ELb0ES3_jPKaPS6_PKS6_NS0_5tupleIJPaS6_EEENSE_IJSB_SB_EEENS0_18inequality_wrapperIN6hipcub16HIPCUB_304000_NS8EqualityEEEPlJS6_EEE10hipError_tPvRmT3_T4_T5_T6_T7_T9_mT8_P12ihipStream_tbDpT10_ENKUlT_T0_E_clISt17integral_constantIbLb0EES17_EEDaS12_S13_EUlS12_E_NS1_11comp_targetILNS1_3genE8ELNS1_11target_archE1030ELNS1_3gpuE2ELNS1_3repE0EEENS1_30default_config_static_selectorELNS0_4arch9wavefront6targetE0EEEvT1_.private_seg_size, 0
	.set _ZN7rocprim17ROCPRIM_400000_NS6detail17trampoline_kernelINS0_14default_configENS1_25partition_config_selectorILNS1_17partition_subalgoE8EaNS0_10empty_typeEbEEZZNS1_14partition_implILS5_8ELb0ES3_jPKaPS6_PKS6_NS0_5tupleIJPaS6_EEENSE_IJSB_SB_EEENS0_18inequality_wrapperIN6hipcub16HIPCUB_304000_NS8EqualityEEEPlJS6_EEE10hipError_tPvRmT3_T4_T5_T6_T7_T9_mT8_P12ihipStream_tbDpT10_ENKUlT_T0_E_clISt17integral_constantIbLb0EES17_EEDaS12_S13_EUlS12_E_NS1_11comp_targetILNS1_3genE8ELNS1_11target_archE1030ELNS1_3gpuE2ELNS1_3repE0EEENS1_30default_config_static_selectorELNS0_4arch9wavefront6targetE0EEEvT1_.uses_vcc, 0
	.set _ZN7rocprim17ROCPRIM_400000_NS6detail17trampoline_kernelINS0_14default_configENS1_25partition_config_selectorILNS1_17partition_subalgoE8EaNS0_10empty_typeEbEEZZNS1_14partition_implILS5_8ELb0ES3_jPKaPS6_PKS6_NS0_5tupleIJPaS6_EEENSE_IJSB_SB_EEENS0_18inequality_wrapperIN6hipcub16HIPCUB_304000_NS8EqualityEEEPlJS6_EEE10hipError_tPvRmT3_T4_T5_T6_T7_T9_mT8_P12ihipStream_tbDpT10_ENKUlT_T0_E_clISt17integral_constantIbLb0EES17_EEDaS12_S13_EUlS12_E_NS1_11comp_targetILNS1_3genE8ELNS1_11target_archE1030ELNS1_3gpuE2ELNS1_3repE0EEENS1_30default_config_static_selectorELNS0_4arch9wavefront6targetE0EEEvT1_.uses_flat_scratch, 0
	.set _ZN7rocprim17ROCPRIM_400000_NS6detail17trampoline_kernelINS0_14default_configENS1_25partition_config_selectorILNS1_17partition_subalgoE8EaNS0_10empty_typeEbEEZZNS1_14partition_implILS5_8ELb0ES3_jPKaPS6_PKS6_NS0_5tupleIJPaS6_EEENSE_IJSB_SB_EEENS0_18inequality_wrapperIN6hipcub16HIPCUB_304000_NS8EqualityEEEPlJS6_EEE10hipError_tPvRmT3_T4_T5_T6_T7_T9_mT8_P12ihipStream_tbDpT10_ENKUlT_T0_E_clISt17integral_constantIbLb0EES17_EEDaS12_S13_EUlS12_E_NS1_11comp_targetILNS1_3genE8ELNS1_11target_archE1030ELNS1_3gpuE2ELNS1_3repE0EEENS1_30default_config_static_selectorELNS0_4arch9wavefront6targetE0EEEvT1_.has_dyn_sized_stack, 0
	.set _ZN7rocprim17ROCPRIM_400000_NS6detail17trampoline_kernelINS0_14default_configENS1_25partition_config_selectorILNS1_17partition_subalgoE8EaNS0_10empty_typeEbEEZZNS1_14partition_implILS5_8ELb0ES3_jPKaPS6_PKS6_NS0_5tupleIJPaS6_EEENSE_IJSB_SB_EEENS0_18inequality_wrapperIN6hipcub16HIPCUB_304000_NS8EqualityEEEPlJS6_EEE10hipError_tPvRmT3_T4_T5_T6_T7_T9_mT8_P12ihipStream_tbDpT10_ENKUlT_T0_E_clISt17integral_constantIbLb0EES17_EEDaS12_S13_EUlS12_E_NS1_11comp_targetILNS1_3genE8ELNS1_11target_archE1030ELNS1_3gpuE2ELNS1_3repE0EEENS1_30default_config_static_selectorELNS0_4arch9wavefront6targetE0EEEvT1_.has_recursion, 0
	.set _ZN7rocprim17ROCPRIM_400000_NS6detail17trampoline_kernelINS0_14default_configENS1_25partition_config_selectorILNS1_17partition_subalgoE8EaNS0_10empty_typeEbEEZZNS1_14partition_implILS5_8ELb0ES3_jPKaPS6_PKS6_NS0_5tupleIJPaS6_EEENSE_IJSB_SB_EEENS0_18inequality_wrapperIN6hipcub16HIPCUB_304000_NS8EqualityEEEPlJS6_EEE10hipError_tPvRmT3_T4_T5_T6_T7_T9_mT8_P12ihipStream_tbDpT10_ENKUlT_T0_E_clISt17integral_constantIbLb0EES17_EEDaS12_S13_EUlS12_E_NS1_11comp_targetILNS1_3genE8ELNS1_11target_archE1030ELNS1_3gpuE2ELNS1_3repE0EEENS1_30default_config_static_selectorELNS0_4arch9wavefront6targetE0EEEvT1_.has_indirect_call, 0
	.section	.AMDGPU.csdata,"",@progbits
; Kernel info:
; codeLenInByte = 0
; TotalNumSgprs: 0
; NumVgprs: 0
; ScratchSize: 0
; MemoryBound: 0
; FloatMode: 240
; IeeeMode: 1
; LDSByteSize: 0 bytes/workgroup (compile time only)
; SGPRBlocks: 0
; VGPRBlocks: 0
; NumSGPRsForWavesPerEU: 1
; NumVGPRsForWavesPerEU: 1
; NamedBarCnt: 0
; Occupancy: 16
; WaveLimiterHint : 0
; COMPUTE_PGM_RSRC2:SCRATCH_EN: 0
; COMPUTE_PGM_RSRC2:USER_SGPR: 2
; COMPUTE_PGM_RSRC2:TRAP_HANDLER: 0
; COMPUTE_PGM_RSRC2:TGID_X_EN: 1
; COMPUTE_PGM_RSRC2:TGID_Y_EN: 0
; COMPUTE_PGM_RSRC2:TGID_Z_EN: 0
; COMPUTE_PGM_RSRC2:TIDIG_COMP_CNT: 0
	.section	.text._ZN7rocprim17ROCPRIM_400000_NS6detail17trampoline_kernelINS0_14default_configENS1_25partition_config_selectorILNS1_17partition_subalgoE8EaNS0_10empty_typeEbEEZZNS1_14partition_implILS5_8ELb0ES3_jPKaPS6_PKS6_NS0_5tupleIJPaS6_EEENSE_IJSB_SB_EEENS0_18inequality_wrapperIN6hipcub16HIPCUB_304000_NS8EqualityEEEPlJS6_EEE10hipError_tPvRmT3_T4_T5_T6_T7_T9_mT8_P12ihipStream_tbDpT10_ENKUlT_T0_E_clISt17integral_constantIbLb1EES17_EEDaS12_S13_EUlS12_E_NS1_11comp_targetILNS1_3genE0ELNS1_11target_archE4294967295ELNS1_3gpuE0ELNS1_3repE0EEENS1_30default_config_static_selectorELNS0_4arch9wavefront6targetE0EEEvT1_,"axG",@progbits,_ZN7rocprim17ROCPRIM_400000_NS6detail17trampoline_kernelINS0_14default_configENS1_25partition_config_selectorILNS1_17partition_subalgoE8EaNS0_10empty_typeEbEEZZNS1_14partition_implILS5_8ELb0ES3_jPKaPS6_PKS6_NS0_5tupleIJPaS6_EEENSE_IJSB_SB_EEENS0_18inequality_wrapperIN6hipcub16HIPCUB_304000_NS8EqualityEEEPlJS6_EEE10hipError_tPvRmT3_T4_T5_T6_T7_T9_mT8_P12ihipStream_tbDpT10_ENKUlT_T0_E_clISt17integral_constantIbLb1EES17_EEDaS12_S13_EUlS12_E_NS1_11comp_targetILNS1_3genE0ELNS1_11target_archE4294967295ELNS1_3gpuE0ELNS1_3repE0EEENS1_30default_config_static_selectorELNS0_4arch9wavefront6targetE0EEEvT1_,comdat
	.protected	_ZN7rocprim17ROCPRIM_400000_NS6detail17trampoline_kernelINS0_14default_configENS1_25partition_config_selectorILNS1_17partition_subalgoE8EaNS0_10empty_typeEbEEZZNS1_14partition_implILS5_8ELb0ES3_jPKaPS6_PKS6_NS0_5tupleIJPaS6_EEENSE_IJSB_SB_EEENS0_18inequality_wrapperIN6hipcub16HIPCUB_304000_NS8EqualityEEEPlJS6_EEE10hipError_tPvRmT3_T4_T5_T6_T7_T9_mT8_P12ihipStream_tbDpT10_ENKUlT_T0_E_clISt17integral_constantIbLb1EES17_EEDaS12_S13_EUlS12_E_NS1_11comp_targetILNS1_3genE0ELNS1_11target_archE4294967295ELNS1_3gpuE0ELNS1_3repE0EEENS1_30default_config_static_selectorELNS0_4arch9wavefront6targetE0EEEvT1_ ; -- Begin function _ZN7rocprim17ROCPRIM_400000_NS6detail17trampoline_kernelINS0_14default_configENS1_25partition_config_selectorILNS1_17partition_subalgoE8EaNS0_10empty_typeEbEEZZNS1_14partition_implILS5_8ELb0ES3_jPKaPS6_PKS6_NS0_5tupleIJPaS6_EEENSE_IJSB_SB_EEENS0_18inequality_wrapperIN6hipcub16HIPCUB_304000_NS8EqualityEEEPlJS6_EEE10hipError_tPvRmT3_T4_T5_T6_T7_T9_mT8_P12ihipStream_tbDpT10_ENKUlT_T0_E_clISt17integral_constantIbLb1EES17_EEDaS12_S13_EUlS12_E_NS1_11comp_targetILNS1_3genE0ELNS1_11target_archE4294967295ELNS1_3gpuE0ELNS1_3repE0EEENS1_30default_config_static_selectorELNS0_4arch9wavefront6targetE0EEEvT1_
	.globl	_ZN7rocprim17ROCPRIM_400000_NS6detail17trampoline_kernelINS0_14default_configENS1_25partition_config_selectorILNS1_17partition_subalgoE8EaNS0_10empty_typeEbEEZZNS1_14partition_implILS5_8ELb0ES3_jPKaPS6_PKS6_NS0_5tupleIJPaS6_EEENSE_IJSB_SB_EEENS0_18inequality_wrapperIN6hipcub16HIPCUB_304000_NS8EqualityEEEPlJS6_EEE10hipError_tPvRmT3_T4_T5_T6_T7_T9_mT8_P12ihipStream_tbDpT10_ENKUlT_T0_E_clISt17integral_constantIbLb1EES17_EEDaS12_S13_EUlS12_E_NS1_11comp_targetILNS1_3genE0ELNS1_11target_archE4294967295ELNS1_3gpuE0ELNS1_3repE0EEENS1_30default_config_static_selectorELNS0_4arch9wavefront6targetE0EEEvT1_
	.p2align	8
	.type	_ZN7rocprim17ROCPRIM_400000_NS6detail17trampoline_kernelINS0_14default_configENS1_25partition_config_selectorILNS1_17partition_subalgoE8EaNS0_10empty_typeEbEEZZNS1_14partition_implILS5_8ELb0ES3_jPKaPS6_PKS6_NS0_5tupleIJPaS6_EEENSE_IJSB_SB_EEENS0_18inequality_wrapperIN6hipcub16HIPCUB_304000_NS8EqualityEEEPlJS6_EEE10hipError_tPvRmT3_T4_T5_T6_T7_T9_mT8_P12ihipStream_tbDpT10_ENKUlT_T0_E_clISt17integral_constantIbLb1EES17_EEDaS12_S13_EUlS12_E_NS1_11comp_targetILNS1_3genE0ELNS1_11target_archE4294967295ELNS1_3gpuE0ELNS1_3repE0EEENS1_30default_config_static_selectorELNS0_4arch9wavefront6targetE0EEEvT1_,@function
_ZN7rocprim17ROCPRIM_400000_NS6detail17trampoline_kernelINS0_14default_configENS1_25partition_config_selectorILNS1_17partition_subalgoE8EaNS0_10empty_typeEbEEZZNS1_14partition_implILS5_8ELb0ES3_jPKaPS6_PKS6_NS0_5tupleIJPaS6_EEENSE_IJSB_SB_EEENS0_18inequality_wrapperIN6hipcub16HIPCUB_304000_NS8EqualityEEEPlJS6_EEE10hipError_tPvRmT3_T4_T5_T6_T7_T9_mT8_P12ihipStream_tbDpT10_ENKUlT_T0_E_clISt17integral_constantIbLb1EES17_EEDaS12_S13_EUlS12_E_NS1_11comp_targetILNS1_3genE0ELNS1_11target_archE4294967295ELNS1_3gpuE0ELNS1_3repE0EEENS1_30default_config_static_selectorELNS0_4arch9wavefront6targetE0EEEvT1_: ; @_ZN7rocprim17ROCPRIM_400000_NS6detail17trampoline_kernelINS0_14default_configENS1_25partition_config_selectorILNS1_17partition_subalgoE8EaNS0_10empty_typeEbEEZZNS1_14partition_implILS5_8ELb0ES3_jPKaPS6_PKS6_NS0_5tupleIJPaS6_EEENSE_IJSB_SB_EEENS0_18inequality_wrapperIN6hipcub16HIPCUB_304000_NS8EqualityEEEPlJS6_EEE10hipError_tPvRmT3_T4_T5_T6_T7_T9_mT8_P12ihipStream_tbDpT10_ENKUlT_T0_E_clISt17integral_constantIbLb1EES17_EEDaS12_S13_EUlS12_E_NS1_11comp_targetILNS1_3genE0ELNS1_11target_archE4294967295ELNS1_3gpuE0ELNS1_3repE0EEENS1_30default_config_static_selectorELNS0_4arch9wavefront6targetE0EEEvT1_
; %bb.0:
	s_endpgm
	.section	.rodata,"a",@progbits
	.p2align	6, 0x0
	.amdhsa_kernel _ZN7rocprim17ROCPRIM_400000_NS6detail17trampoline_kernelINS0_14default_configENS1_25partition_config_selectorILNS1_17partition_subalgoE8EaNS0_10empty_typeEbEEZZNS1_14partition_implILS5_8ELb0ES3_jPKaPS6_PKS6_NS0_5tupleIJPaS6_EEENSE_IJSB_SB_EEENS0_18inequality_wrapperIN6hipcub16HIPCUB_304000_NS8EqualityEEEPlJS6_EEE10hipError_tPvRmT3_T4_T5_T6_T7_T9_mT8_P12ihipStream_tbDpT10_ENKUlT_T0_E_clISt17integral_constantIbLb1EES17_EEDaS12_S13_EUlS12_E_NS1_11comp_targetILNS1_3genE0ELNS1_11target_archE4294967295ELNS1_3gpuE0ELNS1_3repE0EEENS1_30default_config_static_selectorELNS0_4arch9wavefront6targetE0EEEvT1_
		.amdhsa_group_segment_fixed_size 0
		.amdhsa_private_segment_fixed_size 0
		.amdhsa_kernarg_size 128
		.amdhsa_user_sgpr_count 2
		.amdhsa_user_sgpr_dispatch_ptr 0
		.amdhsa_user_sgpr_queue_ptr 0
		.amdhsa_user_sgpr_kernarg_segment_ptr 1
		.amdhsa_user_sgpr_dispatch_id 0
		.amdhsa_user_sgpr_kernarg_preload_length 0
		.amdhsa_user_sgpr_kernarg_preload_offset 0
		.amdhsa_user_sgpr_private_segment_size 0
		.amdhsa_wavefront_size32 1
		.amdhsa_uses_dynamic_stack 0
		.amdhsa_enable_private_segment 0
		.amdhsa_system_sgpr_workgroup_id_x 1
		.amdhsa_system_sgpr_workgroup_id_y 0
		.amdhsa_system_sgpr_workgroup_id_z 0
		.amdhsa_system_sgpr_workgroup_info 0
		.amdhsa_system_vgpr_workitem_id 0
		.amdhsa_next_free_vgpr 1
		.amdhsa_next_free_sgpr 1
		.amdhsa_named_barrier_count 0
		.amdhsa_reserve_vcc 0
		.amdhsa_float_round_mode_32 0
		.amdhsa_float_round_mode_16_64 0
		.amdhsa_float_denorm_mode_32 3
		.amdhsa_float_denorm_mode_16_64 3
		.amdhsa_fp16_overflow 0
		.amdhsa_memory_ordered 1
		.amdhsa_forward_progress 1
		.amdhsa_inst_pref_size 1
		.amdhsa_round_robin_scheduling 0
		.amdhsa_exception_fp_ieee_invalid_op 0
		.amdhsa_exception_fp_denorm_src 0
		.amdhsa_exception_fp_ieee_div_zero 0
		.amdhsa_exception_fp_ieee_overflow 0
		.amdhsa_exception_fp_ieee_underflow 0
		.amdhsa_exception_fp_ieee_inexact 0
		.amdhsa_exception_int_div_zero 0
	.end_amdhsa_kernel
	.section	.text._ZN7rocprim17ROCPRIM_400000_NS6detail17trampoline_kernelINS0_14default_configENS1_25partition_config_selectorILNS1_17partition_subalgoE8EaNS0_10empty_typeEbEEZZNS1_14partition_implILS5_8ELb0ES3_jPKaPS6_PKS6_NS0_5tupleIJPaS6_EEENSE_IJSB_SB_EEENS0_18inequality_wrapperIN6hipcub16HIPCUB_304000_NS8EqualityEEEPlJS6_EEE10hipError_tPvRmT3_T4_T5_T6_T7_T9_mT8_P12ihipStream_tbDpT10_ENKUlT_T0_E_clISt17integral_constantIbLb1EES17_EEDaS12_S13_EUlS12_E_NS1_11comp_targetILNS1_3genE0ELNS1_11target_archE4294967295ELNS1_3gpuE0ELNS1_3repE0EEENS1_30default_config_static_selectorELNS0_4arch9wavefront6targetE0EEEvT1_,"axG",@progbits,_ZN7rocprim17ROCPRIM_400000_NS6detail17trampoline_kernelINS0_14default_configENS1_25partition_config_selectorILNS1_17partition_subalgoE8EaNS0_10empty_typeEbEEZZNS1_14partition_implILS5_8ELb0ES3_jPKaPS6_PKS6_NS0_5tupleIJPaS6_EEENSE_IJSB_SB_EEENS0_18inequality_wrapperIN6hipcub16HIPCUB_304000_NS8EqualityEEEPlJS6_EEE10hipError_tPvRmT3_T4_T5_T6_T7_T9_mT8_P12ihipStream_tbDpT10_ENKUlT_T0_E_clISt17integral_constantIbLb1EES17_EEDaS12_S13_EUlS12_E_NS1_11comp_targetILNS1_3genE0ELNS1_11target_archE4294967295ELNS1_3gpuE0ELNS1_3repE0EEENS1_30default_config_static_selectorELNS0_4arch9wavefront6targetE0EEEvT1_,comdat
.Lfunc_end211:
	.size	_ZN7rocprim17ROCPRIM_400000_NS6detail17trampoline_kernelINS0_14default_configENS1_25partition_config_selectorILNS1_17partition_subalgoE8EaNS0_10empty_typeEbEEZZNS1_14partition_implILS5_8ELb0ES3_jPKaPS6_PKS6_NS0_5tupleIJPaS6_EEENSE_IJSB_SB_EEENS0_18inequality_wrapperIN6hipcub16HIPCUB_304000_NS8EqualityEEEPlJS6_EEE10hipError_tPvRmT3_T4_T5_T6_T7_T9_mT8_P12ihipStream_tbDpT10_ENKUlT_T0_E_clISt17integral_constantIbLb1EES17_EEDaS12_S13_EUlS12_E_NS1_11comp_targetILNS1_3genE0ELNS1_11target_archE4294967295ELNS1_3gpuE0ELNS1_3repE0EEENS1_30default_config_static_selectorELNS0_4arch9wavefront6targetE0EEEvT1_, .Lfunc_end211-_ZN7rocprim17ROCPRIM_400000_NS6detail17trampoline_kernelINS0_14default_configENS1_25partition_config_selectorILNS1_17partition_subalgoE8EaNS0_10empty_typeEbEEZZNS1_14partition_implILS5_8ELb0ES3_jPKaPS6_PKS6_NS0_5tupleIJPaS6_EEENSE_IJSB_SB_EEENS0_18inequality_wrapperIN6hipcub16HIPCUB_304000_NS8EqualityEEEPlJS6_EEE10hipError_tPvRmT3_T4_T5_T6_T7_T9_mT8_P12ihipStream_tbDpT10_ENKUlT_T0_E_clISt17integral_constantIbLb1EES17_EEDaS12_S13_EUlS12_E_NS1_11comp_targetILNS1_3genE0ELNS1_11target_archE4294967295ELNS1_3gpuE0ELNS1_3repE0EEENS1_30default_config_static_selectorELNS0_4arch9wavefront6targetE0EEEvT1_
                                        ; -- End function
	.set _ZN7rocprim17ROCPRIM_400000_NS6detail17trampoline_kernelINS0_14default_configENS1_25partition_config_selectorILNS1_17partition_subalgoE8EaNS0_10empty_typeEbEEZZNS1_14partition_implILS5_8ELb0ES3_jPKaPS6_PKS6_NS0_5tupleIJPaS6_EEENSE_IJSB_SB_EEENS0_18inequality_wrapperIN6hipcub16HIPCUB_304000_NS8EqualityEEEPlJS6_EEE10hipError_tPvRmT3_T4_T5_T6_T7_T9_mT8_P12ihipStream_tbDpT10_ENKUlT_T0_E_clISt17integral_constantIbLb1EES17_EEDaS12_S13_EUlS12_E_NS1_11comp_targetILNS1_3genE0ELNS1_11target_archE4294967295ELNS1_3gpuE0ELNS1_3repE0EEENS1_30default_config_static_selectorELNS0_4arch9wavefront6targetE0EEEvT1_.num_vgpr, 0
	.set _ZN7rocprim17ROCPRIM_400000_NS6detail17trampoline_kernelINS0_14default_configENS1_25partition_config_selectorILNS1_17partition_subalgoE8EaNS0_10empty_typeEbEEZZNS1_14partition_implILS5_8ELb0ES3_jPKaPS6_PKS6_NS0_5tupleIJPaS6_EEENSE_IJSB_SB_EEENS0_18inequality_wrapperIN6hipcub16HIPCUB_304000_NS8EqualityEEEPlJS6_EEE10hipError_tPvRmT3_T4_T5_T6_T7_T9_mT8_P12ihipStream_tbDpT10_ENKUlT_T0_E_clISt17integral_constantIbLb1EES17_EEDaS12_S13_EUlS12_E_NS1_11comp_targetILNS1_3genE0ELNS1_11target_archE4294967295ELNS1_3gpuE0ELNS1_3repE0EEENS1_30default_config_static_selectorELNS0_4arch9wavefront6targetE0EEEvT1_.num_agpr, 0
	.set _ZN7rocprim17ROCPRIM_400000_NS6detail17trampoline_kernelINS0_14default_configENS1_25partition_config_selectorILNS1_17partition_subalgoE8EaNS0_10empty_typeEbEEZZNS1_14partition_implILS5_8ELb0ES3_jPKaPS6_PKS6_NS0_5tupleIJPaS6_EEENSE_IJSB_SB_EEENS0_18inequality_wrapperIN6hipcub16HIPCUB_304000_NS8EqualityEEEPlJS6_EEE10hipError_tPvRmT3_T4_T5_T6_T7_T9_mT8_P12ihipStream_tbDpT10_ENKUlT_T0_E_clISt17integral_constantIbLb1EES17_EEDaS12_S13_EUlS12_E_NS1_11comp_targetILNS1_3genE0ELNS1_11target_archE4294967295ELNS1_3gpuE0ELNS1_3repE0EEENS1_30default_config_static_selectorELNS0_4arch9wavefront6targetE0EEEvT1_.numbered_sgpr, 0
	.set _ZN7rocprim17ROCPRIM_400000_NS6detail17trampoline_kernelINS0_14default_configENS1_25partition_config_selectorILNS1_17partition_subalgoE8EaNS0_10empty_typeEbEEZZNS1_14partition_implILS5_8ELb0ES3_jPKaPS6_PKS6_NS0_5tupleIJPaS6_EEENSE_IJSB_SB_EEENS0_18inequality_wrapperIN6hipcub16HIPCUB_304000_NS8EqualityEEEPlJS6_EEE10hipError_tPvRmT3_T4_T5_T6_T7_T9_mT8_P12ihipStream_tbDpT10_ENKUlT_T0_E_clISt17integral_constantIbLb1EES17_EEDaS12_S13_EUlS12_E_NS1_11comp_targetILNS1_3genE0ELNS1_11target_archE4294967295ELNS1_3gpuE0ELNS1_3repE0EEENS1_30default_config_static_selectorELNS0_4arch9wavefront6targetE0EEEvT1_.num_named_barrier, 0
	.set _ZN7rocprim17ROCPRIM_400000_NS6detail17trampoline_kernelINS0_14default_configENS1_25partition_config_selectorILNS1_17partition_subalgoE8EaNS0_10empty_typeEbEEZZNS1_14partition_implILS5_8ELb0ES3_jPKaPS6_PKS6_NS0_5tupleIJPaS6_EEENSE_IJSB_SB_EEENS0_18inequality_wrapperIN6hipcub16HIPCUB_304000_NS8EqualityEEEPlJS6_EEE10hipError_tPvRmT3_T4_T5_T6_T7_T9_mT8_P12ihipStream_tbDpT10_ENKUlT_T0_E_clISt17integral_constantIbLb1EES17_EEDaS12_S13_EUlS12_E_NS1_11comp_targetILNS1_3genE0ELNS1_11target_archE4294967295ELNS1_3gpuE0ELNS1_3repE0EEENS1_30default_config_static_selectorELNS0_4arch9wavefront6targetE0EEEvT1_.private_seg_size, 0
	.set _ZN7rocprim17ROCPRIM_400000_NS6detail17trampoline_kernelINS0_14default_configENS1_25partition_config_selectorILNS1_17partition_subalgoE8EaNS0_10empty_typeEbEEZZNS1_14partition_implILS5_8ELb0ES3_jPKaPS6_PKS6_NS0_5tupleIJPaS6_EEENSE_IJSB_SB_EEENS0_18inequality_wrapperIN6hipcub16HIPCUB_304000_NS8EqualityEEEPlJS6_EEE10hipError_tPvRmT3_T4_T5_T6_T7_T9_mT8_P12ihipStream_tbDpT10_ENKUlT_T0_E_clISt17integral_constantIbLb1EES17_EEDaS12_S13_EUlS12_E_NS1_11comp_targetILNS1_3genE0ELNS1_11target_archE4294967295ELNS1_3gpuE0ELNS1_3repE0EEENS1_30default_config_static_selectorELNS0_4arch9wavefront6targetE0EEEvT1_.uses_vcc, 0
	.set _ZN7rocprim17ROCPRIM_400000_NS6detail17trampoline_kernelINS0_14default_configENS1_25partition_config_selectorILNS1_17partition_subalgoE8EaNS0_10empty_typeEbEEZZNS1_14partition_implILS5_8ELb0ES3_jPKaPS6_PKS6_NS0_5tupleIJPaS6_EEENSE_IJSB_SB_EEENS0_18inequality_wrapperIN6hipcub16HIPCUB_304000_NS8EqualityEEEPlJS6_EEE10hipError_tPvRmT3_T4_T5_T6_T7_T9_mT8_P12ihipStream_tbDpT10_ENKUlT_T0_E_clISt17integral_constantIbLb1EES17_EEDaS12_S13_EUlS12_E_NS1_11comp_targetILNS1_3genE0ELNS1_11target_archE4294967295ELNS1_3gpuE0ELNS1_3repE0EEENS1_30default_config_static_selectorELNS0_4arch9wavefront6targetE0EEEvT1_.uses_flat_scratch, 0
	.set _ZN7rocprim17ROCPRIM_400000_NS6detail17trampoline_kernelINS0_14default_configENS1_25partition_config_selectorILNS1_17partition_subalgoE8EaNS0_10empty_typeEbEEZZNS1_14partition_implILS5_8ELb0ES3_jPKaPS6_PKS6_NS0_5tupleIJPaS6_EEENSE_IJSB_SB_EEENS0_18inequality_wrapperIN6hipcub16HIPCUB_304000_NS8EqualityEEEPlJS6_EEE10hipError_tPvRmT3_T4_T5_T6_T7_T9_mT8_P12ihipStream_tbDpT10_ENKUlT_T0_E_clISt17integral_constantIbLb1EES17_EEDaS12_S13_EUlS12_E_NS1_11comp_targetILNS1_3genE0ELNS1_11target_archE4294967295ELNS1_3gpuE0ELNS1_3repE0EEENS1_30default_config_static_selectorELNS0_4arch9wavefront6targetE0EEEvT1_.has_dyn_sized_stack, 0
	.set _ZN7rocprim17ROCPRIM_400000_NS6detail17trampoline_kernelINS0_14default_configENS1_25partition_config_selectorILNS1_17partition_subalgoE8EaNS0_10empty_typeEbEEZZNS1_14partition_implILS5_8ELb0ES3_jPKaPS6_PKS6_NS0_5tupleIJPaS6_EEENSE_IJSB_SB_EEENS0_18inequality_wrapperIN6hipcub16HIPCUB_304000_NS8EqualityEEEPlJS6_EEE10hipError_tPvRmT3_T4_T5_T6_T7_T9_mT8_P12ihipStream_tbDpT10_ENKUlT_T0_E_clISt17integral_constantIbLb1EES17_EEDaS12_S13_EUlS12_E_NS1_11comp_targetILNS1_3genE0ELNS1_11target_archE4294967295ELNS1_3gpuE0ELNS1_3repE0EEENS1_30default_config_static_selectorELNS0_4arch9wavefront6targetE0EEEvT1_.has_recursion, 0
	.set _ZN7rocprim17ROCPRIM_400000_NS6detail17trampoline_kernelINS0_14default_configENS1_25partition_config_selectorILNS1_17partition_subalgoE8EaNS0_10empty_typeEbEEZZNS1_14partition_implILS5_8ELb0ES3_jPKaPS6_PKS6_NS0_5tupleIJPaS6_EEENSE_IJSB_SB_EEENS0_18inequality_wrapperIN6hipcub16HIPCUB_304000_NS8EqualityEEEPlJS6_EEE10hipError_tPvRmT3_T4_T5_T6_T7_T9_mT8_P12ihipStream_tbDpT10_ENKUlT_T0_E_clISt17integral_constantIbLb1EES17_EEDaS12_S13_EUlS12_E_NS1_11comp_targetILNS1_3genE0ELNS1_11target_archE4294967295ELNS1_3gpuE0ELNS1_3repE0EEENS1_30default_config_static_selectorELNS0_4arch9wavefront6targetE0EEEvT1_.has_indirect_call, 0
	.section	.AMDGPU.csdata,"",@progbits
; Kernel info:
; codeLenInByte = 4
; TotalNumSgprs: 0
; NumVgprs: 0
; ScratchSize: 0
; MemoryBound: 0
; FloatMode: 240
; IeeeMode: 1
; LDSByteSize: 0 bytes/workgroup (compile time only)
; SGPRBlocks: 0
; VGPRBlocks: 0
; NumSGPRsForWavesPerEU: 1
; NumVGPRsForWavesPerEU: 1
; NamedBarCnt: 0
; Occupancy: 16
; WaveLimiterHint : 0
; COMPUTE_PGM_RSRC2:SCRATCH_EN: 0
; COMPUTE_PGM_RSRC2:USER_SGPR: 2
; COMPUTE_PGM_RSRC2:TRAP_HANDLER: 0
; COMPUTE_PGM_RSRC2:TGID_X_EN: 1
; COMPUTE_PGM_RSRC2:TGID_Y_EN: 0
; COMPUTE_PGM_RSRC2:TGID_Z_EN: 0
; COMPUTE_PGM_RSRC2:TIDIG_COMP_CNT: 0
	.section	.text._ZN7rocprim17ROCPRIM_400000_NS6detail17trampoline_kernelINS0_14default_configENS1_25partition_config_selectorILNS1_17partition_subalgoE8EaNS0_10empty_typeEbEEZZNS1_14partition_implILS5_8ELb0ES3_jPKaPS6_PKS6_NS0_5tupleIJPaS6_EEENSE_IJSB_SB_EEENS0_18inequality_wrapperIN6hipcub16HIPCUB_304000_NS8EqualityEEEPlJS6_EEE10hipError_tPvRmT3_T4_T5_T6_T7_T9_mT8_P12ihipStream_tbDpT10_ENKUlT_T0_E_clISt17integral_constantIbLb1EES17_EEDaS12_S13_EUlS12_E_NS1_11comp_targetILNS1_3genE5ELNS1_11target_archE942ELNS1_3gpuE9ELNS1_3repE0EEENS1_30default_config_static_selectorELNS0_4arch9wavefront6targetE0EEEvT1_,"axG",@progbits,_ZN7rocprim17ROCPRIM_400000_NS6detail17trampoline_kernelINS0_14default_configENS1_25partition_config_selectorILNS1_17partition_subalgoE8EaNS0_10empty_typeEbEEZZNS1_14partition_implILS5_8ELb0ES3_jPKaPS6_PKS6_NS0_5tupleIJPaS6_EEENSE_IJSB_SB_EEENS0_18inequality_wrapperIN6hipcub16HIPCUB_304000_NS8EqualityEEEPlJS6_EEE10hipError_tPvRmT3_T4_T5_T6_T7_T9_mT8_P12ihipStream_tbDpT10_ENKUlT_T0_E_clISt17integral_constantIbLb1EES17_EEDaS12_S13_EUlS12_E_NS1_11comp_targetILNS1_3genE5ELNS1_11target_archE942ELNS1_3gpuE9ELNS1_3repE0EEENS1_30default_config_static_selectorELNS0_4arch9wavefront6targetE0EEEvT1_,comdat
	.protected	_ZN7rocprim17ROCPRIM_400000_NS6detail17trampoline_kernelINS0_14default_configENS1_25partition_config_selectorILNS1_17partition_subalgoE8EaNS0_10empty_typeEbEEZZNS1_14partition_implILS5_8ELb0ES3_jPKaPS6_PKS6_NS0_5tupleIJPaS6_EEENSE_IJSB_SB_EEENS0_18inequality_wrapperIN6hipcub16HIPCUB_304000_NS8EqualityEEEPlJS6_EEE10hipError_tPvRmT3_T4_T5_T6_T7_T9_mT8_P12ihipStream_tbDpT10_ENKUlT_T0_E_clISt17integral_constantIbLb1EES17_EEDaS12_S13_EUlS12_E_NS1_11comp_targetILNS1_3genE5ELNS1_11target_archE942ELNS1_3gpuE9ELNS1_3repE0EEENS1_30default_config_static_selectorELNS0_4arch9wavefront6targetE0EEEvT1_ ; -- Begin function _ZN7rocprim17ROCPRIM_400000_NS6detail17trampoline_kernelINS0_14default_configENS1_25partition_config_selectorILNS1_17partition_subalgoE8EaNS0_10empty_typeEbEEZZNS1_14partition_implILS5_8ELb0ES3_jPKaPS6_PKS6_NS0_5tupleIJPaS6_EEENSE_IJSB_SB_EEENS0_18inequality_wrapperIN6hipcub16HIPCUB_304000_NS8EqualityEEEPlJS6_EEE10hipError_tPvRmT3_T4_T5_T6_T7_T9_mT8_P12ihipStream_tbDpT10_ENKUlT_T0_E_clISt17integral_constantIbLb1EES17_EEDaS12_S13_EUlS12_E_NS1_11comp_targetILNS1_3genE5ELNS1_11target_archE942ELNS1_3gpuE9ELNS1_3repE0EEENS1_30default_config_static_selectorELNS0_4arch9wavefront6targetE0EEEvT1_
	.globl	_ZN7rocprim17ROCPRIM_400000_NS6detail17trampoline_kernelINS0_14default_configENS1_25partition_config_selectorILNS1_17partition_subalgoE8EaNS0_10empty_typeEbEEZZNS1_14partition_implILS5_8ELb0ES3_jPKaPS6_PKS6_NS0_5tupleIJPaS6_EEENSE_IJSB_SB_EEENS0_18inequality_wrapperIN6hipcub16HIPCUB_304000_NS8EqualityEEEPlJS6_EEE10hipError_tPvRmT3_T4_T5_T6_T7_T9_mT8_P12ihipStream_tbDpT10_ENKUlT_T0_E_clISt17integral_constantIbLb1EES17_EEDaS12_S13_EUlS12_E_NS1_11comp_targetILNS1_3genE5ELNS1_11target_archE942ELNS1_3gpuE9ELNS1_3repE0EEENS1_30default_config_static_selectorELNS0_4arch9wavefront6targetE0EEEvT1_
	.p2align	8
	.type	_ZN7rocprim17ROCPRIM_400000_NS6detail17trampoline_kernelINS0_14default_configENS1_25partition_config_selectorILNS1_17partition_subalgoE8EaNS0_10empty_typeEbEEZZNS1_14partition_implILS5_8ELb0ES3_jPKaPS6_PKS6_NS0_5tupleIJPaS6_EEENSE_IJSB_SB_EEENS0_18inequality_wrapperIN6hipcub16HIPCUB_304000_NS8EqualityEEEPlJS6_EEE10hipError_tPvRmT3_T4_T5_T6_T7_T9_mT8_P12ihipStream_tbDpT10_ENKUlT_T0_E_clISt17integral_constantIbLb1EES17_EEDaS12_S13_EUlS12_E_NS1_11comp_targetILNS1_3genE5ELNS1_11target_archE942ELNS1_3gpuE9ELNS1_3repE0EEENS1_30default_config_static_selectorELNS0_4arch9wavefront6targetE0EEEvT1_,@function
_ZN7rocprim17ROCPRIM_400000_NS6detail17trampoline_kernelINS0_14default_configENS1_25partition_config_selectorILNS1_17partition_subalgoE8EaNS0_10empty_typeEbEEZZNS1_14partition_implILS5_8ELb0ES3_jPKaPS6_PKS6_NS0_5tupleIJPaS6_EEENSE_IJSB_SB_EEENS0_18inequality_wrapperIN6hipcub16HIPCUB_304000_NS8EqualityEEEPlJS6_EEE10hipError_tPvRmT3_T4_T5_T6_T7_T9_mT8_P12ihipStream_tbDpT10_ENKUlT_T0_E_clISt17integral_constantIbLb1EES17_EEDaS12_S13_EUlS12_E_NS1_11comp_targetILNS1_3genE5ELNS1_11target_archE942ELNS1_3gpuE9ELNS1_3repE0EEENS1_30default_config_static_selectorELNS0_4arch9wavefront6targetE0EEEvT1_: ; @_ZN7rocprim17ROCPRIM_400000_NS6detail17trampoline_kernelINS0_14default_configENS1_25partition_config_selectorILNS1_17partition_subalgoE8EaNS0_10empty_typeEbEEZZNS1_14partition_implILS5_8ELb0ES3_jPKaPS6_PKS6_NS0_5tupleIJPaS6_EEENSE_IJSB_SB_EEENS0_18inequality_wrapperIN6hipcub16HIPCUB_304000_NS8EqualityEEEPlJS6_EEE10hipError_tPvRmT3_T4_T5_T6_T7_T9_mT8_P12ihipStream_tbDpT10_ENKUlT_T0_E_clISt17integral_constantIbLb1EES17_EEDaS12_S13_EUlS12_E_NS1_11comp_targetILNS1_3genE5ELNS1_11target_archE942ELNS1_3gpuE9ELNS1_3repE0EEENS1_30default_config_static_selectorELNS0_4arch9wavefront6targetE0EEEvT1_
; %bb.0:
	.section	.rodata,"a",@progbits
	.p2align	6, 0x0
	.amdhsa_kernel _ZN7rocprim17ROCPRIM_400000_NS6detail17trampoline_kernelINS0_14default_configENS1_25partition_config_selectorILNS1_17partition_subalgoE8EaNS0_10empty_typeEbEEZZNS1_14partition_implILS5_8ELb0ES3_jPKaPS6_PKS6_NS0_5tupleIJPaS6_EEENSE_IJSB_SB_EEENS0_18inequality_wrapperIN6hipcub16HIPCUB_304000_NS8EqualityEEEPlJS6_EEE10hipError_tPvRmT3_T4_T5_T6_T7_T9_mT8_P12ihipStream_tbDpT10_ENKUlT_T0_E_clISt17integral_constantIbLb1EES17_EEDaS12_S13_EUlS12_E_NS1_11comp_targetILNS1_3genE5ELNS1_11target_archE942ELNS1_3gpuE9ELNS1_3repE0EEENS1_30default_config_static_selectorELNS0_4arch9wavefront6targetE0EEEvT1_
		.amdhsa_group_segment_fixed_size 0
		.amdhsa_private_segment_fixed_size 0
		.amdhsa_kernarg_size 128
		.amdhsa_user_sgpr_count 2
		.amdhsa_user_sgpr_dispatch_ptr 0
		.amdhsa_user_sgpr_queue_ptr 0
		.amdhsa_user_sgpr_kernarg_segment_ptr 1
		.amdhsa_user_sgpr_dispatch_id 0
		.amdhsa_user_sgpr_kernarg_preload_length 0
		.amdhsa_user_sgpr_kernarg_preload_offset 0
		.amdhsa_user_sgpr_private_segment_size 0
		.amdhsa_wavefront_size32 1
		.amdhsa_uses_dynamic_stack 0
		.amdhsa_enable_private_segment 0
		.amdhsa_system_sgpr_workgroup_id_x 1
		.amdhsa_system_sgpr_workgroup_id_y 0
		.amdhsa_system_sgpr_workgroup_id_z 0
		.amdhsa_system_sgpr_workgroup_info 0
		.amdhsa_system_vgpr_workitem_id 0
		.amdhsa_next_free_vgpr 1
		.amdhsa_next_free_sgpr 1
		.amdhsa_named_barrier_count 0
		.amdhsa_reserve_vcc 0
		.amdhsa_float_round_mode_32 0
		.amdhsa_float_round_mode_16_64 0
		.amdhsa_float_denorm_mode_32 3
		.amdhsa_float_denorm_mode_16_64 3
		.amdhsa_fp16_overflow 0
		.amdhsa_memory_ordered 1
		.amdhsa_forward_progress 1
		.amdhsa_inst_pref_size 0
		.amdhsa_round_robin_scheduling 0
		.amdhsa_exception_fp_ieee_invalid_op 0
		.amdhsa_exception_fp_denorm_src 0
		.amdhsa_exception_fp_ieee_div_zero 0
		.amdhsa_exception_fp_ieee_overflow 0
		.amdhsa_exception_fp_ieee_underflow 0
		.amdhsa_exception_fp_ieee_inexact 0
		.amdhsa_exception_int_div_zero 0
	.end_amdhsa_kernel
	.section	.text._ZN7rocprim17ROCPRIM_400000_NS6detail17trampoline_kernelINS0_14default_configENS1_25partition_config_selectorILNS1_17partition_subalgoE8EaNS0_10empty_typeEbEEZZNS1_14partition_implILS5_8ELb0ES3_jPKaPS6_PKS6_NS0_5tupleIJPaS6_EEENSE_IJSB_SB_EEENS0_18inequality_wrapperIN6hipcub16HIPCUB_304000_NS8EqualityEEEPlJS6_EEE10hipError_tPvRmT3_T4_T5_T6_T7_T9_mT8_P12ihipStream_tbDpT10_ENKUlT_T0_E_clISt17integral_constantIbLb1EES17_EEDaS12_S13_EUlS12_E_NS1_11comp_targetILNS1_3genE5ELNS1_11target_archE942ELNS1_3gpuE9ELNS1_3repE0EEENS1_30default_config_static_selectorELNS0_4arch9wavefront6targetE0EEEvT1_,"axG",@progbits,_ZN7rocprim17ROCPRIM_400000_NS6detail17trampoline_kernelINS0_14default_configENS1_25partition_config_selectorILNS1_17partition_subalgoE8EaNS0_10empty_typeEbEEZZNS1_14partition_implILS5_8ELb0ES3_jPKaPS6_PKS6_NS0_5tupleIJPaS6_EEENSE_IJSB_SB_EEENS0_18inequality_wrapperIN6hipcub16HIPCUB_304000_NS8EqualityEEEPlJS6_EEE10hipError_tPvRmT3_T4_T5_T6_T7_T9_mT8_P12ihipStream_tbDpT10_ENKUlT_T0_E_clISt17integral_constantIbLb1EES17_EEDaS12_S13_EUlS12_E_NS1_11comp_targetILNS1_3genE5ELNS1_11target_archE942ELNS1_3gpuE9ELNS1_3repE0EEENS1_30default_config_static_selectorELNS0_4arch9wavefront6targetE0EEEvT1_,comdat
.Lfunc_end212:
	.size	_ZN7rocprim17ROCPRIM_400000_NS6detail17trampoline_kernelINS0_14default_configENS1_25partition_config_selectorILNS1_17partition_subalgoE8EaNS0_10empty_typeEbEEZZNS1_14partition_implILS5_8ELb0ES3_jPKaPS6_PKS6_NS0_5tupleIJPaS6_EEENSE_IJSB_SB_EEENS0_18inequality_wrapperIN6hipcub16HIPCUB_304000_NS8EqualityEEEPlJS6_EEE10hipError_tPvRmT3_T4_T5_T6_T7_T9_mT8_P12ihipStream_tbDpT10_ENKUlT_T0_E_clISt17integral_constantIbLb1EES17_EEDaS12_S13_EUlS12_E_NS1_11comp_targetILNS1_3genE5ELNS1_11target_archE942ELNS1_3gpuE9ELNS1_3repE0EEENS1_30default_config_static_selectorELNS0_4arch9wavefront6targetE0EEEvT1_, .Lfunc_end212-_ZN7rocprim17ROCPRIM_400000_NS6detail17trampoline_kernelINS0_14default_configENS1_25partition_config_selectorILNS1_17partition_subalgoE8EaNS0_10empty_typeEbEEZZNS1_14partition_implILS5_8ELb0ES3_jPKaPS6_PKS6_NS0_5tupleIJPaS6_EEENSE_IJSB_SB_EEENS0_18inequality_wrapperIN6hipcub16HIPCUB_304000_NS8EqualityEEEPlJS6_EEE10hipError_tPvRmT3_T4_T5_T6_T7_T9_mT8_P12ihipStream_tbDpT10_ENKUlT_T0_E_clISt17integral_constantIbLb1EES17_EEDaS12_S13_EUlS12_E_NS1_11comp_targetILNS1_3genE5ELNS1_11target_archE942ELNS1_3gpuE9ELNS1_3repE0EEENS1_30default_config_static_selectorELNS0_4arch9wavefront6targetE0EEEvT1_
                                        ; -- End function
	.set _ZN7rocprim17ROCPRIM_400000_NS6detail17trampoline_kernelINS0_14default_configENS1_25partition_config_selectorILNS1_17partition_subalgoE8EaNS0_10empty_typeEbEEZZNS1_14partition_implILS5_8ELb0ES3_jPKaPS6_PKS6_NS0_5tupleIJPaS6_EEENSE_IJSB_SB_EEENS0_18inequality_wrapperIN6hipcub16HIPCUB_304000_NS8EqualityEEEPlJS6_EEE10hipError_tPvRmT3_T4_T5_T6_T7_T9_mT8_P12ihipStream_tbDpT10_ENKUlT_T0_E_clISt17integral_constantIbLb1EES17_EEDaS12_S13_EUlS12_E_NS1_11comp_targetILNS1_3genE5ELNS1_11target_archE942ELNS1_3gpuE9ELNS1_3repE0EEENS1_30default_config_static_selectorELNS0_4arch9wavefront6targetE0EEEvT1_.num_vgpr, 0
	.set _ZN7rocprim17ROCPRIM_400000_NS6detail17trampoline_kernelINS0_14default_configENS1_25partition_config_selectorILNS1_17partition_subalgoE8EaNS0_10empty_typeEbEEZZNS1_14partition_implILS5_8ELb0ES3_jPKaPS6_PKS6_NS0_5tupleIJPaS6_EEENSE_IJSB_SB_EEENS0_18inequality_wrapperIN6hipcub16HIPCUB_304000_NS8EqualityEEEPlJS6_EEE10hipError_tPvRmT3_T4_T5_T6_T7_T9_mT8_P12ihipStream_tbDpT10_ENKUlT_T0_E_clISt17integral_constantIbLb1EES17_EEDaS12_S13_EUlS12_E_NS1_11comp_targetILNS1_3genE5ELNS1_11target_archE942ELNS1_3gpuE9ELNS1_3repE0EEENS1_30default_config_static_selectorELNS0_4arch9wavefront6targetE0EEEvT1_.num_agpr, 0
	.set _ZN7rocprim17ROCPRIM_400000_NS6detail17trampoline_kernelINS0_14default_configENS1_25partition_config_selectorILNS1_17partition_subalgoE8EaNS0_10empty_typeEbEEZZNS1_14partition_implILS5_8ELb0ES3_jPKaPS6_PKS6_NS0_5tupleIJPaS6_EEENSE_IJSB_SB_EEENS0_18inequality_wrapperIN6hipcub16HIPCUB_304000_NS8EqualityEEEPlJS6_EEE10hipError_tPvRmT3_T4_T5_T6_T7_T9_mT8_P12ihipStream_tbDpT10_ENKUlT_T0_E_clISt17integral_constantIbLb1EES17_EEDaS12_S13_EUlS12_E_NS1_11comp_targetILNS1_3genE5ELNS1_11target_archE942ELNS1_3gpuE9ELNS1_3repE0EEENS1_30default_config_static_selectorELNS0_4arch9wavefront6targetE0EEEvT1_.numbered_sgpr, 0
	.set _ZN7rocprim17ROCPRIM_400000_NS6detail17trampoline_kernelINS0_14default_configENS1_25partition_config_selectorILNS1_17partition_subalgoE8EaNS0_10empty_typeEbEEZZNS1_14partition_implILS5_8ELb0ES3_jPKaPS6_PKS6_NS0_5tupleIJPaS6_EEENSE_IJSB_SB_EEENS0_18inequality_wrapperIN6hipcub16HIPCUB_304000_NS8EqualityEEEPlJS6_EEE10hipError_tPvRmT3_T4_T5_T6_T7_T9_mT8_P12ihipStream_tbDpT10_ENKUlT_T0_E_clISt17integral_constantIbLb1EES17_EEDaS12_S13_EUlS12_E_NS1_11comp_targetILNS1_3genE5ELNS1_11target_archE942ELNS1_3gpuE9ELNS1_3repE0EEENS1_30default_config_static_selectorELNS0_4arch9wavefront6targetE0EEEvT1_.num_named_barrier, 0
	.set _ZN7rocprim17ROCPRIM_400000_NS6detail17trampoline_kernelINS0_14default_configENS1_25partition_config_selectorILNS1_17partition_subalgoE8EaNS0_10empty_typeEbEEZZNS1_14partition_implILS5_8ELb0ES3_jPKaPS6_PKS6_NS0_5tupleIJPaS6_EEENSE_IJSB_SB_EEENS0_18inequality_wrapperIN6hipcub16HIPCUB_304000_NS8EqualityEEEPlJS6_EEE10hipError_tPvRmT3_T4_T5_T6_T7_T9_mT8_P12ihipStream_tbDpT10_ENKUlT_T0_E_clISt17integral_constantIbLb1EES17_EEDaS12_S13_EUlS12_E_NS1_11comp_targetILNS1_3genE5ELNS1_11target_archE942ELNS1_3gpuE9ELNS1_3repE0EEENS1_30default_config_static_selectorELNS0_4arch9wavefront6targetE0EEEvT1_.private_seg_size, 0
	.set _ZN7rocprim17ROCPRIM_400000_NS6detail17trampoline_kernelINS0_14default_configENS1_25partition_config_selectorILNS1_17partition_subalgoE8EaNS0_10empty_typeEbEEZZNS1_14partition_implILS5_8ELb0ES3_jPKaPS6_PKS6_NS0_5tupleIJPaS6_EEENSE_IJSB_SB_EEENS0_18inequality_wrapperIN6hipcub16HIPCUB_304000_NS8EqualityEEEPlJS6_EEE10hipError_tPvRmT3_T4_T5_T6_T7_T9_mT8_P12ihipStream_tbDpT10_ENKUlT_T0_E_clISt17integral_constantIbLb1EES17_EEDaS12_S13_EUlS12_E_NS1_11comp_targetILNS1_3genE5ELNS1_11target_archE942ELNS1_3gpuE9ELNS1_3repE0EEENS1_30default_config_static_selectorELNS0_4arch9wavefront6targetE0EEEvT1_.uses_vcc, 0
	.set _ZN7rocprim17ROCPRIM_400000_NS6detail17trampoline_kernelINS0_14default_configENS1_25partition_config_selectorILNS1_17partition_subalgoE8EaNS0_10empty_typeEbEEZZNS1_14partition_implILS5_8ELb0ES3_jPKaPS6_PKS6_NS0_5tupleIJPaS6_EEENSE_IJSB_SB_EEENS0_18inequality_wrapperIN6hipcub16HIPCUB_304000_NS8EqualityEEEPlJS6_EEE10hipError_tPvRmT3_T4_T5_T6_T7_T9_mT8_P12ihipStream_tbDpT10_ENKUlT_T0_E_clISt17integral_constantIbLb1EES17_EEDaS12_S13_EUlS12_E_NS1_11comp_targetILNS1_3genE5ELNS1_11target_archE942ELNS1_3gpuE9ELNS1_3repE0EEENS1_30default_config_static_selectorELNS0_4arch9wavefront6targetE0EEEvT1_.uses_flat_scratch, 0
	.set _ZN7rocprim17ROCPRIM_400000_NS6detail17trampoline_kernelINS0_14default_configENS1_25partition_config_selectorILNS1_17partition_subalgoE8EaNS0_10empty_typeEbEEZZNS1_14partition_implILS5_8ELb0ES3_jPKaPS6_PKS6_NS0_5tupleIJPaS6_EEENSE_IJSB_SB_EEENS0_18inequality_wrapperIN6hipcub16HIPCUB_304000_NS8EqualityEEEPlJS6_EEE10hipError_tPvRmT3_T4_T5_T6_T7_T9_mT8_P12ihipStream_tbDpT10_ENKUlT_T0_E_clISt17integral_constantIbLb1EES17_EEDaS12_S13_EUlS12_E_NS1_11comp_targetILNS1_3genE5ELNS1_11target_archE942ELNS1_3gpuE9ELNS1_3repE0EEENS1_30default_config_static_selectorELNS0_4arch9wavefront6targetE0EEEvT1_.has_dyn_sized_stack, 0
	.set _ZN7rocprim17ROCPRIM_400000_NS6detail17trampoline_kernelINS0_14default_configENS1_25partition_config_selectorILNS1_17partition_subalgoE8EaNS0_10empty_typeEbEEZZNS1_14partition_implILS5_8ELb0ES3_jPKaPS6_PKS6_NS0_5tupleIJPaS6_EEENSE_IJSB_SB_EEENS0_18inequality_wrapperIN6hipcub16HIPCUB_304000_NS8EqualityEEEPlJS6_EEE10hipError_tPvRmT3_T4_T5_T6_T7_T9_mT8_P12ihipStream_tbDpT10_ENKUlT_T0_E_clISt17integral_constantIbLb1EES17_EEDaS12_S13_EUlS12_E_NS1_11comp_targetILNS1_3genE5ELNS1_11target_archE942ELNS1_3gpuE9ELNS1_3repE0EEENS1_30default_config_static_selectorELNS0_4arch9wavefront6targetE0EEEvT1_.has_recursion, 0
	.set _ZN7rocprim17ROCPRIM_400000_NS6detail17trampoline_kernelINS0_14default_configENS1_25partition_config_selectorILNS1_17partition_subalgoE8EaNS0_10empty_typeEbEEZZNS1_14partition_implILS5_8ELb0ES3_jPKaPS6_PKS6_NS0_5tupleIJPaS6_EEENSE_IJSB_SB_EEENS0_18inequality_wrapperIN6hipcub16HIPCUB_304000_NS8EqualityEEEPlJS6_EEE10hipError_tPvRmT3_T4_T5_T6_T7_T9_mT8_P12ihipStream_tbDpT10_ENKUlT_T0_E_clISt17integral_constantIbLb1EES17_EEDaS12_S13_EUlS12_E_NS1_11comp_targetILNS1_3genE5ELNS1_11target_archE942ELNS1_3gpuE9ELNS1_3repE0EEENS1_30default_config_static_selectorELNS0_4arch9wavefront6targetE0EEEvT1_.has_indirect_call, 0
	.section	.AMDGPU.csdata,"",@progbits
; Kernel info:
; codeLenInByte = 0
; TotalNumSgprs: 0
; NumVgprs: 0
; ScratchSize: 0
; MemoryBound: 0
; FloatMode: 240
; IeeeMode: 1
; LDSByteSize: 0 bytes/workgroup (compile time only)
; SGPRBlocks: 0
; VGPRBlocks: 0
; NumSGPRsForWavesPerEU: 1
; NumVGPRsForWavesPerEU: 1
; NamedBarCnt: 0
; Occupancy: 16
; WaveLimiterHint : 0
; COMPUTE_PGM_RSRC2:SCRATCH_EN: 0
; COMPUTE_PGM_RSRC2:USER_SGPR: 2
; COMPUTE_PGM_RSRC2:TRAP_HANDLER: 0
; COMPUTE_PGM_RSRC2:TGID_X_EN: 1
; COMPUTE_PGM_RSRC2:TGID_Y_EN: 0
; COMPUTE_PGM_RSRC2:TGID_Z_EN: 0
; COMPUTE_PGM_RSRC2:TIDIG_COMP_CNT: 0
	.section	.text._ZN7rocprim17ROCPRIM_400000_NS6detail17trampoline_kernelINS0_14default_configENS1_25partition_config_selectorILNS1_17partition_subalgoE8EaNS0_10empty_typeEbEEZZNS1_14partition_implILS5_8ELb0ES3_jPKaPS6_PKS6_NS0_5tupleIJPaS6_EEENSE_IJSB_SB_EEENS0_18inequality_wrapperIN6hipcub16HIPCUB_304000_NS8EqualityEEEPlJS6_EEE10hipError_tPvRmT3_T4_T5_T6_T7_T9_mT8_P12ihipStream_tbDpT10_ENKUlT_T0_E_clISt17integral_constantIbLb1EES17_EEDaS12_S13_EUlS12_E_NS1_11comp_targetILNS1_3genE4ELNS1_11target_archE910ELNS1_3gpuE8ELNS1_3repE0EEENS1_30default_config_static_selectorELNS0_4arch9wavefront6targetE0EEEvT1_,"axG",@progbits,_ZN7rocprim17ROCPRIM_400000_NS6detail17trampoline_kernelINS0_14default_configENS1_25partition_config_selectorILNS1_17partition_subalgoE8EaNS0_10empty_typeEbEEZZNS1_14partition_implILS5_8ELb0ES3_jPKaPS6_PKS6_NS0_5tupleIJPaS6_EEENSE_IJSB_SB_EEENS0_18inequality_wrapperIN6hipcub16HIPCUB_304000_NS8EqualityEEEPlJS6_EEE10hipError_tPvRmT3_T4_T5_T6_T7_T9_mT8_P12ihipStream_tbDpT10_ENKUlT_T0_E_clISt17integral_constantIbLb1EES17_EEDaS12_S13_EUlS12_E_NS1_11comp_targetILNS1_3genE4ELNS1_11target_archE910ELNS1_3gpuE8ELNS1_3repE0EEENS1_30default_config_static_selectorELNS0_4arch9wavefront6targetE0EEEvT1_,comdat
	.protected	_ZN7rocprim17ROCPRIM_400000_NS6detail17trampoline_kernelINS0_14default_configENS1_25partition_config_selectorILNS1_17partition_subalgoE8EaNS0_10empty_typeEbEEZZNS1_14partition_implILS5_8ELb0ES3_jPKaPS6_PKS6_NS0_5tupleIJPaS6_EEENSE_IJSB_SB_EEENS0_18inequality_wrapperIN6hipcub16HIPCUB_304000_NS8EqualityEEEPlJS6_EEE10hipError_tPvRmT3_T4_T5_T6_T7_T9_mT8_P12ihipStream_tbDpT10_ENKUlT_T0_E_clISt17integral_constantIbLb1EES17_EEDaS12_S13_EUlS12_E_NS1_11comp_targetILNS1_3genE4ELNS1_11target_archE910ELNS1_3gpuE8ELNS1_3repE0EEENS1_30default_config_static_selectorELNS0_4arch9wavefront6targetE0EEEvT1_ ; -- Begin function _ZN7rocprim17ROCPRIM_400000_NS6detail17trampoline_kernelINS0_14default_configENS1_25partition_config_selectorILNS1_17partition_subalgoE8EaNS0_10empty_typeEbEEZZNS1_14partition_implILS5_8ELb0ES3_jPKaPS6_PKS6_NS0_5tupleIJPaS6_EEENSE_IJSB_SB_EEENS0_18inequality_wrapperIN6hipcub16HIPCUB_304000_NS8EqualityEEEPlJS6_EEE10hipError_tPvRmT3_T4_T5_T6_T7_T9_mT8_P12ihipStream_tbDpT10_ENKUlT_T0_E_clISt17integral_constantIbLb1EES17_EEDaS12_S13_EUlS12_E_NS1_11comp_targetILNS1_3genE4ELNS1_11target_archE910ELNS1_3gpuE8ELNS1_3repE0EEENS1_30default_config_static_selectorELNS0_4arch9wavefront6targetE0EEEvT1_
	.globl	_ZN7rocprim17ROCPRIM_400000_NS6detail17trampoline_kernelINS0_14default_configENS1_25partition_config_selectorILNS1_17partition_subalgoE8EaNS0_10empty_typeEbEEZZNS1_14partition_implILS5_8ELb0ES3_jPKaPS6_PKS6_NS0_5tupleIJPaS6_EEENSE_IJSB_SB_EEENS0_18inequality_wrapperIN6hipcub16HIPCUB_304000_NS8EqualityEEEPlJS6_EEE10hipError_tPvRmT3_T4_T5_T6_T7_T9_mT8_P12ihipStream_tbDpT10_ENKUlT_T0_E_clISt17integral_constantIbLb1EES17_EEDaS12_S13_EUlS12_E_NS1_11comp_targetILNS1_3genE4ELNS1_11target_archE910ELNS1_3gpuE8ELNS1_3repE0EEENS1_30default_config_static_selectorELNS0_4arch9wavefront6targetE0EEEvT1_
	.p2align	8
	.type	_ZN7rocprim17ROCPRIM_400000_NS6detail17trampoline_kernelINS0_14default_configENS1_25partition_config_selectorILNS1_17partition_subalgoE8EaNS0_10empty_typeEbEEZZNS1_14partition_implILS5_8ELb0ES3_jPKaPS6_PKS6_NS0_5tupleIJPaS6_EEENSE_IJSB_SB_EEENS0_18inequality_wrapperIN6hipcub16HIPCUB_304000_NS8EqualityEEEPlJS6_EEE10hipError_tPvRmT3_T4_T5_T6_T7_T9_mT8_P12ihipStream_tbDpT10_ENKUlT_T0_E_clISt17integral_constantIbLb1EES17_EEDaS12_S13_EUlS12_E_NS1_11comp_targetILNS1_3genE4ELNS1_11target_archE910ELNS1_3gpuE8ELNS1_3repE0EEENS1_30default_config_static_selectorELNS0_4arch9wavefront6targetE0EEEvT1_,@function
_ZN7rocprim17ROCPRIM_400000_NS6detail17trampoline_kernelINS0_14default_configENS1_25partition_config_selectorILNS1_17partition_subalgoE8EaNS0_10empty_typeEbEEZZNS1_14partition_implILS5_8ELb0ES3_jPKaPS6_PKS6_NS0_5tupleIJPaS6_EEENSE_IJSB_SB_EEENS0_18inequality_wrapperIN6hipcub16HIPCUB_304000_NS8EqualityEEEPlJS6_EEE10hipError_tPvRmT3_T4_T5_T6_T7_T9_mT8_P12ihipStream_tbDpT10_ENKUlT_T0_E_clISt17integral_constantIbLb1EES17_EEDaS12_S13_EUlS12_E_NS1_11comp_targetILNS1_3genE4ELNS1_11target_archE910ELNS1_3gpuE8ELNS1_3repE0EEENS1_30default_config_static_selectorELNS0_4arch9wavefront6targetE0EEEvT1_: ; @_ZN7rocprim17ROCPRIM_400000_NS6detail17trampoline_kernelINS0_14default_configENS1_25partition_config_selectorILNS1_17partition_subalgoE8EaNS0_10empty_typeEbEEZZNS1_14partition_implILS5_8ELb0ES3_jPKaPS6_PKS6_NS0_5tupleIJPaS6_EEENSE_IJSB_SB_EEENS0_18inequality_wrapperIN6hipcub16HIPCUB_304000_NS8EqualityEEEPlJS6_EEE10hipError_tPvRmT3_T4_T5_T6_T7_T9_mT8_P12ihipStream_tbDpT10_ENKUlT_T0_E_clISt17integral_constantIbLb1EES17_EEDaS12_S13_EUlS12_E_NS1_11comp_targetILNS1_3genE4ELNS1_11target_archE910ELNS1_3gpuE8ELNS1_3repE0EEENS1_30default_config_static_selectorELNS0_4arch9wavefront6targetE0EEEvT1_
; %bb.0:
	.section	.rodata,"a",@progbits
	.p2align	6, 0x0
	.amdhsa_kernel _ZN7rocprim17ROCPRIM_400000_NS6detail17trampoline_kernelINS0_14default_configENS1_25partition_config_selectorILNS1_17partition_subalgoE8EaNS0_10empty_typeEbEEZZNS1_14partition_implILS5_8ELb0ES3_jPKaPS6_PKS6_NS0_5tupleIJPaS6_EEENSE_IJSB_SB_EEENS0_18inequality_wrapperIN6hipcub16HIPCUB_304000_NS8EqualityEEEPlJS6_EEE10hipError_tPvRmT3_T4_T5_T6_T7_T9_mT8_P12ihipStream_tbDpT10_ENKUlT_T0_E_clISt17integral_constantIbLb1EES17_EEDaS12_S13_EUlS12_E_NS1_11comp_targetILNS1_3genE4ELNS1_11target_archE910ELNS1_3gpuE8ELNS1_3repE0EEENS1_30default_config_static_selectorELNS0_4arch9wavefront6targetE0EEEvT1_
		.amdhsa_group_segment_fixed_size 0
		.amdhsa_private_segment_fixed_size 0
		.amdhsa_kernarg_size 128
		.amdhsa_user_sgpr_count 2
		.amdhsa_user_sgpr_dispatch_ptr 0
		.amdhsa_user_sgpr_queue_ptr 0
		.amdhsa_user_sgpr_kernarg_segment_ptr 1
		.amdhsa_user_sgpr_dispatch_id 0
		.amdhsa_user_sgpr_kernarg_preload_length 0
		.amdhsa_user_sgpr_kernarg_preload_offset 0
		.amdhsa_user_sgpr_private_segment_size 0
		.amdhsa_wavefront_size32 1
		.amdhsa_uses_dynamic_stack 0
		.amdhsa_enable_private_segment 0
		.amdhsa_system_sgpr_workgroup_id_x 1
		.amdhsa_system_sgpr_workgroup_id_y 0
		.amdhsa_system_sgpr_workgroup_id_z 0
		.amdhsa_system_sgpr_workgroup_info 0
		.amdhsa_system_vgpr_workitem_id 0
		.amdhsa_next_free_vgpr 1
		.amdhsa_next_free_sgpr 1
		.amdhsa_named_barrier_count 0
		.amdhsa_reserve_vcc 0
		.amdhsa_float_round_mode_32 0
		.amdhsa_float_round_mode_16_64 0
		.amdhsa_float_denorm_mode_32 3
		.amdhsa_float_denorm_mode_16_64 3
		.amdhsa_fp16_overflow 0
		.amdhsa_memory_ordered 1
		.amdhsa_forward_progress 1
		.amdhsa_inst_pref_size 0
		.amdhsa_round_robin_scheduling 0
		.amdhsa_exception_fp_ieee_invalid_op 0
		.amdhsa_exception_fp_denorm_src 0
		.amdhsa_exception_fp_ieee_div_zero 0
		.amdhsa_exception_fp_ieee_overflow 0
		.amdhsa_exception_fp_ieee_underflow 0
		.amdhsa_exception_fp_ieee_inexact 0
		.amdhsa_exception_int_div_zero 0
	.end_amdhsa_kernel
	.section	.text._ZN7rocprim17ROCPRIM_400000_NS6detail17trampoline_kernelINS0_14default_configENS1_25partition_config_selectorILNS1_17partition_subalgoE8EaNS0_10empty_typeEbEEZZNS1_14partition_implILS5_8ELb0ES3_jPKaPS6_PKS6_NS0_5tupleIJPaS6_EEENSE_IJSB_SB_EEENS0_18inequality_wrapperIN6hipcub16HIPCUB_304000_NS8EqualityEEEPlJS6_EEE10hipError_tPvRmT3_T4_T5_T6_T7_T9_mT8_P12ihipStream_tbDpT10_ENKUlT_T0_E_clISt17integral_constantIbLb1EES17_EEDaS12_S13_EUlS12_E_NS1_11comp_targetILNS1_3genE4ELNS1_11target_archE910ELNS1_3gpuE8ELNS1_3repE0EEENS1_30default_config_static_selectorELNS0_4arch9wavefront6targetE0EEEvT1_,"axG",@progbits,_ZN7rocprim17ROCPRIM_400000_NS6detail17trampoline_kernelINS0_14default_configENS1_25partition_config_selectorILNS1_17partition_subalgoE8EaNS0_10empty_typeEbEEZZNS1_14partition_implILS5_8ELb0ES3_jPKaPS6_PKS6_NS0_5tupleIJPaS6_EEENSE_IJSB_SB_EEENS0_18inequality_wrapperIN6hipcub16HIPCUB_304000_NS8EqualityEEEPlJS6_EEE10hipError_tPvRmT3_T4_T5_T6_T7_T9_mT8_P12ihipStream_tbDpT10_ENKUlT_T0_E_clISt17integral_constantIbLb1EES17_EEDaS12_S13_EUlS12_E_NS1_11comp_targetILNS1_3genE4ELNS1_11target_archE910ELNS1_3gpuE8ELNS1_3repE0EEENS1_30default_config_static_selectorELNS0_4arch9wavefront6targetE0EEEvT1_,comdat
.Lfunc_end213:
	.size	_ZN7rocprim17ROCPRIM_400000_NS6detail17trampoline_kernelINS0_14default_configENS1_25partition_config_selectorILNS1_17partition_subalgoE8EaNS0_10empty_typeEbEEZZNS1_14partition_implILS5_8ELb0ES3_jPKaPS6_PKS6_NS0_5tupleIJPaS6_EEENSE_IJSB_SB_EEENS0_18inequality_wrapperIN6hipcub16HIPCUB_304000_NS8EqualityEEEPlJS6_EEE10hipError_tPvRmT3_T4_T5_T6_T7_T9_mT8_P12ihipStream_tbDpT10_ENKUlT_T0_E_clISt17integral_constantIbLb1EES17_EEDaS12_S13_EUlS12_E_NS1_11comp_targetILNS1_3genE4ELNS1_11target_archE910ELNS1_3gpuE8ELNS1_3repE0EEENS1_30default_config_static_selectorELNS0_4arch9wavefront6targetE0EEEvT1_, .Lfunc_end213-_ZN7rocprim17ROCPRIM_400000_NS6detail17trampoline_kernelINS0_14default_configENS1_25partition_config_selectorILNS1_17partition_subalgoE8EaNS0_10empty_typeEbEEZZNS1_14partition_implILS5_8ELb0ES3_jPKaPS6_PKS6_NS0_5tupleIJPaS6_EEENSE_IJSB_SB_EEENS0_18inequality_wrapperIN6hipcub16HIPCUB_304000_NS8EqualityEEEPlJS6_EEE10hipError_tPvRmT3_T4_T5_T6_T7_T9_mT8_P12ihipStream_tbDpT10_ENKUlT_T0_E_clISt17integral_constantIbLb1EES17_EEDaS12_S13_EUlS12_E_NS1_11comp_targetILNS1_3genE4ELNS1_11target_archE910ELNS1_3gpuE8ELNS1_3repE0EEENS1_30default_config_static_selectorELNS0_4arch9wavefront6targetE0EEEvT1_
                                        ; -- End function
	.set _ZN7rocprim17ROCPRIM_400000_NS6detail17trampoline_kernelINS0_14default_configENS1_25partition_config_selectorILNS1_17partition_subalgoE8EaNS0_10empty_typeEbEEZZNS1_14partition_implILS5_8ELb0ES3_jPKaPS6_PKS6_NS0_5tupleIJPaS6_EEENSE_IJSB_SB_EEENS0_18inequality_wrapperIN6hipcub16HIPCUB_304000_NS8EqualityEEEPlJS6_EEE10hipError_tPvRmT3_T4_T5_T6_T7_T9_mT8_P12ihipStream_tbDpT10_ENKUlT_T0_E_clISt17integral_constantIbLb1EES17_EEDaS12_S13_EUlS12_E_NS1_11comp_targetILNS1_3genE4ELNS1_11target_archE910ELNS1_3gpuE8ELNS1_3repE0EEENS1_30default_config_static_selectorELNS0_4arch9wavefront6targetE0EEEvT1_.num_vgpr, 0
	.set _ZN7rocprim17ROCPRIM_400000_NS6detail17trampoline_kernelINS0_14default_configENS1_25partition_config_selectorILNS1_17partition_subalgoE8EaNS0_10empty_typeEbEEZZNS1_14partition_implILS5_8ELb0ES3_jPKaPS6_PKS6_NS0_5tupleIJPaS6_EEENSE_IJSB_SB_EEENS0_18inequality_wrapperIN6hipcub16HIPCUB_304000_NS8EqualityEEEPlJS6_EEE10hipError_tPvRmT3_T4_T5_T6_T7_T9_mT8_P12ihipStream_tbDpT10_ENKUlT_T0_E_clISt17integral_constantIbLb1EES17_EEDaS12_S13_EUlS12_E_NS1_11comp_targetILNS1_3genE4ELNS1_11target_archE910ELNS1_3gpuE8ELNS1_3repE0EEENS1_30default_config_static_selectorELNS0_4arch9wavefront6targetE0EEEvT1_.num_agpr, 0
	.set _ZN7rocprim17ROCPRIM_400000_NS6detail17trampoline_kernelINS0_14default_configENS1_25partition_config_selectorILNS1_17partition_subalgoE8EaNS0_10empty_typeEbEEZZNS1_14partition_implILS5_8ELb0ES3_jPKaPS6_PKS6_NS0_5tupleIJPaS6_EEENSE_IJSB_SB_EEENS0_18inequality_wrapperIN6hipcub16HIPCUB_304000_NS8EqualityEEEPlJS6_EEE10hipError_tPvRmT3_T4_T5_T6_T7_T9_mT8_P12ihipStream_tbDpT10_ENKUlT_T0_E_clISt17integral_constantIbLb1EES17_EEDaS12_S13_EUlS12_E_NS1_11comp_targetILNS1_3genE4ELNS1_11target_archE910ELNS1_3gpuE8ELNS1_3repE0EEENS1_30default_config_static_selectorELNS0_4arch9wavefront6targetE0EEEvT1_.numbered_sgpr, 0
	.set _ZN7rocprim17ROCPRIM_400000_NS6detail17trampoline_kernelINS0_14default_configENS1_25partition_config_selectorILNS1_17partition_subalgoE8EaNS0_10empty_typeEbEEZZNS1_14partition_implILS5_8ELb0ES3_jPKaPS6_PKS6_NS0_5tupleIJPaS6_EEENSE_IJSB_SB_EEENS0_18inequality_wrapperIN6hipcub16HIPCUB_304000_NS8EqualityEEEPlJS6_EEE10hipError_tPvRmT3_T4_T5_T6_T7_T9_mT8_P12ihipStream_tbDpT10_ENKUlT_T0_E_clISt17integral_constantIbLb1EES17_EEDaS12_S13_EUlS12_E_NS1_11comp_targetILNS1_3genE4ELNS1_11target_archE910ELNS1_3gpuE8ELNS1_3repE0EEENS1_30default_config_static_selectorELNS0_4arch9wavefront6targetE0EEEvT1_.num_named_barrier, 0
	.set _ZN7rocprim17ROCPRIM_400000_NS6detail17trampoline_kernelINS0_14default_configENS1_25partition_config_selectorILNS1_17partition_subalgoE8EaNS0_10empty_typeEbEEZZNS1_14partition_implILS5_8ELb0ES3_jPKaPS6_PKS6_NS0_5tupleIJPaS6_EEENSE_IJSB_SB_EEENS0_18inequality_wrapperIN6hipcub16HIPCUB_304000_NS8EqualityEEEPlJS6_EEE10hipError_tPvRmT3_T4_T5_T6_T7_T9_mT8_P12ihipStream_tbDpT10_ENKUlT_T0_E_clISt17integral_constantIbLb1EES17_EEDaS12_S13_EUlS12_E_NS1_11comp_targetILNS1_3genE4ELNS1_11target_archE910ELNS1_3gpuE8ELNS1_3repE0EEENS1_30default_config_static_selectorELNS0_4arch9wavefront6targetE0EEEvT1_.private_seg_size, 0
	.set _ZN7rocprim17ROCPRIM_400000_NS6detail17trampoline_kernelINS0_14default_configENS1_25partition_config_selectorILNS1_17partition_subalgoE8EaNS0_10empty_typeEbEEZZNS1_14partition_implILS5_8ELb0ES3_jPKaPS6_PKS6_NS0_5tupleIJPaS6_EEENSE_IJSB_SB_EEENS0_18inequality_wrapperIN6hipcub16HIPCUB_304000_NS8EqualityEEEPlJS6_EEE10hipError_tPvRmT3_T4_T5_T6_T7_T9_mT8_P12ihipStream_tbDpT10_ENKUlT_T0_E_clISt17integral_constantIbLb1EES17_EEDaS12_S13_EUlS12_E_NS1_11comp_targetILNS1_3genE4ELNS1_11target_archE910ELNS1_3gpuE8ELNS1_3repE0EEENS1_30default_config_static_selectorELNS0_4arch9wavefront6targetE0EEEvT1_.uses_vcc, 0
	.set _ZN7rocprim17ROCPRIM_400000_NS6detail17trampoline_kernelINS0_14default_configENS1_25partition_config_selectorILNS1_17partition_subalgoE8EaNS0_10empty_typeEbEEZZNS1_14partition_implILS5_8ELb0ES3_jPKaPS6_PKS6_NS0_5tupleIJPaS6_EEENSE_IJSB_SB_EEENS0_18inequality_wrapperIN6hipcub16HIPCUB_304000_NS8EqualityEEEPlJS6_EEE10hipError_tPvRmT3_T4_T5_T6_T7_T9_mT8_P12ihipStream_tbDpT10_ENKUlT_T0_E_clISt17integral_constantIbLb1EES17_EEDaS12_S13_EUlS12_E_NS1_11comp_targetILNS1_3genE4ELNS1_11target_archE910ELNS1_3gpuE8ELNS1_3repE0EEENS1_30default_config_static_selectorELNS0_4arch9wavefront6targetE0EEEvT1_.uses_flat_scratch, 0
	.set _ZN7rocprim17ROCPRIM_400000_NS6detail17trampoline_kernelINS0_14default_configENS1_25partition_config_selectorILNS1_17partition_subalgoE8EaNS0_10empty_typeEbEEZZNS1_14partition_implILS5_8ELb0ES3_jPKaPS6_PKS6_NS0_5tupleIJPaS6_EEENSE_IJSB_SB_EEENS0_18inequality_wrapperIN6hipcub16HIPCUB_304000_NS8EqualityEEEPlJS6_EEE10hipError_tPvRmT3_T4_T5_T6_T7_T9_mT8_P12ihipStream_tbDpT10_ENKUlT_T0_E_clISt17integral_constantIbLb1EES17_EEDaS12_S13_EUlS12_E_NS1_11comp_targetILNS1_3genE4ELNS1_11target_archE910ELNS1_3gpuE8ELNS1_3repE0EEENS1_30default_config_static_selectorELNS0_4arch9wavefront6targetE0EEEvT1_.has_dyn_sized_stack, 0
	.set _ZN7rocprim17ROCPRIM_400000_NS6detail17trampoline_kernelINS0_14default_configENS1_25partition_config_selectorILNS1_17partition_subalgoE8EaNS0_10empty_typeEbEEZZNS1_14partition_implILS5_8ELb0ES3_jPKaPS6_PKS6_NS0_5tupleIJPaS6_EEENSE_IJSB_SB_EEENS0_18inequality_wrapperIN6hipcub16HIPCUB_304000_NS8EqualityEEEPlJS6_EEE10hipError_tPvRmT3_T4_T5_T6_T7_T9_mT8_P12ihipStream_tbDpT10_ENKUlT_T0_E_clISt17integral_constantIbLb1EES17_EEDaS12_S13_EUlS12_E_NS1_11comp_targetILNS1_3genE4ELNS1_11target_archE910ELNS1_3gpuE8ELNS1_3repE0EEENS1_30default_config_static_selectorELNS0_4arch9wavefront6targetE0EEEvT1_.has_recursion, 0
	.set _ZN7rocprim17ROCPRIM_400000_NS6detail17trampoline_kernelINS0_14default_configENS1_25partition_config_selectorILNS1_17partition_subalgoE8EaNS0_10empty_typeEbEEZZNS1_14partition_implILS5_8ELb0ES3_jPKaPS6_PKS6_NS0_5tupleIJPaS6_EEENSE_IJSB_SB_EEENS0_18inequality_wrapperIN6hipcub16HIPCUB_304000_NS8EqualityEEEPlJS6_EEE10hipError_tPvRmT3_T4_T5_T6_T7_T9_mT8_P12ihipStream_tbDpT10_ENKUlT_T0_E_clISt17integral_constantIbLb1EES17_EEDaS12_S13_EUlS12_E_NS1_11comp_targetILNS1_3genE4ELNS1_11target_archE910ELNS1_3gpuE8ELNS1_3repE0EEENS1_30default_config_static_selectorELNS0_4arch9wavefront6targetE0EEEvT1_.has_indirect_call, 0
	.section	.AMDGPU.csdata,"",@progbits
; Kernel info:
; codeLenInByte = 0
; TotalNumSgprs: 0
; NumVgprs: 0
; ScratchSize: 0
; MemoryBound: 0
; FloatMode: 240
; IeeeMode: 1
; LDSByteSize: 0 bytes/workgroup (compile time only)
; SGPRBlocks: 0
; VGPRBlocks: 0
; NumSGPRsForWavesPerEU: 1
; NumVGPRsForWavesPerEU: 1
; NamedBarCnt: 0
; Occupancy: 16
; WaveLimiterHint : 0
; COMPUTE_PGM_RSRC2:SCRATCH_EN: 0
; COMPUTE_PGM_RSRC2:USER_SGPR: 2
; COMPUTE_PGM_RSRC2:TRAP_HANDLER: 0
; COMPUTE_PGM_RSRC2:TGID_X_EN: 1
; COMPUTE_PGM_RSRC2:TGID_Y_EN: 0
; COMPUTE_PGM_RSRC2:TGID_Z_EN: 0
; COMPUTE_PGM_RSRC2:TIDIG_COMP_CNT: 0
	.section	.text._ZN7rocprim17ROCPRIM_400000_NS6detail17trampoline_kernelINS0_14default_configENS1_25partition_config_selectorILNS1_17partition_subalgoE8EaNS0_10empty_typeEbEEZZNS1_14partition_implILS5_8ELb0ES3_jPKaPS6_PKS6_NS0_5tupleIJPaS6_EEENSE_IJSB_SB_EEENS0_18inequality_wrapperIN6hipcub16HIPCUB_304000_NS8EqualityEEEPlJS6_EEE10hipError_tPvRmT3_T4_T5_T6_T7_T9_mT8_P12ihipStream_tbDpT10_ENKUlT_T0_E_clISt17integral_constantIbLb1EES17_EEDaS12_S13_EUlS12_E_NS1_11comp_targetILNS1_3genE3ELNS1_11target_archE908ELNS1_3gpuE7ELNS1_3repE0EEENS1_30default_config_static_selectorELNS0_4arch9wavefront6targetE0EEEvT1_,"axG",@progbits,_ZN7rocprim17ROCPRIM_400000_NS6detail17trampoline_kernelINS0_14default_configENS1_25partition_config_selectorILNS1_17partition_subalgoE8EaNS0_10empty_typeEbEEZZNS1_14partition_implILS5_8ELb0ES3_jPKaPS6_PKS6_NS0_5tupleIJPaS6_EEENSE_IJSB_SB_EEENS0_18inequality_wrapperIN6hipcub16HIPCUB_304000_NS8EqualityEEEPlJS6_EEE10hipError_tPvRmT3_T4_T5_T6_T7_T9_mT8_P12ihipStream_tbDpT10_ENKUlT_T0_E_clISt17integral_constantIbLb1EES17_EEDaS12_S13_EUlS12_E_NS1_11comp_targetILNS1_3genE3ELNS1_11target_archE908ELNS1_3gpuE7ELNS1_3repE0EEENS1_30default_config_static_selectorELNS0_4arch9wavefront6targetE0EEEvT1_,comdat
	.protected	_ZN7rocprim17ROCPRIM_400000_NS6detail17trampoline_kernelINS0_14default_configENS1_25partition_config_selectorILNS1_17partition_subalgoE8EaNS0_10empty_typeEbEEZZNS1_14partition_implILS5_8ELb0ES3_jPKaPS6_PKS6_NS0_5tupleIJPaS6_EEENSE_IJSB_SB_EEENS0_18inequality_wrapperIN6hipcub16HIPCUB_304000_NS8EqualityEEEPlJS6_EEE10hipError_tPvRmT3_T4_T5_T6_T7_T9_mT8_P12ihipStream_tbDpT10_ENKUlT_T0_E_clISt17integral_constantIbLb1EES17_EEDaS12_S13_EUlS12_E_NS1_11comp_targetILNS1_3genE3ELNS1_11target_archE908ELNS1_3gpuE7ELNS1_3repE0EEENS1_30default_config_static_selectorELNS0_4arch9wavefront6targetE0EEEvT1_ ; -- Begin function _ZN7rocprim17ROCPRIM_400000_NS6detail17trampoline_kernelINS0_14default_configENS1_25partition_config_selectorILNS1_17partition_subalgoE8EaNS0_10empty_typeEbEEZZNS1_14partition_implILS5_8ELb0ES3_jPKaPS6_PKS6_NS0_5tupleIJPaS6_EEENSE_IJSB_SB_EEENS0_18inequality_wrapperIN6hipcub16HIPCUB_304000_NS8EqualityEEEPlJS6_EEE10hipError_tPvRmT3_T4_T5_T6_T7_T9_mT8_P12ihipStream_tbDpT10_ENKUlT_T0_E_clISt17integral_constantIbLb1EES17_EEDaS12_S13_EUlS12_E_NS1_11comp_targetILNS1_3genE3ELNS1_11target_archE908ELNS1_3gpuE7ELNS1_3repE0EEENS1_30default_config_static_selectorELNS0_4arch9wavefront6targetE0EEEvT1_
	.globl	_ZN7rocprim17ROCPRIM_400000_NS6detail17trampoline_kernelINS0_14default_configENS1_25partition_config_selectorILNS1_17partition_subalgoE8EaNS0_10empty_typeEbEEZZNS1_14partition_implILS5_8ELb0ES3_jPKaPS6_PKS6_NS0_5tupleIJPaS6_EEENSE_IJSB_SB_EEENS0_18inequality_wrapperIN6hipcub16HIPCUB_304000_NS8EqualityEEEPlJS6_EEE10hipError_tPvRmT3_T4_T5_T6_T7_T9_mT8_P12ihipStream_tbDpT10_ENKUlT_T0_E_clISt17integral_constantIbLb1EES17_EEDaS12_S13_EUlS12_E_NS1_11comp_targetILNS1_3genE3ELNS1_11target_archE908ELNS1_3gpuE7ELNS1_3repE0EEENS1_30default_config_static_selectorELNS0_4arch9wavefront6targetE0EEEvT1_
	.p2align	8
	.type	_ZN7rocprim17ROCPRIM_400000_NS6detail17trampoline_kernelINS0_14default_configENS1_25partition_config_selectorILNS1_17partition_subalgoE8EaNS0_10empty_typeEbEEZZNS1_14partition_implILS5_8ELb0ES3_jPKaPS6_PKS6_NS0_5tupleIJPaS6_EEENSE_IJSB_SB_EEENS0_18inequality_wrapperIN6hipcub16HIPCUB_304000_NS8EqualityEEEPlJS6_EEE10hipError_tPvRmT3_T4_T5_T6_T7_T9_mT8_P12ihipStream_tbDpT10_ENKUlT_T0_E_clISt17integral_constantIbLb1EES17_EEDaS12_S13_EUlS12_E_NS1_11comp_targetILNS1_3genE3ELNS1_11target_archE908ELNS1_3gpuE7ELNS1_3repE0EEENS1_30default_config_static_selectorELNS0_4arch9wavefront6targetE0EEEvT1_,@function
_ZN7rocprim17ROCPRIM_400000_NS6detail17trampoline_kernelINS0_14default_configENS1_25partition_config_selectorILNS1_17partition_subalgoE8EaNS0_10empty_typeEbEEZZNS1_14partition_implILS5_8ELb0ES3_jPKaPS6_PKS6_NS0_5tupleIJPaS6_EEENSE_IJSB_SB_EEENS0_18inequality_wrapperIN6hipcub16HIPCUB_304000_NS8EqualityEEEPlJS6_EEE10hipError_tPvRmT3_T4_T5_T6_T7_T9_mT8_P12ihipStream_tbDpT10_ENKUlT_T0_E_clISt17integral_constantIbLb1EES17_EEDaS12_S13_EUlS12_E_NS1_11comp_targetILNS1_3genE3ELNS1_11target_archE908ELNS1_3gpuE7ELNS1_3repE0EEENS1_30default_config_static_selectorELNS0_4arch9wavefront6targetE0EEEvT1_: ; @_ZN7rocprim17ROCPRIM_400000_NS6detail17trampoline_kernelINS0_14default_configENS1_25partition_config_selectorILNS1_17partition_subalgoE8EaNS0_10empty_typeEbEEZZNS1_14partition_implILS5_8ELb0ES3_jPKaPS6_PKS6_NS0_5tupleIJPaS6_EEENSE_IJSB_SB_EEENS0_18inequality_wrapperIN6hipcub16HIPCUB_304000_NS8EqualityEEEPlJS6_EEE10hipError_tPvRmT3_T4_T5_T6_T7_T9_mT8_P12ihipStream_tbDpT10_ENKUlT_T0_E_clISt17integral_constantIbLb1EES17_EEDaS12_S13_EUlS12_E_NS1_11comp_targetILNS1_3genE3ELNS1_11target_archE908ELNS1_3gpuE7ELNS1_3repE0EEENS1_30default_config_static_selectorELNS0_4arch9wavefront6targetE0EEEvT1_
; %bb.0:
	.section	.rodata,"a",@progbits
	.p2align	6, 0x0
	.amdhsa_kernel _ZN7rocprim17ROCPRIM_400000_NS6detail17trampoline_kernelINS0_14default_configENS1_25partition_config_selectorILNS1_17partition_subalgoE8EaNS0_10empty_typeEbEEZZNS1_14partition_implILS5_8ELb0ES3_jPKaPS6_PKS6_NS0_5tupleIJPaS6_EEENSE_IJSB_SB_EEENS0_18inequality_wrapperIN6hipcub16HIPCUB_304000_NS8EqualityEEEPlJS6_EEE10hipError_tPvRmT3_T4_T5_T6_T7_T9_mT8_P12ihipStream_tbDpT10_ENKUlT_T0_E_clISt17integral_constantIbLb1EES17_EEDaS12_S13_EUlS12_E_NS1_11comp_targetILNS1_3genE3ELNS1_11target_archE908ELNS1_3gpuE7ELNS1_3repE0EEENS1_30default_config_static_selectorELNS0_4arch9wavefront6targetE0EEEvT1_
		.amdhsa_group_segment_fixed_size 0
		.amdhsa_private_segment_fixed_size 0
		.amdhsa_kernarg_size 128
		.amdhsa_user_sgpr_count 2
		.amdhsa_user_sgpr_dispatch_ptr 0
		.amdhsa_user_sgpr_queue_ptr 0
		.amdhsa_user_sgpr_kernarg_segment_ptr 1
		.amdhsa_user_sgpr_dispatch_id 0
		.amdhsa_user_sgpr_kernarg_preload_length 0
		.amdhsa_user_sgpr_kernarg_preload_offset 0
		.amdhsa_user_sgpr_private_segment_size 0
		.amdhsa_wavefront_size32 1
		.amdhsa_uses_dynamic_stack 0
		.amdhsa_enable_private_segment 0
		.amdhsa_system_sgpr_workgroup_id_x 1
		.amdhsa_system_sgpr_workgroup_id_y 0
		.amdhsa_system_sgpr_workgroup_id_z 0
		.amdhsa_system_sgpr_workgroup_info 0
		.amdhsa_system_vgpr_workitem_id 0
		.amdhsa_next_free_vgpr 1
		.amdhsa_next_free_sgpr 1
		.amdhsa_named_barrier_count 0
		.amdhsa_reserve_vcc 0
		.amdhsa_float_round_mode_32 0
		.amdhsa_float_round_mode_16_64 0
		.amdhsa_float_denorm_mode_32 3
		.amdhsa_float_denorm_mode_16_64 3
		.amdhsa_fp16_overflow 0
		.amdhsa_memory_ordered 1
		.amdhsa_forward_progress 1
		.amdhsa_inst_pref_size 0
		.amdhsa_round_robin_scheduling 0
		.amdhsa_exception_fp_ieee_invalid_op 0
		.amdhsa_exception_fp_denorm_src 0
		.amdhsa_exception_fp_ieee_div_zero 0
		.amdhsa_exception_fp_ieee_overflow 0
		.amdhsa_exception_fp_ieee_underflow 0
		.amdhsa_exception_fp_ieee_inexact 0
		.amdhsa_exception_int_div_zero 0
	.end_amdhsa_kernel
	.section	.text._ZN7rocprim17ROCPRIM_400000_NS6detail17trampoline_kernelINS0_14default_configENS1_25partition_config_selectorILNS1_17partition_subalgoE8EaNS0_10empty_typeEbEEZZNS1_14partition_implILS5_8ELb0ES3_jPKaPS6_PKS6_NS0_5tupleIJPaS6_EEENSE_IJSB_SB_EEENS0_18inequality_wrapperIN6hipcub16HIPCUB_304000_NS8EqualityEEEPlJS6_EEE10hipError_tPvRmT3_T4_T5_T6_T7_T9_mT8_P12ihipStream_tbDpT10_ENKUlT_T0_E_clISt17integral_constantIbLb1EES17_EEDaS12_S13_EUlS12_E_NS1_11comp_targetILNS1_3genE3ELNS1_11target_archE908ELNS1_3gpuE7ELNS1_3repE0EEENS1_30default_config_static_selectorELNS0_4arch9wavefront6targetE0EEEvT1_,"axG",@progbits,_ZN7rocprim17ROCPRIM_400000_NS6detail17trampoline_kernelINS0_14default_configENS1_25partition_config_selectorILNS1_17partition_subalgoE8EaNS0_10empty_typeEbEEZZNS1_14partition_implILS5_8ELb0ES3_jPKaPS6_PKS6_NS0_5tupleIJPaS6_EEENSE_IJSB_SB_EEENS0_18inequality_wrapperIN6hipcub16HIPCUB_304000_NS8EqualityEEEPlJS6_EEE10hipError_tPvRmT3_T4_T5_T6_T7_T9_mT8_P12ihipStream_tbDpT10_ENKUlT_T0_E_clISt17integral_constantIbLb1EES17_EEDaS12_S13_EUlS12_E_NS1_11comp_targetILNS1_3genE3ELNS1_11target_archE908ELNS1_3gpuE7ELNS1_3repE0EEENS1_30default_config_static_selectorELNS0_4arch9wavefront6targetE0EEEvT1_,comdat
.Lfunc_end214:
	.size	_ZN7rocprim17ROCPRIM_400000_NS6detail17trampoline_kernelINS0_14default_configENS1_25partition_config_selectorILNS1_17partition_subalgoE8EaNS0_10empty_typeEbEEZZNS1_14partition_implILS5_8ELb0ES3_jPKaPS6_PKS6_NS0_5tupleIJPaS6_EEENSE_IJSB_SB_EEENS0_18inequality_wrapperIN6hipcub16HIPCUB_304000_NS8EqualityEEEPlJS6_EEE10hipError_tPvRmT3_T4_T5_T6_T7_T9_mT8_P12ihipStream_tbDpT10_ENKUlT_T0_E_clISt17integral_constantIbLb1EES17_EEDaS12_S13_EUlS12_E_NS1_11comp_targetILNS1_3genE3ELNS1_11target_archE908ELNS1_3gpuE7ELNS1_3repE0EEENS1_30default_config_static_selectorELNS0_4arch9wavefront6targetE0EEEvT1_, .Lfunc_end214-_ZN7rocprim17ROCPRIM_400000_NS6detail17trampoline_kernelINS0_14default_configENS1_25partition_config_selectorILNS1_17partition_subalgoE8EaNS0_10empty_typeEbEEZZNS1_14partition_implILS5_8ELb0ES3_jPKaPS6_PKS6_NS0_5tupleIJPaS6_EEENSE_IJSB_SB_EEENS0_18inequality_wrapperIN6hipcub16HIPCUB_304000_NS8EqualityEEEPlJS6_EEE10hipError_tPvRmT3_T4_T5_T6_T7_T9_mT8_P12ihipStream_tbDpT10_ENKUlT_T0_E_clISt17integral_constantIbLb1EES17_EEDaS12_S13_EUlS12_E_NS1_11comp_targetILNS1_3genE3ELNS1_11target_archE908ELNS1_3gpuE7ELNS1_3repE0EEENS1_30default_config_static_selectorELNS0_4arch9wavefront6targetE0EEEvT1_
                                        ; -- End function
	.set _ZN7rocprim17ROCPRIM_400000_NS6detail17trampoline_kernelINS0_14default_configENS1_25partition_config_selectorILNS1_17partition_subalgoE8EaNS0_10empty_typeEbEEZZNS1_14partition_implILS5_8ELb0ES3_jPKaPS6_PKS6_NS0_5tupleIJPaS6_EEENSE_IJSB_SB_EEENS0_18inequality_wrapperIN6hipcub16HIPCUB_304000_NS8EqualityEEEPlJS6_EEE10hipError_tPvRmT3_T4_T5_T6_T7_T9_mT8_P12ihipStream_tbDpT10_ENKUlT_T0_E_clISt17integral_constantIbLb1EES17_EEDaS12_S13_EUlS12_E_NS1_11comp_targetILNS1_3genE3ELNS1_11target_archE908ELNS1_3gpuE7ELNS1_3repE0EEENS1_30default_config_static_selectorELNS0_4arch9wavefront6targetE0EEEvT1_.num_vgpr, 0
	.set _ZN7rocprim17ROCPRIM_400000_NS6detail17trampoline_kernelINS0_14default_configENS1_25partition_config_selectorILNS1_17partition_subalgoE8EaNS0_10empty_typeEbEEZZNS1_14partition_implILS5_8ELb0ES3_jPKaPS6_PKS6_NS0_5tupleIJPaS6_EEENSE_IJSB_SB_EEENS0_18inequality_wrapperIN6hipcub16HIPCUB_304000_NS8EqualityEEEPlJS6_EEE10hipError_tPvRmT3_T4_T5_T6_T7_T9_mT8_P12ihipStream_tbDpT10_ENKUlT_T0_E_clISt17integral_constantIbLb1EES17_EEDaS12_S13_EUlS12_E_NS1_11comp_targetILNS1_3genE3ELNS1_11target_archE908ELNS1_3gpuE7ELNS1_3repE0EEENS1_30default_config_static_selectorELNS0_4arch9wavefront6targetE0EEEvT1_.num_agpr, 0
	.set _ZN7rocprim17ROCPRIM_400000_NS6detail17trampoline_kernelINS0_14default_configENS1_25partition_config_selectorILNS1_17partition_subalgoE8EaNS0_10empty_typeEbEEZZNS1_14partition_implILS5_8ELb0ES3_jPKaPS6_PKS6_NS0_5tupleIJPaS6_EEENSE_IJSB_SB_EEENS0_18inequality_wrapperIN6hipcub16HIPCUB_304000_NS8EqualityEEEPlJS6_EEE10hipError_tPvRmT3_T4_T5_T6_T7_T9_mT8_P12ihipStream_tbDpT10_ENKUlT_T0_E_clISt17integral_constantIbLb1EES17_EEDaS12_S13_EUlS12_E_NS1_11comp_targetILNS1_3genE3ELNS1_11target_archE908ELNS1_3gpuE7ELNS1_3repE0EEENS1_30default_config_static_selectorELNS0_4arch9wavefront6targetE0EEEvT1_.numbered_sgpr, 0
	.set _ZN7rocprim17ROCPRIM_400000_NS6detail17trampoline_kernelINS0_14default_configENS1_25partition_config_selectorILNS1_17partition_subalgoE8EaNS0_10empty_typeEbEEZZNS1_14partition_implILS5_8ELb0ES3_jPKaPS6_PKS6_NS0_5tupleIJPaS6_EEENSE_IJSB_SB_EEENS0_18inequality_wrapperIN6hipcub16HIPCUB_304000_NS8EqualityEEEPlJS6_EEE10hipError_tPvRmT3_T4_T5_T6_T7_T9_mT8_P12ihipStream_tbDpT10_ENKUlT_T0_E_clISt17integral_constantIbLb1EES17_EEDaS12_S13_EUlS12_E_NS1_11comp_targetILNS1_3genE3ELNS1_11target_archE908ELNS1_3gpuE7ELNS1_3repE0EEENS1_30default_config_static_selectorELNS0_4arch9wavefront6targetE0EEEvT1_.num_named_barrier, 0
	.set _ZN7rocprim17ROCPRIM_400000_NS6detail17trampoline_kernelINS0_14default_configENS1_25partition_config_selectorILNS1_17partition_subalgoE8EaNS0_10empty_typeEbEEZZNS1_14partition_implILS5_8ELb0ES3_jPKaPS6_PKS6_NS0_5tupleIJPaS6_EEENSE_IJSB_SB_EEENS0_18inequality_wrapperIN6hipcub16HIPCUB_304000_NS8EqualityEEEPlJS6_EEE10hipError_tPvRmT3_T4_T5_T6_T7_T9_mT8_P12ihipStream_tbDpT10_ENKUlT_T0_E_clISt17integral_constantIbLb1EES17_EEDaS12_S13_EUlS12_E_NS1_11comp_targetILNS1_3genE3ELNS1_11target_archE908ELNS1_3gpuE7ELNS1_3repE0EEENS1_30default_config_static_selectorELNS0_4arch9wavefront6targetE0EEEvT1_.private_seg_size, 0
	.set _ZN7rocprim17ROCPRIM_400000_NS6detail17trampoline_kernelINS0_14default_configENS1_25partition_config_selectorILNS1_17partition_subalgoE8EaNS0_10empty_typeEbEEZZNS1_14partition_implILS5_8ELb0ES3_jPKaPS6_PKS6_NS0_5tupleIJPaS6_EEENSE_IJSB_SB_EEENS0_18inequality_wrapperIN6hipcub16HIPCUB_304000_NS8EqualityEEEPlJS6_EEE10hipError_tPvRmT3_T4_T5_T6_T7_T9_mT8_P12ihipStream_tbDpT10_ENKUlT_T0_E_clISt17integral_constantIbLb1EES17_EEDaS12_S13_EUlS12_E_NS1_11comp_targetILNS1_3genE3ELNS1_11target_archE908ELNS1_3gpuE7ELNS1_3repE0EEENS1_30default_config_static_selectorELNS0_4arch9wavefront6targetE0EEEvT1_.uses_vcc, 0
	.set _ZN7rocprim17ROCPRIM_400000_NS6detail17trampoline_kernelINS0_14default_configENS1_25partition_config_selectorILNS1_17partition_subalgoE8EaNS0_10empty_typeEbEEZZNS1_14partition_implILS5_8ELb0ES3_jPKaPS6_PKS6_NS0_5tupleIJPaS6_EEENSE_IJSB_SB_EEENS0_18inequality_wrapperIN6hipcub16HIPCUB_304000_NS8EqualityEEEPlJS6_EEE10hipError_tPvRmT3_T4_T5_T6_T7_T9_mT8_P12ihipStream_tbDpT10_ENKUlT_T0_E_clISt17integral_constantIbLb1EES17_EEDaS12_S13_EUlS12_E_NS1_11comp_targetILNS1_3genE3ELNS1_11target_archE908ELNS1_3gpuE7ELNS1_3repE0EEENS1_30default_config_static_selectorELNS0_4arch9wavefront6targetE0EEEvT1_.uses_flat_scratch, 0
	.set _ZN7rocprim17ROCPRIM_400000_NS6detail17trampoline_kernelINS0_14default_configENS1_25partition_config_selectorILNS1_17partition_subalgoE8EaNS0_10empty_typeEbEEZZNS1_14partition_implILS5_8ELb0ES3_jPKaPS6_PKS6_NS0_5tupleIJPaS6_EEENSE_IJSB_SB_EEENS0_18inequality_wrapperIN6hipcub16HIPCUB_304000_NS8EqualityEEEPlJS6_EEE10hipError_tPvRmT3_T4_T5_T6_T7_T9_mT8_P12ihipStream_tbDpT10_ENKUlT_T0_E_clISt17integral_constantIbLb1EES17_EEDaS12_S13_EUlS12_E_NS1_11comp_targetILNS1_3genE3ELNS1_11target_archE908ELNS1_3gpuE7ELNS1_3repE0EEENS1_30default_config_static_selectorELNS0_4arch9wavefront6targetE0EEEvT1_.has_dyn_sized_stack, 0
	.set _ZN7rocprim17ROCPRIM_400000_NS6detail17trampoline_kernelINS0_14default_configENS1_25partition_config_selectorILNS1_17partition_subalgoE8EaNS0_10empty_typeEbEEZZNS1_14partition_implILS5_8ELb0ES3_jPKaPS6_PKS6_NS0_5tupleIJPaS6_EEENSE_IJSB_SB_EEENS0_18inequality_wrapperIN6hipcub16HIPCUB_304000_NS8EqualityEEEPlJS6_EEE10hipError_tPvRmT3_T4_T5_T6_T7_T9_mT8_P12ihipStream_tbDpT10_ENKUlT_T0_E_clISt17integral_constantIbLb1EES17_EEDaS12_S13_EUlS12_E_NS1_11comp_targetILNS1_3genE3ELNS1_11target_archE908ELNS1_3gpuE7ELNS1_3repE0EEENS1_30default_config_static_selectorELNS0_4arch9wavefront6targetE0EEEvT1_.has_recursion, 0
	.set _ZN7rocprim17ROCPRIM_400000_NS6detail17trampoline_kernelINS0_14default_configENS1_25partition_config_selectorILNS1_17partition_subalgoE8EaNS0_10empty_typeEbEEZZNS1_14partition_implILS5_8ELb0ES3_jPKaPS6_PKS6_NS0_5tupleIJPaS6_EEENSE_IJSB_SB_EEENS0_18inequality_wrapperIN6hipcub16HIPCUB_304000_NS8EqualityEEEPlJS6_EEE10hipError_tPvRmT3_T4_T5_T6_T7_T9_mT8_P12ihipStream_tbDpT10_ENKUlT_T0_E_clISt17integral_constantIbLb1EES17_EEDaS12_S13_EUlS12_E_NS1_11comp_targetILNS1_3genE3ELNS1_11target_archE908ELNS1_3gpuE7ELNS1_3repE0EEENS1_30default_config_static_selectorELNS0_4arch9wavefront6targetE0EEEvT1_.has_indirect_call, 0
	.section	.AMDGPU.csdata,"",@progbits
; Kernel info:
; codeLenInByte = 0
; TotalNumSgprs: 0
; NumVgprs: 0
; ScratchSize: 0
; MemoryBound: 0
; FloatMode: 240
; IeeeMode: 1
; LDSByteSize: 0 bytes/workgroup (compile time only)
; SGPRBlocks: 0
; VGPRBlocks: 0
; NumSGPRsForWavesPerEU: 1
; NumVGPRsForWavesPerEU: 1
; NamedBarCnt: 0
; Occupancy: 16
; WaveLimiterHint : 0
; COMPUTE_PGM_RSRC2:SCRATCH_EN: 0
; COMPUTE_PGM_RSRC2:USER_SGPR: 2
; COMPUTE_PGM_RSRC2:TRAP_HANDLER: 0
; COMPUTE_PGM_RSRC2:TGID_X_EN: 1
; COMPUTE_PGM_RSRC2:TGID_Y_EN: 0
; COMPUTE_PGM_RSRC2:TGID_Z_EN: 0
; COMPUTE_PGM_RSRC2:TIDIG_COMP_CNT: 0
	.section	.text._ZN7rocprim17ROCPRIM_400000_NS6detail17trampoline_kernelINS0_14default_configENS1_25partition_config_selectorILNS1_17partition_subalgoE8EaNS0_10empty_typeEbEEZZNS1_14partition_implILS5_8ELb0ES3_jPKaPS6_PKS6_NS0_5tupleIJPaS6_EEENSE_IJSB_SB_EEENS0_18inequality_wrapperIN6hipcub16HIPCUB_304000_NS8EqualityEEEPlJS6_EEE10hipError_tPvRmT3_T4_T5_T6_T7_T9_mT8_P12ihipStream_tbDpT10_ENKUlT_T0_E_clISt17integral_constantIbLb1EES17_EEDaS12_S13_EUlS12_E_NS1_11comp_targetILNS1_3genE2ELNS1_11target_archE906ELNS1_3gpuE6ELNS1_3repE0EEENS1_30default_config_static_selectorELNS0_4arch9wavefront6targetE0EEEvT1_,"axG",@progbits,_ZN7rocprim17ROCPRIM_400000_NS6detail17trampoline_kernelINS0_14default_configENS1_25partition_config_selectorILNS1_17partition_subalgoE8EaNS0_10empty_typeEbEEZZNS1_14partition_implILS5_8ELb0ES3_jPKaPS6_PKS6_NS0_5tupleIJPaS6_EEENSE_IJSB_SB_EEENS0_18inequality_wrapperIN6hipcub16HIPCUB_304000_NS8EqualityEEEPlJS6_EEE10hipError_tPvRmT3_T4_T5_T6_T7_T9_mT8_P12ihipStream_tbDpT10_ENKUlT_T0_E_clISt17integral_constantIbLb1EES17_EEDaS12_S13_EUlS12_E_NS1_11comp_targetILNS1_3genE2ELNS1_11target_archE906ELNS1_3gpuE6ELNS1_3repE0EEENS1_30default_config_static_selectorELNS0_4arch9wavefront6targetE0EEEvT1_,comdat
	.protected	_ZN7rocprim17ROCPRIM_400000_NS6detail17trampoline_kernelINS0_14default_configENS1_25partition_config_selectorILNS1_17partition_subalgoE8EaNS0_10empty_typeEbEEZZNS1_14partition_implILS5_8ELb0ES3_jPKaPS6_PKS6_NS0_5tupleIJPaS6_EEENSE_IJSB_SB_EEENS0_18inequality_wrapperIN6hipcub16HIPCUB_304000_NS8EqualityEEEPlJS6_EEE10hipError_tPvRmT3_T4_T5_T6_T7_T9_mT8_P12ihipStream_tbDpT10_ENKUlT_T0_E_clISt17integral_constantIbLb1EES17_EEDaS12_S13_EUlS12_E_NS1_11comp_targetILNS1_3genE2ELNS1_11target_archE906ELNS1_3gpuE6ELNS1_3repE0EEENS1_30default_config_static_selectorELNS0_4arch9wavefront6targetE0EEEvT1_ ; -- Begin function _ZN7rocprim17ROCPRIM_400000_NS6detail17trampoline_kernelINS0_14default_configENS1_25partition_config_selectorILNS1_17partition_subalgoE8EaNS0_10empty_typeEbEEZZNS1_14partition_implILS5_8ELb0ES3_jPKaPS6_PKS6_NS0_5tupleIJPaS6_EEENSE_IJSB_SB_EEENS0_18inequality_wrapperIN6hipcub16HIPCUB_304000_NS8EqualityEEEPlJS6_EEE10hipError_tPvRmT3_T4_T5_T6_T7_T9_mT8_P12ihipStream_tbDpT10_ENKUlT_T0_E_clISt17integral_constantIbLb1EES17_EEDaS12_S13_EUlS12_E_NS1_11comp_targetILNS1_3genE2ELNS1_11target_archE906ELNS1_3gpuE6ELNS1_3repE0EEENS1_30default_config_static_selectorELNS0_4arch9wavefront6targetE0EEEvT1_
	.globl	_ZN7rocprim17ROCPRIM_400000_NS6detail17trampoline_kernelINS0_14default_configENS1_25partition_config_selectorILNS1_17partition_subalgoE8EaNS0_10empty_typeEbEEZZNS1_14partition_implILS5_8ELb0ES3_jPKaPS6_PKS6_NS0_5tupleIJPaS6_EEENSE_IJSB_SB_EEENS0_18inequality_wrapperIN6hipcub16HIPCUB_304000_NS8EqualityEEEPlJS6_EEE10hipError_tPvRmT3_T4_T5_T6_T7_T9_mT8_P12ihipStream_tbDpT10_ENKUlT_T0_E_clISt17integral_constantIbLb1EES17_EEDaS12_S13_EUlS12_E_NS1_11comp_targetILNS1_3genE2ELNS1_11target_archE906ELNS1_3gpuE6ELNS1_3repE0EEENS1_30default_config_static_selectorELNS0_4arch9wavefront6targetE0EEEvT1_
	.p2align	8
	.type	_ZN7rocprim17ROCPRIM_400000_NS6detail17trampoline_kernelINS0_14default_configENS1_25partition_config_selectorILNS1_17partition_subalgoE8EaNS0_10empty_typeEbEEZZNS1_14partition_implILS5_8ELb0ES3_jPKaPS6_PKS6_NS0_5tupleIJPaS6_EEENSE_IJSB_SB_EEENS0_18inequality_wrapperIN6hipcub16HIPCUB_304000_NS8EqualityEEEPlJS6_EEE10hipError_tPvRmT3_T4_T5_T6_T7_T9_mT8_P12ihipStream_tbDpT10_ENKUlT_T0_E_clISt17integral_constantIbLb1EES17_EEDaS12_S13_EUlS12_E_NS1_11comp_targetILNS1_3genE2ELNS1_11target_archE906ELNS1_3gpuE6ELNS1_3repE0EEENS1_30default_config_static_selectorELNS0_4arch9wavefront6targetE0EEEvT1_,@function
_ZN7rocprim17ROCPRIM_400000_NS6detail17trampoline_kernelINS0_14default_configENS1_25partition_config_selectorILNS1_17partition_subalgoE8EaNS0_10empty_typeEbEEZZNS1_14partition_implILS5_8ELb0ES3_jPKaPS6_PKS6_NS0_5tupleIJPaS6_EEENSE_IJSB_SB_EEENS0_18inequality_wrapperIN6hipcub16HIPCUB_304000_NS8EqualityEEEPlJS6_EEE10hipError_tPvRmT3_T4_T5_T6_T7_T9_mT8_P12ihipStream_tbDpT10_ENKUlT_T0_E_clISt17integral_constantIbLb1EES17_EEDaS12_S13_EUlS12_E_NS1_11comp_targetILNS1_3genE2ELNS1_11target_archE906ELNS1_3gpuE6ELNS1_3repE0EEENS1_30default_config_static_selectorELNS0_4arch9wavefront6targetE0EEEvT1_: ; @_ZN7rocprim17ROCPRIM_400000_NS6detail17trampoline_kernelINS0_14default_configENS1_25partition_config_selectorILNS1_17partition_subalgoE8EaNS0_10empty_typeEbEEZZNS1_14partition_implILS5_8ELb0ES3_jPKaPS6_PKS6_NS0_5tupleIJPaS6_EEENSE_IJSB_SB_EEENS0_18inequality_wrapperIN6hipcub16HIPCUB_304000_NS8EqualityEEEPlJS6_EEE10hipError_tPvRmT3_T4_T5_T6_T7_T9_mT8_P12ihipStream_tbDpT10_ENKUlT_T0_E_clISt17integral_constantIbLb1EES17_EEDaS12_S13_EUlS12_E_NS1_11comp_targetILNS1_3genE2ELNS1_11target_archE906ELNS1_3gpuE6ELNS1_3repE0EEENS1_30default_config_static_selectorELNS0_4arch9wavefront6targetE0EEEvT1_
; %bb.0:
	.section	.rodata,"a",@progbits
	.p2align	6, 0x0
	.amdhsa_kernel _ZN7rocprim17ROCPRIM_400000_NS6detail17trampoline_kernelINS0_14default_configENS1_25partition_config_selectorILNS1_17partition_subalgoE8EaNS0_10empty_typeEbEEZZNS1_14partition_implILS5_8ELb0ES3_jPKaPS6_PKS6_NS0_5tupleIJPaS6_EEENSE_IJSB_SB_EEENS0_18inequality_wrapperIN6hipcub16HIPCUB_304000_NS8EqualityEEEPlJS6_EEE10hipError_tPvRmT3_T4_T5_T6_T7_T9_mT8_P12ihipStream_tbDpT10_ENKUlT_T0_E_clISt17integral_constantIbLb1EES17_EEDaS12_S13_EUlS12_E_NS1_11comp_targetILNS1_3genE2ELNS1_11target_archE906ELNS1_3gpuE6ELNS1_3repE0EEENS1_30default_config_static_selectorELNS0_4arch9wavefront6targetE0EEEvT1_
		.amdhsa_group_segment_fixed_size 0
		.amdhsa_private_segment_fixed_size 0
		.amdhsa_kernarg_size 128
		.amdhsa_user_sgpr_count 2
		.amdhsa_user_sgpr_dispatch_ptr 0
		.amdhsa_user_sgpr_queue_ptr 0
		.amdhsa_user_sgpr_kernarg_segment_ptr 1
		.amdhsa_user_sgpr_dispatch_id 0
		.amdhsa_user_sgpr_kernarg_preload_length 0
		.amdhsa_user_sgpr_kernarg_preload_offset 0
		.amdhsa_user_sgpr_private_segment_size 0
		.amdhsa_wavefront_size32 1
		.amdhsa_uses_dynamic_stack 0
		.amdhsa_enable_private_segment 0
		.amdhsa_system_sgpr_workgroup_id_x 1
		.amdhsa_system_sgpr_workgroup_id_y 0
		.amdhsa_system_sgpr_workgroup_id_z 0
		.amdhsa_system_sgpr_workgroup_info 0
		.amdhsa_system_vgpr_workitem_id 0
		.amdhsa_next_free_vgpr 1
		.amdhsa_next_free_sgpr 1
		.amdhsa_named_barrier_count 0
		.amdhsa_reserve_vcc 0
		.amdhsa_float_round_mode_32 0
		.amdhsa_float_round_mode_16_64 0
		.amdhsa_float_denorm_mode_32 3
		.amdhsa_float_denorm_mode_16_64 3
		.amdhsa_fp16_overflow 0
		.amdhsa_memory_ordered 1
		.amdhsa_forward_progress 1
		.amdhsa_inst_pref_size 0
		.amdhsa_round_robin_scheduling 0
		.amdhsa_exception_fp_ieee_invalid_op 0
		.amdhsa_exception_fp_denorm_src 0
		.amdhsa_exception_fp_ieee_div_zero 0
		.amdhsa_exception_fp_ieee_overflow 0
		.amdhsa_exception_fp_ieee_underflow 0
		.amdhsa_exception_fp_ieee_inexact 0
		.amdhsa_exception_int_div_zero 0
	.end_amdhsa_kernel
	.section	.text._ZN7rocprim17ROCPRIM_400000_NS6detail17trampoline_kernelINS0_14default_configENS1_25partition_config_selectorILNS1_17partition_subalgoE8EaNS0_10empty_typeEbEEZZNS1_14partition_implILS5_8ELb0ES3_jPKaPS6_PKS6_NS0_5tupleIJPaS6_EEENSE_IJSB_SB_EEENS0_18inequality_wrapperIN6hipcub16HIPCUB_304000_NS8EqualityEEEPlJS6_EEE10hipError_tPvRmT3_T4_T5_T6_T7_T9_mT8_P12ihipStream_tbDpT10_ENKUlT_T0_E_clISt17integral_constantIbLb1EES17_EEDaS12_S13_EUlS12_E_NS1_11comp_targetILNS1_3genE2ELNS1_11target_archE906ELNS1_3gpuE6ELNS1_3repE0EEENS1_30default_config_static_selectorELNS0_4arch9wavefront6targetE0EEEvT1_,"axG",@progbits,_ZN7rocprim17ROCPRIM_400000_NS6detail17trampoline_kernelINS0_14default_configENS1_25partition_config_selectorILNS1_17partition_subalgoE8EaNS0_10empty_typeEbEEZZNS1_14partition_implILS5_8ELb0ES3_jPKaPS6_PKS6_NS0_5tupleIJPaS6_EEENSE_IJSB_SB_EEENS0_18inequality_wrapperIN6hipcub16HIPCUB_304000_NS8EqualityEEEPlJS6_EEE10hipError_tPvRmT3_T4_T5_T6_T7_T9_mT8_P12ihipStream_tbDpT10_ENKUlT_T0_E_clISt17integral_constantIbLb1EES17_EEDaS12_S13_EUlS12_E_NS1_11comp_targetILNS1_3genE2ELNS1_11target_archE906ELNS1_3gpuE6ELNS1_3repE0EEENS1_30default_config_static_selectorELNS0_4arch9wavefront6targetE0EEEvT1_,comdat
.Lfunc_end215:
	.size	_ZN7rocprim17ROCPRIM_400000_NS6detail17trampoline_kernelINS0_14default_configENS1_25partition_config_selectorILNS1_17partition_subalgoE8EaNS0_10empty_typeEbEEZZNS1_14partition_implILS5_8ELb0ES3_jPKaPS6_PKS6_NS0_5tupleIJPaS6_EEENSE_IJSB_SB_EEENS0_18inequality_wrapperIN6hipcub16HIPCUB_304000_NS8EqualityEEEPlJS6_EEE10hipError_tPvRmT3_T4_T5_T6_T7_T9_mT8_P12ihipStream_tbDpT10_ENKUlT_T0_E_clISt17integral_constantIbLb1EES17_EEDaS12_S13_EUlS12_E_NS1_11comp_targetILNS1_3genE2ELNS1_11target_archE906ELNS1_3gpuE6ELNS1_3repE0EEENS1_30default_config_static_selectorELNS0_4arch9wavefront6targetE0EEEvT1_, .Lfunc_end215-_ZN7rocprim17ROCPRIM_400000_NS6detail17trampoline_kernelINS0_14default_configENS1_25partition_config_selectorILNS1_17partition_subalgoE8EaNS0_10empty_typeEbEEZZNS1_14partition_implILS5_8ELb0ES3_jPKaPS6_PKS6_NS0_5tupleIJPaS6_EEENSE_IJSB_SB_EEENS0_18inequality_wrapperIN6hipcub16HIPCUB_304000_NS8EqualityEEEPlJS6_EEE10hipError_tPvRmT3_T4_T5_T6_T7_T9_mT8_P12ihipStream_tbDpT10_ENKUlT_T0_E_clISt17integral_constantIbLb1EES17_EEDaS12_S13_EUlS12_E_NS1_11comp_targetILNS1_3genE2ELNS1_11target_archE906ELNS1_3gpuE6ELNS1_3repE0EEENS1_30default_config_static_selectorELNS0_4arch9wavefront6targetE0EEEvT1_
                                        ; -- End function
	.set _ZN7rocprim17ROCPRIM_400000_NS6detail17trampoline_kernelINS0_14default_configENS1_25partition_config_selectorILNS1_17partition_subalgoE8EaNS0_10empty_typeEbEEZZNS1_14partition_implILS5_8ELb0ES3_jPKaPS6_PKS6_NS0_5tupleIJPaS6_EEENSE_IJSB_SB_EEENS0_18inequality_wrapperIN6hipcub16HIPCUB_304000_NS8EqualityEEEPlJS6_EEE10hipError_tPvRmT3_T4_T5_T6_T7_T9_mT8_P12ihipStream_tbDpT10_ENKUlT_T0_E_clISt17integral_constantIbLb1EES17_EEDaS12_S13_EUlS12_E_NS1_11comp_targetILNS1_3genE2ELNS1_11target_archE906ELNS1_3gpuE6ELNS1_3repE0EEENS1_30default_config_static_selectorELNS0_4arch9wavefront6targetE0EEEvT1_.num_vgpr, 0
	.set _ZN7rocprim17ROCPRIM_400000_NS6detail17trampoline_kernelINS0_14default_configENS1_25partition_config_selectorILNS1_17partition_subalgoE8EaNS0_10empty_typeEbEEZZNS1_14partition_implILS5_8ELb0ES3_jPKaPS6_PKS6_NS0_5tupleIJPaS6_EEENSE_IJSB_SB_EEENS0_18inequality_wrapperIN6hipcub16HIPCUB_304000_NS8EqualityEEEPlJS6_EEE10hipError_tPvRmT3_T4_T5_T6_T7_T9_mT8_P12ihipStream_tbDpT10_ENKUlT_T0_E_clISt17integral_constantIbLb1EES17_EEDaS12_S13_EUlS12_E_NS1_11comp_targetILNS1_3genE2ELNS1_11target_archE906ELNS1_3gpuE6ELNS1_3repE0EEENS1_30default_config_static_selectorELNS0_4arch9wavefront6targetE0EEEvT1_.num_agpr, 0
	.set _ZN7rocprim17ROCPRIM_400000_NS6detail17trampoline_kernelINS0_14default_configENS1_25partition_config_selectorILNS1_17partition_subalgoE8EaNS0_10empty_typeEbEEZZNS1_14partition_implILS5_8ELb0ES3_jPKaPS6_PKS6_NS0_5tupleIJPaS6_EEENSE_IJSB_SB_EEENS0_18inequality_wrapperIN6hipcub16HIPCUB_304000_NS8EqualityEEEPlJS6_EEE10hipError_tPvRmT3_T4_T5_T6_T7_T9_mT8_P12ihipStream_tbDpT10_ENKUlT_T0_E_clISt17integral_constantIbLb1EES17_EEDaS12_S13_EUlS12_E_NS1_11comp_targetILNS1_3genE2ELNS1_11target_archE906ELNS1_3gpuE6ELNS1_3repE0EEENS1_30default_config_static_selectorELNS0_4arch9wavefront6targetE0EEEvT1_.numbered_sgpr, 0
	.set _ZN7rocprim17ROCPRIM_400000_NS6detail17trampoline_kernelINS0_14default_configENS1_25partition_config_selectorILNS1_17partition_subalgoE8EaNS0_10empty_typeEbEEZZNS1_14partition_implILS5_8ELb0ES3_jPKaPS6_PKS6_NS0_5tupleIJPaS6_EEENSE_IJSB_SB_EEENS0_18inequality_wrapperIN6hipcub16HIPCUB_304000_NS8EqualityEEEPlJS6_EEE10hipError_tPvRmT3_T4_T5_T6_T7_T9_mT8_P12ihipStream_tbDpT10_ENKUlT_T0_E_clISt17integral_constantIbLb1EES17_EEDaS12_S13_EUlS12_E_NS1_11comp_targetILNS1_3genE2ELNS1_11target_archE906ELNS1_3gpuE6ELNS1_3repE0EEENS1_30default_config_static_selectorELNS0_4arch9wavefront6targetE0EEEvT1_.num_named_barrier, 0
	.set _ZN7rocprim17ROCPRIM_400000_NS6detail17trampoline_kernelINS0_14default_configENS1_25partition_config_selectorILNS1_17partition_subalgoE8EaNS0_10empty_typeEbEEZZNS1_14partition_implILS5_8ELb0ES3_jPKaPS6_PKS6_NS0_5tupleIJPaS6_EEENSE_IJSB_SB_EEENS0_18inequality_wrapperIN6hipcub16HIPCUB_304000_NS8EqualityEEEPlJS6_EEE10hipError_tPvRmT3_T4_T5_T6_T7_T9_mT8_P12ihipStream_tbDpT10_ENKUlT_T0_E_clISt17integral_constantIbLb1EES17_EEDaS12_S13_EUlS12_E_NS1_11comp_targetILNS1_3genE2ELNS1_11target_archE906ELNS1_3gpuE6ELNS1_3repE0EEENS1_30default_config_static_selectorELNS0_4arch9wavefront6targetE0EEEvT1_.private_seg_size, 0
	.set _ZN7rocprim17ROCPRIM_400000_NS6detail17trampoline_kernelINS0_14default_configENS1_25partition_config_selectorILNS1_17partition_subalgoE8EaNS0_10empty_typeEbEEZZNS1_14partition_implILS5_8ELb0ES3_jPKaPS6_PKS6_NS0_5tupleIJPaS6_EEENSE_IJSB_SB_EEENS0_18inequality_wrapperIN6hipcub16HIPCUB_304000_NS8EqualityEEEPlJS6_EEE10hipError_tPvRmT3_T4_T5_T6_T7_T9_mT8_P12ihipStream_tbDpT10_ENKUlT_T0_E_clISt17integral_constantIbLb1EES17_EEDaS12_S13_EUlS12_E_NS1_11comp_targetILNS1_3genE2ELNS1_11target_archE906ELNS1_3gpuE6ELNS1_3repE0EEENS1_30default_config_static_selectorELNS0_4arch9wavefront6targetE0EEEvT1_.uses_vcc, 0
	.set _ZN7rocprim17ROCPRIM_400000_NS6detail17trampoline_kernelINS0_14default_configENS1_25partition_config_selectorILNS1_17partition_subalgoE8EaNS0_10empty_typeEbEEZZNS1_14partition_implILS5_8ELb0ES3_jPKaPS6_PKS6_NS0_5tupleIJPaS6_EEENSE_IJSB_SB_EEENS0_18inequality_wrapperIN6hipcub16HIPCUB_304000_NS8EqualityEEEPlJS6_EEE10hipError_tPvRmT3_T4_T5_T6_T7_T9_mT8_P12ihipStream_tbDpT10_ENKUlT_T0_E_clISt17integral_constantIbLb1EES17_EEDaS12_S13_EUlS12_E_NS1_11comp_targetILNS1_3genE2ELNS1_11target_archE906ELNS1_3gpuE6ELNS1_3repE0EEENS1_30default_config_static_selectorELNS0_4arch9wavefront6targetE0EEEvT1_.uses_flat_scratch, 0
	.set _ZN7rocprim17ROCPRIM_400000_NS6detail17trampoline_kernelINS0_14default_configENS1_25partition_config_selectorILNS1_17partition_subalgoE8EaNS0_10empty_typeEbEEZZNS1_14partition_implILS5_8ELb0ES3_jPKaPS6_PKS6_NS0_5tupleIJPaS6_EEENSE_IJSB_SB_EEENS0_18inequality_wrapperIN6hipcub16HIPCUB_304000_NS8EqualityEEEPlJS6_EEE10hipError_tPvRmT3_T4_T5_T6_T7_T9_mT8_P12ihipStream_tbDpT10_ENKUlT_T0_E_clISt17integral_constantIbLb1EES17_EEDaS12_S13_EUlS12_E_NS1_11comp_targetILNS1_3genE2ELNS1_11target_archE906ELNS1_3gpuE6ELNS1_3repE0EEENS1_30default_config_static_selectorELNS0_4arch9wavefront6targetE0EEEvT1_.has_dyn_sized_stack, 0
	.set _ZN7rocprim17ROCPRIM_400000_NS6detail17trampoline_kernelINS0_14default_configENS1_25partition_config_selectorILNS1_17partition_subalgoE8EaNS0_10empty_typeEbEEZZNS1_14partition_implILS5_8ELb0ES3_jPKaPS6_PKS6_NS0_5tupleIJPaS6_EEENSE_IJSB_SB_EEENS0_18inequality_wrapperIN6hipcub16HIPCUB_304000_NS8EqualityEEEPlJS6_EEE10hipError_tPvRmT3_T4_T5_T6_T7_T9_mT8_P12ihipStream_tbDpT10_ENKUlT_T0_E_clISt17integral_constantIbLb1EES17_EEDaS12_S13_EUlS12_E_NS1_11comp_targetILNS1_3genE2ELNS1_11target_archE906ELNS1_3gpuE6ELNS1_3repE0EEENS1_30default_config_static_selectorELNS0_4arch9wavefront6targetE0EEEvT1_.has_recursion, 0
	.set _ZN7rocprim17ROCPRIM_400000_NS6detail17trampoline_kernelINS0_14default_configENS1_25partition_config_selectorILNS1_17partition_subalgoE8EaNS0_10empty_typeEbEEZZNS1_14partition_implILS5_8ELb0ES3_jPKaPS6_PKS6_NS0_5tupleIJPaS6_EEENSE_IJSB_SB_EEENS0_18inequality_wrapperIN6hipcub16HIPCUB_304000_NS8EqualityEEEPlJS6_EEE10hipError_tPvRmT3_T4_T5_T6_T7_T9_mT8_P12ihipStream_tbDpT10_ENKUlT_T0_E_clISt17integral_constantIbLb1EES17_EEDaS12_S13_EUlS12_E_NS1_11comp_targetILNS1_3genE2ELNS1_11target_archE906ELNS1_3gpuE6ELNS1_3repE0EEENS1_30default_config_static_selectorELNS0_4arch9wavefront6targetE0EEEvT1_.has_indirect_call, 0
	.section	.AMDGPU.csdata,"",@progbits
; Kernel info:
; codeLenInByte = 0
; TotalNumSgprs: 0
; NumVgprs: 0
; ScratchSize: 0
; MemoryBound: 0
; FloatMode: 240
; IeeeMode: 1
; LDSByteSize: 0 bytes/workgroup (compile time only)
; SGPRBlocks: 0
; VGPRBlocks: 0
; NumSGPRsForWavesPerEU: 1
; NumVGPRsForWavesPerEU: 1
; NamedBarCnt: 0
; Occupancy: 16
; WaveLimiterHint : 0
; COMPUTE_PGM_RSRC2:SCRATCH_EN: 0
; COMPUTE_PGM_RSRC2:USER_SGPR: 2
; COMPUTE_PGM_RSRC2:TRAP_HANDLER: 0
; COMPUTE_PGM_RSRC2:TGID_X_EN: 1
; COMPUTE_PGM_RSRC2:TGID_Y_EN: 0
; COMPUTE_PGM_RSRC2:TGID_Z_EN: 0
; COMPUTE_PGM_RSRC2:TIDIG_COMP_CNT: 0
	.section	.text._ZN7rocprim17ROCPRIM_400000_NS6detail17trampoline_kernelINS0_14default_configENS1_25partition_config_selectorILNS1_17partition_subalgoE8EaNS0_10empty_typeEbEEZZNS1_14partition_implILS5_8ELb0ES3_jPKaPS6_PKS6_NS0_5tupleIJPaS6_EEENSE_IJSB_SB_EEENS0_18inequality_wrapperIN6hipcub16HIPCUB_304000_NS8EqualityEEEPlJS6_EEE10hipError_tPvRmT3_T4_T5_T6_T7_T9_mT8_P12ihipStream_tbDpT10_ENKUlT_T0_E_clISt17integral_constantIbLb1EES17_EEDaS12_S13_EUlS12_E_NS1_11comp_targetILNS1_3genE10ELNS1_11target_archE1200ELNS1_3gpuE4ELNS1_3repE0EEENS1_30default_config_static_selectorELNS0_4arch9wavefront6targetE0EEEvT1_,"axG",@progbits,_ZN7rocprim17ROCPRIM_400000_NS6detail17trampoline_kernelINS0_14default_configENS1_25partition_config_selectorILNS1_17partition_subalgoE8EaNS0_10empty_typeEbEEZZNS1_14partition_implILS5_8ELb0ES3_jPKaPS6_PKS6_NS0_5tupleIJPaS6_EEENSE_IJSB_SB_EEENS0_18inequality_wrapperIN6hipcub16HIPCUB_304000_NS8EqualityEEEPlJS6_EEE10hipError_tPvRmT3_T4_T5_T6_T7_T9_mT8_P12ihipStream_tbDpT10_ENKUlT_T0_E_clISt17integral_constantIbLb1EES17_EEDaS12_S13_EUlS12_E_NS1_11comp_targetILNS1_3genE10ELNS1_11target_archE1200ELNS1_3gpuE4ELNS1_3repE0EEENS1_30default_config_static_selectorELNS0_4arch9wavefront6targetE0EEEvT1_,comdat
	.protected	_ZN7rocprim17ROCPRIM_400000_NS6detail17trampoline_kernelINS0_14default_configENS1_25partition_config_selectorILNS1_17partition_subalgoE8EaNS0_10empty_typeEbEEZZNS1_14partition_implILS5_8ELb0ES3_jPKaPS6_PKS6_NS0_5tupleIJPaS6_EEENSE_IJSB_SB_EEENS0_18inequality_wrapperIN6hipcub16HIPCUB_304000_NS8EqualityEEEPlJS6_EEE10hipError_tPvRmT3_T4_T5_T6_T7_T9_mT8_P12ihipStream_tbDpT10_ENKUlT_T0_E_clISt17integral_constantIbLb1EES17_EEDaS12_S13_EUlS12_E_NS1_11comp_targetILNS1_3genE10ELNS1_11target_archE1200ELNS1_3gpuE4ELNS1_3repE0EEENS1_30default_config_static_selectorELNS0_4arch9wavefront6targetE0EEEvT1_ ; -- Begin function _ZN7rocprim17ROCPRIM_400000_NS6detail17trampoline_kernelINS0_14default_configENS1_25partition_config_selectorILNS1_17partition_subalgoE8EaNS0_10empty_typeEbEEZZNS1_14partition_implILS5_8ELb0ES3_jPKaPS6_PKS6_NS0_5tupleIJPaS6_EEENSE_IJSB_SB_EEENS0_18inequality_wrapperIN6hipcub16HIPCUB_304000_NS8EqualityEEEPlJS6_EEE10hipError_tPvRmT3_T4_T5_T6_T7_T9_mT8_P12ihipStream_tbDpT10_ENKUlT_T0_E_clISt17integral_constantIbLb1EES17_EEDaS12_S13_EUlS12_E_NS1_11comp_targetILNS1_3genE10ELNS1_11target_archE1200ELNS1_3gpuE4ELNS1_3repE0EEENS1_30default_config_static_selectorELNS0_4arch9wavefront6targetE0EEEvT1_
	.globl	_ZN7rocprim17ROCPRIM_400000_NS6detail17trampoline_kernelINS0_14default_configENS1_25partition_config_selectorILNS1_17partition_subalgoE8EaNS0_10empty_typeEbEEZZNS1_14partition_implILS5_8ELb0ES3_jPKaPS6_PKS6_NS0_5tupleIJPaS6_EEENSE_IJSB_SB_EEENS0_18inequality_wrapperIN6hipcub16HIPCUB_304000_NS8EqualityEEEPlJS6_EEE10hipError_tPvRmT3_T4_T5_T6_T7_T9_mT8_P12ihipStream_tbDpT10_ENKUlT_T0_E_clISt17integral_constantIbLb1EES17_EEDaS12_S13_EUlS12_E_NS1_11comp_targetILNS1_3genE10ELNS1_11target_archE1200ELNS1_3gpuE4ELNS1_3repE0EEENS1_30default_config_static_selectorELNS0_4arch9wavefront6targetE0EEEvT1_
	.p2align	8
	.type	_ZN7rocprim17ROCPRIM_400000_NS6detail17trampoline_kernelINS0_14default_configENS1_25partition_config_selectorILNS1_17partition_subalgoE8EaNS0_10empty_typeEbEEZZNS1_14partition_implILS5_8ELb0ES3_jPKaPS6_PKS6_NS0_5tupleIJPaS6_EEENSE_IJSB_SB_EEENS0_18inequality_wrapperIN6hipcub16HIPCUB_304000_NS8EqualityEEEPlJS6_EEE10hipError_tPvRmT3_T4_T5_T6_T7_T9_mT8_P12ihipStream_tbDpT10_ENKUlT_T0_E_clISt17integral_constantIbLb1EES17_EEDaS12_S13_EUlS12_E_NS1_11comp_targetILNS1_3genE10ELNS1_11target_archE1200ELNS1_3gpuE4ELNS1_3repE0EEENS1_30default_config_static_selectorELNS0_4arch9wavefront6targetE0EEEvT1_,@function
_ZN7rocprim17ROCPRIM_400000_NS6detail17trampoline_kernelINS0_14default_configENS1_25partition_config_selectorILNS1_17partition_subalgoE8EaNS0_10empty_typeEbEEZZNS1_14partition_implILS5_8ELb0ES3_jPKaPS6_PKS6_NS0_5tupleIJPaS6_EEENSE_IJSB_SB_EEENS0_18inequality_wrapperIN6hipcub16HIPCUB_304000_NS8EqualityEEEPlJS6_EEE10hipError_tPvRmT3_T4_T5_T6_T7_T9_mT8_P12ihipStream_tbDpT10_ENKUlT_T0_E_clISt17integral_constantIbLb1EES17_EEDaS12_S13_EUlS12_E_NS1_11comp_targetILNS1_3genE10ELNS1_11target_archE1200ELNS1_3gpuE4ELNS1_3repE0EEENS1_30default_config_static_selectorELNS0_4arch9wavefront6targetE0EEEvT1_: ; @_ZN7rocprim17ROCPRIM_400000_NS6detail17trampoline_kernelINS0_14default_configENS1_25partition_config_selectorILNS1_17partition_subalgoE8EaNS0_10empty_typeEbEEZZNS1_14partition_implILS5_8ELb0ES3_jPKaPS6_PKS6_NS0_5tupleIJPaS6_EEENSE_IJSB_SB_EEENS0_18inequality_wrapperIN6hipcub16HIPCUB_304000_NS8EqualityEEEPlJS6_EEE10hipError_tPvRmT3_T4_T5_T6_T7_T9_mT8_P12ihipStream_tbDpT10_ENKUlT_T0_E_clISt17integral_constantIbLb1EES17_EEDaS12_S13_EUlS12_E_NS1_11comp_targetILNS1_3genE10ELNS1_11target_archE1200ELNS1_3gpuE4ELNS1_3repE0EEENS1_30default_config_static_selectorELNS0_4arch9wavefront6targetE0EEEvT1_
; %bb.0:
	.section	.rodata,"a",@progbits
	.p2align	6, 0x0
	.amdhsa_kernel _ZN7rocprim17ROCPRIM_400000_NS6detail17trampoline_kernelINS0_14default_configENS1_25partition_config_selectorILNS1_17partition_subalgoE8EaNS0_10empty_typeEbEEZZNS1_14partition_implILS5_8ELb0ES3_jPKaPS6_PKS6_NS0_5tupleIJPaS6_EEENSE_IJSB_SB_EEENS0_18inequality_wrapperIN6hipcub16HIPCUB_304000_NS8EqualityEEEPlJS6_EEE10hipError_tPvRmT3_T4_T5_T6_T7_T9_mT8_P12ihipStream_tbDpT10_ENKUlT_T0_E_clISt17integral_constantIbLb1EES17_EEDaS12_S13_EUlS12_E_NS1_11comp_targetILNS1_3genE10ELNS1_11target_archE1200ELNS1_3gpuE4ELNS1_3repE0EEENS1_30default_config_static_selectorELNS0_4arch9wavefront6targetE0EEEvT1_
		.amdhsa_group_segment_fixed_size 0
		.amdhsa_private_segment_fixed_size 0
		.amdhsa_kernarg_size 128
		.amdhsa_user_sgpr_count 2
		.amdhsa_user_sgpr_dispatch_ptr 0
		.amdhsa_user_sgpr_queue_ptr 0
		.amdhsa_user_sgpr_kernarg_segment_ptr 1
		.amdhsa_user_sgpr_dispatch_id 0
		.amdhsa_user_sgpr_kernarg_preload_length 0
		.amdhsa_user_sgpr_kernarg_preload_offset 0
		.amdhsa_user_sgpr_private_segment_size 0
		.amdhsa_wavefront_size32 1
		.amdhsa_uses_dynamic_stack 0
		.amdhsa_enable_private_segment 0
		.amdhsa_system_sgpr_workgroup_id_x 1
		.amdhsa_system_sgpr_workgroup_id_y 0
		.amdhsa_system_sgpr_workgroup_id_z 0
		.amdhsa_system_sgpr_workgroup_info 0
		.amdhsa_system_vgpr_workitem_id 0
		.amdhsa_next_free_vgpr 1
		.amdhsa_next_free_sgpr 1
		.amdhsa_named_barrier_count 0
		.amdhsa_reserve_vcc 0
		.amdhsa_float_round_mode_32 0
		.amdhsa_float_round_mode_16_64 0
		.amdhsa_float_denorm_mode_32 3
		.amdhsa_float_denorm_mode_16_64 3
		.amdhsa_fp16_overflow 0
		.amdhsa_memory_ordered 1
		.amdhsa_forward_progress 1
		.amdhsa_inst_pref_size 0
		.amdhsa_round_robin_scheduling 0
		.amdhsa_exception_fp_ieee_invalid_op 0
		.amdhsa_exception_fp_denorm_src 0
		.amdhsa_exception_fp_ieee_div_zero 0
		.amdhsa_exception_fp_ieee_overflow 0
		.amdhsa_exception_fp_ieee_underflow 0
		.amdhsa_exception_fp_ieee_inexact 0
		.amdhsa_exception_int_div_zero 0
	.end_amdhsa_kernel
	.section	.text._ZN7rocprim17ROCPRIM_400000_NS6detail17trampoline_kernelINS0_14default_configENS1_25partition_config_selectorILNS1_17partition_subalgoE8EaNS0_10empty_typeEbEEZZNS1_14partition_implILS5_8ELb0ES3_jPKaPS6_PKS6_NS0_5tupleIJPaS6_EEENSE_IJSB_SB_EEENS0_18inequality_wrapperIN6hipcub16HIPCUB_304000_NS8EqualityEEEPlJS6_EEE10hipError_tPvRmT3_T4_T5_T6_T7_T9_mT8_P12ihipStream_tbDpT10_ENKUlT_T0_E_clISt17integral_constantIbLb1EES17_EEDaS12_S13_EUlS12_E_NS1_11comp_targetILNS1_3genE10ELNS1_11target_archE1200ELNS1_3gpuE4ELNS1_3repE0EEENS1_30default_config_static_selectorELNS0_4arch9wavefront6targetE0EEEvT1_,"axG",@progbits,_ZN7rocprim17ROCPRIM_400000_NS6detail17trampoline_kernelINS0_14default_configENS1_25partition_config_selectorILNS1_17partition_subalgoE8EaNS0_10empty_typeEbEEZZNS1_14partition_implILS5_8ELb0ES3_jPKaPS6_PKS6_NS0_5tupleIJPaS6_EEENSE_IJSB_SB_EEENS0_18inequality_wrapperIN6hipcub16HIPCUB_304000_NS8EqualityEEEPlJS6_EEE10hipError_tPvRmT3_T4_T5_T6_T7_T9_mT8_P12ihipStream_tbDpT10_ENKUlT_T0_E_clISt17integral_constantIbLb1EES17_EEDaS12_S13_EUlS12_E_NS1_11comp_targetILNS1_3genE10ELNS1_11target_archE1200ELNS1_3gpuE4ELNS1_3repE0EEENS1_30default_config_static_selectorELNS0_4arch9wavefront6targetE0EEEvT1_,comdat
.Lfunc_end216:
	.size	_ZN7rocprim17ROCPRIM_400000_NS6detail17trampoline_kernelINS0_14default_configENS1_25partition_config_selectorILNS1_17partition_subalgoE8EaNS0_10empty_typeEbEEZZNS1_14partition_implILS5_8ELb0ES3_jPKaPS6_PKS6_NS0_5tupleIJPaS6_EEENSE_IJSB_SB_EEENS0_18inequality_wrapperIN6hipcub16HIPCUB_304000_NS8EqualityEEEPlJS6_EEE10hipError_tPvRmT3_T4_T5_T6_T7_T9_mT8_P12ihipStream_tbDpT10_ENKUlT_T0_E_clISt17integral_constantIbLb1EES17_EEDaS12_S13_EUlS12_E_NS1_11comp_targetILNS1_3genE10ELNS1_11target_archE1200ELNS1_3gpuE4ELNS1_3repE0EEENS1_30default_config_static_selectorELNS0_4arch9wavefront6targetE0EEEvT1_, .Lfunc_end216-_ZN7rocprim17ROCPRIM_400000_NS6detail17trampoline_kernelINS0_14default_configENS1_25partition_config_selectorILNS1_17partition_subalgoE8EaNS0_10empty_typeEbEEZZNS1_14partition_implILS5_8ELb0ES3_jPKaPS6_PKS6_NS0_5tupleIJPaS6_EEENSE_IJSB_SB_EEENS0_18inequality_wrapperIN6hipcub16HIPCUB_304000_NS8EqualityEEEPlJS6_EEE10hipError_tPvRmT3_T4_T5_T6_T7_T9_mT8_P12ihipStream_tbDpT10_ENKUlT_T0_E_clISt17integral_constantIbLb1EES17_EEDaS12_S13_EUlS12_E_NS1_11comp_targetILNS1_3genE10ELNS1_11target_archE1200ELNS1_3gpuE4ELNS1_3repE0EEENS1_30default_config_static_selectorELNS0_4arch9wavefront6targetE0EEEvT1_
                                        ; -- End function
	.set _ZN7rocprim17ROCPRIM_400000_NS6detail17trampoline_kernelINS0_14default_configENS1_25partition_config_selectorILNS1_17partition_subalgoE8EaNS0_10empty_typeEbEEZZNS1_14partition_implILS5_8ELb0ES3_jPKaPS6_PKS6_NS0_5tupleIJPaS6_EEENSE_IJSB_SB_EEENS0_18inequality_wrapperIN6hipcub16HIPCUB_304000_NS8EqualityEEEPlJS6_EEE10hipError_tPvRmT3_T4_T5_T6_T7_T9_mT8_P12ihipStream_tbDpT10_ENKUlT_T0_E_clISt17integral_constantIbLb1EES17_EEDaS12_S13_EUlS12_E_NS1_11comp_targetILNS1_3genE10ELNS1_11target_archE1200ELNS1_3gpuE4ELNS1_3repE0EEENS1_30default_config_static_selectorELNS0_4arch9wavefront6targetE0EEEvT1_.num_vgpr, 0
	.set _ZN7rocprim17ROCPRIM_400000_NS6detail17trampoline_kernelINS0_14default_configENS1_25partition_config_selectorILNS1_17partition_subalgoE8EaNS0_10empty_typeEbEEZZNS1_14partition_implILS5_8ELb0ES3_jPKaPS6_PKS6_NS0_5tupleIJPaS6_EEENSE_IJSB_SB_EEENS0_18inequality_wrapperIN6hipcub16HIPCUB_304000_NS8EqualityEEEPlJS6_EEE10hipError_tPvRmT3_T4_T5_T6_T7_T9_mT8_P12ihipStream_tbDpT10_ENKUlT_T0_E_clISt17integral_constantIbLb1EES17_EEDaS12_S13_EUlS12_E_NS1_11comp_targetILNS1_3genE10ELNS1_11target_archE1200ELNS1_3gpuE4ELNS1_3repE0EEENS1_30default_config_static_selectorELNS0_4arch9wavefront6targetE0EEEvT1_.num_agpr, 0
	.set _ZN7rocprim17ROCPRIM_400000_NS6detail17trampoline_kernelINS0_14default_configENS1_25partition_config_selectorILNS1_17partition_subalgoE8EaNS0_10empty_typeEbEEZZNS1_14partition_implILS5_8ELb0ES3_jPKaPS6_PKS6_NS0_5tupleIJPaS6_EEENSE_IJSB_SB_EEENS0_18inequality_wrapperIN6hipcub16HIPCUB_304000_NS8EqualityEEEPlJS6_EEE10hipError_tPvRmT3_T4_T5_T6_T7_T9_mT8_P12ihipStream_tbDpT10_ENKUlT_T0_E_clISt17integral_constantIbLb1EES17_EEDaS12_S13_EUlS12_E_NS1_11comp_targetILNS1_3genE10ELNS1_11target_archE1200ELNS1_3gpuE4ELNS1_3repE0EEENS1_30default_config_static_selectorELNS0_4arch9wavefront6targetE0EEEvT1_.numbered_sgpr, 0
	.set _ZN7rocprim17ROCPRIM_400000_NS6detail17trampoline_kernelINS0_14default_configENS1_25partition_config_selectorILNS1_17partition_subalgoE8EaNS0_10empty_typeEbEEZZNS1_14partition_implILS5_8ELb0ES3_jPKaPS6_PKS6_NS0_5tupleIJPaS6_EEENSE_IJSB_SB_EEENS0_18inequality_wrapperIN6hipcub16HIPCUB_304000_NS8EqualityEEEPlJS6_EEE10hipError_tPvRmT3_T4_T5_T6_T7_T9_mT8_P12ihipStream_tbDpT10_ENKUlT_T0_E_clISt17integral_constantIbLb1EES17_EEDaS12_S13_EUlS12_E_NS1_11comp_targetILNS1_3genE10ELNS1_11target_archE1200ELNS1_3gpuE4ELNS1_3repE0EEENS1_30default_config_static_selectorELNS0_4arch9wavefront6targetE0EEEvT1_.num_named_barrier, 0
	.set _ZN7rocprim17ROCPRIM_400000_NS6detail17trampoline_kernelINS0_14default_configENS1_25partition_config_selectorILNS1_17partition_subalgoE8EaNS0_10empty_typeEbEEZZNS1_14partition_implILS5_8ELb0ES3_jPKaPS6_PKS6_NS0_5tupleIJPaS6_EEENSE_IJSB_SB_EEENS0_18inequality_wrapperIN6hipcub16HIPCUB_304000_NS8EqualityEEEPlJS6_EEE10hipError_tPvRmT3_T4_T5_T6_T7_T9_mT8_P12ihipStream_tbDpT10_ENKUlT_T0_E_clISt17integral_constantIbLb1EES17_EEDaS12_S13_EUlS12_E_NS1_11comp_targetILNS1_3genE10ELNS1_11target_archE1200ELNS1_3gpuE4ELNS1_3repE0EEENS1_30default_config_static_selectorELNS0_4arch9wavefront6targetE0EEEvT1_.private_seg_size, 0
	.set _ZN7rocprim17ROCPRIM_400000_NS6detail17trampoline_kernelINS0_14default_configENS1_25partition_config_selectorILNS1_17partition_subalgoE8EaNS0_10empty_typeEbEEZZNS1_14partition_implILS5_8ELb0ES3_jPKaPS6_PKS6_NS0_5tupleIJPaS6_EEENSE_IJSB_SB_EEENS0_18inequality_wrapperIN6hipcub16HIPCUB_304000_NS8EqualityEEEPlJS6_EEE10hipError_tPvRmT3_T4_T5_T6_T7_T9_mT8_P12ihipStream_tbDpT10_ENKUlT_T0_E_clISt17integral_constantIbLb1EES17_EEDaS12_S13_EUlS12_E_NS1_11comp_targetILNS1_3genE10ELNS1_11target_archE1200ELNS1_3gpuE4ELNS1_3repE0EEENS1_30default_config_static_selectorELNS0_4arch9wavefront6targetE0EEEvT1_.uses_vcc, 0
	.set _ZN7rocprim17ROCPRIM_400000_NS6detail17trampoline_kernelINS0_14default_configENS1_25partition_config_selectorILNS1_17partition_subalgoE8EaNS0_10empty_typeEbEEZZNS1_14partition_implILS5_8ELb0ES3_jPKaPS6_PKS6_NS0_5tupleIJPaS6_EEENSE_IJSB_SB_EEENS0_18inequality_wrapperIN6hipcub16HIPCUB_304000_NS8EqualityEEEPlJS6_EEE10hipError_tPvRmT3_T4_T5_T6_T7_T9_mT8_P12ihipStream_tbDpT10_ENKUlT_T0_E_clISt17integral_constantIbLb1EES17_EEDaS12_S13_EUlS12_E_NS1_11comp_targetILNS1_3genE10ELNS1_11target_archE1200ELNS1_3gpuE4ELNS1_3repE0EEENS1_30default_config_static_selectorELNS0_4arch9wavefront6targetE0EEEvT1_.uses_flat_scratch, 0
	.set _ZN7rocprim17ROCPRIM_400000_NS6detail17trampoline_kernelINS0_14default_configENS1_25partition_config_selectorILNS1_17partition_subalgoE8EaNS0_10empty_typeEbEEZZNS1_14partition_implILS5_8ELb0ES3_jPKaPS6_PKS6_NS0_5tupleIJPaS6_EEENSE_IJSB_SB_EEENS0_18inequality_wrapperIN6hipcub16HIPCUB_304000_NS8EqualityEEEPlJS6_EEE10hipError_tPvRmT3_T4_T5_T6_T7_T9_mT8_P12ihipStream_tbDpT10_ENKUlT_T0_E_clISt17integral_constantIbLb1EES17_EEDaS12_S13_EUlS12_E_NS1_11comp_targetILNS1_3genE10ELNS1_11target_archE1200ELNS1_3gpuE4ELNS1_3repE0EEENS1_30default_config_static_selectorELNS0_4arch9wavefront6targetE0EEEvT1_.has_dyn_sized_stack, 0
	.set _ZN7rocprim17ROCPRIM_400000_NS6detail17trampoline_kernelINS0_14default_configENS1_25partition_config_selectorILNS1_17partition_subalgoE8EaNS0_10empty_typeEbEEZZNS1_14partition_implILS5_8ELb0ES3_jPKaPS6_PKS6_NS0_5tupleIJPaS6_EEENSE_IJSB_SB_EEENS0_18inequality_wrapperIN6hipcub16HIPCUB_304000_NS8EqualityEEEPlJS6_EEE10hipError_tPvRmT3_T4_T5_T6_T7_T9_mT8_P12ihipStream_tbDpT10_ENKUlT_T0_E_clISt17integral_constantIbLb1EES17_EEDaS12_S13_EUlS12_E_NS1_11comp_targetILNS1_3genE10ELNS1_11target_archE1200ELNS1_3gpuE4ELNS1_3repE0EEENS1_30default_config_static_selectorELNS0_4arch9wavefront6targetE0EEEvT1_.has_recursion, 0
	.set _ZN7rocprim17ROCPRIM_400000_NS6detail17trampoline_kernelINS0_14default_configENS1_25partition_config_selectorILNS1_17partition_subalgoE8EaNS0_10empty_typeEbEEZZNS1_14partition_implILS5_8ELb0ES3_jPKaPS6_PKS6_NS0_5tupleIJPaS6_EEENSE_IJSB_SB_EEENS0_18inequality_wrapperIN6hipcub16HIPCUB_304000_NS8EqualityEEEPlJS6_EEE10hipError_tPvRmT3_T4_T5_T6_T7_T9_mT8_P12ihipStream_tbDpT10_ENKUlT_T0_E_clISt17integral_constantIbLb1EES17_EEDaS12_S13_EUlS12_E_NS1_11comp_targetILNS1_3genE10ELNS1_11target_archE1200ELNS1_3gpuE4ELNS1_3repE0EEENS1_30default_config_static_selectorELNS0_4arch9wavefront6targetE0EEEvT1_.has_indirect_call, 0
	.section	.AMDGPU.csdata,"",@progbits
; Kernel info:
; codeLenInByte = 0
; TotalNumSgprs: 0
; NumVgprs: 0
; ScratchSize: 0
; MemoryBound: 0
; FloatMode: 240
; IeeeMode: 1
; LDSByteSize: 0 bytes/workgroup (compile time only)
; SGPRBlocks: 0
; VGPRBlocks: 0
; NumSGPRsForWavesPerEU: 1
; NumVGPRsForWavesPerEU: 1
; NamedBarCnt: 0
; Occupancy: 16
; WaveLimiterHint : 0
; COMPUTE_PGM_RSRC2:SCRATCH_EN: 0
; COMPUTE_PGM_RSRC2:USER_SGPR: 2
; COMPUTE_PGM_RSRC2:TRAP_HANDLER: 0
; COMPUTE_PGM_RSRC2:TGID_X_EN: 1
; COMPUTE_PGM_RSRC2:TGID_Y_EN: 0
; COMPUTE_PGM_RSRC2:TGID_Z_EN: 0
; COMPUTE_PGM_RSRC2:TIDIG_COMP_CNT: 0
	.section	.text._ZN7rocprim17ROCPRIM_400000_NS6detail17trampoline_kernelINS0_14default_configENS1_25partition_config_selectorILNS1_17partition_subalgoE8EaNS0_10empty_typeEbEEZZNS1_14partition_implILS5_8ELb0ES3_jPKaPS6_PKS6_NS0_5tupleIJPaS6_EEENSE_IJSB_SB_EEENS0_18inequality_wrapperIN6hipcub16HIPCUB_304000_NS8EqualityEEEPlJS6_EEE10hipError_tPvRmT3_T4_T5_T6_T7_T9_mT8_P12ihipStream_tbDpT10_ENKUlT_T0_E_clISt17integral_constantIbLb1EES17_EEDaS12_S13_EUlS12_E_NS1_11comp_targetILNS1_3genE9ELNS1_11target_archE1100ELNS1_3gpuE3ELNS1_3repE0EEENS1_30default_config_static_selectorELNS0_4arch9wavefront6targetE0EEEvT1_,"axG",@progbits,_ZN7rocprim17ROCPRIM_400000_NS6detail17trampoline_kernelINS0_14default_configENS1_25partition_config_selectorILNS1_17partition_subalgoE8EaNS0_10empty_typeEbEEZZNS1_14partition_implILS5_8ELb0ES3_jPKaPS6_PKS6_NS0_5tupleIJPaS6_EEENSE_IJSB_SB_EEENS0_18inequality_wrapperIN6hipcub16HIPCUB_304000_NS8EqualityEEEPlJS6_EEE10hipError_tPvRmT3_T4_T5_T6_T7_T9_mT8_P12ihipStream_tbDpT10_ENKUlT_T0_E_clISt17integral_constantIbLb1EES17_EEDaS12_S13_EUlS12_E_NS1_11comp_targetILNS1_3genE9ELNS1_11target_archE1100ELNS1_3gpuE3ELNS1_3repE0EEENS1_30default_config_static_selectorELNS0_4arch9wavefront6targetE0EEEvT1_,comdat
	.protected	_ZN7rocprim17ROCPRIM_400000_NS6detail17trampoline_kernelINS0_14default_configENS1_25partition_config_selectorILNS1_17partition_subalgoE8EaNS0_10empty_typeEbEEZZNS1_14partition_implILS5_8ELb0ES3_jPKaPS6_PKS6_NS0_5tupleIJPaS6_EEENSE_IJSB_SB_EEENS0_18inequality_wrapperIN6hipcub16HIPCUB_304000_NS8EqualityEEEPlJS6_EEE10hipError_tPvRmT3_T4_T5_T6_T7_T9_mT8_P12ihipStream_tbDpT10_ENKUlT_T0_E_clISt17integral_constantIbLb1EES17_EEDaS12_S13_EUlS12_E_NS1_11comp_targetILNS1_3genE9ELNS1_11target_archE1100ELNS1_3gpuE3ELNS1_3repE0EEENS1_30default_config_static_selectorELNS0_4arch9wavefront6targetE0EEEvT1_ ; -- Begin function _ZN7rocprim17ROCPRIM_400000_NS6detail17trampoline_kernelINS0_14default_configENS1_25partition_config_selectorILNS1_17partition_subalgoE8EaNS0_10empty_typeEbEEZZNS1_14partition_implILS5_8ELb0ES3_jPKaPS6_PKS6_NS0_5tupleIJPaS6_EEENSE_IJSB_SB_EEENS0_18inequality_wrapperIN6hipcub16HIPCUB_304000_NS8EqualityEEEPlJS6_EEE10hipError_tPvRmT3_T4_T5_T6_T7_T9_mT8_P12ihipStream_tbDpT10_ENKUlT_T0_E_clISt17integral_constantIbLb1EES17_EEDaS12_S13_EUlS12_E_NS1_11comp_targetILNS1_3genE9ELNS1_11target_archE1100ELNS1_3gpuE3ELNS1_3repE0EEENS1_30default_config_static_selectorELNS0_4arch9wavefront6targetE0EEEvT1_
	.globl	_ZN7rocprim17ROCPRIM_400000_NS6detail17trampoline_kernelINS0_14default_configENS1_25partition_config_selectorILNS1_17partition_subalgoE8EaNS0_10empty_typeEbEEZZNS1_14partition_implILS5_8ELb0ES3_jPKaPS6_PKS6_NS0_5tupleIJPaS6_EEENSE_IJSB_SB_EEENS0_18inequality_wrapperIN6hipcub16HIPCUB_304000_NS8EqualityEEEPlJS6_EEE10hipError_tPvRmT3_T4_T5_T6_T7_T9_mT8_P12ihipStream_tbDpT10_ENKUlT_T0_E_clISt17integral_constantIbLb1EES17_EEDaS12_S13_EUlS12_E_NS1_11comp_targetILNS1_3genE9ELNS1_11target_archE1100ELNS1_3gpuE3ELNS1_3repE0EEENS1_30default_config_static_selectorELNS0_4arch9wavefront6targetE0EEEvT1_
	.p2align	8
	.type	_ZN7rocprim17ROCPRIM_400000_NS6detail17trampoline_kernelINS0_14default_configENS1_25partition_config_selectorILNS1_17partition_subalgoE8EaNS0_10empty_typeEbEEZZNS1_14partition_implILS5_8ELb0ES3_jPKaPS6_PKS6_NS0_5tupleIJPaS6_EEENSE_IJSB_SB_EEENS0_18inequality_wrapperIN6hipcub16HIPCUB_304000_NS8EqualityEEEPlJS6_EEE10hipError_tPvRmT3_T4_T5_T6_T7_T9_mT8_P12ihipStream_tbDpT10_ENKUlT_T0_E_clISt17integral_constantIbLb1EES17_EEDaS12_S13_EUlS12_E_NS1_11comp_targetILNS1_3genE9ELNS1_11target_archE1100ELNS1_3gpuE3ELNS1_3repE0EEENS1_30default_config_static_selectorELNS0_4arch9wavefront6targetE0EEEvT1_,@function
_ZN7rocprim17ROCPRIM_400000_NS6detail17trampoline_kernelINS0_14default_configENS1_25partition_config_selectorILNS1_17partition_subalgoE8EaNS0_10empty_typeEbEEZZNS1_14partition_implILS5_8ELb0ES3_jPKaPS6_PKS6_NS0_5tupleIJPaS6_EEENSE_IJSB_SB_EEENS0_18inequality_wrapperIN6hipcub16HIPCUB_304000_NS8EqualityEEEPlJS6_EEE10hipError_tPvRmT3_T4_T5_T6_T7_T9_mT8_P12ihipStream_tbDpT10_ENKUlT_T0_E_clISt17integral_constantIbLb1EES17_EEDaS12_S13_EUlS12_E_NS1_11comp_targetILNS1_3genE9ELNS1_11target_archE1100ELNS1_3gpuE3ELNS1_3repE0EEENS1_30default_config_static_selectorELNS0_4arch9wavefront6targetE0EEEvT1_: ; @_ZN7rocprim17ROCPRIM_400000_NS6detail17trampoline_kernelINS0_14default_configENS1_25partition_config_selectorILNS1_17partition_subalgoE8EaNS0_10empty_typeEbEEZZNS1_14partition_implILS5_8ELb0ES3_jPKaPS6_PKS6_NS0_5tupleIJPaS6_EEENSE_IJSB_SB_EEENS0_18inequality_wrapperIN6hipcub16HIPCUB_304000_NS8EqualityEEEPlJS6_EEE10hipError_tPvRmT3_T4_T5_T6_T7_T9_mT8_P12ihipStream_tbDpT10_ENKUlT_T0_E_clISt17integral_constantIbLb1EES17_EEDaS12_S13_EUlS12_E_NS1_11comp_targetILNS1_3genE9ELNS1_11target_archE1100ELNS1_3gpuE3ELNS1_3repE0EEENS1_30default_config_static_selectorELNS0_4arch9wavefront6targetE0EEEvT1_
; %bb.0:
	.section	.rodata,"a",@progbits
	.p2align	6, 0x0
	.amdhsa_kernel _ZN7rocprim17ROCPRIM_400000_NS6detail17trampoline_kernelINS0_14default_configENS1_25partition_config_selectorILNS1_17partition_subalgoE8EaNS0_10empty_typeEbEEZZNS1_14partition_implILS5_8ELb0ES3_jPKaPS6_PKS6_NS0_5tupleIJPaS6_EEENSE_IJSB_SB_EEENS0_18inequality_wrapperIN6hipcub16HIPCUB_304000_NS8EqualityEEEPlJS6_EEE10hipError_tPvRmT3_T4_T5_T6_T7_T9_mT8_P12ihipStream_tbDpT10_ENKUlT_T0_E_clISt17integral_constantIbLb1EES17_EEDaS12_S13_EUlS12_E_NS1_11comp_targetILNS1_3genE9ELNS1_11target_archE1100ELNS1_3gpuE3ELNS1_3repE0EEENS1_30default_config_static_selectorELNS0_4arch9wavefront6targetE0EEEvT1_
		.amdhsa_group_segment_fixed_size 0
		.amdhsa_private_segment_fixed_size 0
		.amdhsa_kernarg_size 128
		.amdhsa_user_sgpr_count 2
		.amdhsa_user_sgpr_dispatch_ptr 0
		.amdhsa_user_sgpr_queue_ptr 0
		.amdhsa_user_sgpr_kernarg_segment_ptr 1
		.amdhsa_user_sgpr_dispatch_id 0
		.amdhsa_user_sgpr_kernarg_preload_length 0
		.amdhsa_user_sgpr_kernarg_preload_offset 0
		.amdhsa_user_sgpr_private_segment_size 0
		.amdhsa_wavefront_size32 1
		.amdhsa_uses_dynamic_stack 0
		.amdhsa_enable_private_segment 0
		.amdhsa_system_sgpr_workgroup_id_x 1
		.amdhsa_system_sgpr_workgroup_id_y 0
		.amdhsa_system_sgpr_workgroup_id_z 0
		.amdhsa_system_sgpr_workgroup_info 0
		.amdhsa_system_vgpr_workitem_id 0
		.amdhsa_next_free_vgpr 1
		.amdhsa_next_free_sgpr 1
		.amdhsa_named_barrier_count 0
		.amdhsa_reserve_vcc 0
		.amdhsa_float_round_mode_32 0
		.amdhsa_float_round_mode_16_64 0
		.amdhsa_float_denorm_mode_32 3
		.amdhsa_float_denorm_mode_16_64 3
		.amdhsa_fp16_overflow 0
		.amdhsa_memory_ordered 1
		.amdhsa_forward_progress 1
		.amdhsa_inst_pref_size 0
		.amdhsa_round_robin_scheduling 0
		.amdhsa_exception_fp_ieee_invalid_op 0
		.amdhsa_exception_fp_denorm_src 0
		.amdhsa_exception_fp_ieee_div_zero 0
		.amdhsa_exception_fp_ieee_overflow 0
		.amdhsa_exception_fp_ieee_underflow 0
		.amdhsa_exception_fp_ieee_inexact 0
		.amdhsa_exception_int_div_zero 0
	.end_amdhsa_kernel
	.section	.text._ZN7rocprim17ROCPRIM_400000_NS6detail17trampoline_kernelINS0_14default_configENS1_25partition_config_selectorILNS1_17partition_subalgoE8EaNS0_10empty_typeEbEEZZNS1_14partition_implILS5_8ELb0ES3_jPKaPS6_PKS6_NS0_5tupleIJPaS6_EEENSE_IJSB_SB_EEENS0_18inequality_wrapperIN6hipcub16HIPCUB_304000_NS8EqualityEEEPlJS6_EEE10hipError_tPvRmT3_T4_T5_T6_T7_T9_mT8_P12ihipStream_tbDpT10_ENKUlT_T0_E_clISt17integral_constantIbLb1EES17_EEDaS12_S13_EUlS12_E_NS1_11comp_targetILNS1_3genE9ELNS1_11target_archE1100ELNS1_3gpuE3ELNS1_3repE0EEENS1_30default_config_static_selectorELNS0_4arch9wavefront6targetE0EEEvT1_,"axG",@progbits,_ZN7rocprim17ROCPRIM_400000_NS6detail17trampoline_kernelINS0_14default_configENS1_25partition_config_selectorILNS1_17partition_subalgoE8EaNS0_10empty_typeEbEEZZNS1_14partition_implILS5_8ELb0ES3_jPKaPS6_PKS6_NS0_5tupleIJPaS6_EEENSE_IJSB_SB_EEENS0_18inequality_wrapperIN6hipcub16HIPCUB_304000_NS8EqualityEEEPlJS6_EEE10hipError_tPvRmT3_T4_T5_T6_T7_T9_mT8_P12ihipStream_tbDpT10_ENKUlT_T0_E_clISt17integral_constantIbLb1EES17_EEDaS12_S13_EUlS12_E_NS1_11comp_targetILNS1_3genE9ELNS1_11target_archE1100ELNS1_3gpuE3ELNS1_3repE0EEENS1_30default_config_static_selectorELNS0_4arch9wavefront6targetE0EEEvT1_,comdat
.Lfunc_end217:
	.size	_ZN7rocprim17ROCPRIM_400000_NS6detail17trampoline_kernelINS0_14default_configENS1_25partition_config_selectorILNS1_17partition_subalgoE8EaNS0_10empty_typeEbEEZZNS1_14partition_implILS5_8ELb0ES3_jPKaPS6_PKS6_NS0_5tupleIJPaS6_EEENSE_IJSB_SB_EEENS0_18inequality_wrapperIN6hipcub16HIPCUB_304000_NS8EqualityEEEPlJS6_EEE10hipError_tPvRmT3_T4_T5_T6_T7_T9_mT8_P12ihipStream_tbDpT10_ENKUlT_T0_E_clISt17integral_constantIbLb1EES17_EEDaS12_S13_EUlS12_E_NS1_11comp_targetILNS1_3genE9ELNS1_11target_archE1100ELNS1_3gpuE3ELNS1_3repE0EEENS1_30default_config_static_selectorELNS0_4arch9wavefront6targetE0EEEvT1_, .Lfunc_end217-_ZN7rocprim17ROCPRIM_400000_NS6detail17trampoline_kernelINS0_14default_configENS1_25partition_config_selectorILNS1_17partition_subalgoE8EaNS0_10empty_typeEbEEZZNS1_14partition_implILS5_8ELb0ES3_jPKaPS6_PKS6_NS0_5tupleIJPaS6_EEENSE_IJSB_SB_EEENS0_18inequality_wrapperIN6hipcub16HIPCUB_304000_NS8EqualityEEEPlJS6_EEE10hipError_tPvRmT3_T4_T5_T6_T7_T9_mT8_P12ihipStream_tbDpT10_ENKUlT_T0_E_clISt17integral_constantIbLb1EES17_EEDaS12_S13_EUlS12_E_NS1_11comp_targetILNS1_3genE9ELNS1_11target_archE1100ELNS1_3gpuE3ELNS1_3repE0EEENS1_30default_config_static_selectorELNS0_4arch9wavefront6targetE0EEEvT1_
                                        ; -- End function
	.set _ZN7rocprim17ROCPRIM_400000_NS6detail17trampoline_kernelINS0_14default_configENS1_25partition_config_selectorILNS1_17partition_subalgoE8EaNS0_10empty_typeEbEEZZNS1_14partition_implILS5_8ELb0ES3_jPKaPS6_PKS6_NS0_5tupleIJPaS6_EEENSE_IJSB_SB_EEENS0_18inequality_wrapperIN6hipcub16HIPCUB_304000_NS8EqualityEEEPlJS6_EEE10hipError_tPvRmT3_T4_T5_T6_T7_T9_mT8_P12ihipStream_tbDpT10_ENKUlT_T0_E_clISt17integral_constantIbLb1EES17_EEDaS12_S13_EUlS12_E_NS1_11comp_targetILNS1_3genE9ELNS1_11target_archE1100ELNS1_3gpuE3ELNS1_3repE0EEENS1_30default_config_static_selectorELNS0_4arch9wavefront6targetE0EEEvT1_.num_vgpr, 0
	.set _ZN7rocprim17ROCPRIM_400000_NS6detail17trampoline_kernelINS0_14default_configENS1_25partition_config_selectorILNS1_17partition_subalgoE8EaNS0_10empty_typeEbEEZZNS1_14partition_implILS5_8ELb0ES3_jPKaPS6_PKS6_NS0_5tupleIJPaS6_EEENSE_IJSB_SB_EEENS0_18inequality_wrapperIN6hipcub16HIPCUB_304000_NS8EqualityEEEPlJS6_EEE10hipError_tPvRmT3_T4_T5_T6_T7_T9_mT8_P12ihipStream_tbDpT10_ENKUlT_T0_E_clISt17integral_constantIbLb1EES17_EEDaS12_S13_EUlS12_E_NS1_11comp_targetILNS1_3genE9ELNS1_11target_archE1100ELNS1_3gpuE3ELNS1_3repE0EEENS1_30default_config_static_selectorELNS0_4arch9wavefront6targetE0EEEvT1_.num_agpr, 0
	.set _ZN7rocprim17ROCPRIM_400000_NS6detail17trampoline_kernelINS0_14default_configENS1_25partition_config_selectorILNS1_17partition_subalgoE8EaNS0_10empty_typeEbEEZZNS1_14partition_implILS5_8ELb0ES3_jPKaPS6_PKS6_NS0_5tupleIJPaS6_EEENSE_IJSB_SB_EEENS0_18inequality_wrapperIN6hipcub16HIPCUB_304000_NS8EqualityEEEPlJS6_EEE10hipError_tPvRmT3_T4_T5_T6_T7_T9_mT8_P12ihipStream_tbDpT10_ENKUlT_T0_E_clISt17integral_constantIbLb1EES17_EEDaS12_S13_EUlS12_E_NS1_11comp_targetILNS1_3genE9ELNS1_11target_archE1100ELNS1_3gpuE3ELNS1_3repE0EEENS1_30default_config_static_selectorELNS0_4arch9wavefront6targetE0EEEvT1_.numbered_sgpr, 0
	.set _ZN7rocprim17ROCPRIM_400000_NS6detail17trampoline_kernelINS0_14default_configENS1_25partition_config_selectorILNS1_17partition_subalgoE8EaNS0_10empty_typeEbEEZZNS1_14partition_implILS5_8ELb0ES3_jPKaPS6_PKS6_NS0_5tupleIJPaS6_EEENSE_IJSB_SB_EEENS0_18inequality_wrapperIN6hipcub16HIPCUB_304000_NS8EqualityEEEPlJS6_EEE10hipError_tPvRmT3_T4_T5_T6_T7_T9_mT8_P12ihipStream_tbDpT10_ENKUlT_T0_E_clISt17integral_constantIbLb1EES17_EEDaS12_S13_EUlS12_E_NS1_11comp_targetILNS1_3genE9ELNS1_11target_archE1100ELNS1_3gpuE3ELNS1_3repE0EEENS1_30default_config_static_selectorELNS0_4arch9wavefront6targetE0EEEvT1_.num_named_barrier, 0
	.set _ZN7rocprim17ROCPRIM_400000_NS6detail17trampoline_kernelINS0_14default_configENS1_25partition_config_selectorILNS1_17partition_subalgoE8EaNS0_10empty_typeEbEEZZNS1_14partition_implILS5_8ELb0ES3_jPKaPS6_PKS6_NS0_5tupleIJPaS6_EEENSE_IJSB_SB_EEENS0_18inequality_wrapperIN6hipcub16HIPCUB_304000_NS8EqualityEEEPlJS6_EEE10hipError_tPvRmT3_T4_T5_T6_T7_T9_mT8_P12ihipStream_tbDpT10_ENKUlT_T0_E_clISt17integral_constantIbLb1EES17_EEDaS12_S13_EUlS12_E_NS1_11comp_targetILNS1_3genE9ELNS1_11target_archE1100ELNS1_3gpuE3ELNS1_3repE0EEENS1_30default_config_static_selectorELNS0_4arch9wavefront6targetE0EEEvT1_.private_seg_size, 0
	.set _ZN7rocprim17ROCPRIM_400000_NS6detail17trampoline_kernelINS0_14default_configENS1_25partition_config_selectorILNS1_17partition_subalgoE8EaNS0_10empty_typeEbEEZZNS1_14partition_implILS5_8ELb0ES3_jPKaPS6_PKS6_NS0_5tupleIJPaS6_EEENSE_IJSB_SB_EEENS0_18inequality_wrapperIN6hipcub16HIPCUB_304000_NS8EqualityEEEPlJS6_EEE10hipError_tPvRmT3_T4_T5_T6_T7_T9_mT8_P12ihipStream_tbDpT10_ENKUlT_T0_E_clISt17integral_constantIbLb1EES17_EEDaS12_S13_EUlS12_E_NS1_11comp_targetILNS1_3genE9ELNS1_11target_archE1100ELNS1_3gpuE3ELNS1_3repE0EEENS1_30default_config_static_selectorELNS0_4arch9wavefront6targetE0EEEvT1_.uses_vcc, 0
	.set _ZN7rocprim17ROCPRIM_400000_NS6detail17trampoline_kernelINS0_14default_configENS1_25partition_config_selectorILNS1_17partition_subalgoE8EaNS0_10empty_typeEbEEZZNS1_14partition_implILS5_8ELb0ES3_jPKaPS6_PKS6_NS0_5tupleIJPaS6_EEENSE_IJSB_SB_EEENS0_18inequality_wrapperIN6hipcub16HIPCUB_304000_NS8EqualityEEEPlJS6_EEE10hipError_tPvRmT3_T4_T5_T6_T7_T9_mT8_P12ihipStream_tbDpT10_ENKUlT_T0_E_clISt17integral_constantIbLb1EES17_EEDaS12_S13_EUlS12_E_NS1_11comp_targetILNS1_3genE9ELNS1_11target_archE1100ELNS1_3gpuE3ELNS1_3repE0EEENS1_30default_config_static_selectorELNS0_4arch9wavefront6targetE0EEEvT1_.uses_flat_scratch, 0
	.set _ZN7rocprim17ROCPRIM_400000_NS6detail17trampoline_kernelINS0_14default_configENS1_25partition_config_selectorILNS1_17partition_subalgoE8EaNS0_10empty_typeEbEEZZNS1_14partition_implILS5_8ELb0ES3_jPKaPS6_PKS6_NS0_5tupleIJPaS6_EEENSE_IJSB_SB_EEENS0_18inequality_wrapperIN6hipcub16HIPCUB_304000_NS8EqualityEEEPlJS6_EEE10hipError_tPvRmT3_T4_T5_T6_T7_T9_mT8_P12ihipStream_tbDpT10_ENKUlT_T0_E_clISt17integral_constantIbLb1EES17_EEDaS12_S13_EUlS12_E_NS1_11comp_targetILNS1_3genE9ELNS1_11target_archE1100ELNS1_3gpuE3ELNS1_3repE0EEENS1_30default_config_static_selectorELNS0_4arch9wavefront6targetE0EEEvT1_.has_dyn_sized_stack, 0
	.set _ZN7rocprim17ROCPRIM_400000_NS6detail17trampoline_kernelINS0_14default_configENS1_25partition_config_selectorILNS1_17partition_subalgoE8EaNS0_10empty_typeEbEEZZNS1_14partition_implILS5_8ELb0ES3_jPKaPS6_PKS6_NS0_5tupleIJPaS6_EEENSE_IJSB_SB_EEENS0_18inequality_wrapperIN6hipcub16HIPCUB_304000_NS8EqualityEEEPlJS6_EEE10hipError_tPvRmT3_T4_T5_T6_T7_T9_mT8_P12ihipStream_tbDpT10_ENKUlT_T0_E_clISt17integral_constantIbLb1EES17_EEDaS12_S13_EUlS12_E_NS1_11comp_targetILNS1_3genE9ELNS1_11target_archE1100ELNS1_3gpuE3ELNS1_3repE0EEENS1_30default_config_static_selectorELNS0_4arch9wavefront6targetE0EEEvT1_.has_recursion, 0
	.set _ZN7rocprim17ROCPRIM_400000_NS6detail17trampoline_kernelINS0_14default_configENS1_25partition_config_selectorILNS1_17partition_subalgoE8EaNS0_10empty_typeEbEEZZNS1_14partition_implILS5_8ELb0ES3_jPKaPS6_PKS6_NS0_5tupleIJPaS6_EEENSE_IJSB_SB_EEENS0_18inequality_wrapperIN6hipcub16HIPCUB_304000_NS8EqualityEEEPlJS6_EEE10hipError_tPvRmT3_T4_T5_T6_T7_T9_mT8_P12ihipStream_tbDpT10_ENKUlT_T0_E_clISt17integral_constantIbLb1EES17_EEDaS12_S13_EUlS12_E_NS1_11comp_targetILNS1_3genE9ELNS1_11target_archE1100ELNS1_3gpuE3ELNS1_3repE0EEENS1_30default_config_static_selectorELNS0_4arch9wavefront6targetE0EEEvT1_.has_indirect_call, 0
	.section	.AMDGPU.csdata,"",@progbits
; Kernel info:
; codeLenInByte = 0
; TotalNumSgprs: 0
; NumVgprs: 0
; ScratchSize: 0
; MemoryBound: 0
; FloatMode: 240
; IeeeMode: 1
; LDSByteSize: 0 bytes/workgroup (compile time only)
; SGPRBlocks: 0
; VGPRBlocks: 0
; NumSGPRsForWavesPerEU: 1
; NumVGPRsForWavesPerEU: 1
; NamedBarCnt: 0
; Occupancy: 16
; WaveLimiterHint : 0
; COMPUTE_PGM_RSRC2:SCRATCH_EN: 0
; COMPUTE_PGM_RSRC2:USER_SGPR: 2
; COMPUTE_PGM_RSRC2:TRAP_HANDLER: 0
; COMPUTE_PGM_RSRC2:TGID_X_EN: 1
; COMPUTE_PGM_RSRC2:TGID_Y_EN: 0
; COMPUTE_PGM_RSRC2:TGID_Z_EN: 0
; COMPUTE_PGM_RSRC2:TIDIG_COMP_CNT: 0
	.section	.text._ZN7rocprim17ROCPRIM_400000_NS6detail17trampoline_kernelINS0_14default_configENS1_25partition_config_selectorILNS1_17partition_subalgoE8EaNS0_10empty_typeEbEEZZNS1_14partition_implILS5_8ELb0ES3_jPKaPS6_PKS6_NS0_5tupleIJPaS6_EEENSE_IJSB_SB_EEENS0_18inequality_wrapperIN6hipcub16HIPCUB_304000_NS8EqualityEEEPlJS6_EEE10hipError_tPvRmT3_T4_T5_T6_T7_T9_mT8_P12ihipStream_tbDpT10_ENKUlT_T0_E_clISt17integral_constantIbLb1EES17_EEDaS12_S13_EUlS12_E_NS1_11comp_targetILNS1_3genE8ELNS1_11target_archE1030ELNS1_3gpuE2ELNS1_3repE0EEENS1_30default_config_static_selectorELNS0_4arch9wavefront6targetE0EEEvT1_,"axG",@progbits,_ZN7rocprim17ROCPRIM_400000_NS6detail17trampoline_kernelINS0_14default_configENS1_25partition_config_selectorILNS1_17partition_subalgoE8EaNS0_10empty_typeEbEEZZNS1_14partition_implILS5_8ELb0ES3_jPKaPS6_PKS6_NS0_5tupleIJPaS6_EEENSE_IJSB_SB_EEENS0_18inequality_wrapperIN6hipcub16HIPCUB_304000_NS8EqualityEEEPlJS6_EEE10hipError_tPvRmT3_T4_T5_T6_T7_T9_mT8_P12ihipStream_tbDpT10_ENKUlT_T0_E_clISt17integral_constantIbLb1EES17_EEDaS12_S13_EUlS12_E_NS1_11comp_targetILNS1_3genE8ELNS1_11target_archE1030ELNS1_3gpuE2ELNS1_3repE0EEENS1_30default_config_static_selectorELNS0_4arch9wavefront6targetE0EEEvT1_,comdat
	.protected	_ZN7rocprim17ROCPRIM_400000_NS6detail17trampoline_kernelINS0_14default_configENS1_25partition_config_selectorILNS1_17partition_subalgoE8EaNS0_10empty_typeEbEEZZNS1_14partition_implILS5_8ELb0ES3_jPKaPS6_PKS6_NS0_5tupleIJPaS6_EEENSE_IJSB_SB_EEENS0_18inequality_wrapperIN6hipcub16HIPCUB_304000_NS8EqualityEEEPlJS6_EEE10hipError_tPvRmT3_T4_T5_T6_T7_T9_mT8_P12ihipStream_tbDpT10_ENKUlT_T0_E_clISt17integral_constantIbLb1EES17_EEDaS12_S13_EUlS12_E_NS1_11comp_targetILNS1_3genE8ELNS1_11target_archE1030ELNS1_3gpuE2ELNS1_3repE0EEENS1_30default_config_static_selectorELNS0_4arch9wavefront6targetE0EEEvT1_ ; -- Begin function _ZN7rocprim17ROCPRIM_400000_NS6detail17trampoline_kernelINS0_14default_configENS1_25partition_config_selectorILNS1_17partition_subalgoE8EaNS0_10empty_typeEbEEZZNS1_14partition_implILS5_8ELb0ES3_jPKaPS6_PKS6_NS0_5tupleIJPaS6_EEENSE_IJSB_SB_EEENS0_18inequality_wrapperIN6hipcub16HIPCUB_304000_NS8EqualityEEEPlJS6_EEE10hipError_tPvRmT3_T4_T5_T6_T7_T9_mT8_P12ihipStream_tbDpT10_ENKUlT_T0_E_clISt17integral_constantIbLb1EES17_EEDaS12_S13_EUlS12_E_NS1_11comp_targetILNS1_3genE8ELNS1_11target_archE1030ELNS1_3gpuE2ELNS1_3repE0EEENS1_30default_config_static_selectorELNS0_4arch9wavefront6targetE0EEEvT1_
	.globl	_ZN7rocprim17ROCPRIM_400000_NS6detail17trampoline_kernelINS0_14default_configENS1_25partition_config_selectorILNS1_17partition_subalgoE8EaNS0_10empty_typeEbEEZZNS1_14partition_implILS5_8ELb0ES3_jPKaPS6_PKS6_NS0_5tupleIJPaS6_EEENSE_IJSB_SB_EEENS0_18inequality_wrapperIN6hipcub16HIPCUB_304000_NS8EqualityEEEPlJS6_EEE10hipError_tPvRmT3_T4_T5_T6_T7_T9_mT8_P12ihipStream_tbDpT10_ENKUlT_T0_E_clISt17integral_constantIbLb1EES17_EEDaS12_S13_EUlS12_E_NS1_11comp_targetILNS1_3genE8ELNS1_11target_archE1030ELNS1_3gpuE2ELNS1_3repE0EEENS1_30default_config_static_selectorELNS0_4arch9wavefront6targetE0EEEvT1_
	.p2align	8
	.type	_ZN7rocprim17ROCPRIM_400000_NS6detail17trampoline_kernelINS0_14default_configENS1_25partition_config_selectorILNS1_17partition_subalgoE8EaNS0_10empty_typeEbEEZZNS1_14partition_implILS5_8ELb0ES3_jPKaPS6_PKS6_NS0_5tupleIJPaS6_EEENSE_IJSB_SB_EEENS0_18inequality_wrapperIN6hipcub16HIPCUB_304000_NS8EqualityEEEPlJS6_EEE10hipError_tPvRmT3_T4_T5_T6_T7_T9_mT8_P12ihipStream_tbDpT10_ENKUlT_T0_E_clISt17integral_constantIbLb1EES17_EEDaS12_S13_EUlS12_E_NS1_11comp_targetILNS1_3genE8ELNS1_11target_archE1030ELNS1_3gpuE2ELNS1_3repE0EEENS1_30default_config_static_selectorELNS0_4arch9wavefront6targetE0EEEvT1_,@function
_ZN7rocprim17ROCPRIM_400000_NS6detail17trampoline_kernelINS0_14default_configENS1_25partition_config_selectorILNS1_17partition_subalgoE8EaNS0_10empty_typeEbEEZZNS1_14partition_implILS5_8ELb0ES3_jPKaPS6_PKS6_NS0_5tupleIJPaS6_EEENSE_IJSB_SB_EEENS0_18inequality_wrapperIN6hipcub16HIPCUB_304000_NS8EqualityEEEPlJS6_EEE10hipError_tPvRmT3_T4_T5_T6_T7_T9_mT8_P12ihipStream_tbDpT10_ENKUlT_T0_E_clISt17integral_constantIbLb1EES17_EEDaS12_S13_EUlS12_E_NS1_11comp_targetILNS1_3genE8ELNS1_11target_archE1030ELNS1_3gpuE2ELNS1_3repE0EEENS1_30default_config_static_selectorELNS0_4arch9wavefront6targetE0EEEvT1_: ; @_ZN7rocprim17ROCPRIM_400000_NS6detail17trampoline_kernelINS0_14default_configENS1_25partition_config_selectorILNS1_17partition_subalgoE8EaNS0_10empty_typeEbEEZZNS1_14partition_implILS5_8ELb0ES3_jPKaPS6_PKS6_NS0_5tupleIJPaS6_EEENSE_IJSB_SB_EEENS0_18inequality_wrapperIN6hipcub16HIPCUB_304000_NS8EqualityEEEPlJS6_EEE10hipError_tPvRmT3_T4_T5_T6_T7_T9_mT8_P12ihipStream_tbDpT10_ENKUlT_T0_E_clISt17integral_constantIbLb1EES17_EEDaS12_S13_EUlS12_E_NS1_11comp_targetILNS1_3genE8ELNS1_11target_archE1030ELNS1_3gpuE2ELNS1_3repE0EEENS1_30default_config_static_selectorELNS0_4arch9wavefront6targetE0EEEvT1_
; %bb.0:
	.section	.rodata,"a",@progbits
	.p2align	6, 0x0
	.amdhsa_kernel _ZN7rocprim17ROCPRIM_400000_NS6detail17trampoline_kernelINS0_14default_configENS1_25partition_config_selectorILNS1_17partition_subalgoE8EaNS0_10empty_typeEbEEZZNS1_14partition_implILS5_8ELb0ES3_jPKaPS6_PKS6_NS0_5tupleIJPaS6_EEENSE_IJSB_SB_EEENS0_18inequality_wrapperIN6hipcub16HIPCUB_304000_NS8EqualityEEEPlJS6_EEE10hipError_tPvRmT3_T4_T5_T6_T7_T9_mT8_P12ihipStream_tbDpT10_ENKUlT_T0_E_clISt17integral_constantIbLb1EES17_EEDaS12_S13_EUlS12_E_NS1_11comp_targetILNS1_3genE8ELNS1_11target_archE1030ELNS1_3gpuE2ELNS1_3repE0EEENS1_30default_config_static_selectorELNS0_4arch9wavefront6targetE0EEEvT1_
		.amdhsa_group_segment_fixed_size 0
		.amdhsa_private_segment_fixed_size 0
		.amdhsa_kernarg_size 128
		.amdhsa_user_sgpr_count 2
		.amdhsa_user_sgpr_dispatch_ptr 0
		.amdhsa_user_sgpr_queue_ptr 0
		.amdhsa_user_sgpr_kernarg_segment_ptr 1
		.amdhsa_user_sgpr_dispatch_id 0
		.amdhsa_user_sgpr_kernarg_preload_length 0
		.amdhsa_user_sgpr_kernarg_preload_offset 0
		.amdhsa_user_sgpr_private_segment_size 0
		.amdhsa_wavefront_size32 1
		.amdhsa_uses_dynamic_stack 0
		.amdhsa_enable_private_segment 0
		.amdhsa_system_sgpr_workgroup_id_x 1
		.amdhsa_system_sgpr_workgroup_id_y 0
		.amdhsa_system_sgpr_workgroup_id_z 0
		.amdhsa_system_sgpr_workgroup_info 0
		.amdhsa_system_vgpr_workitem_id 0
		.amdhsa_next_free_vgpr 1
		.amdhsa_next_free_sgpr 1
		.amdhsa_named_barrier_count 0
		.amdhsa_reserve_vcc 0
		.amdhsa_float_round_mode_32 0
		.amdhsa_float_round_mode_16_64 0
		.amdhsa_float_denorm_mode_32 3
		.amdhsa_float_denorm_mode_16_64 3
		.amdhsa_fp16_overflow 0
		.amdhsa_memory_ordered 1
		.amdhsa_forward_progress 1
		.amdhsa_inst_pref_size 0
		.amdhsa_round_robin_scheduling 0
		.amdhsa_exception_fp_ieee_invalid_op 0
		.amdhsa_exception_fp_denorm_src 0
		.amdhsa_exception_fp_ieee_div_zero 0
		.amdhsa_exception_fp_ieee_overflow 0
		.amdhsa_exception_fp_ieee_underflow 0
		.amdhsa_exception_fp_ieee_inexact 0
		.amdhsa_exception_int_div_zero 0
	.end_amdhsa_kernel
	.section	.text._ZN7rocprim17ROCPRIM_400000_NS6detail17trampoline_kernelINS0_14default_configENS1_25partition_config_selectorILNS1_17partition_subalgoE8EaNS0_10empty_typeEbEEZZNS1_14partition_implILS5_8ELb0ES3_jPKaPS6_PKS6_NS0_5tupleIJPaS6_EEENSE_IJSB_SB_EEENS0_18inequality_wrapperIN6hipcub16HIPCUB_304000_NS8EqualityEEEPlJS6_EEE10hipError_tPvRmT3_T4_T5_T6_T7_T9_mT8_P12ihipStream_tbDpT10_ENKUlT_T0_E_clISt17integral_constantIbLb1EES17_EEDaS12_S13_EUlS12_E_NS1_11comp_targetILNS1_3genE8ELNS1_11target_archE1030ELNS1_3gpuE2ELNS1_3repE0EEENS1_30default_config_static_selectorELNS0_4arch9wavefront6targetE0EEEvT1_,"axG",@progbits,_ZN7rocprim17ROCPRIM_400000_NS6detail17trampoline_kernelINS0_14default_configENS1_25partition_config_selectorILNS1_17partition_subalgoE8EaNS0_10empty_typeEbEEZZNS1_14partition_implILS5_8ELb0ES3_jPKaPS6_PKS6_NS0_5tupleIJPaS6_EEENSE_IJSB_SB_EEENS0_18inequality_wrapperIN6hipcub16HIPCUB_304000_NS8EqualityEEEPlJS6_EEE10hipError_tPvRmT3_T4_T5_T6_T7_T9_mT8_P12ihipStream_tbDpT10_ENKUlT_T0_E_clISt17integral_constantIbLb1EES17_EEDaS12_S13_EUlS12_E_NS1_11comp_targetILNS1_3genE8ELNS1_11target_archE1030ELNS1_3gpuE2ELNS1_3repE0EEENS1_30default_config_static_selectorELNS0_4arch9wavefront6targetE0EEEvT1_,comdat
.Lfunc_end218:
	.size	_ZN7rocprim17ROCPRIM_400000_NS6detail17trampoline_kernelINS0_14default_configENS1_25partition_config_selectorILNS1_17partition_subalgoE8EaNS0_10empty_typeEbEEZZNS1_14partition_implILS5_8ELb0ES3_jPKaPS6_PKS6_NS0_5tupleIJPaS6_EEENSE_IJSB_SB_EEENS0_18inequality_wrapperIN6hipcub16HIPCUB_304000_NS8EqualityEEEPlJS6_EEE10hipError_tPvRmT3_T4_T5_T6_T7_T9_mT8_P12ihipStream_tbDpT10_ENKUlT_T0_E_clISt17integral_constantIbLb1EES17_EEDaS12_S13_EUlS12_E_NS1_11comp_targetILNS1_3genE8ELNS1_11target_archE1030ELNS1_3gpuE2ELNS1_3repE0EEENS1_30default_config_static_selectorELNS0_4arch9wavefront6targetE0EEEvT1_, .Lfunc_end218-_ZN7rocprim17ROCPRIM_400000_NS6detail17trampoline_kernelINS0_14default_configENS1_25partition_config_selectorILNS1_17partition_subalgoE8EaNS0_10empty_typeEbEEZZNS1_14partition_implILS5_8ELb0ES3_jPKaPS6_PKS6_NS0_5tupleIJPaS6_EEENSE_IJSB_SB_EEENS0_18inequality_wrapperIN6hipcub16HIPCUB_304000_NS8EqualityEEEPlJS6_EEE10hipError_tPvRmT3_T4_T5_T6_T7_T9_mT8_P12ihipStream_tbDpT10_ENKUlT_T0_E_clISt17integral_constantIbLb1EES17_EEDaS12_S13_EUlS12_E_NS1_11comp_targetILNS1_3genE8ELNS1_11target_archE1030ELNS1_3gpuE2ELNS1_3repE0EEENS1_30default_config_static_selectorELNS0_4arch9wavefront6targetE0EEEvT1_
                                        ; -- End function
	.set _ZN7rocprim17ROCPRIM_400000_NS6detail17trampoline_kernelINS0_14default_configENS1_25partition_config_selectorILNS1_17partition_subalgoE8EaNS0_10empty_typeEbEEZZNS1_14partition_implILS5_8ELb0ES3_jPKaPS6_PKS6_NS0_5tupleIJPaS6_EEENSE_IJSB_SB_EEENS0_18inequality_wrapperIN6hipcub16HIPCUB_304000_NS8EqualityEEEPlJS6_EEE10hipError_tPvRmT3_T4_T5_T6_T7_T9_mT8_P12ihipStream_tbDpT10_ENKUlT_T0_E_clISt17integral_constantIbLb1EES17_EEDaS12_S13_EUlS12_E_NS1_11comp_targetILNS1_3genE8ELNS1_11target_archE1030ELNS1_3gpuE2ELNS1_3repE0EEENS1_30default_config_static_selectorELNS0_4arch9wavefront6targetE0EEEvT1_.num_vgpr, 0
	.set _ZN7rocprim17ROCPRIM_400000_NS6detail17trampoline_kernelINS0_14default_configENS1_25partition_config_selectorILNS1_17partition_subalgoE8EaNS0_10empty_typeEbEEZZNS1_14partition_implILS5_8ELb0ES3_jPKaPS6_PKS6_NS0_5tupleIJPaS6_EEENSE_IJSB_SB_EEENS0_18inequality_wrapperIN6hipcub16HIPCUB_304000_NS8EqualityEEEPlJS6_EEE10hipError_tPvRmT3_T4_T5_T6_T7_T9_mT8_P12ihipStream_tbDpT10_ENKUlT_T0_E_clISt17integral_constantIbLb1EES17_EEDaS12_S13_EUlS12_E_NS1_11comp_targetILNS1_3genE8ELNS1_11target_archE1030ELNS1_3gpuE2ELNS1_3repE0EEENS1_30default_config_static_selectorELNS0_4arch9wavefront6targetE0EEEvT1_.num_agpr, 0
	.set _ZN7rocprim17ROCPRIM_400000_NS6detail17trampoline_kernelINS0_14default_configENS1_25partition_config_selectorILNS1_17partition_subalgoE8EaNS0_10empty_typeEbEEZZNS1_14partition_implILS5_8ELb0ES3_jPKaPS6_PKS6_NS0_5tupleIJPaS6_EEENSE_IJSB_SB_EEENS0_18inequality_wrapperIN6hipcub16HIPCUB_304000_NS8EqualityEEEPlJS6_EEE10hipError_tPvRmT3_T4_T5_T6_T7_T9_mT8_P12ihipStream_tbDpT10_ENKUlT_T0_E_clISt17integral_constantIbLb1EES17_EEDaS12_S13_EUlS12_E_NS1_11comp_targetILNS1_3genE8ELNS1_11target_archE1030ELNS1_3gpuE2ELNS1_3repE0EEENS1_30default_config_static_selectorELNS0_4arch9wavefront6targetE0EEEvT1_.numbered_sgpr, 0
	.set _ZN7rocprim17ROCPRIM_400000_NS6detail17trampoline_kernelINS0_14default_configENS1_25partition_config_selectorILNS1_17partition_subalgoE8EaNS0_10empty_typeEbEEZZNS1_14partition_implILS5_8ELb0ES3_jPKaPS6_PKS6_NS0_5tupleIJPaS6_EEENSE_IJSB_SB_EEENS0_18inequality_wrapperIN6hipcub16HIPCUB_304000_NS8EqualityEEEPlJS6_EEE10hipError_tPvRmT3_T4_T5_T6_T7_T9_mT8_P12ihipStream_tbDpT10_ENKUlT_T0_E_clISt17integral_constantIbLb1EES17_EEDaS12_S13_EUlS12_E_NS1_11comp_targetILNS1_3genE8ELNS1_11target_archE1030ELNS1_3gpuE2ELNS1_3repE0EEENS1_30default_config_static_selectorELNS0_4arch9wavefront6targetE0EEEvT1_.num_named_barrier, 0
	.set _ZN7rocprim17ROCPRIM_400000_NS6detail17trampoline_kernelINS0_14default_configENS1_25partition_config_selectorILNS1_17partition_subalgoE8EaNS0_10empty_typeEbEEZZNS1_14partition_implILS5_8ELb0ES3_jPKaPS6_PKS6_NS0_5tupleIJPaS6_EEENSE_IJSB_SB_EEENS0_18inequality_wrapperIN6hipcub16HIPCUB_304000_NS8EqualityEEEPlJS6_EEE10hipError_tPvRmT3_T4_T5_T6_T7_T9_mT8_P12ihipStream_tbDpT10_ENKUlT_T0_E_clISt17integral_constantIbLb1EES17_EEDaS12_S13_EUlS12_E_NS1_11comp_targetILNS1_3genE8ELNS1_11target_archE1030ELNS1_3gpuE2ELNS1_3repE0EEENS1_30default_config_static_selectorELNS0_4arch9wavefront6targetE0EEEvT1_.private_seg_size, 0
	.set _ZN7rocprim17ROCPRIM_400000_NS6detail17trampoline_kernelINS0_14default_configENS1_25partition_config_selectorILNS1_17partition_subalgoE8EaNS0_10empty_typeEbEEZZNS1_14partition_implILS5_8ELb0ES3_jPKaPS6_PKS6_NS0_5tupleIJPaS6_EEENSE_IJSB_SB_EEENS0_18inequality_wrapperIN6hipcub16HIPCUB_304000_NS8EqualityEEEPlJS6_EEE10hipError_tPvRmT3_T4_T5_T6_T7_T9_mT8_P12ihipStream_tbDpT10_ENKUlT_T0_E_clISt17integral_constantIbLb1EES17_EEDaS12_S13_EUlS12_E_NS1_11comp_targetILNS1_3genE8ELNS1_11target_archE1030ELNS1_3gpuE2ELNS1_3repE0EEENS1_30default_config_static_selectorELNS0_4arch9wavefront6targetE0EEEvT1_.uses_vcc, 0
	.set _ZN7rocprim17ROCPRIM_400000_NS6detail17trampoline_kernelINS0_14default_configENS1_25partition_config_selectorILNS1_17partition_subalgoE8EaNS0_10empty_typeEbEEZZNS1_14partition_implILS5_8ELb0ES3_jPKaPS6_PKS6_NS0_5tupleIJPaS6_EEENSE_IJSB_SB_EEENS0_18inequality_wrapperIN6hipcub16HIPCUB_304000_NS8EqualityEEEPlJS6_EEE10hipError_tPvRmT3_T4_T5_T6_T7_T9_mT8_P12ihipStream_tbDpT10_ENKUlT_T0_E_clISt17integral_constantIbLb1EES17_EEDaS12_S13_EUlS12_E_NS1_11comp_targetILNS1_3genE8ELNS1_11target_archE1030ELNS1_3gpuE2ELNS1_3repE0EEENS1_30default_config_static_selectorELNS0_4arch9wavefront6targetE0EEEvT1_.uses_flat_scratch, 0
	.set _ZN7rocprim17ROCPRIM_400000_NS6detail17trampoline_kernelINS0_14default_configENS1_25partition_config_selectorILNS1_17partition_subalgoE8EaNS0_10empty_typeEbEEZZNS1_14partition_implILS5_8ELb0ES3_jPKaPS6_PKS6_NS0_5tupleIJPaS6_EEENSE_IJSB_SB_EEENS0_18inequality_wrapperIN6hipcub16HIPCUB_304000_NS8EqualityEEEPlJS6_EEE10hipError_tPvRmT3_T4_T5_T6_T7_T9_mT8_P12ihipStream_tbDpT10_ENKUlT_T0_E_clISt17integral_constantIbLb1EES17_EEDaS12_S13_EUlS12_E_NS1_11comp_targetILNS1_3genE8ELNS1_11target_archE1030ELNS1_3gpuE2ELNS1_3repE0EEENS1_30default_config_static_selectorELNS0_4arch9wavefront6targetE0EEEvT1_.has_dyn_sized_stack, 0
	.set _ZN7rocprim17ROCPRIM_400000_NS6detail17trampoline_kernelINS0_14default_configENS1_25partition_config_selectorILNS1_17partition_subalgoE8EaNS0_10empty_typeEbEEZZNS1_14partition_implILS5_8ELb0ES3_jPKaPS6_PKS6_NS0_5tupleIJPaS6_EEENSE_IJSB_SB_EEENS0_18inequality_wrapperIN6hipcub16HIPCUB_304000_NS8EqualityEEEPlJS6_EEE10hipError_tPvRmT3_T4_T5_T6_T7_T9_mT8_P12ihipStream_tbDpT10_ENKUlT_T0_E_clISt17integral_constantIbLb1EES17_EEDaS12_S13_EUlS12_E_NS1_11comp_targetILNS1_3genE8ELNS1_11target_archE1030ELNS1_3gpuE2ELNS1_3repE0EEENS1_30default_config_static_selectorELNS0_4arch9wavefront6targetE0EEEvT1_.has_recursion, 0
	.set _ZN7rocprim17ROCPRIM_400000_NS6detail17trampoline_kernelINS0_14default_configENS1_25partition_config_selectorILNS1_17partition_subalgoE8EaNS0_10empty_typeEbEEZZNS1_14partition_implILS5_8ELb0ES3_jPKaPS6_PKS6_NS0_5tupleIJPaS6_EEENSE_IJSB_SB_EEENS0_18inequality_wrapperIN6hipcub16HIPCUB_304000_NS8EqualityEEEPlJS6_EEE10hipError_tPvRmT3_T4_T5_T6_T7_T9_mT8_P12ihipStream_tbDpT10_ENKUlT_T0_E_clISt17integral_constantIbLb1EES17_EEDaS12_S13_EUlS12_E_NS1_11comp_targetILNS1_3genE8ELNS1_11target_archE1030ELNS1_3gpuE2ELNS1_3repE0EEENS1_30default_config_static_selectorELNS0_4arch9wavefront6targetE0EEEvT1_.has_indirect_call, 0
	.section	.AMDGPU.csdata,"",@progbits
; Kernel info:
; codeLenInByte = 0
; TotalNumSgprs: 0
; NumVgprs: 0
; ScratchSize: 0
; MemoryBound: 0
; FloatMode: 240
; IeeeMode: 1
; LDSByteSize: 0 bytes/workgroup (compile time only)
; SGPRBlocks: 0
; VGPRBlocks: 0
; NumSGPRsForWavesPerEU: 1
; NumVGPRsForWavesPerEU: 1
; NamedBarCnt: 0
; Occupancy: 16
; WaveLimiterHint : 0
; COMPUTE_PGM_RSRC2:SCRATCH_EN: 0
; COMPUTE_PGM_RSRC2:USER_SGPR: 2
; COMPUTE_PGM_RSRC2:TRAP_HANDLER: 0
; COMPUTE_PGM_RSRC2:TGID_X_EN: 1
; COMPUTE_PGM_RSRC2:TGID_Y_EN: 0
; COMPUTE_PGM_RSRC2:TGID_Z_EN: 0
; COMPUTE_PGM_RSRC2:TIDIG_COMP_CNT: 0
	.section	.text._ZN7rocprim17ROCPRIM_400000_NS6detail17trampoline_kernelINS0_14default_configENS1_25partition_config_selectorILNS1_17partition_subalgoE8EaNS0_10empty_typeEbEEZZNS1_14partition_implILS5_8ELb0ES3_jPKaPS6_PKS6_NS0_5tupleIJPaS6_EEENSE_IJSB_SB_EEENS0_18inequality_wrapperIN6hipcub16HIPCUB_304000_NS8EqualityEEEPlJS6_EEE10hipError_tPvRmT3_T4_T5_T6_T7_T9_mT8_P12ihipStream_tbDpT10_ENKUlT_T0_E_clISt17integral_constantIbLb1EES16_IbLb0EEEEDaS12_S13_EUlS12_E_NS1_11comp_targetILNS1_3genE0ELNS1_11target_archE4294967295ELNS1_3gpuE0ELNS1_3repE0EEENS1_30default_config_static_selectorELNS0_4arch9wavefront6targetE0EEEvT1_,"axG",@progbits,_ZN7rocprim17ROCPRIM_400000_NS6detail17trampoline_kernelINS0_14default_configENS1_25partition_config_selectorILNS1_17partition_subalgoE8EaNS0_10empty_typeEbEEZZNS1_14partition_implILS5_8ELb0ES3_jPKaPS6_PKS6_NS0_5tupleIJPaS6_EEENSE_IJSB_SB_EEENS0_18inequality_wrapperIN6hipcub16HIPCUB_304000_NS8EqualityEEEPlJS6_EEE10hipError_tPvRmT3_T4_T5_T6_T7_T9_mT8_P12ihipStream_tbDpT10_ENKUlT_T0_E_clISt17integral_constantIbLb1EES16_IbLb0EEEEDaS12_S13_EUlS12_E_NS1_11comp_targetILNS1_3genE0ELNS1_11target_archE4294967295ELNS1_3gpuE0ELNS1_3repE0EEENS1_30default_config_static_selectorELNS0_4arch9wavefront6targetE0EEEvT1_,comdat
	.protected	_ZN7rocprim17ROCPRIM_400000_NS6detail17trampoline_kernelINS0_14default_configENS1_25partition_config_selectorILNS1_17partition_subalgoE8EaNS0_10empty_typeEbEEZZNS1_14partition_implILS5_8ELb0ES3_jPKaPS6_PKS6_NS0_5tupleIJPaS6_EEENSE_IJSB_SB_EEENS0_18inequality_wrapperIN6hipcub16HIPCUB_304000_NS8EqualityEEEPlJS6_EEE10hipError_tPvRmT3_T4_T5_T6_T7_T9_mT8_P12ihipStream_tbDpT10_ENKUlT_T0_E_clISt17integral_constantIbLb1EES16_IbLb0EEEEDaS12_S13_EUlS12_E_NS1_11comp_targetILNS1_3genE0ELNS1_11target_archE4294967295ELNS1_3gpuE0ELNS1_3repE0EEENS1_30default_config_static_selectorELNS0_4arch9wavefront6targetE0EEEvT1_ ; -- Begin function _ZN7rocprim17ROCPRIM_400000_NS6detail17trampoline_kernelINS0_14default_configENS1_25partition_config_selectorILNS1_17partition_subalgoE8EaNS0_10empty_typeEbEEZZNS1_14partition_implILS5_8ELb0ES3_jPKaPS6_PKS6_NS0_5tupleIJPaS6_EEENSE_IJSB_SB_EEENS0_18inequality_wrapperIN6hipcub16HIPCUB_304000_NS8EqualityEEEPlJS6_EEE10hipError_tPvRmT3_T4_T5_T6_T7_T9_mT8_P12ihipStream_tbDpT10_ENKUlT_T0_E_clISt17integral_constantIbLb1EES16_IbLb0EEEEDaS12_S13_EUlS12_E_NS1_11comp_targetILNS1_3genE0ELNS1_11target_archE4294967295ELNS1_3gpuE0ELNS1_3repE0EEENS1_30default_config_static_selectorELNS0_4arch9wavefront6targetE0EEEvT1_
	.globl	_ZN7rocprim17ROCPRIM_400000_NS6detail17trampoline_kernelINS0_14default_configENS1_25partition_config_selectorILNS1_17partition_subalgoE8EaNS0_10empty_typeEbEEZZNS1_14partition_implILS5_8ELb0ES3_jPKaPS6_PKS6_NS0_5tupleIJPaS6_EEENSE_IJSB_SB_EEENS0_18inequality_wrapperIN6hipcub16HIPCUB_304000_NS8EqualityEEEPlJS6_EEE10hipError_tPvRmT3_T4_T5_T6_T7_T9_mT8_P12ihipStream_tbDpT10_ENKUlT_T0_E_clISt17integral_constantIbLb1EES16_IbLb0EEEEDaS12_S13_EUlS12_E_NS1_11comp_targetILNS1_3genE0ELNS1_11target_archE4294967295ELNS1_3gpuE0ELNS1_3repE0EEENS1_30default_config_static_selectorELNS0_4arch9wavefront6targetE0EEEvT1_
	.p2align	8
	.type	_ZN7rocprim17ROCPRIM_400000_NS6detail17trampoline_kernelINS0_14default_configENS1_25partition_config_selectorILNS1_17partition_subalgoE8EaNS0_10empty_typeEbEEZZNS1_14partition_implILS5_8ELb0ES3_jPKaPS6_PKS6_NS0_5tupleIJPaS6_EEENSE_IJSB_SB_EEENS0_18inequality_wrapperIN6hipcub16HIPCUB_304000_NS8EqualityEEEPlJS6_EEE10hipError_tPvRmT3_T4_T5_T6_T7_T9_mT8_P12ihipStream_tbDpT10_ENKUlT_T0_E_clISt17integral_constantIbLb1EES16_IbLb0EEEEDaS12_S13_EUlS12_E_NS1_11comp_targetILNS1_3genE0ELNS1_11target_archE4294967295ELNS1_3gpuE0ELNS1_3repE0EEENS1_30default_config_static_selectorELNS0_4arch9wavefront6targetE0EEEvT1_,@function
_ZN7rocprim17ROCPRIM_400000_NS6detail17trampoline_kernelINS0_14default_configENS1_25partition_config_selectorILNS1_17partition_subalgoE8EaNS0_10empty_typeEbEEZZNS1_14partition_implILS5_8ELb0ES3_jPKaPS6_PKS6_NS0_5tupleIJPaS6_EEENSE_IJSB_SB_EEENS0_18inequality_wrapperIN6hipcub16HIPCUB_304000_NS8EqualityEEEPlJS6_EEE10hipError_tPvRmT3_T4_T5_T6_T7_T9_mT8_P12ihipStream_tbDpT10_ENKUlT_T0_E_clISt17integral_constantIbLb1EES16_IbLb0EEEEDaS12_S13_EUlS12_E_NS1_11comp_targetILNS1_3genE0ELNS1_11target_archE4294967295ELNS1_3gpuE0ELNS1_3repE0EEENS1_30default_config_static_selectorELNS0_4arch9wavefront6targetE0EEEvT1_: ; @_ZN7rocprim17ROCPRIM_400000_NS6detail17trampoline_kernelINS0_14default_configENS1_25partition_config_selectorILNS1_17partition_subalgoE8EaNS0_10empty_typeEbEEZZNS1_14partition_implILS5_8ELb0ES3_jPKaPS6_PKS6_NS0_5tupleIJPaS6_EEENSE_IJSB_SB_EEENS0_18inequality_wrapperIN6hipcub16HIPCUB_304000_NS8EqualityEEEPlJS6_EEE10hipError_tPvRmT3_T4_T5_T6_T7_T9_mT8_P12ihipStream_tbDpT10_ENKUlT_T0_E_clISt17integral_constantIbLb1EES16_IbLb0EEEEDaS12_S13_EUlS12_E_NS1_11comp_targetILNS1_3genE0ELNS1_11target_archE4294967295ELNS1_3gpuE0ELNS1_3repE0EEENS1_30default_config_static_selectorELNS0_4arch9wavefront6targetE0EEEvT1_
; %bb.0:
	s_endpgm
	.section	.rodata,"a",@progbits
	.p2align	6, 0x0
	.amdhsa_kernel _ZN7rocprim17ROCPRIM_400000_NS6detail17trampoline_kernelINS0_14default_configENS1_25partition_config_selectorILNS1_17partition_subalgoE8EaNS0_10empty_typeEbEEZZNS1_14partition_implILS5_8ELb0ES3_jPKaPS6_PKS6_NS0_5tupleIJPaS6_EEENSE_IJSB_SB_EEENS0_18inequality_wrapperIN6hipcub16HIPCUB_304000_NS8EqualityEEEPlJS6_EEE10hipError_tPvRmT3_T4_T5_T6_T7_T9_mT8_P12ihipStream_tbDpT10_ENKUlT_T0_E_clISt17integral_constantIbLb1EES16_IbLb0EEEEDaS12_S13_EUlS12_E_NS1_11comp_targetILNS1_3genE0ELNS1_11target_archE4294967295ELNS1_3gpuE0ELNS1_3repE0EEENS1_30default_config_static_selectorELNS0_4arch9wavefront6targetE0EEEvT1_
		.amdhsa_group_segment_fixed_size 0
		.amdhsa_private_segment_fixed_size 0
		.amdhsa_kernarg_size 112
		.amdhsa_user_sgpr_count 2
		.amdhsa_user_sgpr_dispatch_ptr 0
		.amdhsa_user_sgpr_queue_ptr 0
		.amdhsa_user_sgpr_kernarg_segment_ptr 1
		.amdhsa_user_sgpr_dispatch_id 0
		.amdhsa_user_sgpr_kernarg_preload_length 0
		.amdhsa_user_sgpr_kernarg_preload_offset 0
		.amdhsa_user_sgpr_private_segment_size 0
		.amdhsa_wavefront_size32 1
		.amdhsa_uses_dynamic_stack 0
		.amdhsa_enable_private_segment 0
		.amdhsa_system_sgpr_workgroup_id_x 1
		.amdhsa_system_sgpr_workgroup_id_y 0
		.amdhsa_system_sgpr_workgroup_id_z 0
		.amdhsa_system_sgpr_workgroup_info 0
		.amdhsa_system_vgpr_workitem_id 0
		.amdhsa_next_free_vgpr 1
		.amdhsa_next_free_sgpr 1
		.amdhsa_named_barrier_count 0
		.amdhsa_reserve_vcc 0
		.amdhsa_float_round_mode_32 0
		.amdhsa_float_round_mode_16_64 0
		.amdhsa_float_denorm_mode_32 3
		.amdhsa_float_denorm_mode_16_64 3
		.amdhsa_fp16_overflow 0
		.amdhsa_memory_ordered 1
		.amdhsa_forward_progress 1
		.amdhsa_inst_pref_size 1
		.amdhsa_round_robin_scheduling 0
		.amdhsa_exception_fp_ieee_invalid_op 0
		.amdhsa_exception_fp_denorm_src 0
		.amdhsa_exception_fp_ieee_div_zero 0
		.amdhsa_exception_fp_ieee_overflow 0
		.amdhsa_exception_fp_ieee_underflow 0
		.amdhsa_exception_fp_ieee_inexact 0
		.amdhsa_exception_int_div_zero 0
	.end_amdhsa_kernel
	.section	.text._ZN7rocprim17ROCPRIM_400000_NS6detail17trampoline_kernelINS0_14default_configENS1_25partition_config_selectorILNS1_17partition_subalgoE8EaNS0_10empty_typeEbEEZZNS1_14partition_implILS5_8ELb0ES3_jPKaPS6_PKS6_NS0_5tupleIJPaS6_EEENSE_IJSB_SB_EEENS0_18inequality_wrapperIN6hipcub16HIPCUB_304000_NS8EqualityEEEPlJS6_EEE10hipError_tPvRmT3_T4_T5_T6_T7_T9_mT8_P12ihipStream_tbDpT10_ENKUlT_T0_E_clISt17integral_constantIbLb1EES16_IbLb0EEEEDaS12_S13_EUlS12_E_NS1_11comp_targetILNS1_3genE0ELNS1_11target_archE4294967295ELNS1_3gpuE0ELNS1_3repE0EEENS1_30default_config_static_selectorELNS0_4arch9wavefront6targetE0EEEvT1_,"axG",@progbits,_ZN7rocprim17ROCPRIM_400000_NS6detail17trampoline_kernelINS0_14default_configENS1_25partition_config_selectorILNS1_17partition_subalgoE8EaNS0_10empty_typeEbEEZZNS1_14partition_implILS5_8ELb0ES3_jPKaPS6_PKS6_NS0_5tupleIJPaS6_EEENSE_IJSB_SB_EEENS0_18inequality_wrapperIN6hipcub16HIPCUB_304000_NS8EqualityEEEPlJS6_EEE10hipError_tPvRmT3_T4_T5_T6_T7_T9_mT8_P12ihipStream_tbDpT10_ENKUlT_T0_E_clISt17integral_constantIbLb1EES16_IbLb0EEEEDaS12_S13_EUlS12_E_NS1_11comp_targetILNS1_3genE0ELNS1_11target_archE4294967295ELNS1_3gpuE0ELNS1_3repE0EEENS1_30default_config_static_selectorELNS0_4arch9wavefront6targetE0EEEvT1_,comdat
.Lfunc_end219:
	.size	_ZN7rocprim17ROCPRIM_400000_NS6detail17trampoline_kernelINS0_14default_configENS1_25partition_config_selectorILNS1_17partition_subalgoE8EaNS0_10empty_typeEbEEZZNS1_14partition_implILS5_8ELb0ES3_jPKaPS6_PKS6_NS0_5tupleIJPaS6_EEENSE_IJSB_SB_EEENS0_18inequality_wrapperIN6hipcub16HIPCUB_304000_NS8EqualityEEEPlJS6_EEE10hipError_tPvRmT3_T4_T5_T6_T7_T9_mT8_P12ihipStream_tbDpT10_ENKUlT_T0_E_clISt17integral_constantIbLb1EES16_IbLb0EEEEDaS12_S13_EUlS12_E_NS1_11comp_targetILNS1_3genE0ELNS1_11target_archE4294967295ELNS1_3gpuE0ELNS1_3repE0EEENS1_30default_config_static_selectorELNS0_4arch9wavefront6targetE0EEEvT1_, .Lfunc_end219-_ZN7rocprim17ROCPRIM_400000_NS6detail17trampoline_kernelINS0_14default_configENS1_25partition_config_selectorILNS1_17partition_subalgoE8EaNS0_10empty_typeEbEEZZNS1_14partition_implILS5_8ELb0ES3_jPKaPS6_PKS6_NS0_5tupleIJPaS6_EEENSE_IJSB_SB_EEENS0_18inequality_wrapperIN6hipcub16HIPCUB_304000_NS8EqualityEEEPlJS6_EEE10hipError_tPvRmT3_T4_T5_T6_T7_T9_mT8_P12ihipStream_tbDpT10_ENKUlT_T0_E_clISt17integral_constantIbLb1EES16_IbLb0EEEEDaS12_S13_EUlS12_E_NS1_11comp_targetILNS1_3genE0ELNS1_11target_archE4294967295ELNS1_3gpuE0ELNS1_3repE0EEENS1_30default_config_static_selectorELNS0_4arch9wavefront6targetE0EEEvT1_
                                        ; -- End function
	.set _ZN7rocprim17ROCPRIM_400000_NS6detail17trampoline_kernelINS0_14default_configENS1_25partition_config_selectorILNS1_17partition_subalgoE8EaNS0_10empty_typeEbEEZZNS1_14partition_implILS5_8ELb0ES3_jPKaPS6_PKS6_NS0_5tupleIJPaS6_EEENSE_IJSB_SB_EEENS0_18inequality_wrapperIN6hipcub16HIPCUB_304000_NS8EqualityEEEPlJS6_EEE10hipError_tPvRmT3_T4_T5_T6_T7_T9_mT8_P12ihipStream_tbDpT10_ENKUlT_T0_E_clISt17integral_constantIbLb1EES16_IbLb0EEEEDaS12_S13_EUlS12_E_NS1_11comp_targetILNS1_3genE0ELNS1_11target_archE4294967295ELNS1_3gpuE0ELNS1_3repE0EEENS1_30default_config_static_selectorELNS0_4arch9wavefront6targetE0EEEvT1_.num_vgpr, 0
	.set _ZN7rocprim17ROCPRIM_400000_NS6detail17trampoline_kernelINS0_14default_configENS1_25partition_config_selectorILNS1_17partition_subalgoE8EaNS0_10empty_typeEbEEZZNS1_14partition_implILS5_8ELb0ES3_jPKaPS6_PKS6_NS0_5tupleIJPaS6_EEENSE_IJSB_SB_EEENS0_18inequality_wrapperIN6hipcub16HIPCUB_304000_NS8EqualityEEEPlJS6_EEE10hipError_tPvRmT3_T4_T5_T6_T7_T9_mT8_P12ihipStream_tbDpT10_ENKUlT_T0_E_clISt17integral_constantIbLb1EES16_IbLb0EEEEDaS12_S13_EUlS12_E_NS1_11comp_targetILNS1_3genE0ELNS1_11target_archE4294967295ELNS1_3gpuE0ELNS1_3repE0EEENS1_30default_config_static_selectorELNS0_4arch9wavefront6targetE0EEEvT1_.num_agpr, 0
	.set _ZN7rocprim17ROCPRIM_400000_NS6detail17trampoline_kernelINS0_14default_configENS1_25partition_config_selectorILNS1_17partition_subalgoE8EaNS0_10empty_typeEbEEZZNS1_14partition_implILS5_8ELb0ES3_jPKaPS6_PKS6_NS0_5tupleIJPaS6_EEENSE_IJSB_SB_EEENS0_18inequality_wrapperIN6hipcub16HIPCUB_304000_NS8EqualityEEEPlJS6_EEE10hipError_tPvRmT3_T4_T5_T6_T7_T9_mT8_P12ihipStream_tbDpT10_ENKUlT_T0_E_clISt17integral_constantIbLb1EES16_IbLb0EEEEDaS12_S13_EUlS12_E_NS1_11comp_targetILNS1_3genE0ELNS1_11target_archE4294967295ELNS1_3gpuE0ELNS1_3repE0EEENS1_30default_config_static_selectorELNS0_4arch9wavefront6targetE0EEEvT1_.numbered_sgpr, 0
	.set _ZN7rocprim17ROCPRIM_400000_NS6detail17trampoline_kernelINS0_14default_configENS1_25partition_config_selectorILNS1_17partition_subalgoE8EaNS0_10empty_typeEbEEZZNS1_14partition_implILS5_8ELb0ES3_jPKaPS6_PKS6_NS0_5tupleIJPaS6_EEENSE_IJSB_SB_EEENS0_18inequality_wrapperIN6hipcub16HIPCUB_304000_NS8EqualityEEEPlJS6_EEE10hipError_tPvRmT3_T4_T5_T6_T7_T9_mT8_P12ihipStream_tbDpT10_ENKUlT_T0_E_clISt17integral_constantIbLb1EES16_IbLb0EEEEDaS12_S13_EUlS12_E_NS1_11comp_targetILNS1_3genE0ELNS1_11target_archE4294967295ELNS1_3gpuE0ELNS1_3repE0EEENS1_30default_config_static_selectorELNS0_4arch9wavefront6targetE0EEEvT1_.num_named_barrier, 0
	.set _ZN7rocprim17ROCPRIM_400000_NS6detail17trampoline_kernelINS0_14default_configENS1_25partition_config_selectorILNS1_17partition_subalgoE8EaNS0_10empty_typeEbEEZZNS1_14partition_implILS5_8ELb0ES3_jPKaPS6_PKS6_NS0_5tupleIJPaS6_EEENSE_IJSB_SB_EEENS0_18inequality_wrapperIN6hipcub16HIPCUB_304000_NS8EqualityEEEPlJS6_EEE10hipError_tPvRmT3_T4_T5_T6_T7_T9_mT8_P12ihipStream_tbDpT10_ENKUlT_T0_E_clISt17integral_constantIbLb1EES16_IbLb0EEEEDaS12_S13_EUlS12_E_NS1_11comp_targetILNS1_3genE0ELNS1_11target_archE4294967295ELNS1_3gpuE0ELNS1_3repE0EEENS1_30default_config_static_selectorELNS0_4arch9wavefront6targetE0EEEvT1_.private_seg_size, 0
	.set _ZN7rocprim17ROCPRIM_400000_NS6detail17trampoline_kernelINS0_14default_configENS1_25partition_config_selectorILNS1_17partition_subalgoE8EaNS0_10empty_typeEbEEZZNS1_14partition_implILS5_8ELb0ES3_jPKaPS6_PKS6_NS0_5tupleIJPaS6_EEENSE_IJSB_SB_EEENS0_18inequality_wrapperIN6hipcub16HIPCUB_304000_NS8EqualityEEEPlJS6_EEE10hipError_tPvRmT3_T4_T5_T6_T7_T9_mT8_P12ihipStream_tbDpT10_ENKUlT_T0_E_clISt17integral_constantIbLb1EES16_IbLb0EEEEDaS12_S13_EUlS12_E_NS1_11comp_targetILNS1_3genE0ELNS1_11target_archE4294967295ELNS1_3gpuE0ELNS1_3repE0EEENS1_30default_config_static_selectorELNS0_4arch9wavefront6targetE0EEEvT1_.uses_vcc, 0
	.set _ZN7rocprim17ROCPRIM_400000_NS6detail17trampoline_kernelINS0_14default_configENS1_25partition_config_selectorILNS1_17partition_subalgoE8EaNS0_10empty_typeEbEEZZNS1_14partition_implILS5_8ELb0ES3_jPKaPS6_PKS6_NS0_5tupleIJPaS6_EEENSE_IJSB_SB_EEENS0_18inequality_wrapperIN6hipcub16HIPCUB_304000_NS8EqualityEEEPlJS6_EEE10hipError_tPvRmT3_T4_T5_T6_T7_T9_mT8_P12ihipStream_tbDpT10_ENKUlT_T0_E_clISt17integral_constantIbLb1EES16_IbLb0EEEEDaS12_S13_EUlS12_E_NS1_11comp_targetILNS1_3genE0ELNS1_11target_archE4294967295ELNS1_3gpuE0ELNS1_3repE0EEENS1_30default_config_static_selectorELNS0_4arch9wavefront6targetE0EEEvT1_.uses_flat_scratch, 0
	.set _ZN7rocprim17ROCPRIM_400000_NS6detail17trampoline_kernelINS0_14default_configENS1_25partition_config_selectorILNS1_17partition_subalgoE8EaNS0_10empty_typeEbEEZZNS1_14partition_implILS5_8ELb0ES3_jPKaPS6_PKS6_NS0_5tupleIJPaS6_EEENSE_IJSB_SB_EEENS0_18inequality_wrapperIN6hipcub16HIPCUB_304000_NS8EqualityEEEPlJS6_EEE10hipError_tPvRmT3_T4_T5_T6_T7_T9_mT8_P12ihipStream_tbDpT10_ENKUlT_T0_E_clISt17integral_constantIbLb1EES16_IbLb0EEEEDaS12_S13_EUlS12_E_NS1_11comp_targetILNS1_3genE0ELNS1_11target_archE4294967295ELNS1_3gpuE0ELNS1_3repE0EEENS1_30default_config_static_selectorELNS0_4arch9wavefront6targetE0EEEvT1_.has_dyn_sized_stack, 0
	.set _ZN7rocprim17ROCPRIM_400000_NS6detail17trampoline_kernelINS0_14default_configENS1_25partition_config_selectorILNS1_17partition_subalgoE8EaNS0_10empty_typeEbEEZZNS1_14partition_implILS5_8ELb0ES3_jPKaPS6_PKS6_NS0_5tupleIJPaS6_EEENSE_IJSB_SB_EEENS0_18inequality_wrapperIN6hipcub16HIPCUB_304000_NS8EqualityEEEPlJS6_EEE10hipError_tPvRmT3_T4_T5_T6_T7_T9_mT8_P12ihipStream_tbDpT10_ENKUlT_T0_E_clISt17integral_constantIbLb1EES16_IbLb0EEEEDaS12_S13_EUlS12_E_NS1_11comp_targetILNS1_3genE0ELNS1_11target_archE4294967295ELNS1_3gpuE0ELNS1_3repE0EEENS1_30default_config_static_selectorELNS0_4arch9wavefront6targetE0EEEvT1_.has_recursion, 0
	.set _ZN7rocprim17ROCPRIM_400000_NS6detail17trampoline_kernelINS0_14default_configENS1_25partition_config_selectorILNS1_17partition_subalgoE8EaNS0_10empty_typeEbEEZZNS1_14partition_implILS5_8ELb0ES3_jPKaPS6_PKS6_NS0_5tupleIJPaS6_EEENSE_IJSB_SB_EEENS0_18inequality_wrapperIN6hipcub16HIPCUB_304000_NS8EqualityEEEPlJS6_EEE10hipError_tPvRmT3_T4_T5_T6_T7_T9_mT8_P12ihipStream_tbDpT10_ENKUlT_T0_E_clISt17integral_constantIbLb1EES16_IbLb0EEEEDaS12_S13_EUlS12_E_NS1_11comp_targetILNS1_3genE0ELNS1_11target_archE4294967295ELNS1_3gpuE0ELNS1_3repE0EEENS1_30default_config_static_selectorELNS0_4arch9wavefront6targetE0EEEvT1_.has_indirect_call, 0
	.section	.AMDGPU.csdata,"",@progbits
; Kernel info:
; codeLenInByte = 4
; TotalNumSgprs: 0
; NumVgprs: 0
; ScratchSize: 0
; MemoryBound: 0
; FloatMode: 240
; IeeeMode: 1
; LDSByteSize: 0 bytes/workgroup (compile time only)
; SGPRBlocks: 0
; VGPRBlocks: 0
; NumSGPRsForWavesPerEU: 1
; NumVGPRsForWavesPerEU: 1
; NamedBarCnt: 0
; Occupancy: 16
; WaveLimiterHint : 0
; COMPUTE_PGM_RSRC2:SCRATCH_EN: 0
; COMPUTE_PGM_RSRC2:USER_SGPR: 2
; COMPUTE_PGM_RSRC2:TRAP_HANDLER: 0
; COMPUTE_PGM_RSRC2:TGID_X_EN: 1
; COMPUTE_PGM_RSRC2:TGID_Y_EN: 0
; COMPUTE_PGM_RSRC2:TGID_Z_EN: 0
; COMPUTE_PGM_RSRC2:TIDIG_COMP_CNT: 0
	.section	.text._ZN7rocprim17ROCPRIM_400000_NS6detail17trampoline_kernelINS0_14default_configENS1_25partition_config_selectorILNS1_17partition_subalgoE8EaNS0_10empty_typeEbEEZZNS1_14partition_implILS5_8ELb0ES3_jPKaPS6_PKS6_NS0_5tupleIJPaS6_EEENSE_IJSB_SB_EEENS0_18inequality_wrapperIN6hipcub16HIPCUB_304000_NS8EqualityEEEPlJS6_EEE10hipError_tPvRmT3_T4_T5_T6_T7_T9_mT8_P12ihipStream_tbDpT10_ENKUlT_T0_E_clISt17integral_constantIbLb1EES16_IbLb0EEEEDaS12_S13_EUlS12_E_NS1_11comp_targetILNS1_3genE5ELNS1_11target_archE942ELNS1_3gpuE9ELNS1_3repE0EEENS1_30default_config_static_selectorELNS0_4arch9wavefront6targetE0EEEvT1_,"axG",@progbits,_ZN7rocprim17ROCPRIM_400000_NS6detail17trampoline_kernelINS0_14default_configENS1_25partition_config_selectorILNS1_17partition_subalgoE8EaNS0_10empty_typeEbEEZZNS1_14partition_implILS5_8ELb0ES3_jPKaPS6_PKS6_NS0_5tupleIJPaS6_EEENSE_IJSB_SB_EEENS0_18inequality_wrapperIN6hipcub16HIPCUB_304000_NS8EqualityEEEPlJS6_EEE10hipError_tPvRmT3_T4_T5_T6_T7_T9_mT8_P12ihipStream_tbDpT10_ENKUlT_T0_E_clISt17integral_constantIbLb1EES16_IbLb0EEEEDaS12_S13_EUlS12_E_NS1_11comp_targetILNS1_3genE5ELNS1_11target_archE942ELNS1_3gpuE9ELNS1_3repE0EEENS1_30default_config_static_selectorELNS0_4arch9wavefront6targetE0EEEvT1_,comdat
	.protected	_ZN7rocprim17ROCPRIM_400000_NS6detail17trampoline_kernelINS0_14default_configENS1_25partition_config_selectorILNS1_17partition_subalgoE8EaNS0_10empty_typeEbEEZZNS1_14partition_implILS5_8ELb0ES3_jPKaPS6_PKS6_NS0_5tupleIJPaS6_EEENSE_IJSB_SB_EEENS0_18inequality_wrapperIN6hipcub16HIPCUB_304000_NS8EqualityEEEPlJS6_EEE10hipError_tPvRmT3_T4_T5_T6_T7_T9_mT8_P12ihipStream_tbDpT10_ENKUlT_T0_E_clISt17integral_constantIbLb1EES16_IbLb0EEEEDaS12_S13_EUlS12_E_NS1_11comp_targetILNS1_3genE5ELNS1_11target_archE942ELNS1_3gpuE9ELNS1_3repE0EEENS1_30default_config_static_selectorELNS0_4arch9wavefront6targetE0EEEvT1_ ; -- Begin function _ZN7rocprim17ROCPRIM_400000_NS6detail17trampoline_kernelINS0_14default_configENS1_25partition_config_selectorILNS1_17partition_subalgoE8EaNS0_10empty_typeEbEEZZNS1_14partition_implILS5_8ELb0ES3_jPKaPS6_PKS6_NS0_5tupleIJPaS6_EEENSE_IJSB_SB_EEENS0_18inequality_wrapperIN6hipcub16HIPCUB_304000_NS8EqualityEEEPlJS6_EEE10hipError_tPvRmT3_T4_T5_T6_T7_T9_mT8_P12ihipStream_tbDpT10_ENKUlT_T0_E_clISt17integral_constantIbLb1EES16_IbLb0EEEEDaS12_S13_EUlS12_E_NS1_11comp_targetILNS1_3genE5ELNS1_11target_archE942ELNS1_3gpuE9ELNS1_3repE0EEENS1_30default_config_static_selectorELNS0_4arch9wavefront6targetE0EEEvT1_
	.globl	_ZN7rocprim17ROCPRIM_400000_NS6detail17trampoline_kernelINS0_14default_configENS1_25partition_config_selectorILNS1_17partition_subalgoE8EaNS0_10empty_typeEbEEZZNS1_14partition_implILS5_8ELb0ES3_jPKaPS6_PKS6_NS0_5tupleIJPaS6_EEENSE_IJSB_SB_EEENS0_18inequality_wrapperIN6hipcub16HIPCUB_304000_NS8EqualityEEEPlJS6_EEE10hipError_tPvRmT3_T4_T5_T6_T7_T9_mT8_P12ihipStream_tbDpT10_ENKUlT_T0_E_clISt17integral_constantIbLb1EES16_IbLb0EEEEDaS12_S13_EUlS12_E_NS1_11comp_targetILNS1_3genE5ELNS1_11target_archE942ELNS1_3gpuE9ELNS1_3repE0EEENS1_30default_config_static_selectorELNS0_4arch9wavefront6targetE0EEEvT1_
	.p2align	8
	.type	_ZN7rocprim17ROCPRIM_400000_NS6detail17trampoline_kernelINS0_14default_configENS1_25partition_config_selectorILNS1_17partition_subalgoE8EaNS0_10empty_typeEbEEZZNS1_14partition_implILS5_8ELb0ES3_jPKaPS6_PKS6_NS0_5tupleIJPaS6_EEENSE_IJSB_SB_EEENS0_18inequality_wrapperIN6hipcub16HIPCUB_304000_NS8EqualityEEEPlJS6_EEE10hipError_tPvRmT3_T4_T5_T6_T7_T9_mT8_P12ihipStream_tbDpT10_ENKUlT_T0_E_clISt17integral_constantIbLb1EES16_IbLb0EEEEDaS12_S13_EUlS12_E_NS1_11comp_targetILNS1_3genE5ELNS1_11target_archE942ELNS1_3gpuE9ELNS1_3repE0EEENS1_30default_config_static_selectorELNS0_4arch9wavefront6targetE0EEEvT1_,@function
_ZN7rocprim17ROCPRIM_400000_NS6detail17trampoline_kernelINS0_14default_configENS1_25partition_config_selectorILNS1_17partition_subalgoE8EaNS0_10empty_typeEbEEZZNS1_14partition_implILS5_8ELb0ES3_jPKaPS6_PKS6_NS0_5tupleIJPaS6_EEENSE_IJSB_SB_EEENS0_18inequality_wrapperIN6hipcub16HIPCUB_304000_NS8EqualityEEEPlJS6_EEE10hipError_tPvRmT3_T4_T5_T6_T7_T9_mT8_P12ihipStream_tbDpT10_ENKUlT_T0_E_clISt17integral_constantIbLb1EES16_IbLb0EEEEDaS12_S13_EUlS12_E_NS1_11comp_targetILNS1_3genE5ELNS1_11target_archE942ELNS1_3gpuE9ELNS1_3repE0EEENS1_30default_config_static_selectorELNS0_4arch9wavefront6targetE0EEEvT1_: ; @_ZN7rocprim17ROCPRIM_400000_NS6detail17trampoline_kernelINS0_14default_configENS1_25partition_config_selectorILNS1_17partition_subalgoE8EaNS0_10empty_typeEbEEZZNS1_14partition_implILS5_8ELb0ES3_jPKaPS6_PKS6_NS0_5tupleIJPaS6_EEENSE_IJSB_SB_EEENS0_18inequality_wrapperIN6hipcub16HIPCUB_304000_NS8EqualityEEEPlJS6_EEE10hipError_tPvRmT3_T4_T5_T6_T7_T9_mT8_P12ihipStream_tbDpT10_ENKUlT_T0_E_clISt17integral_constantIbLb1EES16_IbLb0EEEEDaS12_S13_EUlS12_E_NS1_11comp_targetILNS1_3genE5ELNS1_11target_archE942ELNS1_3gpuE9ELNS1_3repE0EEENS1_30default_config_static_selectorELNS0_4arch9wavefront6targetE0EEEvT1_
; %bb.0:
	.section	.rodata,"a",@progbits
	.p2align	6, 0x0
	.amdhsa_kernel _ZN7rocprim17ROCPRIM_400000_NS6detail17trampoline_kernelINS0_14default_configENS1_25partition_config_selectorILNS1_17partition_subalgoE8EaNS0_10empty_typeEbEEZZNS1_14partition_implILS5_8ELb0ES3_jPKaPS6_PKS6_NS0_5tupleIJPaS6_EEENSE_IJSB_SB_EEENS0_18inequality_wrapperIN6hipcub16HIPCUB_304000_NS8EqualityEEEPlJS6_EEE10hipError_tPvRmT3_T4_T5_T6_T7_T9_mT8_P12ihipStream_tbDpT10_ENKUlT_T0_E_clISt17integral_constantIbLb1EES16_IbLb0EEEEDaS12_S13_EUlS12_E_NS1_11comp_targetILNS1_3genE5ELNS1_11target_archE942ELNS1_3gpuE9ELNS1_3repE0EEENS1_30default_config_static_selectorELNS0_4arch9wavefront6targetE0EEEvT1_
		.amdhsa_group_segment_fixed_size 0
		.amdhsa_private_segment_fixed_size 0
		.amdhsa_kernarg_size 112
		.amdhsa_user_sgpr_count 2
		.amdhsa_user_sgpr_dispatch_ptr 0
		.amdhsa_user_sgpr_queue_ptr 0
		.amdhsa_user_sgpr_kernarg_segment_ptr 1
		.amdhsa_user_sgpr_dispatch_id 0
		.amdhsa_user_sgpr_kernarg_preload_length 0
		.amdhsa_user_sgpr_kernarg_preload_offset 0
		.amdhsa_user_sgpr_private_segment_size 0
		.amdhsa_wavefront_size32 1
		.amdhsa_uses_dynamic_stack 0
		.amdhsa_enable_private_segment 0
		.amdhsa_system_sgpr_workgroup_id_x 1
		.amdhsa_system_sgpr_workgroup_id_y 0
		.amdhsa_system_sgpr_workgroup_id_z 0
		.amdhsa_system_sgpr_workgroup_info 0
		.amdhsa_system_vgpr_workitem_id 0
		.amdhsa_next_free_vgpr 1
		.amdhsa_next_free_sgpr 1
		.amdhsa_named_barrier_count 0
		.amdhsa_reserve_vcc 0
		.amdhsa_float_round_mode_32 0
		.amdhsa_float_round_mode_16_64 0
		.amdhsa_float_denorm_mode_32 3
		.amdhsa_float_denorm_mode_16_64 3
		.amdhsa_fp16_overflow 0
		.amdhsa_memory_ordered 1
		.amdhsa_forward_progress 1
		.amdhsa_inst_pref_size 0
		.amdhsa_round_robin_scheduling 0
		.amdhsa_exception_fp_ieee_invalid_op 0
		.amdhsa_exception_fp_denorm_src 0
		.amdhsa_exception_fp_ieee_div_zero 0
		.amdhsa_exception_fp_ieee_overflow 0
		.amdhsa_exception_fp_ieee_underflow 0
		.amdhsa_exception_fp_ieee_inexact 0
		.amdhsa_exception_int_div_zero 0
	.end_amdhsa_kernel
	.section	.text._ZN7rocprim17ROCPRIM_400000_NS6detail17trampoline_kernelINS0_14default_configENS1_25partition_config_selectorILNS1_17partition_subalgoE8EaNS0_10empty_typeEbEEZZNS1_14partition_implILS5_8ELb0ES3_jPKaPS6_PKS6_NS0_5tupleIJPaS6_EEENSE_IJSB_SB_EEENS0_18inequality_wrapperIN6hipcub16HIPCUB_304000_NS8EqualityEEEPlJS6_EEE10hipError_tPvRmT3_T4_T5_T6_T7_T9_mT8_P12ihipStream_tbDpT10_ENKUlT_T0_E_clISt17integral_constantIbLb1EES16_IbLb0EEEEDaS12_S13_EUlS12_E_NS1_11comp_targetILNS1_3genE5ELNS1_11target_archE942ELNS1_3gpuE9ELNS1_3repE0EEENS1_30default_config_static_selectorELNS0_4arch9wavefront6targetE0EEEvT1_,"axG",@progbits,_ZN7rocprim17ROCPRIM_400000_NS6detail17trampoline_kernelINS0_14default_configENS1_25partition_config_selectorILNS1_17partition_subalgoE8EaNS0_10empty_typeEbEEZZNS1_14partition_implILS5_8ELb0ES3_jPKaPS6_PKS6_NS0_5tupleIJPaS6_EEENSE_IJSB_SB_EEENS0_18inequality_wrapperIN6hipcub16HIPCUB_304000_NS8EqualityEEEPlJS6_EEE10hipError_tPvRmT3_T4_T5_T6_T7_T9_mT8_P12ihipStream_tbDpT10_ENKUlT_T0_E_clISt17integral_constantIbLb1EES16_IbLb0EEEEDaS12_S13_EUlS12_E_NS1_11comp_targetILNS1_3genE5ELNS1_11target_archE942ELNS1_3gpuE9ELNS1_3repE0EEENS1_30default_config_static_selectorELNS0_4arch9wavefront6targetE0EEEvT1_,comdat
.Lfunc_end220:
	.size	_ZN7rocprim17ROCPRIM_400000_NS6detail17trampoline_kernelINS0_14default_configENS1_25partition_config_selectorILNS1_17partition_subalgoE8EaNS0_10empty_typeEbEEZZNS1_14partition_implILS5_8ELb0ES3_jPKaPS6_PKS6_NS0_5tupleIJPaS6_EEENSE_IJSB_SB_EEENS0_18inequality_wrapperIN6hipcub16HIPCUB_304000_NS8EqualityEEEPlJS6_EEE10hipError_tPvRmT3_T4_T5_T6_T7_T9_mT8_P12ihipStream_tbDpT10_ENKUlT_T0_E_clISt17integral_constantIbLb1EES16_IbLb0EEEEDaS12_S13_EUlS12_E_NS1_11comp_targetILNS1_3genE5ELNS1_11target_archE942ELNS1_3gpuE9ELNS1_3repE0EEENS1_30default_config_static_selectorELNS0_4arch9wavefront6targetE0EEEvT1_, .Lfunc_end220-_ZN7rocprim17ROCPRIM_400000_NS6detail17trampoline_kernelINS0_14default_configENS1_25partition_config_selectorILNS1_17partition_subalgoE8EaNS0_10empty_typeEbEEZZNS1_14partition_implILS5_8ELb0ES3_jPKaPS6_PKS6_NS0_5tupleIJPaS6_EEENSE_IJSB_SB_EEENS0_18inequality_wrapperIN6hipcub16HIPCUB_304000_NS8EqualityEEEPlJS6_EEE10hipError_tPvRmT3_T4_T5_T6_T7_T9_mT8_P12ihipStream_tbDpT10_ENKUlT_T0_E_clISt17integral_constantIbLb1EES16_IbLb0EEEEDaS12_S13_EUlS12_E_NS1_11comp_targetILNS1_3genE5ELNS1_11target_archE942ELNS1_3gpuE9ELNS1_3repE0EEENS1_30default_config_static_selectorELNS0_4arch9wavefront6targetE0EEEvT1_
                                        ; -- End function
	.set _ZN7rocprim17ROCPRIM_400000_NS6detail17trampoline_kernelINS0_14default_configENS1_25partition_config_selectorILNS1_17partition_subalgoE8EaNS0_10empty_typeEbEEZZNS1_14partition_implILS5_8ELb0ES3_jPKaPS6_PKS6_NS0_5tupleIJPaS6_EEENSE_IJSB_SB_EEENS0_18inequality_wrapperIN6hipcub16HIPCUB_304000_NS8EqualityEEEPlJS6_EEE10hipError_tPvRmT3_T4_T5_T6_T7_T9_mT8_P12ihipStream_tbDpT10_ENKUlT_T0_E_clISt17integral_constantIbLb1EES16_IbLb0EEEEDaS12_S13_EUlS12_E_NS1_11comp_targetILNS1_3genE5ELNS1_11target_archE942ELNS1_3gpuE9ELNS1_3repE0EEENS1_30default_config_static_selectorELNS0_4arch9wavefront6targetE0EEEvT1_.num_vgpr, 0
	.set _ZN7rocprim17ROCPRIM_400000_NS6detail17trampoline_kernelINS0_14default_configENS1_25partition_config_selectorILNS1_17partition_subalgoE8EaNS0_10empty_typeEbEEZZNS1_14partition_implILS5_8ELb0ES3_jPKaPS6_PKS6_NS0_5tupleIJPaS6_EEENSE_IJSB_SB_EEENS0_18inequality_wrapperIN6hipcub16HIPCUB_304000_NS8EqualityEEEPlJS6_EEE10hipError_tPvRmT3_T4_T5_T6_T7_T9_mT8_P12ihipStream_tbDpT10_ENKUlT_T0_E_clISt17integral_constantIbLb1EES16_IbLb0EEEEDaS12_S13_EUlS12_E_NS1_11comp_targetILNS1_3genE5ELNS1_11target_archE942ELNS1_3gpuE9ELNS1_3repE0EEENS1_30default_config_static_selectorELNS0_4arch9wavefront6targetE0EEEvT1_.num_agpr, 0
	.set _ZN7rocprim17ROCPRIM_400000_NS6detail17trampoline_kernelINS0_14default_configENS1_25partition_config_selectorILNS1_17partition_subalgoE8EaNS0_10empty_typeEbEEZZNS1_14partition_implILS5_8ELb0ES3_jPKaPS6_PKS6_NS0_5tupleIJPaS6_EEENSE_IJSB_SB_EEENS0_18inequality_wrapperIN6hipcub16HIPCUB_304000_NS8EqualityEEEPlJS6_EEE10hipError_tPvRmT3_T4_T5_T6_T7_T9_mT8_P12ihipStream_tbDpT10_ENKUlT_T0_E_clISt17integral_constantIbLb1EES16_IbLb0EEEEDaS12_S13_EUlS12_E_NS1_11comp_targetILNS1_3genE5ELNS1_11target_archE942ELNS1_3gpuE9ELNS1_3repE0EEENS1_30default_config_static_selectorELNS0_4arch9wavefront6targetE0EEEvT1_.numbered_sgpr, 0
	.set _ZN7rocprim17ROCPRIM_400000_NS6detail17trampoline_kernelINS0_14default_configENS1_25partition_config_selectorILNS1_17partition_subalgoE8EaNS0_10empty_typeEbEEZZNS1_14partition_implILS5_8ELb0ES3_jPKaPS6_PKS6_NS0_5tupleIJPaS6_EEENSE_IJSB_SB_EEENS0_18inequality_wrapperIN6hipcub16HIPCUB_304000_NS8EqualityEEEPlJS6_EEE10hipError_tPvRmT3_T4_T5_T6_T7_T9_mT8_P12ihipStream_tbDpT10_ENKUlT_T0_E_clISt17integral_constantIbLb1EES16_IbLb0EEEEDaS12_S13_EUlS12_E_NS1_11comp_targetILNS1_3genE5ELNS1_11target_archE942ELNS1_3gpuE9ELNS1_3repE0EEENS1_30default_config_static_selectorELNS0_4arch9wavefront6targetE0EEEvT1_.num_named_barrier, 0
	.set _ZN7rocprim17ROCPRIM_400000_NS6detail17trampoline_kernelINS0_14default_configENS1_25partition_config_selectorILNS1_17partition_subalgoE8EaNS0_10empty_typeEbEEZZNS1_14partition_implILS5_8ELb0ES3_jPKaPS6_PKS6_NS0_5tupleIJPaS6_EEENSE_IJSB_SB_EEENS0_18inequality_wrapperIN6hipcub16HIPCUB_304000_NS8EqualityEEEPlJS6_EEE10hipError_tPvRmT3_T4_T5_T6_T7_T9_mT8_P12ihipStream_tbDpT10_ENKUlT_T0_E_clISt17integral_constantIbLb1EES16_IbLb0EEEEDaS12_S13_EUlS12_E_NS1_11comp_targetILNS1_3genE5ELNS1_11target_archE942ELNS1_3gpuE9ELNS1_3repE0EEENS1_30default_config_static_selectorELNS0_4arch9wavefront6targetE0EEEvT1_.private_seg_size, 0
	.set _ZN7rocprim17ROCPRIM_400000_NS6detail17trampoline_kernelINS0_14default_configENS1_25partition_config_selectorILNS1_17partition_subalgoE8EaNS0_10empty_typeEbEEZZNS1_14partition_implILS5_8ELb0ES3_jPKaPS6_PKS6_NS0_5tupleIJPaS6_EEENSE_IJSB_SB_EEENS0_18inequality_wrapperIN6hipcub16HIPCUB_304000_NS8EqualityEEEPlJS6_EEE10hipError_tPvRmT3_T4_T5_T6_T7_T9_mT8_P12ihipStream_tbDpT10_ENKUlT_T0_E_clISt17integral_constantIbLb1EES16_IbLb0EEEEDaS12_S13_EUlS12_E_NS1_11comp_targetILNS1_3genE5ELNS1_11target_archE942ELNS1_3gpuE9ELNS1_3repE0EEENS1_30default_config_static_selectorELNS0_4arch9wavefront6targetE0EEEvT1_.uses_vcc, 0
	.set _ZN7rocprim17ROCPRIM_400000_NS6detail17trampoline_kernelINS0_14default_configENS1_25partition_config_selectorILNS1_17partition_subalgoE8EaNS0_10empty_typeEbEEZZNS1_14partition_implILS5_8ELb0ES3_jPKaPS6_PKS6_NS0_5tupleIJPaS6_EEENSE_IJSB_SB_EEENS0_18inequality_wrapperIN6hipcub16HIPCUB_304000_NS8EqualityEEEPlJS6_EEE10hipError_tPvRmT3_T4_T5_T6_T7_T9_mT8_P12ihipStream_tbDpT10_ENKUlT_T0_E_clISt17integral_constantIbLb1EES16_IbLb0EEEEDaS12_S13_EUlS12_E_NS1_11comp_targetILNS1_3genE5ELNS1_11target_archE942ELNS1_3gpuE9ELNS1_3repE0EEENS1_30default_config_static_selectorELNS0_4arch9wavefront6targetE0EEEvT1_.uses_flat_scratch, 0
	.set _ZN7rocprim17ROCPRIM_400000_NS6detail17trampoline_kernelINS0_14default_configENS1_25partition_config_selectorILNS1_17partition_subalgoE8EaNS0_10empty_typeEbEEZZNS1_14partition_implILS5_8ELb0ES3_jPKaPS6_PKS6_NS0_5tupleIJPaS6_EEENSE_IJSB_SB_EEENS0_18inequality_wrapperIN6hipcub16HIPCUB_304000_NS8EqualityEEEPlJS6_EEE10hipError_tPvRmT3_T4_T5_T6_T7_T9_mT8_P12ihipStream_tbDpT10_ENKUlT_T0_E_clISt17integral_constantIbLb1EES16_IbLb0EEEEDaS12_S13_EUlS12_E_NS1_11comp_targetILNS1_3genE5ELNS1_11target_archE942ELNS1_3gpuE9ELNS1_3repE0EEENS1_30default_config_static_selectorELNS0_4arch9wavefront6targetE0EEEvT1_.has_dyn_sized_stack, 0
	.set _ZN7rocprim17ROCPRIM_400000_NS6detail17trampoline_kernelINS0_14default_configENS1_25partition_config_selectorILNS1_17partition_subalgoE8EaNS0_10empty_typeEbEEZZNS1_14partition_implILS5_8ELb0ES3_jPKaPS6_PKS6_NS0_5tupleIJPaS6_EEENSE_IJSB_SB_EEENS0_18inequality_wrapperIN6hipcub16HIPCUB_304000_NS8EqualityEEEPlJS6_EEE10hipError_tPvRmT3_T4_T5_T6_T7_T9_mT8_P12ihipStream_tbDpT10_ENKUlT_T0_E_clISt17integral_constantIbLb1EES16_IbLb0EEEEDaS12_S13_EUlS12_E_NS1_11comp_targetILNS1_3genE5ELNS1_11target_archE942ELNS1_3gpuE9ELNS1_3repE0EEENS1_30default_config_static_selectorELNS0_4arch9wavefront6targetE0EEEvT1_.has_recursion, 0
	.set _ZN7rocprim17ROCPRIM_400000_NS6detail17trampoline_kernelINS0_14default_configENS1_25partition_config_selectorILNS1_17partition_subalgoE8EaNS0_10empty_typeEbEEZZNS1_14partition_implILS5_8ELb0ES3_jPKaPS6_PKS6_NS0_5tupleIJPaS6_EEENSE_IJSB_SB_EEENS0_18inequality_wrapperIN6hipcub16HIPCUB_304000_NS8EqualityEEEPlJS6_EEE10hipError_tPvRmT3_T4_T5_T6_T7_T9_mT8_P12ihipStream_tbDpT10_ENKUlT_T0_E_clISt17integral_constantIbLb1EES16_IbLb0EEEEDaS12_S13_EUlS12_E_NS1_11comp_targetILNS1_3genE5ELNS1_11target_archE942ELNS1_3gpuE9ELNS1_3repE0EEENS1_30default_config_static_selectorELNS0_4arch9wavefront6targetE0EEEvT1_.has_indirect_call, 0
	.section	.AMDGPU.csdata,"",@progbits
; Kernel info:
; codeLenInByte = 0
; TotalNumSgprs: 0
; NumVgprs: 0
; ScratchSize: 0
; MemoryBound: 0
; FloatMode: 240
; IeeeMode: 1
; LDSByteSize: 0 bytes/workgroup (compile time only)
; SGPRBlocks: 0
; VGPRBlocks: 0
; NumSGPRsForWavesPerEU: 1
; NumVGPRsForWavesPerEU: 1
; NamedBarCnt: 0
; Occupancy: 16
; WaveLimiterHint : 0
; COMPUTE_PGM_RSRC2:SCRATCH_EN: 0
; COMPUTE_PGM_RSRC2:USER_SGPR: 2
; COMPUTE_PGM_RSRC2:TRAP_HANDLER: 0
; COMPUTE_PGM_RSRC2:TGID_X_EN: 1
; COMPUTE_PGM_RSRC2:TGID_Y_EN: 0
; COMPUTE_PGM_RSRC2:TGID_Z_EN: 0
; COMPUTE_PGM_RSRC2:TIDIG_COMP_CNT: 0
	.section	.text._ZN7rocprim17ROCPRIM_400000_NS6detail17trampoline_kernelINS0_14default_configENS1_25partition_config_selectorILNS1_17partition_subalgoE8EaNS0_10empty_typeEbEEZZNS1_14partition_implILS5_8ELb0ES3_jPKaPS6_PKS6_NS0_5tupleIJPaS6_EEENSE_IJSB_SB_EEENS0_18inequality_wrapperIN6hipcub16HIPCUB_304000_NS8EqualityEEEPlJS6_EEE10hipError_tPvRmT3_T4_T5_T6_T7_T9_mT8_P12ihipStream_tbDpT10_ENKUlT_T0_E_clISt17integral_constantIbLb1EES16_IbLb0EEEEDaS12_S13_EUlS12_E_NS1_11comp_targetILNS1_3genE4ELNS1_11target_archE910ELNS1_3gpuE8ELNS1_3repE0EEENS1_30default_config_static_selectorELNS0_4arch9wavefront6targetE0EEEvT1_,"axG",@progbits,_ZN7rocprim17ROCPRIM_400000_NS6detail17trampoline_kernelINS0_14default_configENS1_25partition_config_selectorILNS1_17partition_subalgoE8EaNS0_10empty_typeEbEEZZNS1_14partition_implILS5_8ELb0ES3_jPKaPS6_PKS6_NS0_5tupleIJPaS6_EEENSE_IJSB_SB_EEENS0_18inequality_wrapperIN6hipcub16HIPCUB_304000_NS8EqualityEEEPlJS6_EEE10hipError_tPvRmT3_T4_T5_T6_T7_T9_mT8_P12ihipStream_tbDpT10_ENKUlT_T0_E_clISt17integral_constantIbLb1EES16_IbLb0EEEEDaS12_S13_EUlS12_E_NS1_11comp_targetILNS1_3genE4ELNS1_11target_archE910ELNS1_3gpuE8ELNS1_3repE0EEENS1_30default_config_static_selectorELNS0_4arch9wavefront6targetE0EEEvT1_,comdat
	.protected	_ZN7rocprim17ROCPRIM_400000_NS6detail17trampoline_kernelINS0_14default_configENS1_25partition_config_selectorILNS1_17partition_subalgoE8EaNS0_10empty_typeEbEEZZNS1_14partition_implILS5_8ELb0ES3_jPKaPS6_PKS6_NS0_5tupleIJPaS6_EEENSE_IJSB_SB_EEENS0_18inequality_wrapperIN6hipcub16HIPCUB_304000_NS8EqualityEEEPlJS6_EEE10hipError_tPvRmT3_T4_T5_T6_T7_T9_mT8_P12ihipStream_tbDpT10_ENKUlT_T0_E_clISt17integral_constantIbLb1EES16_IbLb0EEEEDaS12_S13_EUlS12_E_NS1_11comp_targetILNS1_3genE4ELNS1_11target_archE910ELNS1_3gpuE8ELNS1_3repE0EEENS1_30default_config_static_selectorELNS0_4arch9wavefront6targetE0EEEvT1_ ; -- Begin function _ZN7rocprim17ROCPRIM_400000_NS6detail17trampoline_kernelINS0_14default_configENS1_25partition_config_selectorILNS1_17partition_subalgoE8EaNS0_10empty_typeEbEEZZNS1_14partition_implILS5_8ELb0ES3_jPKaPS6_PKS6_NS0_5tupleIJPaS6_EEENSE_IJSB_SB_EEENS0_18inequality_wrapperIN6hipcub16HIPCUB_304000_NS8EqualityEEEPlJS6_EEE10hipError_tPvRmT3_T4_T5_T6_T7_T9_mT8_P12ihipStream_tbDpT10_ENKUlT_T0_E_clISt17integral_constantIbLb1EES16_IbLb0EEEEDaS12_S13_EUlS12_E_NS1_11comp_targetILNS1_3genE4ELNS1_11target_archE910ELNS1_3gpuE8ELNS1_3repE0EEENS1_30default_config_static_selectorELNS0_4arch9wavefront6targetE0EEEvT1_
	.globl	_ZN7rocprim17ROCPRIM_400000_NS6detail17trampoline_kernelINS0_14default_configENS1_25partition_config_selectorILNS1_17partition_subalgoE8EaNS0_10empty_typeEbEEZZNS1_14partition_implILS5_8ELb0ES3_jPKaPS6_PKS6_NS0_5tupleIJPaS6_EEENSE_IJSB_SB_EEENS0_18inequality_wrapperIN6hipcub16HIPCUB_304000_NS8EqualityEEEPlJS6_EEE10hipError_tPvRmT3_T4_T5_T6_T7_T9_mT8_P12ihipStream_tbDpT10_ENKUlT_T0_E_clISt17integral_constantIbLb1EES16_IbLb0EEEEDaS12_S13_EUlS12_E_NS1_11comp_targetILNS1_3genE4ELNS1_11target_archE910ELNS1_3gpuE8ELNS1_3repE0EEENS1_30default_config_static_selectorELNS0_4arch9wavefront6targetE0EEEvT1_
	.p2align	8
	.type	_ZN7rocprim17ROCPRIM_400000_NS6detail17trampoline_kernelINS0_14default_configENS1_25partition_config_selectorILNS1_17partition_subalgoE8EaNS0_10empty_typeEbEEZZNS1_14partition_implILS5_8ELb0ES3_jPKaPS6_PKS6_NS0_5tupleIJPaS6_EEENSE_IJSB_SB_EEENS0_18inequality_wrapperIN6hipcub16HIPCUB_304000_NS8EqualityEEEPlJS6_EEE10hipError_tPvRmT3_T4_T5_T6_T7_T9_mT8_P12ihipStream_tbDpT10_ENKUlT_T0_E_clISt17integral_constantIbLb1EES16_IbLb0EEEEDaS12_S13_EUlS12_E_NS1_11comp_targetILNS1_3genE4ELNS1_11target_archE910ELNS1_3gpuE8ELNS1_3repE0EEENS1_30default_config_static_selectorELNS0_4arch9wavefront6targetE0EEEvT1_,@function
_ZN7rocprim17ROCPRIM_400000_NS6detail17trampoline_kernelINS0_14default_configENS1_25partition_config_selectorILNS1_17partition_subalgoE8EaNS0_10empty_typeEbEEZZNS1_14partition_implILS5_8ELb0ES3_jPKaPS6_PKS6_NS0_5tupleIJPaS6_EEENSE_IJSB_SB_EEENS0_18inequality_wrapperIN6hipcub16HIPCUB_304000_NS8EqualityEEEPlJS6_EEE10hipError_tPvRmT3_T4_T5_T6_T7_T9_mT8_P12ihipStream_tbDpT10_ENKUlT_T0_E_clISt17integral_constantIbLb1EES16_IbLb0EEEEDaS12_S13_EUlS12_E_NS1_11comp_targetILNS1_3genE4ELNS1_11target_archE910ELNS1_3gpuE8ELNS1_3repE0EEENS1_30default_config_static_selectorELNS0_4arch9wavefront6targetE0EEEvT1_: ; @_ZN7rocprim17ROCPRIM_400000_NS6detail17trampoline_kernelINS0_14default_configENS1_25partition_config_selectorILNS1_17partition_subalgoE8EaNS0_10empty_typeEbEEZZNS1_14partition_implILS5_8ELb0ES3_jPKaPS6_PKS6_NS0_5tupleIJPaS6_EEENSE_IJSB_SB_EEENS0_18inequality_wrapperIN6hipcub16HIPCUB_304000_NS8EqualityEEEPlJS6_EEE10hipError_tPvRmT3_T4_T5_T6_T7_T9_mT8_P12ihipStream_tbDpT10_ENKUlT_T0_E_clISt17integral_constantIbLb1EES16_IbLb0EEEEDaS12_S13_EUlS12_E_NS1_11comp_targetILNS1_3genE4ELNS1_11target_archE910ELNS1_3gpuE8ELNS1_3repE0EEENS1_30default_config_static_selectorELNS0_4arch9wavefront6targetE0EEEvT1_
; %bb.0:
	.section	.rodata,"a",@progbits
	.p2align	6, 0x0
	.amdhsa_kernel _ZN7rocprim17ROCPRIM_400000_NS6detail17trampoline_kernelINS0_14default_configENS1_25partition_config_selectorILNS1_17partition_subalgoE8EaNS0_10empty_typeEbEEZZNS1_14partition_implILS5_8ELb0ES3_jPKaPS6_PKS6_NS0_5tupleIJPaS6_EEENSE_IJSB_SB_EEENS0_18inequality_wrapperIN6hipcub16HIPCUB_304000_NS8EqualityEEEPlJS6_EEE10hipError_tPvRmT3_T4_T5_T6_T7_T9_mT8_P12ihipStream_tbDpT10_ENKUlT_T0_E_clISt17integral_constantIbLb1EES16_IbLb0EEEEDaS12_S13_EUlS12_E_NS1_11comp_targetILNS1_3genE4ELNS1_11target_archE910ELNS1_3gpuE8ELNS1_3repE0EEENS1_30default_config_static_selectorELNS0_4arch9wavefront6targetE0EEEvT1_
		.amdhsa_group_segment_fixed_size 0
		.amdhsa_private_segment_fixed_size 0
		.amdhsa_kernarg_size 112
		.amdhsa_user_sgpr_count 2
		.amdhsa_user_sgpr_dispatch_ptr 0
		.amdhsa_user_sgpr_queue_ptr 0
		.amdhsa_user_sgpr_kernarg_segment_ptr 1
		.amdhsa_user_sgpr_dispatch_id 0
		.amdhsa_user_sgpr_kernarg_preload_length 0
		.amdhsa_user_sgpr_kernarg_preload_offset 0
		.amdhsa_user_sgpr_private_segment_size 0
		.amdhsa_wavefront_size32 1
		.amdhsa_uses_dynamic_stack 0
		.amdhsa_enable_private_segment 0
		.amdhsa_system_sgpr_workgroup_id_x 1
		.amdhsa_system_sgpr_workgroup_id_y 0
		.amdhsa_system_sgpr_workgroup_id_z 0
		.amdhsa_system_sgpr_workgroup_info 0
		.amdhsa_system_vgpr_workitem_id 0
		.amdhsa_next_free_vgpr 1
		.amdhsa_next_free_sgpr 1
		.amdhsa_named_barrier_count 0
		.amdhsa_reserve_vcc 0
		.amdhsa_float_round_mode_32 0
		.amdhsa_float_round_mode_16_64 0
		.amdhsa_float_denorm_mode_32 3
		.amdhsa_float_denorm_mode_16_64 3
		.amdhsa_fp16_overflow 0
		.amdhsa_memory_ordered 1
		.amdhsa_forward_progress 1
		.amdhsa_inst_pref_size 0
		.amdhsa_round_robin_scheduling 0
		.amdhsa_exception_fp_ieee_invalid_op 0
		.amdhsa_exception_fp_denorm_src 0
		.amdhsa_exception_fp_ieee_div_zero 0
		.amdhsa_exception_fp_ieee_overflow 0
		.amdhsa_exception_fp_ieee_underflow 0
		.amdhsa_exception_fp_ieee_inexact 0
		.amdhsa_exception_int_div_zero 0
	.end_amdhsa_kernel
	.section	.text._ZN7rocprim17ROCPRIM_400000_NS6detail17trampoline_kernelINS0_14default_configENS1_25partition_config_selectorILNS1_17partition_subalgoE8EaNS0_10empty_typeEbEEZZNS1_14partition_implILS5_8ELb0ES3_jPKaPS6_PKS6_NS0_5tupleIJPaS6_EEENSE_IJSB_SB_EEENS0_18inequality_wrapperIN6hipcub16HIPCUB_304000_NS8EqualityEEEPlJS6_EEE10hipError_tPvRmT3_T4_T5_T6_T7_T9_mT8_P12ihipStream_tbDpT10_ENKUlT_T0_E_clISt17integral_constantIbLb1EES16_IbLb0EEEEDaS12_S13_EUlS12_E_NS1_11comp_targetILNS1_3genE4ELNS1_11target_archE910ELNS1_3gpuE8ELNS1_3repE0EEENS1_30default_config_static_selectorELNS0_4arch9wavefront6targetE0EEEvT1_,"axG",@progbits,_ZN7rocprim17ROCPRIM_400000_NS6detail17trampoline_kernelINS0_14default_configENS1_25partition_config_selectorILNS1_17partition_subalgoE8EaNS0_10empty_typeEbEEZZNS1_14partition_implILS5_8ELb0ES3_jPKaPS6_PKS6_NS0_5tupleIJPaS6_EEENSE_IJSB_SB_EEENS0_18inequality_wrapperIN6hipcub16HIPCUB_304000_NS8EqualityEEEPlJS6_EEE10hipError_tPvRmT3_T4_T5_T6_T7_T9_mT8_P12ihipStream_tbDpT10_ENKUlT_T0_E_clISt17integral_constantIbLb1EES16_IbLb0EEEEDaS12_S13_EUlS12_E_NS1_11comp_targetILNS1_3genE4ELNS1_11target_archE910ELNS1_3gpuE8ELNS1_3repE0EEENS1_30default_config_static_selectorELNS0_4arch9wavefront6targetE0EEEvT1_,comdat
.Lfunc_end221:
	.size	_ZN7rocprim17ROCPRIM_400000_NS6detail17trampoline_kernelINS0_14default_configENS1_25partition_config_selectorILNS1_17partition_subalgoE8EaNS0_10empty_typeEbEEZZNS1_14partition_implILS5_8ELb0ES3_jPKaPS6_PKS6_NS0_5tupleIJPaS6_EEENSE_IJSB_SB_EEENS0_18inequality_wrapperIN6hipcub16HIPCUB_304000_NS8EqualityEEEPlJS6_EEE10hipError_tPvRmT3_T4_T5_T6_T7_T9_mT8_P12ihipStream_tbDpT10_ENKUlT_T0_E_clISt17integral_constantIbLb1EES16_IbLb0EEEEDaS12_S13_EUlS12_E_NS1_11comp_targetILNS1_3genE4ELNS1_11target_archE910ELNS1_3gpuE8ELNS1_3repE0EEENS1_30default_config_static_selectorELNS0_4arch9wavefront6targetE0EEEvT1_, .Lfunc_end221-_ZN7rocprim17ROCPRIM_400000_NS6detail17trampoline_kernelINS0_14default_configENS1_25partition_config_selectorILNS1_17partition_subalgoE8EaNS0_10empty_typeEbEEZZNS1_14partition_implILS5_8ELb0ES3_jPKaPS6_PKS6_NS0_5tupleIJPaS6_EEENSE_IJSB_SB_EEENS0_18inequality_wrapperIN6hipcub16HIPCUB_304000_NS8EqualityEEEPlJS6_EEE10hipError_tPvRmT3_T4_T5_T6_T7_T9_mT8_P12ihipStream_tbDpT10_ENKUlT_T0_E_clISt17integral_constantIbLb1EES16_IbLb0EEEEDaS12_S13_EUlS12_E_NS1_11comp_targetILNS1_3genE4ELNS1_11target_archE910ELNS1_3gpuE8ELNS1_3repE0EEENS1_30default_config_static_selectorELNS0_4arch9wavefront6targetE0EEEvT1_
                                        ; -- End function
	.set _ZN7rocprim17ROCPRIM_400000_NS6detail17trampoline_kernelINS0_14default_configENS1_25partition_config_selectorILNS1_17partition_subalgoE8EaNS0_10empty_typeEbEEZZNS1_14partition_implILS5_8ELb0ES3_jPKaPS6_PKS6_NS0_5tupleIJPaS6_EEENSE_IJSB_SB_EEENS0_18inequality_wrapperIN6hipcub16HIPCUB_304000_NS8EqualityEEEPlJS6_EEE10hipError_tPvRmT3_T4_T5_T6_T7_T9_mT8_P12ihipStream_tbDpT10_ENKUlT_T0_E_clISt17integral_constantIbLb1EES16_IbLb0EEEEDaS12_S13_EUlS12_E_NS1_11comp_targetILNS1_3genE4ELNS1_11target_archE910ELNS1_3gpuE8ELNS1_3repE0EEENS1_30default_config_static_selectorELNS0_4arch9wavefront6targetE0EEEvT1_.num_vgpr, 0
	.set _ZN7rocprim17ROCPRIM_400000_NS6detail17trampoline_kernelINS0_14default_configENS1_25partition_config_selectorILNS1_17partition_subalgoE8EaNS0_10empty_typeEbEEZZNS1_14partition_implILS5_8ELb0ES3_jPKaPS6_PKS6_NS0_5tupleIJPaS6_EEENSE_IJSB_SB_EEENS0_18inequality_wrapperIN6hipcub16HIPCUB_304000_NS8EqualityEEEPlJS6_EEE10hipError_tPvRmT3_T4_T5_T6_T7_T9_mT8_P12ihipStream_tbDpT10_ENKUlT_T0_E_clISt17integral_constantIbLb1EES16_IbLb0EEEEDaS12_S13_EUlS12_E_NS1_11comp_targetILNS1_3genE4ELNS1_11target_archE910ELNS1_3gpuE8ELNS1_3repE0EEENS1_30default_config_static_selectorELNS0_4arch9wavefront6targetE0EEEvT1_.num_agpr, 0
	.set _ZN7rocprim17ROCPRIM_400000_NS6detail17trampoline_kernelINS0_14default_configENS1_25partition_config_selectorILNS1_17partition_subalgoE8EaNS0_10empty_typeEbEEZZNS1_14partition_implILS5_8ELb0ES3_jPKaPS6_PKS6_NS0_5tupleIJPaS6_EEENSE_IJSB_SB_EEENS0_18inequality_wrapperIN6hipcub16HIPCUB_304000_NS8EqualityEEEPlJS6_EEE10hipError_tPvRmT3_T4_T5_T6_T7_T9_mT8_P12ihipStream_tbDpT10_ENKUlT_T0_E_clISt17integral_constantIbLb1EES16_IbLb0EEEEDaS12_S13_EUlS12_E_NS1_11comp_targetILNS1_3genE4ELNS1_11target_archE910ELNS1_3gpuE8ELNS1_3repE0EEENS1_30default_config_static_selectorELNS0_4arch9wavefront6targetE0EEEvT1_.numbered_sgpr, 0
	.set _ZN7rocprim17ROCPRIM_400000_NS6detail17trampoline_kernelINS0_14default_configENS1_25partition_config_selectorILNS1_17partition_subalgoE8EaNS0_10empty_typeEbEEZZNS1_14partition_implILS5_8ELb0ES3_jPKaPS6_PKS6_NS0_5tupleIJPaS6_EEENSE_IJSB_SB_EEENS0_18inequality_wrapperIN6hipcub16HIPCUB_304000_NS8EqualityEEEPlJS6_EEE10hipError_tPvRmT3_T4_T5_T6_T7_T9_mT8_P12ihipStream_tbDpT10_ENKUlT_T0_E_clISt17integral_constantIbLb1EES16_IbLb0EEEEDaS12_S13_EUlS12_E_NS1_11comp_targetILNS1_3genE4ELNS1_11target_archE910ELNS1_3gpuE8ELNS1_3repE0EEENS1_30default_config_static_selectorELNS0_4arch9wavefront6targetE0EEEvT1_.num_named_barrier, 0
	.set _ZN7rocprim17ROCPRIM_400000_NS6detail17trampoline_kernelINS0_14default_configENS1_25partition_config_selectorILNS1_17partition_subalgoE8EaNS0_10empty_typeEbEEZZNS1_14partition_implILS5_8ELb0ES3_jPKaPS6_PKS6_NS0_5tupleIJPaS6_EEENSE_IJSB_SB_EEENS0_18inequality_wrapperIN6hipcub16HIPCUB_304000_NS8EqualityEEEPlJS6_EEE10hipError_tPvRmT3_T4_T5_T6_T7_T9_mT8_P12ihipStream_tbDpT10_ENKUlT_T0_E_clISt17integral_constantIbLb1EES16_IbLb0EEEEDaS12_S13_EUlS12_E_NS1_11comp_targetILNS1_3genE4ELNS1_11target_archE910ELNS1_3gpuE8ELNS1_3repE0EEENS1_30default_config_static_selectorELNS0_4arch9wavefront6targetE0EEEvT1_.private_seg_size, 0
	.set _ZN7rocprim17ROCPRIM_400000_NS6detail17trampoline_kernelINS0_14default_configENS1_25partition_config_selectorILNS1_17partition_subalgoE8EaNS0_10empty_typeEbEEZZNS1_14partition_implILS5_8ELb0ES3_jPKaPS6_PKS6_NS0_5tupleIJPaS6_EEENSE_IJSB_SB_EEENS0_18inequality_wrapperIN6hipcub16HIPCUB_304000_NS8EqualityEEEPlJS6_EEE10hipError_tPvRmT3_T4_T5_T6_T7_T9_mT8_P12ihipStream_tbDpT10_ENKUlT_T0_E_clISt17integral_constantIbLb1EES16_IbLb0EEEEDaS12_S13_EUlS12_E_NS1_11comp_targetILNS1_3genE4ELNS1_11target_archE910ELNS1_3gpuE8ELNS1_3repE0EEENS1_30default_config_static_selectorELNS0_4arch9wavefront6targetE0EEEvT1_.uses_vcc, 0
	.set _ZN7rocprim17ROCPRIM_400000_NS6detail17trampoline_kernelINS0_14default_configENS1_25partition_config_selectorILNS1_17partition_subalgoE8EaNS0_10empty_typeEbEEZZNS1_14partition_implILS5_8ELb0ES3_jPKaPS6_PKS6_NS0_5tupleIJPaS6_EEENSE_IJSB_SB_EEENS0_18inequality_wrapperIN6hipcub16HIPCUB_304000_NS8EqualityEEEPlJS6_EEE10hipError_tPvRmT3_T4_T5_T6_T7_T9_mT8_P12ihipStream_tbDpT10_ENKUlT_T0_E_clISt17integral_constantIbLb1EES16_IbLb0EEEEDaS12_S13_EUlS12_E_NS1_11comp_targetILNS1_3genE4ELNS1_11target_archE910ELNS1_3gpuE8ELNS1_3repE0EEENS1_30default_config_static_selectorELNS0_4arch9wavefront6targetE0EEEvT1_.uses_flat_scratch, 0
	.set _ZN7rocprim17ROCPRIM_400000_NS6detail17trampoline_kernelINS0_14default_configENS1_25partition_config_selectorILNS1_17partition_subalgoE8EaNS0_10empty_typeEbEEZZNS1_14partition_implILS5_8ELb0ES3_jPKaPS6_PKS6_NS0_5tupleIJPaS6_EEENSE_IJSB_SB_EEENS0_18inequality_wrapperIN6hipcub16HIPCUB_304000_NS8EqualityEEEPlJS6_EEE10hipError_tPvRmT3_T4_T5_T6_T7_T9_mT8_P12ihipStream_tbDpT10_ENKUlT_T0_E_clISt17integral_constantIbLb1EES16_IbLb0EEEEDaS12_S13_EUlS12_E_NS1_11comp_targetILNS1_3genE4ELNS1_11target_archE910ELNS1_3gpuE8ELNS1_3repE0EEENS1_30default_config_static_selectorELNS0_4arch9wavefront6targetE0EEEvT1_.has_dyn_sized_stack, 0
	.set _ZN7rocprim17ROCPRIM_400000_NS6detail17trampoline_kernelINS0_14default_configENS1_25partition_config_selectorILNS1_17partition_subalgoE8EaNS0_10empty_typeEbEEZZNS1_14partition_implILS5_8ELb0ES3_jPKaPS6_PKS6_NS0_5tupleIJPaS6_EEENSE_IJSB_SB_EEENS0_18inequality_wrapperIN6hipcub16HIPCUB_304000_NS8EqualityEEEPlJS6_EEE10hipError_tPvRmT3_T4_T5_T6_T7_T9_mT8_P12ihipStream_tbDpT10_ENKUlT_T0_E_clISt17integral_constantIbLb1EES16_IbLb0EEEEDaS12_S13_EUlS12_E_NS1_11comp_targetILNS1_3genE4ELNS1_11target_archE910ELNS1_3gpuE8ELNS1_3repE0EEENS1_30default_config_static_selectorELNS0_4arch9wavefront6targetE0EEEvT1_.has_recursion, 0
	.set _ZN7rocprim17ROCPRIM_400000_NS6detail17trampoline_kernelINS0_14default_configENS1_25partition_config_selectorILNS1_17partition_subalgoE8EaNS0_10empty_typeEbEEZZNS1_14partition_implILS5_8ELb0ES3_jPKaPS6_PKS6_NS0_5tupleIJPaS6_EEENSE_IJSB_SB_EEENS0_18inequality_wrapperIN6hipcub16HIPCUB_304000_NS8EqualityEEEPlJS6_EEE10hipError_tPvRmT3_T4_T5_T6_T7_T9_mT8_P12ihipStream_tbDpT10_ENKUlT_T0_E_clISt17integral_constantIbLb1EES16_IbLb0EEEEDaS12_S13_EUlS12_E_NS1_11comp_targetILNS1_3genE4ELNS1_11target_archE910ELNS1_3gpuE8ELNS1_3repE0EEENS1_30default_config_static_selectorELNS0_4arch9wavefront6targetE0EEEvT1_.has_indirect_call, 0
	.section	.AMDGPU.csdata,"",@progbits
; Kernel info:
; codeLenInByte = 0
; TotalNumSgprs: 0
; NumVgprs: 0
; ScratchSize: 0
; MemoryBound: 0
; FloatMode: 240
; IeeeMode: 1
; LDSByteSize: 0 bytes/workgroup (compile time only)
; SGPRBlocks: 0
; VGPRBlocks: 0
; NumSGPRsForWavesPerEU: 1
; NumVGPRsForWavesPerEU: 1
; NamedBarCnt: 0
; Occupancy: 16
; WaveLimiterHint : 0
; COMPUTE_PGM_RSRC2:SCRATCH_EN: 0
; COMPUTE_PGM_RSRC2:USER_SGPR: 2
; COMPUTE_PGM_RSRC2:TRAP_HANDLER: 0
; COMPUTE_PGM_RSRC2:TGID_X_EN: 1
; COMPUTE_PGM_RSRC2:TGID_Y_EN: 0
; COMPUTE_PGM_RSRC2:TGID_Z_EN: 0
; COMPUTE_PGM_RSRC2:TIDIG_COMP_CNT: 0
	.section	.text._ZN7rocprim17ROCPRIM_400000_NS6detail17trampoline_kernelINS0_14default_configENS1_25partition_config_selectorILNS1_17partition_subalgoE8EaNS0_10empty_typeEbEEZZNS1_14partition_implILS5_8ELb0ES3_jPKaPS6_PKS6_NS0_5tupleIJPaS6_EEENSE_IJSB_SB_EEENS0_18inequality_wrapperIN6hipcub16HIPCUB_304000_NS8EqualityEEEPlJS6_EEE10hipError_tPvRmT3_T4_T5_T6_T7_T9_mT8_P12ihipStream_tbDpT10_ENKUlT_T0_E_clISt17integral_constantIbLb1EES16_IbLb0EEEEDaS12_S13_EUlS12_E_NS1_11comp_targetILNS1_3genE3ELNS1_11target_archE908ELNS1_3gpuE7ELNS1_3repE0EEENS1_30default_config_static_selectorELNS0_4arch9wavefront6targetE0EEEvT1_,"axG",@progbits,_ZN7rocprim17ROCPRIM_400000_NS6detail17trampoline_kernelINS0_14default_configENS1_25partition_config_selectorILNS1_17partition_subalgoE8EaNS0_10empty_typeEbEEZZNS1_14partition_implILS5_8ELb0ES3_jPKaPS6_PKS6_NS0_5tupleIJPaS6_EEENSE_IJSB_SB_EEENS0_18inequality_wrapperIN6hipcub16HIPCUB_304000_NS8EqualityEEEPlJS6_EEE10hipError_tPvRmT3_T4_T5_T6_T7_T9_mT8_P12ihipStream_tbDpT10_ENKUlT_T0_E_clISt17integral_constantIbLb1EES16_IbLb0EEEEDaS12_S13_EUlS12_E_NS1_11comp_targetILNS1_3genE3ELNS1_11target_archE908ELNS1_3gpuE7ELNS1_3repE0EEENS1_30default_config_static_selectorELNS0_4arch9wavefront6targetE0EEEvT1_,comdat
	.protected	_ZN7rocprim17ROCPRIM_400000_NS6detail17trampoline_kernelINS0_14default_configENS1_25partition_config_selectorILNS1_17partition_subalgoE8EaNS0_10empty_typeEbEEZZNS1_14partition_implILS5_8ELb0ES3_jPKaPS6_PKS6_NS0_5tupleIJPaS6_EEENSE_IJSB_SB_EEENS0_18inequality_wrapperIN6hipcub16HIPCUB_304000_NS8EqualityEEEPlJS6_EEE10hipError_tPvRmT3_T4_T5_T6_T7_T9_mT8_P12ihipStream_tbDpT10_ENKUlT_T0_E_clISt17integral_constantIbLb1EES16_IbLb0EEEEDaS12_S13_EUlS12_E_NS1_11comp_targetILNS1_3genE3ELNS1_11target_archE908ELNS1_3gpuE7ELNS1_3repE0EEENS1_30default_config_static_selectorELNS0_4arch9wavefront6targetE0EEEvT1_ ; -- Begin function _ZN7rocprim17ROCPRIM_400000_NS6detail17trampoline_kernelINS0_14default_configENS1_25partition_config_selectorILNS1_17partition_subalgoE8EaNS0_10empty_typeEbEEZZNS1_14partition_implILS5_8ELb0ES3_jPKaPS6_PKS6_NS0_5tupleIJPaS6_EEENSE_IJSB_SB_EEENS0_18inequality_wrapperIN6hipcub16HIPCUB_304000_NS8EqualityEEEPlJS6_EEE10hipError_tPvRmT3_T4_T5_T6_T7_T9_mT8_P12ihipStream_tbDpT10_ENKUlT_T0_E_clISt17integral_constantIbLb1EES16_IbLb0EEEEDaS12_S13_EUlS12_E_NS1_11comp_targetILNS1_3genE3ELNS1_11target_archE908ELNS1_3gpuE7ELNS1_3repE0EEENS1_30default_config_static_selectorELNS0_4arch9wavefront6targetE0EEEvT1_
	.globl	_ZN7rocprim17ROCPRIM_400000_NS6detail17trampoline_kernelINS0_14default_configENS1_25partition_config_selectorILNS1_17partition_subalgoE8EaNS0_10empty_typeEbEEZZNS1_14partition_implILS5_8ELb0ES3_jPKaPS6_PKS6_NS0_5tupleIJPaS6_EEENSE_IJSB_SB_EEENS0_18inequality_wrapperIN6hipcub16HIPCUB_304000_NS8EqualityEEEPlJS6_EEE10hipError_tPvRmT3_T4_T5_T6_T7_T9_mT8_P12ihipStream_tbDpT10_ENKUlT_T0_E_clISt17integral_constantIbLb1EES16_IbLb0EEEEDaS12_S13_EUlS12_E_NS1_11comp_targetILNS1_3genE3ELNS1_11target_archE908ELNS1_3gpuE7ELNS1_3repE0EEENS1_30default_config_static_selectorELNS0_4arch9wavefront6targetE0EEEvT1_
	.p2align	8
	.type	_ZN7rocprim17ROCPRIM_400000_NS6detail17trampoline_kernelINS0_14default_configENS1_25partition_config_selectorILNS1_17partition_subalgoE8EaNS0_10empty_typeEbEEZZNS1_14partition_implILS5_8ELb0ES3_jPKaPS6_PKS6_NS0_5tupleIJPaS6_EEENSE_IJSB_SB_EEENS0_18inequality_wrapperIN6hipcub16HIPCUB_304000_NS8EqualityEEEPlJS6_EEE10hipError_tPvRmT3_T4_T5_T6_T7_T9_mT8_P12ihipStream_tbDpT10_ENKUlT_T0_E_clISt17integral_constantIbLb1EES16_IbLb0EEEEDaS12_S13_EUlS12_E_NS1_11comp_targetILNS1_3genE3ELNS1_11target_archE908ELNS1_3gpuE7ELNS1_3repE0EEENS1_30default_config_static_selectorELNS0_4arch9wavefront6targetE0EEEvT1_,@function
_ZN7rocprim17ROCPRIM_400000_NS6detail17trampoline_kernelINS0_14default_configENS1_25partition_config_selectorILNS1_17partition_subalgoE8EaNS0_10empty_typeEbEEZZNS1_14partition_implILS5_8ELb0ES3_jPKaPS6_PKS6_NS0_5tupleIJPaS6_EEENSE_IJSB_SB_EEENS0_18inequality_wrapperIN6hipcub16HIPCUB_304000_NS8EqualityEEEPlJS6_EEE10hipError_tPvRmT3_T4_T5_T6_T7_T9_mT8_P12ihipStream_tbDpT10_ENKUlT_T0_E_clISt17integral_constantIbLb1EES16_IbLb0EEEEDaS12_S13_EUlS12_E_NS1_11comp_targetILNS1_3genE3ELNS1_11target_archE908ELNS1_3gpuE7ELNS1_3repE0EEENS1_30default_config_static_selectorELNS0_4arch9wavefront6targetE0EEEvT1_: ; @_ZN7rocprim17ROCPRIM_400000_NS6detail17trampoline_kernelINS0_14default_configENS1_25partition_config_selectorILNS1_17partition_subalgoE8EaNS0_10empty_typeEbEEZZNS1_14partition_implILS5_8ELb0ES3_jPKaPS6_PKS6_NS0_5tupleIJPaS6_EEENSE_IJSB_SB_EEENS0_18inequality_wrapperIN6hipcub16HIPCUB_304000_NS8EqualityEEEPlJS6_EEE10hipError_tPvRmT3_T4_T5_T6_T7_T9_mT8_P12ihipStream_tbDpT10_ENKUlT_T0_E_clISt17integral_constantIbLb1EES16_IbLb0EEEEDaS12_S13_EUlS12_E_NS1_11comp_targetILNS1_3genE3ELNS1_11target_archE908ELNS1_3gpuE7ELNS1_3repE0EEENS1_30default_config_static_selectorELNS0_4arch9wavefront6targetE0EEEvT1_
; %bb.0:
	.section	.rodata,"a",@progbits
	.p2align	6, 0x0
	.amdhsa_kernel _ZN7rocprim17ROCPRIM_400000_NS6detail17trampoline_kernelINS0_14default_configENS1_25partition_config_selectorILNS1_17partition_subalgoE8EaNS0_10empty_typeEbEEZZNS1_14partition_implILS5_8ELb0ES3_jPKaPS6_PKS6_NS0_5tupleIJPaS6_EEENSE_IJSB_SB_EEENS0_18inequality_wrapperIN6hipcub16HIPCUB_304000_NS8EqualityEEEPlJS6_EEE10hipError_tPvRmT3_T4_T5_T6_T7_T9_mT8_P12ihipStream_tbDpT10_ENKUlT_T0_E_clISt17integral_constantIbLb1EES16_IbLb0EEEEDaS12_S13_EUlS12_E_NS1_11comp_targetILNS1_3genE3ELNS1_11target_archE908ELNS1_3gpuE7ELNS1_3repE0EEENS1_30default_config_static_selectorELNS0_4arch9wavefront6targetE0EEEvT1_
		.amdhsa_group_segment_fixed_size 0
		.amdhsa_private_segment_fixed_size 0
		.amdhsa_kernarg_size 112
		.amdhsa_user_sgpr_count 2
		.amdhsa_user_sgpr_dispatch_ptr 0
		.amdhsa_user_sgpr_queue_ptr 0
		.amdhsa_user_sgpr_kernarg_segment_ptr 1
		.amdhsa_user_sgpr_dispatch_id 0
		.amdhsa_user_sgpr_kernarg_preload_length 0
		.amdhsa_user_sgpr_kernarg_preload_offset 0
		.amdhsa_user_sgpr_private_segment_size 0
		.amdhsa_wavefront_size32 1
		.amdhsa_uses_dynamic_stack 0
		.amdhsa_enable_private_segment 0
		.amdhsa_system_sgpr_workgroup_id_x 1
		.amdhsa_system_sgpr_workgroup_id_y 0
		.amdhsa_system_sgpr_workgroup_id_z 0
		.amdhsa_system_sgpr_workgroup_info 0
		.amdhsa_system_vgpr_workitem_id 0
		.amdhsa_next_free_vgpr 1
		.amdhsa_next_free_sgpr 1
		.amdhsa_named_barrier_count 0
		.amdhsa_reserve_vcc 0
		.amdhsa_float_round_mode_32 0
		.amdhsa_float_round_mode_16_64 0
		.amdhsa_float_denorm_mode_32 3
		.amdhsa_float_denorm_mode_16_64 3
		.amdhsa_fp16_overflow 0
		.amdhsa_memory_ordered 1
		.amdhsa_forward_progress 1
		.amdhsa_inst_pref_size 0
		.amdhsa_round_robin_scheduling 0
		.amdhsa_exception_fp_ieee_invalid_op 0
		.amdhsa_exception_fp_denorm_src 0
		.amdhsa_exception_fp_ieee_div_zero 0
		.amdhsa_exception_fp_ieee_overflow 0
		.amdhsa_exception_fp_ieee_underflow 0
		.amdhsa_exception_fp_ieee_inexact 0
		.amdhsa_exception_int_div_zero 0
	.end_amdhsa_kernel
	.section	.text._ZN7rocprim17ROCPRIM_400000_NS6detail17trampoline_kernelINS0_14default_configENS1_25partition_config_selectorILNS1_17partition_subalgoE8EaNS0_10empty_typeEbEEZZNS1_14partition_implILS5_8ELb0ES3_jPKaPS6_PKS6_NS0_5tupleIJPaS6_EEENSE_IJSB_SB_EEENS0_18inequality_wrapperIN6hipcub16HIPCUB_304000_NS8EqualityEEEPlJS6_EEE10hipError_tPvRmT3_T4_T5_T6_T7_T9_mT8_P12ihipStream_tbDpT10_ENKUlT_T0_E_clISt17integral_constantIbLb1EES16_IbLb0EEEEDaS12_S13_EUlS12_E_NS1_11comp_targetILNS1_3genE3ELNS1_11target_archE908ELNS1_3gpuE7ELNS1_3repE0EEENS1_30default_config_static_selectorELNS0_4arch9wavefront6targetE0EEEvT1_,"axG",@progbits,_ZN7rocprim17ROCPRIM_400000_NS6detail17trampoline_kernelINS0_14default_configENS1_25partition_config_selectorILNS1_17partition_subalgoE8EaNS0_10empty_typeEbEEZZNS1_14partition_implILS5_8ELb0ES3_jPKaPS6_PKS6_NS0_5tupleIJPaS6_EEENSE_IJSB_SB_EEENS0_18inequality_wrapperIN6hipcub16HIPCUB_304000_NS8EqualityEEEPlJS6_EEE10hipError_tPvRmT3_T4_T5_T6_T7_T9_mT8_P12ihipStream_tbDpT10_ENKUlT_T0_E_clISt17integral_constantIbLb1EES16_IbLb0EEEEDaS12_S13_EUlS12_E_NS1_11comp_targetILNS1_3genE3ELNS1_11target_archE908ELNS1_3gpuE7ELNS1_3repE0EEENS1_30default_config_static_selectorELNS0_4arch9wavefront6targetE0EEEvT1_,comdat
.Lfunc_end222:
	.size	_ZN7rocprim17ROCPRIM_400000_NS6detail17trampoline_kernelINS0_14default_configENS1_25partition_config_selectorILNS1_17partition_subalgoE8EaNS0_10empty_typeEbEEZZNS1_14partition_implILS5_8ELb0ES3_jPKaPS6_PKS6_NS0_5tupleIJPaS6_EEENSE_IJSB_SB_EEENS0_18inequality_wrapperIN6hipcub16HIPCUB_304000_NS8EqualityEEEPlJS6_EEE10hipError_tPvRmT3_T4_T5_T6_T7_T9_mT8_P12ihipStream_tbDpT10_ENKUlT_T0_E_clISt17integral_constantIbLb1EES16_IbLb0EEEEDaS12_S13_EUlS12_E_NS1_11comp_targetILNS1_3genE3ELNS1_11target_archE908ELNS1_3gpuE7ELNS1_3repE0EEENS1_30default_config_static_selectorELNS0_4arch9wavefront6targetE0EEEvT1_, .Lfunc_end222-_ZN7rocprim17ROCPRIM_400000_NS6detail17trampoline_kernelINS0_14default_configENS1_25partition_config_selectorILNS1_17partition_subalgoE8EaNS0_10empty_typeEbEEZZNS1_14partition_implILS5_8ELb0ES3_jPKaPS6_PKS6_NS0_5tupleIJPaS6_EEENSE_IJSB_SB_EEENS0_18inequality_wrapperIN6hipcub16HIPCUB_304000_NS8EqualityEEEPlJS6_EEE10hipError_tPvRmT3_T4_T5_T6_T7_T9_mT8_P12ihipStream_tbDpT10_ENKUlT_T0_E_clISt17integral_constantIbLb1EES16_IbLb0EEEEDaS12_S13_EUlS12_E_NS1_11comp_targetILNS1_3genE3ELNS1_11target_archE908ELNS1_3gpuE7ELNS1_3repE0EEENS1_30default_config_static_selectorELNS0_4arch9wavefront6targetE0EEEvT1_
                                        ; -- End function
	.set _ZN7rocprim17ROCPRIM_400000_NS6detail17trampoline_kernelINS0_14default_configENS1_25partition_config_selectorILNS1_17partition_subalgoE8EaNS0_10empty_typeEbEEZZNS1_14partition_implILS5_8ELb0ES3_jPKaPS6_PKS6_NS0_5tupleIJPaS6_EEENSE_IJSB_SB_EEENS0_18inequality_wrapperIN6hipcub16HIPCUB_304000_NS8EqualityEEEPlJS6_EEE10hipError_tPvRmT3_T4_T5_T6_T7_T9_mT8_P12ihipStream_tbDpT10_ENKUlT_T0_E_clISt17integral_constantIbLb1EES16_IbLb0EEEEDaS12_S13_EUlS12_E_NS1_11comp_targetILNS1_3genE3ELNS1_11target_archE908ELNS1_3gpuE7ELNS1_3repE0EEENS1_30default_config_static_selectorELNS0_4arch9wavefront6targetE0EEEvT1_.num_vgpr, 0
	.set _ZN7rocprim17ROCPRIM_400000_NS6detail17trampoline_kernelINS0_14default_configENS1_25partition_config_selectorILNS1_17partition_subalgoE8EaNS0_10empty_typeEbEEZZNS1_14partition_implILS5_8ELb0ES3_jPKaPS6_PKS6_NS0_5tupleIJPaS6_EEENSE_IJSB_SB_EEENS0_18inequality_wrapperIN6hipcub16HIPCUB_304000_NS8EqualityEEEPlJS6_EEE10hipError_tPvRmT3_T4_T5_T6_T7_T9_mT8_P12ihipStream_tbDpT10_ENKUlT_T0_E_clISt17integral_constantIbLb1EES16_IbLb0EEEEDaS12_S13_EUlS12_E_NS1_11comp_targetILNS1_3genE3ELNS1_11target_archE908ELNS1_3gpuE7ELNS1_3repE0EEENS1_30default_config_static_selectorELNS0_4arch9wavefront6targetE0EEEvT1_.num_agpr, 0
	.set _ZN7rocprim17ROCPRIM_400000_NS6detail17trampoline_kernelINS0_14default_configENS1_25partition_config_selectorILNS1_17partition_subalgoE8EaNS0_10empty_typeEbEEZZNS1_14partition_implILS5_8ELb0ES3_jPKaPS6_PKS6_NS0_5tupleIJPaS6_EEENSE_IJSB_SB_EEENS0_18inequality_wrapperIN6hipcub16HIPCUB_304000_NS8EqualityEEEPlJS6_EEE10hipError_tPvRmT3_T4_T5_T6_T7_T9_mT8_P12ihipStream_tbDpT10_ENKUlT_T0_E_clISt17integral_constantIbLb1EES16_IbLb0EEEEDaS12_S13_EUlS12_E_NS1_11comp_targetILNS1_3genE3ELNS1_11target_archE908ELNS1_3gpuE7ELNS1_3repE0EEENS1_30default_config_static_selectorELNS0_4arch9wavefront6targetE0EEEvT1_.numbered_sgpr, 0
	.set _ZN7rocprim17ROCPRIM_400000_NS6detail17trampoline_kernelINS0_14default_configENS1_25partition_config_selectorILNS1_17partition_subalgoE8EaNS0_10empty_typeEbEEZZNS1_14partition_implILS5_8ELb0ES3_jPKaPS6_PKS6_NS0_5tupleIJPaS6_EEENSE_IJSB_SB_EEENS0_18inequality_wrapperIN6hipcub16HIPCUB_304000_NS8EqualityEEEPlJS6_EEE10hipError_tPvRmT3_T4_T5_T6_T7_T9_mT8_P12ihipStream_tbDpT10_ENKUlT_T0_E_clISt17integral_constantIbLb1EES16_IbLb0EEEEDaS12_S13_EUlS12_E_NS1_11comp_targetILNS1_3genE3ELNS1_11target_archE908ELNS1_3gpuE7ELNS1_3repE0EEENS1_30default_config_static_selectorELNS0_4arch9wavefront6targetE0EEEvT1_.num_named_barrier, 0
	.set _ZN7rocprim17ROCPRIM_400000_NS6detail17trampoline_kernelINS0_14default_configENS1_25partition_config_selectorILNS1_17partition_subalgoE8EaNS0_10empty_typeEbEEZZNS1_14partition_implILS5_8ELb0ES3_jPKaPS6_PKS6_NS0_5tupleIJPaS6_EEENSE_IJSB_SB_EEENS0_18inequality_wrapperIN6hipcub16HIPCUB_304000_NS8EqualityEEEPlJS6_EEE10hipError_tPvRmT3_T4_T5_T6_T7_T9_mT8_P12ihipStream_tbDpT10_ENKUlT_T0_E_clISt17integral_constantIbLb1EES16_IbLb0EEEEDaS12_S13_EUlS12_E_NS1_11comp_targetILNS1_3genE3ELNS1_11target_archE908ELNS1_3gpuE7ELNS1_3repE0EEENS1_30default_config_static_selectorELNS0_4arch9wavefront6targetE0EEEvT1_.private_seg_size, 0
	.set _ZN7rocprim17ROCPRIM_400000_NS6detail17trampoline_kernelINS0_14default_configENS1_25partition_config_selectorILNS1_17partition_subalgoE8EaNS0_10empty_typeEbEEZZNS1_14partition_implILS5_8ELb0ES3_jPKaPS6_PKS6_NS0_5tupleIJPaS6_EEENSE_IJSB_SB_EEENS0_18inequality_wrapperIN6hipcub16HIPCUB_304000_NS8EqualityEEEPlJS6_EEE10hipError_tPvRmT3_T4_T5_T6_T7_T9_mT8_P12ihipStream_tbDpT10_ENKUlT_T0_E_clISt17integral_constantIbLb1EES16_IbLb0EEEEDaS12_S13_EUlS12_E_NS1_11comp_targetILNS1_3genE3ELNS1_11target_archE908ELNS1_3gpuE7ELNS1_3repE0EEENS1_30default_config_static_selectorELNS0_4arch9wavefront6targetE0EEEvT1_.uses_vcc, 0
	.set _ZN7rocprim17ROCPRIM_400000_NS6detail17trampoline_kernelINS0_14default_configENS1_25partition_config_selectorILNS1_17partition_subalgoE8EaNS0_10empty_typeEbEEZZNS1_14partition_implILS5_8ELb0ES3_jPKaPS6_PKS6_NS0_5tupleIJPaS6_EEENSE_IJSB_SB_EEENS0_18inequality_wrapperIN6hipcub16HIPCUB_304000_NS8EqualityEEEPlJS6_EEE10hipError_tPvRmT3_T4_T5_T6_T7_T9_mT8_P12ihipStream_tbDpT10_ENKUlT_T0_E_clISt17integral_constantIbLb1EES16_IbLb0EEEEDaS12_S13_EUlS12_E_NS1_11comp_targetILNS1_3genE3ELNS1_11target_archE908ELNS1_3gpuE7ELNS1_3repE0EEENS1_30default_config_static_selectorELNS0_4arch9wavefront6targetE0EEEvT1_.uses_flat_scratch, 0
	.set _ZN7rocprim17ROCPRIM_400000_NS6detail17trampoline_kernelINS0_14default_configENS1_25partition_config_selectorILNS1_17partition_subalgoE8EaNS0_10empty_typeEbEEZZNS1_14partition_implILS5_8ELb0ES3_jPKaPS6_PKS6_NS0_5tupleIJPaS6_EEENSE_IJSB_SB_EEENS0_18inequality_wrapperIN6hipcub16HIPCUB_304000_NS8EqualityEEEPlJS6_EEE10hipError_tPvRmT3_T4_T5_T6_T7_T9_mT8_P12ihipStream_tbDpT10_ENKUlT_T0_E_clISt17integral_constantIbLb1EES16_IbLb0EEEEDaS12_S13_EUlS12_E_NS1_11comp_targetILNS1_3genE3ELNS1_11target_archE908ELNS1_3gpuE7ELNS1_3repE0EEENS1_30default_config_static_selectorELNS0_4arch9wavefront6targetE0EEEvT1_.has_dyn_sized_stack, 0
	.set _ZN7rocprim17ROCPRIM_400000_NS6detail17trampoline_kernelINS0_14default_configENS1_25partition_config_selectorILNS1_17partition_subalgoE8EaNS0_10empty_typeEbEEZZNS1_14partition_implILS5_8ELb0ES3_jPKaPS6_PKS6_NS0_5tupleIJPaS6_EEENSE_IJSB_SB_EEENS0_18inequality_wrapperIN6hipcub16HIPCUB_304000_NS8EqualityEEEPlJS6_EEE10hipError_tPvRmT3_T4_T5_T6_T7_T9_mT8_P12ihipStream_tbDpT10_ENKUlT_T0_E_clISt17integral_constantIbLb1EES16_IbLb0EEEEDaS12_S13_EUlS12_E_NS1_11comp_targetILNS1_3genE3ELNS1_11target_archE908ELNS1_3gpuE7ELNS1_3repE0EEENS1_30default_config_static_selectorELNS0_4arch9wavefront6targetE0EEEvT1_.has_recursion, 0
	.set _ZN7rocprim17ROCPRIM_400000_NS6detail17trampoline_kernelINS0_14default_configENS1_25partition_config_selectorILNS1_17partition_subalgoE8EaNS0_10empty_typeEbEEZZNS1_14partition_implILS5_8ELb0ES3_jPKaPS6_PKS6_NS0_5tupleIJPaS6_EEENSE_IJSB_SB_EEENS0_18inequality_wrapperIN6hipcub16HIPCUB_304000_NS8EqualityEEEPlJS6_EEE10hipError_tPvRmT3_T4_T5_T6_T7_T9_mT8_P12ihipStream_tbDpT10_ENKUlT_T0_E_clISt17integral_constantIbLb1EES16_IbLb0EEEEDaS12_S13_EUlS12_E_NS1_11comp_targetILNS1_3genE3ELNS1_11target_archE908ELNS1_3gpuE7ELNS1_3repE0EEENS1_30default_config_static_selectorELNS0_4arch9wavefront6targetE0EEEvT1_.has_indirect_call, 0
	.section	.AMDGPU.csdata,"",@progbits
; Kernel info:
; codeLenInByte = 0
; TotalNumSgprs: 0
; NumVgprs: 0
; ScratchSize: 0
; MemoryBound: 0
; FloatMode: 240
; IeeeMode: 1
; LDSByteSize: 0 bytes/workgroup (compile time only)
; SGPRBlocks: 0
; VGPRBlocks: 0
; NumSGPRsForWavesPerEU: 1
; NumVGPRsForWavesPerEU: 1
; NamedBarCnt: 0
; Occupancy: 16
; WaveLimiterHint : 0
; COMPUTE_PGM_RSRC2:SCRATCH_EN: 0
; COMPUTE_PGM_RSRC2:USER_SGPR: 2
; COMPUTE_PGM_RSRC2:TRAP_HANDLER: 0
; COMPUTE_PGM_RSRC2:TGID_X_EN: 1
; COMPUTE_PGM_RSRC2:TGID_Y_EN: 0
; COMPUTE_PGM_RSRC2:TGID_Z_EN: 0
; COMPUTE_PGM_RSRC2:TIDIG_COMP_CNT: 0
	.section	.text._ZN7rocprim17ROCPRIM_400000_NS6detail17trampoline_kernelINS0_14default_configENS1_25partition_config_selectorILNS1_17partition_subalgoE8EaNS0_10empty_typeEbEEZZNS1_14partition_implILS5_8ELb0ES3_jPKaPS6_PKS6_NS0_5tupleIJPaS6_EEENSE_IJSB_SB_EEENS0_18inequality_wrapperIN6hipcub16HIPCUB_304000_NS8EqualityEEEPlJS6_EEE10hipError_tPvRmT3_T4_T5_T6_T7_T9_mT8_P12ihipStream_tbDpT10_ENKUlT_T0_E_clISt17integral_constantIbLb1EES16_IbLb0EEEEDaS12_S13_EUlS12_E_NS1_11comp_targetILNS1_3genE2ELNS1_11target_archE906ELNS1_3gpuE6ELNS1_3repE0EEENS1_30default_config_static_selectorELNS0_4arch9wavefront6targetE0EEEvT1_,"axG",@progbits,_ZN7rocprim17ROCPRIM_400000_NS6detail17trampoline_kernelINS0_14default_configENS1_25partition_config_selectorILNS1_17partition_subalgoE8EaNS0_10empty_typeEbEEZZNS1_14partition_implILS5_8ELb0ES3_jPKaPS6_PKS6_NS0_5tupleIJPaS6_EEENSE_IJSB_SB_EEENS0_18inequality_wrapperIN6hipcub16HIPCUB_304000_NS8EqualityEEEPlJS6_EEE10hipError_tPvRmT3_T4_T5_T6_T7_T9_mT8_P12ihipStream_tbDpT10_ENKUlT_T0_E_clISt17integral_constantIbLb1EES16_IbLb0EEEEDaS12_S13_EUlS12_E_NS1_11comp_targetILNS1_3genE2ELNS1_11target_archE906ELNS1_3gpuE6ELNS1_3repE0EEENS1_30default_config_static_selectorELNS0_4arch9wavefront6targetE0EEEvT1_,comdat
	.protected	_ZN7rocprim17ROCPRIM_400000_NS6detail17trampoline_kernelINS0_14default_configENS1_25partition_config_selectorILNS1_17partition_subalgoE8EaNS0_10empty_typeEbEEZZNS1_14partition_implILS5_8ELb0ES3_jPKaPS6_PKS6_NS0_5tupleIJPaS6_EEENSE_IJSB_SB_EEENS0_18inequality_wrapperIN6hipcub16HIPCUB_304000_NS8EqualityEEEPlJS6_EEE10hipError_tPvRmT3_T4_T5_T6_T7_T9_mT8_P12ihipStream_tbDpT10_ENKUlT_T0_E_clISt17integral_constantIbLb1EES16_IbLb0EEEEDaS12_S13_EUlS12_E_NS1_11comp_targetILNS1_3genE2ELNS1_11target_archE906ELNS1_3gpuE6ELNS1_3repE0EEENS1_30default_config_static_selectorELNS0_4arch9wavefront6targetE0EEEvT1_ ; -- Begin function _ZN7rocprim17ROCPRIM_400000_NS6detail17trampoline_kernelINS0_14default_configENS1_25partition_config_selectorILNS1_17partition_subalgoE8EaNS0_10empty_typeEbEEZZNS1_14partition_implILS5_8ELb0ES3_jPKaPS6_PKS6_NS0_5tupleIJPaS6_EEENSE_IJSB_SB_EEENS0_18inequality_wrapperIN6hipcub16HIPCUB_304000_NS8EqualityEEEPlJS6_EEE10hipError_tPvRmT3_T4_T5_T6_T7_T9_mT8_P12ihipStream_tbDpT10_ENKUlT_T0_E_clISt17integral_constantIbLb1EES16_IbLb0EEEEDaS12_S13_EUlS12_E_NS1_11comp_targetILNS1_3genE2ELNS1_11target_archE906ELNS1_3gpuE6ELNS1_3repE0EEENS1_30default_config_static_selectorELNS0_4arch9wavefront6targetE0EEEvT1_
	.globl	_ZN7rocprim17ROCPRIM_400000_NS6detail17trampoline_kernelINS0_14default_configENS1_25partition_config_selectorILNS1_17partition_subalgoE8EaNS0_10empty_typeEbEEZZNS1_14partition_implILS5_8ELb0ES3_jPKaPS6_PKS6_NS0_5tupleIJPaS6_EEENSE_IJSB_SB_EEENS0_18inequality_wrapperIN6hipcub16HIPCUB_304000_NS8EqualityEEEPlJS6_EEE10hipError_tPvRmT3_T4_T5_T6_T7_T9_mT8_P12ihipStream_tbDpT10_ENKUlT_T0_E_clISt17integral_constantIbLb1EES16_IbLb0EEEEDaS12_S13_EUlS12_E_NS1_11comp_targetILNS1_3genE2ELNS1_11target_archE906ELNS1_3gpuE6ELNS1_3repE0EEENS1_30default_config_static_selectorELNS0_4arch9wavefront6targetE0EEEvT1_
	.p2align	8
	.type	_ZN7rocprim17ROCPRIM_400000_NS6detail17trampoline_kernelINS0_14default_configENS1_25partition_config_selectorILNS1_17partition_subalgoE8EaNS0_10empty_typeEbEEZZNS1_14partition_implILS5_8ELb0ES3_jPKaPS6_PKS6_NS0_5tupleIJPaS6_EEENSE_IJSB_SB_EEENS0_18inequality_wrapperIN6hipcub16HIPCUB_304000_NS8EqualityEEEPlJS6_EEE10hipError_tPvRmT3_T4_T5_T6_T7_T9_mT8_P12ihipStream_tbDpT10_ENKUlT_T0_E_clISt17integral_constantIbLb1EES16_IbLb0EEEEDaS12_S13_EUlS12_E_NS1_11comp_targetILNS1_3genE2ELNS1_11target_archE906ELNS1_3gpuE6ELNS1_3repE0EEENS1_30default_config_static_selectorELNS0_4arch9wavefront6targetE0EEEvT1_,@function
_ZN7rocprim17ROCPRIM_400000_NS6detail17trampoline_kernelINS0_14default_configENS1_25partition_config_selectorILNS1_17partition_subalgoE8EaNS0_10empty_typeEbEEZZNS1_14partition_implILS5_8ELb0ES3_jPKaPS6_PKS6_NS0_5tupleIJPaS6_EEENSE_IJSB_SB_EEENS0_18inequality_wrapperIN6hipcub16HIPCUB_304000_NS8EqualityEEEPlJS6_EEE10hipError_tPvRmT3_T4_T5_T6_T7_T9_mT8_P12ihipStream_tbDpT10_ENKUlT_T0_E_clISt17integral_constantIbLb1EES16_IbLb0EEEEDaS12_S13_EUlS12_E_NS1_11comp_targetILNS1_3genE2ELNS1_11target_archE906ELNS1_3gpuE6ELNS1_3repE0EEENS1_30default_config_static_selectorELNS0_4arch9wavefront6targetE0EEEvT1_: ; @_ZN7rocprim17ROCPRIM_400000_NS6detail17trampoline_kernelINS0_14default_configENS1_25partition_config_selectorILNS1_17partition_subalgoE8EaNS0_10empty_typeEbEEZZNS1_14partition_implILS5_8ELb0ES3_jPKaPS6_PKS6_NS0_5tupleIJPaS6_EEENSE_IJSB_SB_EEENS0_18inequality_wrapperIN6hipcub16HIPCUB_304000_NS8EqualityEEEPlJS6_EEE10hipError_tPvRmT3_T4_T5_T6_T7_T9_mT8_P12ihipStream_tbDpT10_ENKUlT_T0_E_clISt17integral_constantIbLb1EES16_IbLb0EEEEDaS12_S13_EUlS12_E_NS1_11comp_targetILNS1_3genE2ELNS1_11target_archE906ELNS1_3gpuE6ELNS1_3repE0EEENS1_30default_config_static_selectorELNS0_4arch9wavefront6targetE0EEEvT1_
; %bb.0:
	.section	.rodata,"a",@progbits
	.p2align	6, 0x0
	.amdhsa_kernel _ZN7rocprim17ROCPRIM_400000_NS6detail17trampoline_kernelINS0_14default_configENS1_25partition_config_selectorILNS1_17partition_subalgoE8EaNS0_10empty_typeEbEEZZNS1_14partition_implILS5_8ELb0ES3_jPKaPS6_PKS6_NS0_5tupleIJPaS6_EEENSE_IJSB_SB_EEENS0_18inequality_wrapperIN6hipcub16HIPCUB_304000_NS8EqualityEEEPlJS6_EEE10hipError_tPvRmT3_T4_T5_T6_T7_T9_mT8_P12ihipStream_tbDpT10_ENKUlT_T0_E_clISt17integral_constantIbLb1EES16_IbLb0EEEEDaS12_S13_EUlS12_E_NS1_11comp_targetILNS1_3genE2ELNS1_11target_archE906ELNS1_3gpuE6ELNS1_3repE0EEENS1_30default_config_static_selectorELNS0_4arch9wavefront6targetE0EEEvT1_
		.amdhsa_group_segment_fixed_size 0
		.amdhsa_private_segment_fixed_size 0
		.amdhsa_kernarg_size 112
		.amdhsa_user_sgpr_count 2
		.amdhsa_user_sgpr_dispatch_ptr 0
		.amdhsa_user_sgpr_queue_ptr 0
		.amdhsa_user_sgpr_kernarg_segment_ptr 1
		.amdhsa_user_sgpr_dispatch_id 0
		.amdhsa_user_sgpr_kernarg_preload_length 0
		.amdhsa_user_sgpr_kernarg_preload_offset 0
		.amdhsa_user_sgpr_private_segment_size 0
		.amdhsa_wavefront_size32 1
		.amdhsa_uses_dynamic_stack 0
		.amdhsa_enable_private_segment 0
		.amdhsa_system_sgpr_workgroup_id_x 1
		.amdhsa_system_sgpr_workgroup_id_y 0
		.amdhsa_system_sgpr_workgroup_id_z 0
		.amdhsa_system_sgpr_workgroup_info 0
		.amdhsa_system_vgpr_workitem_id 0
		.amdhsa_next_free_vgpr 1
		.amdhsa_next_free_sgpr 1
		.amdhsa_named_barrier_count 0
		.amdhsa_reserve_vcc 0
		.amdhsa_float_round_mode_32 0
		.amdhsa_float_round_mode_16_64 0
		.amdhsa_float_denorm_mode_32 3
		.amdhsa_float_denorm_mode_16_64 3
		.amdhsa_fp16_overflow 0
		.amdhsa_memory_ordered 1
		.amdhsa_forward_progress 1
		.amdhsa_inst_pref_size 0
		.amdhsa_round_robin_scheduling 0
		.amdhsa_exception_fp_ieee_invalid_op 0
		.amdhsa_exception_fp_denorm_src 0
		.amdhsa_exception_fp_ieee_div_zero 0
		.amdhsa_exception_fp_ieee_overflow 0
		.amdhsa_exception_fp_ieee_underflow 0
		.amdhsa_exception_fp_ieee_inexact 0
		.amdhsa_exception_int_div_zero 0
	.end_amdhsa_kernel
	.section	.text._ZN7rocprim17ROCPRIM_400000_NS6detail17trampoline_kernelINS0_14default_configENS1_25partition_config_selectorILNS1_17partition_subalgoE8EaNS0_10empty_typeEbEEZZNS1_14partition_implILS5_8ELb0ES3_jPKaPS6_PKS6_NS0_5tupleIJPaS6_EEENSE_IJSB_SB_EEENS0_18inequality_wrapperIN6hipcub16HIPCUB_304000_NS8EqualityEEEPlJS6_EEE10hipError_tPvRmT3_T4_T5_T6_T7_T9_mT8_P12ihipStream_tbDpT10_ENKUlT_T0_E_clISt17integral_constantIbLb1EES16_IbLb0EEEEDaS12_S13_EUlS12_E_NS1_11comp_targetILNS1_3genE2ELNS1_11target_archE906ELNS1_3gpuE6ELNS1_3repE0EEENS1_30default_config_static_selectorELNS0_4arch9wavefront6targetE0EEEvT1_,"axG",@progbits,_ZN7rocprim17ROCPRIM_400000_NS6detail17trampoline_kernelINS0_14default_configENS1_25partition_config_selectorILNS1_17partition_subalgoE8EaNS0_10empty_typeEbEEZZNS1_14partition_implILS5_8ELb0ES3_jPKaPS6_PKS6_NS0_5tupleIJPaS6_EEENSE_IJSB_SB_EEENS0_18inequality_wrapperIN6hipcub16HIPCUB_304000_NS8EqualityEEEPlJS6_EEE10hipError_tPvRmT3_T4_T5_T6_T7_T9_mT8_P12ihipStream_tbDpT10_ENKUlT_T0_E_clISt17integral_constantIbLb1EES16_IbLb0EEEEDaS12_S13_EUlS12_E_NS1_11comp_targetILNS1_3genE2ELNS1_11target_archE906ELNS1_3gpuE6ELNS1_3repE0EEENS1_30default_config_static_selectorELNS0_4arch9wavefront6targetE0EEEvT1_,comdat
.Lfunc_end223:
	.size	_ZN7rocprim17ROCPRIM_400000_NS6detail17trampoline_kernelINS0_14default_configENS1_25partition_config_selectorILNS1_17partition_subalgoE8EaNS0_10empty_typeEbEEZZNS1_14partition_implILS5_8ELb0ES3_jPKaPS6_PKS6_NS0_5tupleIJPaS6_EEENSE_IJSB_SB_EEENS0_18inequality_wrapperIN6hipcub16HIPCUB_304000_NS8EqualityEEEPlJS6_EEE10hipError_tPvRmT3_T4_T5_T6_T7_T9_mT8_P12ihipStream_tbDpT10_ENKUlT_T0_E_clISt17integral_constantIbLb1EES16_IbLb0EEEEDaS12_S13_EUlS12_E_NS1_11comp_targetILNS1_3genE2ELNS1_11target_archE906ELNS1_3gpuE6ELNS1_3repE0EEENS1_30default_config_static_selectorELNS0_4arch9wavefront6targetE0EEEvT1_, .Lfunc_end223-_ZN7rocprim17ROCPRIM_400000_NS6detail17trampoline_kernelINS0_14default_configENS1_25partition_config_selectorILNS1_17partition_subalgoE8EaNS0_10empty_typeEbEEZZNS1_14partition_implILS5_8ELb0ES3_jPKaPS6_PKS6_NS0_5tupleIJPaS6_EEENSE_IJSB_SB_EEENS0_18inequality_wrapperIN6hipcub16HIPCUB_304000_NS8EqualityEEEPlJS6_EEE10hipError_tPvRmT3_T4_T5_T6_T7_T9_mT8_P12ihipStream_tbDpT10_ENKUlT_T0_E_clISt17integral_constantIbLb1EES16_IbLb0EEEEDaS12_S13_EUlS12_E_NS1_11comp_targetILNS1_3genE2ELNS1_11target_archE906ELNS1_3gpuE6ELNS1_3repE0EEENS1_30default_config_static_selectorELNS0_4arch9wavefront6targetE0EEEvT1_
                                        ; -- End function
	.set _ZN7rocprim17ROCPRIM_400000_NS6detail17trampoline_kernelINS0_14default_configENS1_25partition_config_selectorILNS1_17partition_subalgoE8EaNS0_10empty_typeEbEEZZNS1_14partition_implILS5_8ELb0ES3_jPKaPS6_PKS6_NS0_5tupleIJPaS6_EEENSE_IJSB_SB_EEENS0_18inequality_wrapperIN6hipcub16HIPCUB_304000_NS8EqualityEEEPlJS6_EEE10hipError_tPvRmT3_T4_T5_T6_T7_T9_mT8_P12ihipStream_tbDpT10_ENKUlT_T0_E_clISt17integral_constantIbLb1EES16_IbLb0EEEEDaS12_S13_EUlS12_E_NS1_11comp_targetILNS1_3genE2ELNS1_11target_archE906ELNS1_3gpuE6ELNS1_3repE0EEENS1_30default_config_static_selectorELNS0_4arch9wavefront6targetE0EEEvT1_.num_vgpr, 0
	.set _ZN7rocprim17ROCPRIM_400000_NS6detail17trampoline_kernelINS0_14default_configENS1_25partition_config_selectorILNS1_17partition_subalgoE8EaNS0_10empty_typeEbEEZZNS1_14partition_implILS5_8ELb0ES3_jPKaPS6_PKS6_NS0_5tupleIJPaS6_EEENSE_IJSB_SB_EEENS0_18inequality_wrapperIN6hipcub16HIPCUB_304000_NS8EqualityEEEPlJS6_EEE10hipError_tPvRmT3_T4_T5_T6_T7_T9_mT8_P12ihipStream_tbDpT10_ENKUlT_T0_E_clISt17integral_constantIbLb1EES16_IbLb0EEEEDaS12_S13_EUlS12_E_NS1_11comp_targetILNS1_3genE2ELNS1_11target_archE906ELNS1_3gpuE6ELNS1_3repE0EEENS1_30default_config_static_selectorELNS0_4arch9wavefront6targetE0EEEvT1_.num_agpr, 0
	.set _ZN7rocprim17ROCPRIM_400000_NS6detail17trampoline_kernelINS0_14default_configENS1_25partition_config_selectorILNS1_17partition_subalgoE8EaNS0_10empty_typeEbEEZZNS1_14partition_implILS5_8ELb0ES3_jPKaPS6_PKS6_NS0_5tupleIJPaS6_EEENSE_IJSB_SB_EEENS0_18inequality_wrapperIN6hipcub16HIPCUB_304000_NS8EqualityEEEPlJS6_EEE10hipError_tPvRmT3_T4_T5_T6_T7_T9_mT8_P12ihipStream_tbDpT10_ENKUlT_T0_E_clISt17integral_constantIbLb1EES16_IbLb0EEEEDaS12_S13_EUlS12_E_NS1_11comp_targetILNS1_3genE2ELNS1_11target_archE906ELNS1_3gpuE6ELNS1_3repE0EEENS1_30default_config_static_selectorELNS0_4arch9wavefront6targetE0EEEvT1_.numbered_sgpr, 0
	.set _ZN7rocprim17ROCPRIM_400000_NS6detail17trampoline_kernelINS0_14default_configENS1_25partition_config_selectorILNS1_17partition_subalgoE8EaNS0_10empty_typeEbEEZZNS1_14partition_implILS5_8ELb0ES3_jPKaPS6_PKS6_NS0_5tupleIJPaS6_EEENSE_IJSB_SB_EEENS0_18inequality_wrapperIN6hipcub16HIPCUB_304000_NS8EqualityEEEPlJS6_EEE10hipError_tPvRmT3_T4_T5_T6_T7_T9_mT8_P12ihipStream_tbDpT10_ENKUlT_T0_E_clISt17integral_constantIbLb1EES16_IbLb0EEEEDaS12_S13_EUlS12_E_NS1_11comp_targetILNS1_3genE2ELNS1_11target_archE906ELNS1_3gpuE6ELNS1_3repE0EEENS1_30default_config_static_selectorELNS0_4arch9wavefront6targetE0EEEvT1_.num_named_barrier, 0
	.set _ZN7rocprim17ROCPRIM_400000_NS6detail17trampoline_kernelINS0_14default_configENS1_25partition_config_selectorILNS1_17partition_subalgoE8EaNS0_10empty_typeEbEEZZNS1_14partition_implILS5_8ELb0ES3_jPKaPS6_PKS6_NS0_5tupleIJPaS6_EEENSE_IJSB_SB_EEENS0_18inequality_wrapperIN6hipcub16HIPCUB_304000_NS8EqualityEEEPlJS6_EEE10hipError_tPvRmT3_T4_T5_T6_T7_T9_mT8_P12ihipStream_tbDpT10_ENKUlT_T0_E_clISt17integral_constantIbLb1EES16_IbLb0EEEEDaS12_S13_EUlS12_E_NS1_11comp_targetILNS1_3genE2ELNS1_11target_archE906ELNS1_3gpuE6ELNS1_3repE0EEENS1_30default_config_static_selectorELNS0_4arch9wavefront6targetE0EEEvT1_.private_seg_size, 0
	.set _ZN7rocprim17ROCPRIM_400000_NS6detail17trampoline_kernelINS0_14default_configENS1_25partition_config_selectorILNS1_17partition_subalgoE8EaNS0_10empty_typeEbEEZZNS1_14partition_implILS5_8ELb0ES3_jPKaPS6_PKS6_NS0_5tupleIJPaS6_EEENSE_IJSB_SB_EEENS0_18inequality_wrapperIN6hipcub16HIPCUB_304000_NS8EqualityEEEPlJS6_EEE10hipError_tPvRmT3_T4_T5_T6_T7_T9_mT8_P12ihipStream_tbDpT10_ENKUlT_T0_E_clISt17integral_constantIbLb1EES16_IbLb0EEEEDaS12_S13_EUlS12_E_NS1_11comp_targetILNS1_3genE2ELNS1_11target_archE906ELNS1_3gpuE6ELNS1_3repE0EEENS1_30default_config_static_selectorELNS0_4arch9wavefront6targetE0EEEvT1_.uses_vcc, 0
	.set _ZN7rocprim17ROCPRIM_400000_NS6detail17trampoline_kernelINS0_14default_configENS1_25partition_config_selectorILNS1_17partition_subalgoE8EaNS0_10empty_typeEbEEZZNS1_14partition_implILS5_8ELb0ES3_jPKaPS6_PKS6_NS0_5tupleIJPaS6_EEENSE_IJSB_SB_EEENS0_18inequality_wrapperIN6hipcub16HIPCUB_304000_NS8EqualityEEEPlJS6_EEE10hipError_tPvRmT3_T4_T5_T6_T7_T9_mT8_P12ihipStream_tbDpT10_ENKUlT_T0_E_clISt17integral_constantIbLb1EES16_IbLb0EEEEDaS12_S13_EUlS12_E_NS1_11comp_targetILNS1_3genE2ELNS1_11target_archE906ELNS1_3gpuE6ELNS1_3repE0EEENS1_30default_config_static_selectorELNS0_4arch9wavefront6targetE0EEEvT1_.uses_flat_scratch, 0
	.set _ZN7rocprim17ROCPRIM_400000_NS6detail17trampoline_kernelINS0_14default_configENS1_25partition_config_selectorILNS1_17partition_subalgoE8EaNS0_10empty_typeEbEEZZNS1_14partition_implILS5_8ELb0ES3_jPKaPS6_PKS6_NS0_5tupleIJPaS6_EEENSE_IJSB_SB_EEENS0_18inequality_wrapperIN6hipcub16HIPCUB_304000_NS8EqualityEEEPlJS6_EEE10hipError_tPvRmT3_T4_T5_T6_T7_T9_mT8_P12ihipStream_tbDpT10_ENKUlT_T0_E_clISt17integral_constantIbLb1EES16_IbLb0EEEEDaS12_S13_EUlS12_E_NS1_11comp_targetILNS1_3genE2ELNS1_11target_archE906ELNS1_3gpuE6ELNS1_3repE0EEENS1_30default_config_static_selectorELNS0_4arch9wavefront6targetE0EEEvT1_.has_dyn_sized_stack, 0
	.set _ZN7rocprim17ROCPRIM_400000_NS6detail17trampoline_kernelINS0_14default_configENS1_25partition_config_selectorILNS1_17partition_subalgoE8EaNS0_10empty_typeEbEEZZNS1_14partition_implILS5_8ELb0ES3_jPKaPS6_PKS6_NS0_5tupleIJPaS6_EEENSE_IJSB_SB_EEENS0_18inequality_wrapperIN6hipcub16HIPCUB_304000_NS8EqualityEEEPlJS6_EEE10hipError_tPvRmT3_T4_T5_T6_T7_T9_mT8_P12ihipStream_tbDpT10_ENKUlT_T0_E_clISt17integral_constantIbLb1EES16_IbLb0EEEEDaS12_S13_EUlS12_E_NS1_11comp_targetILNS1_3genE2ELNS1_11target_archE906ELNS1_3gpuE6ELNS1_3repE0EEENS1_30default_config_static_selectorELNS0_4arch9wavefront6targetE0EEEvT1_.has_recursion, 0
	.set _ZN7rocprim17ROCPRIM_400000_NS6detail17trampoline_kernelINS0_14default_configENS1_25partition_config_selectorILNS1_17partition_subalgoE8EaNS0_10empty_typeEbEEZZNS1_14partition_implILS5_8ELb0ES3_jPKaPS6_PKS6_NS0_5tupleIJPaS6_EEENSE_IJSB_SB_EEENS0_18inequality_wrapperIN6hipcub16HIPCUB_304000_NS8EqualityEEEPlJS6_EEE10hipError_tPvRmT3_T4_T5_T6_T7_T9_mT8_P12ihipStream_tbDpT10_ENKUlT_T0_E_clISt17integral_constantIbLb1EES16_IbLb0EEEEDaS12_S13_EUlS12_E_NS1_11comp_targetILNS1_3genE2ELNS1_11target_archE906ELNS1_3gpuE6ELNS1_3repE0EEENS1_30default_config_static_selectorELNS0_4arch9wavefront6targetE0EEEvT1_.has_indirect_call, 0
	.section	.AMDGPU.csdata,"",@progbits
; Kernel info:
; codeLenInByte = 0
; TotalNumSgprs: 0
; NumVgprs: 0
; ScratchSize: 0
; MemoryBound: 0
; FloatMode: 240
; IeeeMode: 1
; LDSByteSize: 0 bytes/workgroup (compile time only)
; SGPRBlocks: 0
; VGPRBlocks: 0
; NumSGPRsForWavesPerEU: 1
; NumVGPRsForWavesPerEU: 1
; NamedBarCnt: 0
; Occupancy: 16
; WaveLimiterHint : 0
; COMPUTE_PGM_RSRC2:SCRATCH_EN: 0
; COMPUTE_PGM_RSRC2:USER_SGPR: 2
; COMPUTE_PGM_RSRC2:TRAP_HANDLER: 0
; COMPUTE_PGM_RSRC2:TGID_X_EN: 1
; COMPUTE_PGM_RSRC2:TGID_Y_EN: 0
; COMPUTE_PGM_RSRC2:TGID_Z_EN: 0
; COMPUTE_PGM_RSRC2:TIDIG_COMP_CNT: 0
	.section	.text._ZN7rocprim17ROCPRIM_400000_NS6detail17trampoline_kernelINS0_14default_configENS1_25partition_config_selectorILNS1_17partition_subalgoE8EaNS0_10empty_typeEbEEZZNS1_14partition_implILS5_8ELb0ES3_jPKaPS6_PKS6_NS0_5tupleIJPaS6_EEENSE_IJSB_SB_EEENS0_18inequality_wrapperIN6hipcub16HIPCUB_304000_NS8EqualityEEEPlJS6_EEE10hipError_tPvRmT3_T4_T5_T6_T7_T9_mT8_P12ihipStream_tbDpT10_ENKUlT_T0_E_clISt17integral_constantIbLb1EES16_IbLb0EEEEDaS12_S13_EUlS12_E_NS1_11comp_targetILNS1_3genE10ELNS1_11target_archE1200ELNS1_3gpuE4ELNS1_3repE0EEENS1_30default_config_static_selectorELNS0_4arch9wavefront6targetE0EEEvT1_,"axG",@progbits,_ZN7rocprim17ROCPRIM_400000_NS6detail17trampoline_kernelINS0_14default_configENS1_25partition_config_selectorILNS1_17partition_subalgoE8EaNS0_10empty_typeEbEEZZNS1_14partition_implILS5_8ELb0ES3_jPKaPS6_PKS6_NS0_5tupleIJPaS6_EEENSE_IJSB_SB_EEENS0_18inequality_wrapperIN6hipcub16HIPCUB_304000_NS8EqualityEEEPlJS6_EEE10hipError_tPvRmT3_T4_T5_T6_T7_T9_mT8_P12ihipStream_tbDpT10_ENKUlT_T0_E_clISt17integral_constantIbLb1EES16_IbLb0EEEEDaS12_S13_EUlS12_E_NS1_11comp_targetILNS1_3genE10ELNS1_11target_archE1200ELNS1_3gpuE4ELNS1_3repE0EEENS1_30default_config_static_selectorELNS0_4arch9wavefront6targetE0EEEvT1_,comdat
	.protected	_ZN7rocprim17ROCPRIM_400000_NS6detail17trampoline_kernelINS0_14default_configENS1_25partition_config_selectorILNS1_17partition_subalgoE8EaNS0_10empty_typeEbEEZZNS1_14partition_implILS5_8ELb0ES3_jPKaPS6_PKS6_NS0_5tupleIJPaS6_EEENSE_IJSB_SB_EEENS0_18inequality_wrapperIN6hipcub16HIPCUB_304000_NS8EqualityEEEPlJS6_EEE10hipError_tPvRmT3_T4_T5_T6_T7_T9_mT8_P12ihipStream_tbDpT10_ENKUlT_T0_E_clISt17integral_constantIbLb1EES16_IbLb0EEEEDaS12_S13_EUlS12_E_NS1_11comp_targetILNS1_3genE10ELNS1_11target_archE1200ELNS1_3gpuE4ELNS1_3repE0EEENS1_30default_config_static_selectorELNS0_4arch9wavefront6targetE0EEEvT1_ ; -- Begin function _ZN7rocprim17ROCPRIM_400000_NS6detail17trampoline_kernelINS0_14default_configENS1_25partition_config_selectorILNS1_17partition_subalgoE8EaNS0_10empty_typeEbEEZZNS1_14partition_implILS5_8ELb0ES3_jPKaPS6_PKS6_NS0_5tupleIJPaS6_EEENSE_IJSB_SB_EEENS0_18inequality_wrapperIN6hipcub16HIPCUB_304000_NS8EqualityEEEPlJS6_EEE10hipError_tPvRmT3_T4_T5_T6_T7_T9_mT8_P12ihipStream_tbDpT10_ENKUlT_T0_E_clISt17integral_constantIbLb1EES16_IbLb0EEEEDaS12_S13_EUlS12_E_NS1_11comp_targetILNS1_3genE10ELNS1_11target_archE1200ELNS1_3gpuE4ELNS1_3repE0EEENS1_30default_config_static_selectorELNS0_4arch9wavefront6targetE0EEEvT1_
	.globl	_ZN7rocprim17ROCPRIM_400000_NS6detail17trampoline_kernelINS0_14default_configENS1_25partition_config_selectorILNS1_17partition_subalgoE8EaNS0_10empty_typeEbEEZZNS1_14partition_implILS5_8ELb0ES3_jPKaPS6_PKS6_NS0_5tupleIJPaS6_EEENSE_IJSB_SB_EEENS0_18inequality_wrapperIN6hipcub16HIPCUB_304000_NS8EqualityEEEPlJS6_EEE10hipError_tPvRmT3_T4_T5_T6_T7_T9_mT8_P12ihipStream_tbDpT10_ENKUlT_T0_E_clISt17integral_constantIbLb1EES16_IbLb0EEEEDaS12_S13_EUlS12_E_NS1_11comp_targetILNS1_3genE10ELNS1_11target_archE1200ELNS1_3gpuE4ELNS1_3repE0EEENS1_30default_config_static_selectorELNS0_4arch9wavefront6targetE0EEEvT1_
	.p2align	8
	.type	_ZN7rocprim17ROCPRIM_400000_NS6detail17trampoline_kernelINS0_14default_configENS1_25partition_config_selectorILNS1_17partition_subalgoE8EaNS0_10empty_typeEbEEZZNS1_14partition_implILS5_8ELb0ES3_jPKaPS6_PKS6_NS0_5tupleIJPaS6_EEENSE_IJSB_SB_EEENS0_18inequality_wrapperIN6hipcub16HIPCUB_304000_NS8EqualityEEEPlJS6_EEE10hipError_tPvRmT3_T4_T5_T6_T7_T9_mT8_P12ihipStream_tbDpT10_ENKUlT_T0_E_clISt17integral_constantIbLb1EES16_IbLb0EEEEDaS12_S13_EUlS12_E_NS1_11comp_targetILNS1_3genE10ELNS1_11target_archE1200ELNS1_3gpuE4ELNS1_3repE0EEENS1_30default_config_static_selectorELNS0_4arch9wavefront6targetE0EEEvT1_,@function
_ZN7rocprim17ROCPRIM_400000_NS6detail17trampoline_kernelINS0_14default_configENS1_25partition_config_selectorILNS1_17partition_subalgoE8EaNS0_10empty_typeEbEEZZNS1_14partition_implILS5_8ELb0ES3_jPKaPS6_PKS6_NS0_5tupleIJPaS6_EEENSE_IJSB_SB_EEENS0_18inequality_wrapperIN6hipcub16HIPCUB_304000_NS8EqualityEEEPlJS6_EEE10hipError_tPvRmT3_T4_T5_T6_T7_T9_mT8_P12ihipStream_tbDpT10_ENKUlT_T0_E_clISt17integral_constantIbLb1EES16_IbLb0EEEEDaS12_S13_EUlS12_E_NS1_11comp_targetILNS1_3genE10ELNS1_11target_archE1200ELNS1_3gpuE4ELNS1_3repE0EEENS1_30default_config_static_selectorELNS0_4arch9wavefront6targetE0EEEvT1_: ; @_ZN7rocprim17ROCPRIM_400000_NS6detail17trampoline_kernelINS0_14default_configENS1_25partition_config_selectorILNS1_17partition_subalgoE8EaNS0_10empty_typeEbEEZZNS1_14partition_implILS5_8ELb0ES3_jPKaPS6_PKS6_NS0_5tupleIJPaS6_EEENSE_IJSB_SB_EEENS0_18inequality_wrapperIN6hipcub16HIPCUB_304000_NS8EqualityEEEPlJS6_EEE10hipError_tPvRmT3_T4_T5_T6_T7_T9_mT8_P12ihipStream_tbDpT10_ENKUlT_T0_E_clISt17integral_constantIbLb1EES16_IbLb0EEEEDaS12_S13_EUlS12_E_NS1_11comp_targetILNS1_3genE10ELNS1_11target_archE1200ELNS1_3gpuE4ELNS1_3repE0EEENS1_30default_config_static_selectorELNS0_4arch9wavefront6targetE0EEEvT1_
; %bb.0:
	.section	.rodata,"a",@progbits
	.p2align	6, 0x0
	.amdhsa_kernel _ZN7rocprim17ROCPRIM_400000_NS6detail17trampoline_kernelINS0_14default_configENS1_25partition_config_selectorILNS1_17partition_subalgoE8EaNS0_10empty_typeEbEEZZNS1_14partition_implILS5_8ELb0ES3_jPKaPS6_PKS6_NS0_5tupleIJPaS6_EEENSE_IJSB_SB_EEENS0_18inequality_wrapperIN6hipcub16HIPCUB_304000_NS8EqualityEEEPlJS6_EEE10hipError_tPvRmT3_T4_T5_T6_T7_T9_mT8_P12ihipStream_tbDpT10_ENKUlT_T0_E_clISt17integral_constantIbLb1EES16_IbLb0EEEEDaS12_S13_EUlS12_E_NS1_11comp_targetILNS1_3genE10ELNS1_11target_archE1200ELNS1_3gpuE4ELNS1_3repE0EEENS1_30default_config_static_selectorELNS0_4arch9wavefront6targetE0EEEvT1_
		.amdhsa_group_segment_fixed_size 0
		.amdhsa_private_segment_fixed_size 0
		.amdhsa_kernarg_size 112
		.amdhsa_user_sgpr_count 2
		.amdhsa_user_sgpr_dispatch_ptr 0
		.amdhsa_user_sgpr_queue_ptr 0
		.amdhsa_user_sgpr_kernarg_segment_ptr 1
		.amdhsa_user_sgpr_dispatch_id 0
		.amdhsa_user_sgpr_kernarg_preload_length 0
		.amdhsa_user_sgpr_kernarg_preload_offset 0
		.amdhsa_user_sgpr_private_segment_size 0
		.amdhsa_wavefront_size32 1
		.amdhsa_uses_dynamic_stack 0
		.amdhsa_enable_private_segment 0
		.amdhsa_system_sgpr_workgroup_id_x 1
		.amdhsa_system_sgpr_workgroup_id_y 0
		.amdhsa_system_sgpr_workgroup_id_z 0
		.amdhsa_system_sgpr_workgroup_info 0
		.amdhsa_system_vgpr_workitem_id 0
		.amdhsa_next_free_vgpr 1
		.amdhsa_next_free_sgpr 1
		.amdhsa_named_barrier_count 0
		.amdhsa_reserve_vcc 0
		.amdhsa_float_round_mode_32 0
		.amdhsa_float_round_mode_16_64 0
		.amdhsa_float_denorm_mode_32 3
		.amdhsa_float_denorm_mode_16_64 3
		.amdhsa_fp16_overflow 0
		.amdhsa_memory_ordered 1
		.amdhsa_forward_progress 1
		.amdhsa_inst_pref_size 0
		.amdhsa_round_robin_scheduling 0
		.amdhsa_exception_fp_ieee_invalid_op 0
		.amdhsa_exception_fp_denorm_src 0
		.amdhsa_exception_fp_ieee_div_zero 0
		.amdhsa_exception_fp_ieee_overflow 0
		.amdhsa_exception_fp_ieee_underflow 0
		.amdhsa_exception_fp_ieee_inexact 0
		.amdhsa_exception_int_div_zero 0
	.end_amdhsa_kernel
	.section	.text._ZN7rocprim17ROCPRIM_400000_NS6detail17trampoline_kernelINS0_14default_configENS1_25partition_config_selectorILNS1_17partition_subalgoE8EaNS0_10empty_typeEbEEZZNS1_14partition_implILS5_8ELb0ES3_jPKaPS6_PKS6_NS0_5tupleIJPaS6_EEENSE_IJSB_SB_EEENS0_18inequality_wrapperIN6hipcub16HIPCUB_304000_NS8EqualityEEEPlJS6_EEE10hipError_tPvRmT3_T4_T5_T6_T7_T9_mT8_P12ihipStream_tbDpT10_ENKUlT_T0_E_clISt17integral_constantIbLb1EES16_IbLb0EEEEDaS12_S13_EUlS12_E_NS1_11comp_targetILNS1_3genE10ELNS1_11target_archE1200ELNS1_3gpuE4ELNS1_3repE0EEENS1_30default_config_static_selectorELNS0_4arch9wavefront6targetE0EEEvT1_,"axG",@progbits,_ZN7rocprim17ROCPRIM_400000_NS6detail17trampoline_kernelINS0_14default_configENS1_25partition_config_selectorILNS1_17partition_subalgoE8EaNS0_10empty_typeEbEEZZNS1_14partition_implILS5_8ELb0ES3_jPKaPS6_PKS6_NS0_5tupleIJPaS6_EEENSE_IJSB_SB_EEENS0_18inequality_wrapperIN6hipcub16HIPCUB_304000_NS8EqualityEEEPlJS6_EEE10hipError_tPvRmT3_T4_T5_T6_T7_T9_mT8_P12ihipStream_tbDpT10_ENKUlT_T0_E_clISt17integral_constantIbLb1EES16_IbLb0EEEEDaS12_S13_EUlS12_E_NS1_11comp_targetILNS1_3genE10ELNS1_11target_archE1200ELNS1_3gpuE4ELNS1_3repE0EEENS1_30default_config_static_selectorELNS0_4arch9wavefront6targetE0EEEvT1_,comdat
.Lfunc_end224:
	.size	_ZN7rocprim17ROCPRIM_400000_NS6detail17trampoline_kernelINS0_14default_configENS1_25partition_config_selectorILNS1_17partition_subalgoE8EaNS0_10empty_typeEbEEZZNS1_14partition_implILS5_8ELb0ES3_jPKaPS6_PKS6_NS0_5tupleIJPaS6_EEENSE_IJSB_SB_EEENS0_18inequality_wrapperIN6hipcub16HIPCUB_304000_NS8EqualityEEEPlJS6_EEE10hipError_tPvRmT3_T4_T5_T6_T7_T9_mT8_P12ihipStream_tbDpT10_ENKUlT_T0_E_clISt17integral_constantIbLb1EES16_IbLb0EEEEDaS12_S13_EUlS12_E_NS1_11comp_targetILNS1_3genE10ELNS1_11target_archE1200ELNS1_3gpuE4ELNS1_3repE0EEENS1_30default_config_static_selectorELNS0_4arch9wavefront6targetE0EEEvT1_, .Lfunc_end224-_ZN7rocprim17ROCPRIM_400000_NS6detail17trampoline_kernelINS0_14default_configENS1_25partition_config_selectorILNS1_17partition_subalgoE8EaNS0_10empty_typeEbEEZZNS1_14partition_implILS5_8ELb0ES3_jPKaPS6_PKS6_NS0_5tupleIJPaS6_EEENSE_IJSB_SB_EEENS0_18inequality_wrapperIN6hipcub16HIPCUB_304000_NS8EqualityEEEPlJS6_EEE10hipError_tPvRmT3_T4_T5_T6_T7_T9_mT8_P12ihipStream_tbDpT10_ENKUlT_T0_E_clISt17integral_constantIbLb1EES16_IbLb0EEEEDaS12_S13_EUlS12_E_NS1_11comp_targetILNS1_3genE10ELNS1_11target_archE1200ELNS1_3gpuE4ELNS1_3repE0EEENS1_30default_config_static_selectorELNS0_4arch9wavefront6targetE0EEEvT1_
                                        ; -- End function
	.set _ZN7rocprim17ROCPRIM_400000_NS6detail17trampoline_kernelINS0_14default_configENS1_25partition_config_selectorILNS1_17partition_subalgoE8EaNS0_10empty_typeEbEEZZNS1_14partition_implILS5_8ELb0ES3_jPKaPS6_PKS6_NS0_5tupleIJPaS6_EEENSE_IJSB_SB_EEENS0_18inequality_wrapperIN6hipcub16HIPCUB_304000_NS8EqualityEEEPlJS6_EEE10hipError_tPvRmT3_T4_T5_T6_T7_T9_mT8_P12ihipStream_tbDpT10_ENKUlT_T0_E_clISt17integral_constantIbLb1EES16_IbLb0EEEEDaS12_S13_EUlS12_E_NS1_11comp_targetILNS1_3genE10ELNS1_11target_archE1200ELNS1_3gpuE4ELNS1_3repE0EEENS1_30default_config_static_selectorELNS0_4arch9wavefront6targetE0EEEvT1_.num_vgpr, 0
	.set _ZN7rocprim17ROCPRIM_400000_NS6detail17trampoline_kernelINS0_14default_configENS1_25partition_config_selectorILNS1_17partition_subalgoE8EaNS0_10empty_typeEbEEZZNS1_14partition_implILS5_8ELb0ES3_jPKaPS6_PKS6_NS0_5tupleIJPaS6_EEENSE_IJSB_SB_EEENS0_18inequality_wrapperIN6hipcub16HIPCUB_304000_NS8EqualityEEEPlJS6_EEE10hipError_tPvRmT3_T4_T5_T6_T7_T9_mT8_P12ihipStream_tbDpT10_ENKUlT_T0_E_clISt17integral_constantIbLb1EES16_IbLb0EEEEDaS12_S13_EUlS12_E_NS1_11comp_targetILNS1_3genE10ELNS1_11target_archE1200ELNS1_3gpuE4ELNS1_3repE0EEENS1_30default_config_static_selectorELNS0_4arch9wavefront6targetE0EEEvT1_.num_agpr, 0
	.set _ZN7rocprim17ROCPRIM_400000_NS6detail17trampoline_kernelINS0_14default_configENS1_25partition_config_selectorILNS1_17partition_subalgoE8EaNS0_10empty_typeEbEEZZNS1_14partition_implILS5_8ELb0ES3_jPKaPS6_PKS6_NS0_5tupleIJPaS6_EEENSE_IJSB_SB_EEENS0_18inequality_wrapperIN6hipcub16HIPCUB_304000_NS8EqualityEEEPlJS6_EEE10hipError_tPvRmT3_T4_T5_T6_T7_T9_mT8_P12ihipStream_tbDpT10_ENKUlT_T0_E_clISt17integral_constantIbLb1EES16_IbLb0EEEEDaS12_S13_EUlS12_E_NS1_11comp_targetILNS1_3genE10ELNS1_11target_archE1200ELNS1_3gpuE4ELNS1_3repE0EEENS1_30default_config_static_selectorELNS0_4arch9wavefront6targetE0EEEvT1_.numbered_sgpr, 0
	.set _ZN7rocprim17ROCPRIM_400000_NS6detail17trampoline_kernelINS0_14default_configENS1_25partition_config_selectorILNS1_17partition_subalgoE8EaNS0_10empty_typeEbEEZZNS1_14partition_implILS5_8ELb0ES3_jPKaPS6_PKS6_NS0_5tupleIJPaS6_EEENSE_IJSB_SB_EEENS0_18inequality_wrapperIN6hipcub16HIPCUB_304000_NS8EqualityEEEPlJS6_EEE10hipError_tPvRmT3_T4_T5_T6_T7_T9_mT8_P12ihipStream_tbDpT10_ENKUlT_T0_E_clISt17integral_constantIbLb1EES16_IbLb0EEEEDaS12_S13_EUlS12_E_NS1_11comp_targetILNS1_3genE10ELNS1_11target_archE1200ELNS1_3gpuE4ELNS1_3repE0EEENS1_30default_config_static_selectorELNS0_4arch9wavefront6targetE0EEEvT1_.num_named_barrier, 0
	.set _ZN7rocprim17ROCPRIM_400000_NS6detail17trampoline_kernelINS0_14default_configENS1_25partition_config_selectorILNS1_17partition_subalgoE8EaNS0_10empty_typeEbEEZZNS1_14partition_implILS5_8ELb0ES3_jPKaPS6_PKS6_NS0_5tupleIJPaS6_EEENSE_IJSB_SB_EEENS0_18inequality_wrapperIN6hipcub16HIPCUB_304000_NS8EqualityEEEPlJS6_EEE10hipError_tPvRmT3_T4_T5_T6_T7_T9_mT8_P12ihipStream_tbDpT10_ENKUlT_T0_E_clISt17integral_constantIbLb1EES16_IbLb0EEEEDaS12_S13_EUlS12_E_NS1_11comp_targetILNS1_3genE10ELNS1_11target_archE1200ELNS1_3gpuE4ELNS1_3repE0EEENS1_30default_config_static_selectorELNS0_4arch9wavefront6targetE0EEEvT1_.private_seg_size, 0
	.set _ZN7rocprim17ROCPRIM_400000_NS6detail17trampoline_kernelINS0_14default_configENS1_25partition_config_selectorILNS1_17partition_subalgoE8EaNS0_10empty_typeEbEEZZNS1_14partition_implILS5_8ELb0ES3_jPKaPS6_PKS6_NS0_5tupleIJPaS6_EEENSE_IJSB_SB_EEENS0_18inequality_wrapperIN6hipcub16HIPCUB_304000_NS8EqualityEEEPlJS6_EEE10hipError_tPvRmT3_T4_T5_T6_T7_T9_mT8_P12ihipStream_tbDpT10_ENKUlT_T0_E_clISt17integral_constantIbLb1EES16_IbLb0EEEEDaS12_S13_EUlS12_E_NS1_11comp_targetILNS1_3genE10ELNS1_11target_archE1200ELNS1_3gpuE4ELNS1_3repE0EEENS1_30default_config_static_selectorELNS0_4arch9wavefront6targetE0EEEvT1_.uses_vcc, 0
	.set _ZN7rocprim17ROCPRIM_400000_NS6detail17trampoline_kernelINS0_14default_configENS1_25partition_config_selectorILNS1_17partition_subalgoE8EaNS0_10empty_typeEbEEZZNS1_14partition_implILS5_8ELb0ES3_jPKaPS6_PKS6_NS0_5tupleIJPaS6_EEENSE_IJSB_SB_EEENS0_18inequality_wrapperIN6hipcub16HIPCUB_304000_NS8EqualityEEEPlJS6_EEE10hipError_tPvRmT3_T4_T5_T6_T7_T9_mT8_P12ihipStream_tbDpT10_ENKUlT_T0_E_clISt17integral_constantIbLb1EES16_IbLb0EEEEDaS12_S13_EUlS12_E_NS1_11comp_targetILNS1_3genE10ELNS1_11target_archE1200ELNS1_3gpuE4ELNS1_3repE0EEENS1_30default_config_static_selectorELNS0_4arch9wavefront6targetE0EEEvT1_.uses_flat_scratch, 0
	.set _ZN7rocprim17ROCPRIM_400000_NS6detail17trampoline_kernelINS0_14default_configENS1_25partition_config_selectorILNS1_17partition_subalgoE8EaNS0_10empty_typeEbEEZZNS1_14partition_implILS5_8ELb0ES3_jPKaPS6_PKS6_NS0_5tupleIJPaS6_EEENSE_IJSB_SB_EEENS0_18inequality_wrapperIN6hipcub16HIPCUB_304000_NS8EqualityEEEPlJS6_EEE10hipError_tPvRmT3_T4_T5_T6_T7_T9_mT8_P12ihipStream_tbDpT10_ENKUlT_T0_E_clISt17integral_constantIbLb1EES16_IbLb0EEEEDaS12_S13_EUlS12_E_NS1_11comp_targetILNS1_3genE10ELNS1_11target_archE1200ELNS1_3gpuE4ELNS1_3repE0EEENS1_30default_config_static_selectorELNS0_4arch9wavefront6targetE0EEEvT1_.has_dyn_sized_stack, 0
	.set _ZN7rocprim17ROCPRIM_400000_NS6detail17trampoline_kernelINS0_14default_configENS1_25partition_config_selectorILNS1_17partition_subalgoE8EaNS0_10empty_typeEbEEZZNS1_14partition_implILS5_8ELb0ES3_jPKaPS6_PKS6_NS0_5tupleIJPaS6_EEENSE_IJSB_SB_EEENS0_18inequality_wrapperIN6hipcub16HIPCUB_304000_NS8EqualityEEEPlJS6_EEE10hipError_tPvRmT3_T4_T5_T6_T7_T9_mT8_P12ihipStream_tbDpT10_ENKUlT_T0_E_clISt17integral_constantIbLb1EES16_IbLb0EEEEDaS12_S13_EUlS12_E_NS1_11comp_targetILNS1_3genE10ELNS1_11target_archE1200ELNS1_3gpuE4ELNS1_3repE0EEENS1_30default_config_static_selectorELNS0_4arch9wavefront6targetE0EEEvT1_.has_recursion, 0
	.set _ZN7rocprim17ROCPRIM_400000_NS6detail17trampoline_kernelINS0_14default_configENS1_25partition_config_selectorILNS1_17partition_subalgoE8EaNS0_10empty_typeEbEEZZNS1_14partition_implILS5_8ELb0ES3_jPKaPS6_PKS6_NS0_5tupleIJPaS6_EEENSE_IJSB_SB_EEENS0_18inequality_wrapperIN6hipcub16HIPCUB_304000_NS8EqualityEEEPlJS6_EEE10hipError_tPvRmT3_T4_T5_T6_T7_T9_mT8_P12ihipStream_tbDpT10_ENKUlT_T0_E_clISt17integral_constantIbLb1EES16_IbLb0EEEEDaS12_S13_EUlS12_E_NS1_11comp_targetILNS1_3genE10ELNS1_11target_archE1200ELNS1_3gpuE4ELNS1_3repE0EEENS1_30default_config_static_selectorELNS0_4arch9wavefront6targetE0EEEvT1_.has_indirect_call, 0
	.section	.AMDGPU.csdata,"",@progbits
; Kernel info:
; codeLenInByte = 0
; TotalNumSgprs: 0
; NumVgprs: 0
; ScratchSize: 0
; MemoryBound: 0
; FloatMode: 240
; IeeeMode: 1
; LDSByteSize: 0 bytes/workgroup (compile time only)
; SGPRBlocks: 0
; VGPRBlocks: 0
; NumSGPRsForWavesPerEU: 1
; NumVGPRsForWavesPerEU: 1
; NamedBarCnt: 0
; Occupancy: 16
; WaveLimiterHint : 0
; COMPUTE_PGM_RSRC2:SCRATCH_EN: 0
; COMPUTE_PGM_RSRC2:USER_SGPR: 2
; COMPUTE_PGM_RSRC2:TRAP_HANDLER: 0
; COMPUTE_PGM_RSRC2:TGID_X_EN: 1
; COMPUTE_PGM_RSRC2:TGID_Y_EN: 0
; COMPUTE_PGM_RSRC2:TGID_Z_EN: 0
; COMPUTE_PGM_RSRC2:TIDIG_COMP_CNT: 0
	.section	.text._ZN7rocprim17ROCPRIM_400000_NS6detail17trampoline_kernelINS0_14default_configENS1_25partition_config_selectorILNS1_17partition_subalgoE8EaNS0_10empty_typeEbEEZZNS1_14partition_implILS5_8ELb0ES3_jPKaPS6_PKS6_NS0_5tupleIJPaS6_EEENSE_IJSB_SB_EEENS0_18inequality_wrapperIN6hipcub16HIPCUB_304000_NS8EqualityEEEPlJS6_EEE10hipError_tPvRmT3_T4_T5_T6_T7_T9_mT8_P12ihipStream_tbDpT10_ENKUlT_T0_E_clISt17integral_constantIbLb1EES16_IbLb0EEEEDaS12_S13_EUlS12_E_NS1_11comp_targetILNS1_3genE9ELNS1_11target_archE1100ELNS1_3gpuE3ELNS1_3repE0EEENS1_30default_config_static_selectorELNS0_4arch9wavefront6targetE0EEEvT1_,"axG",@progbits,_ZN7rocprim17ROCPRIM_400000_NS6detail17trampoline_kernelINS0_14default_configENS1_25partition_config_selectorILNS1_17partition_subalgoE8EaNS0_10empty_typeEbEEZZNS1_14partition_implILS5_8ELb0ES3_jPKaPS6_PKS6_NS0_5tupleIJPaS6_EEENSE_IJSB_SB_EEENS0_18inequality_wrapperIN6hipcub16HIPCUB_304000_NS8EqualityEEEPlJS6_EEE10hipError_tPvRmT3_T4_T5_T6_T7_T9_mT8_P12ihipStream_tbDpT10_ENKUlT_T0_E_clISt17integral_constantIbLb1EES16_IbLb0EEEEDaS12_S13_EUlS12_E_NS1_11comp_targetILNS1_3genE9ELNS1_11target_archE1100ELNS1_3gpuE3ELNS1_3repE0EEENS1_30default_config_static_selectorELNS0_4arch9wavefront6targetE0EEEvT1_,comdat
	.protected	_ZN7rocprim17ROCPRIM_400000_NS6detail17trampoline_kernelINS0_14default_configENS1_25partition_config_selectorILNS1_17partition_subalgoE8EaNS0_10empty_typeEbEEZZNS1_14partition_implILS5_8ELb0ES3_jPKaPS6_PKS6_NS0_5tupleIJPaS6_EEENSE_IJSB_SB_EEENS0_18inequality_wrapperIN6hipcub16HIPCUB_304000_NS8EqualityEEEPlJS6_EEE10hipError_tPvRmT3_T4_T5_T6_T7_T9_mT8_P12ihipStream_tbDpT10_ENKUlT_T0_E_clISt17integral_constantIbLb1EES16_IbLb0EEEEDaS12_S13_EUlS12_E_NS1_11comp_targetILNS1_3genE9ELNS1_11target_archE1100ELNS1_3gpuE3ELNS1_3repE0EEENS1_30default_config_static_selectorELNS0_4arch9wavefront6targetE0EEEvT1_ ; -- Begin function _ZN7rocprim17ROCPRIM_400000_NS6detail17trampoline_kernelINS0_14default_configENS1_25partition_config_selectorILNS1_17partition_subalgoE8EaNS0_10empty_typeEbEEZZNS1_14partition_implILS5_8ELb0ES3_jPKaPS6_PKS6_NS0_5tupleIJPaS6_EEENSE_IJSB_SB_EEENS0_18inequality_wrapperIN6hipcub16HIPCUB_304000_NS8EqualityEEEPlJS6_EEE10hipError_tPvRmT3_T4_T5_T6_T7_T9_mT8_P12ihipStream_tbDpT10_ENKUlT_T0_E_clISt17integral_constantIbLb1EES16_IbLb0EEEEDaS12_S13_EUlS12_E_NS1_11comp_targetILNS1_3genE9ELNS1_11target_archE1100ELNS1_3gpuE3ELNS1_3repE0EEENS1_30default_config_static_selectorELNS0_4arch9wavefront6targetE0EEEvT1_
	.globl	_ZN7rocprim17ROCPRIM_400000_NS6detail17trampoline_kernelINS0_14default_configENS1_25partition_config_selectorILNS1_17partition_subalgoE8EaNS0_10empty_typeEbEEZZNS1_14partition_implILS5_8ELb0ES3_jPKaPS6_PKS6_NS0_5tupleIJPaS6_EEENSE_IJSB_SB_EEENS0_18inequality_wrapperIN6hipcub16HIPCUB_304000_NS8EqualityEEEPlJS6_EEE10hipError_tPvRmT3_T4_T5_T6_T7_T9_mT8_P12ihipStream_tbDpT10_ENKUlT_T0_E_clISt17integral_constantIbLb1EES16_IbLb0EEEEDaS12_S13_EUlS12_E_NS1_11comp_targetILNS1_3genE9ELNS1_11target_archE1100ELNS1_3gpuE3ELNS1_3repE0EEENS1_30default_config_static_selectorELNS0_4arch9wavefront6targetE0EEEvT1_
	.p2align	8
	.type	_ZN7rocprim17ROCPRIM_400000_NS6detail17trampoline_kernelINS0_14default_configENS1_25partition_config_selectorILNS1_17partition_subalgoE8EaNS0_10empty_typeEbEEZZNS1_14partition_implILS5_8ELb0ES3_jPKaPS6_PKS6_NS0_5tupleIJPaS6_EEENSE_IJSB_SB_EEENS0_18inequality_wrapperIN6hipcub16HIPCUB_304000_NS8EqualityEEEPlJS6_EEE10hipError_tPvRmT3_T4_T5_T6_T7_T9_mT8_P12ihipStream_tbDpT10_ENKUlT_T0_E_clISt17integral_constantIbLb1EES16_IbLb0EEEEDaS12_S13_EUlS12_E_NS1_11comp_targetILNS1_3genE9ELNS1_11target_archE1100ELNS1_3gpuE3ELNS1_3repE0EEENS1_30default_config_static_selectorELNS0_4arch9wavefront6targetE0EEEvT1_,@function
_ZN7rocprim17ROCPRIM_400000_NS6detail17trampoline_kernelINS0_14default_configENS1_25partition_config_selectorILNS1_17partition_subalgoE8EaNS0_10empty_typeEbEEZZNS1_14partition_implILS5_8ELb0ES3_jPKaPS6_PKS6_NS0_5tupleIJPaS6_EEENSE_IJSB_SB_EEENS0_18inequality_wrapperIN6hipcub16HIPCUB_304000_NS8EqualityEEEPlJS6_EEE10hipError_tPvRmT3_T4_T5_T6_T7_T9_mT8_P12ihipStream_tbDpT10_ENKUlT_T0_E_clISt17integral_constantIbLb1EES16_IbLb0EEEEDaS12_S13_EUlS12_E_NS1_11comp_targetILNS1_3genE9ELNS1_11target_archE1100ELNS1_3gpuE3ELNS1_3repE0EEENS1_30default_config_static_selectorELNS0_4arch9wavefront6targetE0EEEvT1_: ; @_ZN7rocprim17ROCPRIM_400000_NS6detail17trampoline_kernelINS0_14default_configENS1_25partition_config_selectorILNS1_17partition_subalgoE8EaNS0_10empty_typeEbEEZZNS1_14partition_implILS5_8ELb0ES3_jPKaPS6_PKS6_NS0_5tupleIJPaS6_EEENSE_IJSB_SB_EEENS0_18inequality_wrapperIN6hipcub16HIPCUB_304000_NS8EqualityEEEPlJS6_EEE10hipError_tPvRmT3_T4_T5_T6_T7_T9_mT8_P12ihipStream_tbDpT10_ENKUlT_T0_E_clISt17integral_constantIbLb1EES16_IbLb0EEEEDaS12_S13_EUlS12_E_NS1_11comp_targetILNS1_3genE9ELNS1_11target_archE1100ELNS1_3gpuE3ELNS1_3repE0EEENS1_30default_config_static_selectorELNS0_4arch9wavefront6targetE0EEEvT1_
; %bb.0:
	.section	.rodata,"a",@progbits
	.p2align	6, 0x0
	.amdhsa_kernel _ZN7rocprim17ROCPRIM_400000_NS6detail17trampoline_kernelINS0_14default_configENS1_25partition_config_selectorILNS1_17partition_subalgoE8EaNS0_10empty_typeEbEEZZNS1_14partition_implILS5_8ELb0ES3_jPKaPS6_PKS6_NS0_5tupleIJPaS6_EEENSE_IJSB_SB_EEENS0_18inequality_wrapperIN6hipcub16HIPCUB_304000_NS8EqualityEEEPlJS6_EEE10hipError_tPvRmT3_T4_T5_T6_T7_T9_mT8_P12ihipStream_tbDpT10_ENKUlT_T0_E_clISt17integral_constantIbLb1EES16_IbLb0EEEEDaS12_S13_EUlS12_E_NS1_11comp_targetILNS1_3genE9ELNS1_11target_archE1100ELNS1_3gpuE3ELNS1_3repE0EEENS1_30default_config_static_selectorELNS0_4arch9wavefront6targetE0EEEvT1_
		.amdhsa_group_segment_fixed_size 0
		.amdhsa_private_segment_fixed_size 0
		.amdhsa_kernarg_size 112
		.amdhsa_user_sgpr_count 2
		.amdhsa_user_sgpr_dispatch_ptr 0
		.amdhsa_user_sgpr_queue_ptr 0
		.amdhsa_user_sgpr_kernarg_segment_ptr 1
		.amdhsa_user_sgpr_dispatch_id 0
		.amdhsa_user_sgpr_kernarg_preload_length 0
		.amdhsa_user_sgpr_kernarg_preload_offset 0
		.amdhsa_user_sgpr_private_segment_size 0
		.amdhsa_wavefront_size32 1
		.amdhsa_uses_dynamic_stack 0
		.amdhsa_enable_private_segment 0
		.amdhsa_system_sgpr_workgroup_id_x 1
		.amdhsa_system_sgpr_workgroup_id_y 0
		.amdhsa_system_sgpr_workgroup_id_z 0
		.amdhsa_system_sgpr_workgroup_info 0
		.amdhsa_system_vgpr_workitem_id 0
		.amdhsa_next_free_vgpr 1
		.amdhsa_next_free_sgpr 1
		.amdhsa_named_barrier_count 0
		.amdhsa_reserve_vcc 0
		.amdhsa_float_round_mode_32 0
		.amdhsa_float_round_mode_16_64 0
		.amdhsa_float_denorm_mode_32 3
		.amdhsa_float_denorm_mode_16_64 3
		.amdhsa_fp16_overflow 0
		.amdhsa_memory_ordered 1
		.amdhsa_forward_progress 1
		.amdhsa_inst_pref_size 0
		.amdhsa_round_robin_scheduling 0
		.amdhsa_exception_fp_ieee_invalid_op 0
		.amdhsa_exception_fp_denorm_src 0
		.amdhsa_exception_fp_ieee_div_zero 0
		.amdhsa_exception_fp_ieee_overflow 0
		.amdhsa_exception_fp_ieee_underflow 0
		.amdhsa_exception_fp_ieee_inexact 0
		.amdhsa_exception_int_div_zero 0
	.end_amdhsa_kernel
	.section	.text._ZN7rocprim17ROCPRIM_400000_NS6detail17trampoline_kernelINS0_14default_configENS1_25partition_config_selectorILNS1_17partition_subalgoE8EaNS0_10empty_typeEbEEZZNS1_14partition_implILS5_8ELb0ES3_jPKaPS6_PKS6_NS0_5tupleIJPaS6_EEENSE_IJSB_SB_EEENS0_18inequality_wrapperIN6hipcub16HIPCUB_304000_NS8EqualityEEEPlJS6_EEE10hipError_tPvRmT3_T4_T5_T6_T7_T9_mT8_P12ihipStream_tbDpT10_ENKUlT_T0_E_clISt17integral_constantIbLb1EES16_IbLb0EEEEDaS12_S13_EUlS12_E_NS1_11comp_targetILNS1_3genE9ELNS1_11target_archE1100ELNS1_3gpuE3ELNS1_3repE0EEENS1_30default_config_static_selectorELNS0_4arch9wavefront6targetE0EEEvT1_,"axG",@progbits,_ZN7rocprim17ROCPRIM_400000_NS6detail17trampoline_kernelINS0_14default_configENS1_25partition_config_selectorILNS1_17partition_subalgoE8EaNS0_10empty_typeEbEEZZNS1_14partition_implILS5_8ELb0ES3_jPKaPS6_PKS6_NS0_5tupleIJPaS6_EEENSE_IJSB_SB_EEENS0_18inequality_wrapperIN6hipcub16HIPCUB_304000_NS8EqualityEEEPlJS6_EEE10hipError_tPvRmT3_T4_T5_T6_T7_T9_mT8_P12ihipStream_tbDpT10_ENKUlT_T0_E_clISt17integral_constantIbLb1EES16_IbLb0EEEEDaS12_S13_EUlS12_E_NS1_11comp_targetILNS1_3genE9ELNS1_11target_archE1100ELNS1_3gpuE3ELNS1_3repE0EEENS1_30default_config_static_selectorELNS0_4arch9wavefront6targetE0EEEvT1_,comdat
.Lfunc_end225:
	.size	_ZN7rocprim17ROCPRIM_400000_NS6detail17trampoline_kernelINS0_14default_configENS1_25partition_config_selectorILNS1_17partition_subalgoE8EaNS0_10empty_typeEbEEZZNS1_14partition_implILS5_8ELb0ES3_jPKaPS6_PKS6_NS0_5tupleIJPaS6_EEENSE_IJSB_SB_EEENS0_18inequality_wrapperIN6hipcub16HIPCUB_304000_NS8EqualityEEEPlJS6_EEE10hipError_tPvRmT3_T4_T5_T6_T7_T9_mT8_P12ihipStream_tbDpT10_ENKUlT_T0_E_clISt17integral_constantIbLb1EES16_IbLb0EEEEDaS12_S13_EUlS12_E_NS1_11comp_targetILNS1_3genE9ELNS1_11target_archE1100ELNS1_3gpuE3ELNS1_3repE0EEENS1_30default_config_static_selectorELNS0_4arch9wavefront6targetE0EEEvT1_, .Lfunc_end225-_ZN7rocprim17ROCPRIM_400000_NS6detail17trampoline_kernelINS0_14default_configENS1_25partition_config_selectorILNS1_17partition_subalgoE8EaNS0_10empty_typeEbEEZZNS1_14partition_implILS5_8ELb0ES3_jPKaPS6_PKS6_NS0_5tupleIJPaS6_EEENSE_IJSB_SB_EEENS0_18inequality_wrapperIN6hipcub16HIPCUB_304000_NS8EqualityEEEPlJS6_EEE10hipError_tPvRmT3_T4_T5_T6_T7_T9_mT8_P12ihipStream_tbDpT10_ENKUlT_T0_E_clISt17integral_constantIbLb1EES16_IbLb0EEEEDaS12_S13_EUlS12_E_NS1_11comp_targetILNS1_3genE9ELNS1_11target_archE1100ELNS1_3gpuE3ELNS1_3repE0EEENS1_30default_config_static_selectorELNS0_4arch9wavefront6targetE0EEEvT1_
                                        ; -- End function
	.set _ZN7rocprim17ROCPRIM_400000_NS6detail17trampoline_kernelINS0_14default_configENS1_25partition_config_selectorILNS1_17partition_subalgoE8EaNS0_10empty_typeEbEEZZNS1_14partition_implILS5_8ELb0ES3_jPKaPS6_PKS6_NS0_5tupleIJPaS6_EEENSE_IJSB_SB_EEENS0_18inequality_wrapperIN6hipcub16HIPCUB_304000_NS8EqualityEEEPlJS6_EEE10hipError_tPvRmT3_T4_T5_T6_T7_T9_mT8_P12ihipStream_tbDpT10_ENKUlT_T0_E_clISt17integral_constantIbLb1EES16_IbLb0EEEEDaS12_S13_EUlS12_E_NS1_11comp_targetILNS1_3genE9ELNS1_11target_archE1100ELNS1_3gpuE3ELNS1_3repE0EEENS1_30default_config_static_selectorELNS0_4arch9wavefront6targetE0EEEvT1_.num_vgpr, 0
	.set _ZN7rocprim17ROCPRIM_400000_NS6detail17trampoline_kernelINS0_14default_configENS1_25partition_config_selectorILNS1_17partition_subalgoE8EaNS0_10empty_typeEbEEZZNS1_14partition_implILS5_8ELb0ES3_jPKaPS6_PKS6_NS0_5tupleIJPaS6_EEENSE_IJSB_SB_EEENS0_18inequality_wrapperIN6hipcub16HIPCUB_304000_NS8EqualityEEEPlJS6_EEE10hipError_tPvRmT3_T4_T5_T6_T7_T9_mT8_P12ihipStream_tbDpT10_ENKUlT_T0_E_clISt17integral_constantIbLb1EES16_IbLb0EEEEDaS12_S13_EUlS12_E_NS1_11comp_targetILNS1_3genE9ELNS1_11target_archE1100ELNS1_3gpuE3ELNS1_3repE0EEENS1_30default_config_static_selectorELNS0_4arch9wavefront6targetE0EEEvT1_.num_agpr, 0
	.set _ZN7rocprim17ROCPRIM_400000_NS6detail17trampoline_kernelINS0_14default_configENS1_25partition_config_selectorILNS1_17partition_subalgoE8EaNS0_10empty_typeEbEEZZNS1_14partition_implILS5_8ELb0ES3_jPKaPS6_PKS6_NS0_5tupleIJPaS6_EEENSE_IJSB_SB_EEENS0_18inequality_wrapperIN6hipcub16HIPCUB_304000_NS8EqualityEEEPlJS6_EEE10hipError_tPvRmT3_T4_T5_T6_T7_T9_mT8_P12ihipStream_tbDpT10_ENKUlT_T0_E_clISt17integral_constantIbLb1EES16_IbLb0EEEEDaS12_S13_EUlS12_E_NS1_11comp_targetILNS1_3genE9ELNS1_11target_archE1100ELNS1_3gpuE3ELNS1_3repE0EEENS1_30default_config_static_selectorELNS0_4arch9wavefront6targetE0EEEvT1_.numbered_sgpr, 0
	.set _ZN7rocprim17ROCPRIM_400000_NS6detail17trampoline_kernelINS0_14default_configENS1_25partition_config_selectorILNS1_17partition_subalgoE8EaNS0_10empty_typeEbEEZZNS1_14partition_implILS5_8ELb0ES3_jPKaPS6_PKS6_NS0_5tupleIJPaS6_EEENSE_IJSB_SB_EEENS0_18inequality_wrapperIN6hipcub16HIPCUB_304000_NS8EqualityEEEPlJS6_EEE10hipError_tPvRmT3_T4_T5_T6_T7_T9_mT8_P12ihipStream_tbDpT10_ENKUlT_T0_E_clISt17integral_constantIbLb1EES16_IbLb0EEEEDaS12_S13_EUlS12_E_NS1_11comp_targetILNS1_3genE9ELNS1_11target_archE1100ELNS1_3gpuE3ELNS1_3repE0EEENS1_30default_config_static_selectorELNS0_4arch9wavefront6targetE0EEEvT1_.num_named_barrier, 0
	.set _ZN7rocprim17ROCPRIM_400000_NS6detail17trampoline_kernelINS0_14default_configENS1_25partition_config_selectorILNS1_17partition_subalgoE8EaNS0_10empty_typeEbEEZZNS1_14partition_implILS5_8ELb0ES3_jPKaPS6_PKS6_NS0_5tupleIJPaS6_EEENSE_IJSB_SB_EEENS0_18inequality_wrapperIN6hipcub16HIPCUB_304000_NS8EqualityEEEPlJS6_EEE10hipError_tPvRmT3_T4_T5_T6_T7_T9_mT8_P12ihipStream_tbDpT10_ENKUlT_T0_E_clISt17integral_constantIbLb1EES16_IbLb0EEEEDaS12_S13_EUlS12_E_NS1_11comp_targetILNS1_3genE9ELNS1_11target_archE1100ELNS1_3gpuE3ELNS1_3repE0EEENS1_30default_config_static_selectorELNS0_4arch9wavefront6targetE0EEEvT1_.private_seg_size, 0
	.set _ZN7rocprim17ROCPRIM_400000_NS6detail17trampoline_kernelINS0_14default_configENS1_25partition_config_selectorILNS1_17partition_subalgoE8EaNS0_10empty_typeEbEEZZNS1_14partition_implILS5_8ELb0ES3_jPKaPS6_PKS6_NS0_5tupleIJPaS6_EEENSE_IJSB_SB_EEENS0_18inequality_wrapperIN6hipcub16HIPCUB_304000_NS8EqualityEEEPlJS6_EEE10hipError_tPvRmT3_T4_T5_T6_T7_T9_mT8_P12ihipStream_tbDpT10_ENKUlT_T0_E_clISt17integral_constantIbLb1EES16_IbLb0EEEEDaS12_S13_EUlS12_E_NS1_11comp_targetILNS1_3genE9ELNS1_11target_archE1100ELNS1_3gpuE3ELNS1_3repE0EEENS1_30default_config_static_selectorELNS0_4arch9wavefront6targetE0EEEvT1_.uses_vcc, 0
	.set _ZN7rocprim17ROCPRIM_400000_NS6detail17trampoline_kernelINS0_14default_configENS1_25partition_config_selectorILNS1_17partition_subalgoE8EaNS0_10empty_typeEbEEZZNS1_14partition_implILS5_8ELb0ES3_jPKaPS6_PKS6_NS0_5tupleIJPaS6_EEENSE_IJSB_SB_EEENS0_18inequality_wrapperIN6hipcub16HIPCUB_304000_NS8EqualityEEEPlJS6_EEE10hipError_tPvRmT3_T4_T5_T6_T7_T9_mT8_P12ihipStream_tbDpT10_ENKUlT_T0_E_clISt17integral_constantIbLb1EES16_IbLb0EEEEDaS12_S13_EUlS12_E_NS1_11comp_targetILNS1_3genE9ELNS1_11target_archE1100ELNS1_3gpuE3ELNS1_3repE0EEENS1_30default_config_static_selectorELNS0_4arch9wavefront6targetE0EEEvT1_.uses_flat_scratch, 0
	.set _ZN7rocprim17ROCPRIM_400000_NS6detail17trampoline_kernelINS0_14default_configENS1_25partition_config_selectorILNS1_17partition_subalgoE8EaNS0_10empty_typeEbEEZZNS1_14partition_implILS5_8ELb0ES3_jPKaPS6_PKS6_NS0_5tupleIJPaS6_EEENSE_IJSB_SB_EEENS0_18inequality_wrapperIN6hipcub16HIPCUB_304000_NS8EqualityEEEPlJS6_EEE10hipError_tPvRmT3_T4_T5_T6_T7_T9_mT8_P12ihipStream_tbDpT10_ENKUlT_T0_E_clISt17integral_constantIbLb1EES16_IbLb0EEEEDaS12_S13_EUlS12_E_NS1_11comp_targetILNS1_3genE9ELNS1_11target_archE1100ELNS1_3gpuE3ELNS1_3repE0EEENS1_30default_config_static_selectorELNS0_4arch9wavefront6targetE0EEEvT1_.has_dyn_sized_stack, 0
	.set _ZN7rocprim17ROCPRIM_400000_NS6detail17trampoline_kernelINS0_14default_configENS1_25partition_config_selectorILNS1_17partition_subalgoE8EaNS0_10empty_typeEbEEZZNS1_14partition_implILS5_8ELb0ES3_jPKaPS6_PKS6_NS0_5tupleIJPaS6_EEENSE_IJSB_SB_EEENS0_18inequality_wrapperIN6hipcub16HIPCUB_304000_NS8EqualityEEEPlJS6_EEE10hipError_tPvRmT3_T4_T5_T6_T7_T9_mT8_P12ihipStream_tbDpT10_ENKUlT_T0_E_clISt17integral_constantIbLb1EES16_IbLb0EEEEDaS12_S13_EUlS12_E_NS1_11comp_targetILNS1_3genE9ELNS1_11target_archE1100ELNS1_3gpuE3ELNS1_3repE0EEENS1_30default_config_static_selectorELNS0_4arch9wavefront6targetE0EEEvT1_.has_recursion, 0
	.set _ZN7rocprim17ROCPRIM_400000_NS6detail17trampoline_kernelINS0_14default_configENS1_25partition_config_selectorILNS1_17partition_subalgoE8EaNS0_10empty_typeEbEEZZNS1_14partition_implILS5_8ELb0ES3_jPKaPS6_PKS6_NS0_5tupleIJPaS6_EEENSE_IJSB_SB_EEENS0_18inequality_wrapperIN6hipcub16HIPCUB_304000_NS8EqualityEEEPlJS6_EEE10hipError_tPvRmT3_T4_T5_T6_T7_T9_mT8_P12ihipStream_tbDpT10_ENKUlT_T0_E_clISt17integral_constantIbLb1EES16_IbLb0EEEEDaS12_S13_EUlS12_E_NS1_11comp_targetILNS1_3genE9ELNS1_11target_archE1100ELNS1_3gpuE3ELNS1_3repE0EEENS1_30default_config_static_selectorELNS0_4arch9wavefront6targetE0EEEvT1_.has_indirect_call, 0
	.section	.AMDGPU.csdata,"",@progbits
; Kernel info:
; codeLenInByte = 0
; TotalNumSgprs: 0
; NumVgprs: 0
; ScratchSize: 0
; MemoryBound: 0
; FloatMode: 240
; IeeeMode: 1
; LDSByteSize: 0 bytes/workgroup (compile time only)
; SGPRBlocks: 0
; VGPRBlocks: 0
; NumSGPRsForWavesPerEU: 1
; NumVGPRsForWavesPerEU: 1
; NamedBarCnt: 0
; Occupancy: 16
; WaveLimiterHint : 0
; COMPUTE_PGM_RSRC2:SCRATCH_EN: 0
; COMPUTE_PGM_RSRC2:USER_SGPR: 2
; COMPUTE_PGM_RSRC2:TRAP_HANDLER: 0
; COMPUTE_PGM_RSRC2:TGID_X_EN: 1
; COMPUTE_PGM_RSRC2:TGID_Y_EN: 0
; COMPUTE_PGM_RSRC2:TGID_Z_EN: 0
; COMPUTE_PGM_RSRC2:TIDIG_COMP_CNT: 0
	.section	.text._ZN7rocprim17ROCPRIM_400000_NS6detail17trampoline_kernelINS0_14default_configENS1_25partition_config_selectorILNS1_17partition_subalgoE8EaNS0_10empty_typeEbEEZZNS1_14partition_implILS5_8ELb0ES3_jPKaPS6_PKS6_NS0_5tupleIJPaS6_EEENSE_IJSB_SB_EEENS0_18inequality_wrapperIN6hipcub16HIPCUB_304000_NS8EqualityEEEPlJS6_EEE10hipError_tPvRmT3_T4_T5_T6_T7_T9_mT8_P12ihipStream_tbDpT10_ENKUlT_T0_E_clISt17integral_constantIbLb1EES16_IbLb0EEEEDaS12_S13_EUlS12_E_NS1_11comp_targetILNS1_3genE8ELNS1_11target_archE1030ELNS1_3gpuE2ELNS1_3repE0EEENS1_30default_config_static_selectorELNS0_4arch9wavefront6targetE0EEEvT1_,"axG",@progbits,_ZN7rocprim17ROCPRIM_400000_NS6detail17trampoline_kernelINS0_14default_configENS1_25partition_config_selectorILNS1_17partition_subalgoE8EaNS0_10empty_typeEbEEZZNS1_14partition_implILS5_8ELb0ES3_jPKaPS6_PKS6_NS0_5tupleIJPaS6_EEENSE_IJSB_SB_EEENS0_18inequality_wrapperIN6hipcub16HIPCUB_304000_NS8EqualityEEEPlJS6_EEE10hipError_tPvRmT3_T4_T5_T6_T7_T9_mT8_P12ihipStream_tbDpT10_ENKUlT_T0_E_clISt17integral_constantIbLb1EES16_IbLb0EEEEDaS12_S13_EUlS12_E_NS1_11comp_targetILNS1_3genE8ELNS1_11target_archE1030ELNS1_3gpuE2ELNS1_3repE0EEENS1_30default_config_static_selectorELNS0_4arch9wavefront6targetE0EEEvT1_,comdat
	.protected	_ZN7rocprim17ROCPRIM_400000_NS6detail17trampoline_kernelINS0_14default_configENS1_25partition_config_selectorILNS1_17partition_subalgoE8EaNS0_10empty_typeEbEEZZNS1_14partition_implILS5_8ELb0ES3_jPKaPS6_PKS6_NS0_5tupleIJPaS6_EEENSE_IJSB_SB_EEENS0_18inequality_wrapperIN6hipcub16HIPCUB_304000_NS8EqualityEEEPlJS6_EEE10hipError_tPvRmT3_T4_T5_T6_T7_T9_mT8_P12ihipStream_tbDpT10_ENKUlT_T0_E_clISt17integral_constantIbLb1EES16_IbLb0EEEEDaS12_S13_EUlS12_E_NS1_11comp_targetILNS1_3genE8ELNS1_11target_archE1030ELNS1_3gpuE2ELNS1_3repE0EEENS1_30default_config_static_selectorELNS0_4arch9wavefront6targetE0EEEvT1_ ; -- Begin function _ZN7rocprim17ROCPRIM_400000_NS6detail17trampoline_kernelINS0_14default_configENS1_25partition_config_selectorILNS1_17partition_subalgoE8EaNS0_10empty_typeEbEEZZNS1_14partition_implILS5_8ELb0ES3_jPKaPS6_PKS6_NS0_5tupleIJPaS6_EEENSE_IJSB_SB_EEENS0_18inequality_wrapperIN6hipcub16HIPCUB_304000_NS8EqualityEEEPlJS6_EEE10hipError_tPvRmT3_T4_T5_T6_T7_T9_mT8_P12ihipStream_tbDpT10_ENKUlT_T0_E_clISt17integral_constantIbLb1EES16_IbLb0EEEEDaS12_S13_EUlS12_E_NS1_11comp_targetILNS1_3genE8ELNS1_11target_archE1030ELNS1_3gpuE2ELNS1_3repE0EEENS1_30default_config_static_selectorELNS0_4arch9wavefront6targetE0EEEvT1_
	.globl	_ZN7rocprim17ROCPRIM_400000_NS6detail17trampoline_kernelINS0_14default_configENS1_25partition_config_selectorILNS1_17partition_subalgoE8EaNS0_10empty_typeEbEEZZNS1_14partition_implILS5_8ELb0ES3_jPKaPS6_PKS6_NS0_5tupleIJPaS6_EEENSE_IJSB_SB_EEENS0_18inequality_wrapperIN6hipcub16HIPCUB_304000_NS8EqualityEEEPlJS6_EEE10hipError_tPvRmT3_T4_T5_T6_T7_T9_mT8_P12ihipStream_tbDpT10_ENKUlT_T0_E_clISt17integral_constantIbLb1EES16_IbLb0EEEEDaS12_S13_EUlS12_E_NS1_11comp_targetILNS1_3genE8ELNS1_11target_archE1030ELNS1_3gpuE2ELNS1_3repE0EEENS1_30default_config_static_selectorELNS0_4arch9wavefront6targetE0EEEvT1_
	.p2align	8
	.type	_ZN7rocprim17ROCPRIM_400000_NS6detail17trampoline_kernelINS0_14default_configENS1_25partition_config_selectorILNS1_17partition_subalgoE8EaNS0_10empty_typeEbEEZZNS1_14partition_implILS5_8ELb0ES3_jPKaPS6_PKS6_NS0_5tupleIJPaS6_EEENSE_IJSB_SB_EEENS0_18inequality_wrapperIN6hipcub16HIPCUB_304000_NS8EqualityEEEPlJS6_EEE10hipError_tPvRmT3_T4_T5_T6_T7_T9_mT8_P12ihipStream_tbDpT10_ENKUlT_T0_E_clISt17integral_constantIbLb1EES16_IbLb0EEEEDaS12_S13_EUlS12_E_NS1_11comp_targetILNS1_3genE8ELNS1_11target_archE1030ELNS1_3gpuE2ELNS1_3repE0EEENS1_30default_config_static_selectorELNS0_4arch9wavefront6targetE0EEEvT1_,@function
_ZN7rocprim17ROCPRIM_400000_NS6detail17trampoline_kernelINS0_14default_configENS1_25partition_config_selectorILNS1_17partition_subalgoE8EaNS0_10empty_typeEbEEZZNS1_14partition_implILS5_8ELb0ES3_jPKaPS6_PKS6_NS0_5tupleIJPaS6_EEENSE_IJSB_SB_EEENS0_18inequality_wrapperIN6hipcub16HIPCUB_304000_NS8EqualityEEEPlJS6_EEE10hipError_tPvRmT3_T4_T5_T6_T7_T9_mT8_P12ihipStream_tbDpT10_ENKUlT_T0_E_clISt17integral_constantIbLb1EES16_IbLb0EEEEDaS12_S13_EUlS12_E_NS1_11comp_targetILNS1_3genE8ELNS1_11target_archE1030ELNS1_3gpuE2ELNS1_3repE0EEENS1_30default_config_static_selectorELNS0_4arch9wavefront6targetE0EEEvT1_: ; @_ZN7rocprim17ROCPRIM_400000_NS6detail17trampoline_kernelINS0_14default_configENS1_25partition_config_selectorILNS1_17partition_subalgoE8EaNS0_10empty_typeEbEEZZNS1_14partition_implILS5_8ELb0ES3_jPKaPS6_PKS6_NS0_5tupleIJPaS6_EEENSE_IJSB_SB_EEENS0_18inequality_wrapperIN6hipcub16HIPCUB_304000_NS8EqualityEEEPlJS6_EEE10hipError_tPvRmT3_T4_T5_T6_T7_T9_mT8_P12ihipStream_tbDpT10_ENKUlT_T0_E_clISt17integral_constantIbLb1EES16_IbLb0EEEEDaS12_S13_EUlS12_E_NS1_11comp_targetILNS1_3genE8ELNS1_11target_archE1030ELNS1_3gpuE2ELNS1_3repE0EEENS1_30default_config_static_selectorELNS0_4arch9wavefront6targetE0EEEvT1_
; %bb.0:
	.section	.rodata,"a",@progbits
	.p2align	6, 0x0
	.amdhsa_kernel _ZN7rocprim17ROCPRIM_400000_NS6detail17trampoline_kernelINS0_14default_configENS1_25partition_config_selectorILNS1_17partition_subalgoE8EaNS0_10empty_typeEbEEZZNS1_14partition_implILS5_8ELb0ES3_jPKaPS6_PKS6_NS0_5tupleIJPaS6_EEENSE_IJSB_SB_EEENS0_18inequality_wrapperIN6hipcub16HIPCUB_304000_NS8EqualityEEEPlJS6_EEE10hipError_tPvRmT3_T4_T5_T6_T7_T9_mT8_P12ihipStream_tbDpT10_ENKUlT_T0_E_clISt17integral_constantIbLb1EES16_IbLb0EEEEDaS12_S13_EUlS12_E_NS1_11comp_targetILNS1_3genE8ELNS1_11target_archE1030ELNS1_3gpuE2ELNS1_3repE0EEENS1_30default_config_static_selectorELNS0_4arch9wavefront6targetE0EEEvT1_
		.amdhsa_group_segment_fixed_size 0
		.amdhsa_private_segment_fixed_size 0
		.amdhsa_kernarg_size 112
		.amdhsa_user_sgpr_count 2
		.amdhsa_user_sgpr_dispatch_ptr 0
		.amdhsa_user_sgpr_queue_ptr 0
		.amdhsa_user_sgpr_kernarg_segment_ptr 1
		.amdhsa_user_sgpr_dispatch_id 0
		.amdhsa_user_sgpr_kernarg_preload_length 0
		.amdhsa_user_sgpr_kernarg_preload_offset 0
		.amdhsa_user_sgpr_private_segment_size 0
		.amdhsa_wavefront_size32 1
		.amdhsa_uses_dynamic_stack 0
		.amdhsa_enable_private_segment 0
		.amdhsa_system_sgpr_workgroup_id_x 1
		.amdhsa_system_sgpr_workgroup_id_y 0
		.amdhsa_system_sgpr_workgroup_id_z 0
		.amdhsa_system_sgpr_workgroup_info 0
		.amdhsa_system_vgpr_workitem_id 0
		.amdhsa_next_free_vgpr 1
		.amdhsa_next_free_sgpr 1
		.amdhsa_named_barrier_count 0
		.amdhsa_reserve_vcc 0
		.amdhsa_float_round_mode_32 0
		.amdhsa_float_round_mode_16_64 0
		.amdhsa_float_denorm_mode_32 3
		.amdhsa_float_denorm_mode_16_64 3
		.amdhsa_fp16_overflow 0
		.amdhsa_memory_ordered 1
		.amdhsa_forward_progress 1
		.amdhsa_inst_pref_size 0
		.amdhsa_round_robin_scheduling 0
		.amdhsa_exception_fp_ieee_invalid_op 0
		.amdhsa_exception_fp_denorm_src 0
		.amdhsa_exception_fp_ieee_div_zero 0
		.amdhsa_exception_fp_ieee_overflow 0
		.amdhsa_exception_fp_ieee_underflow 0
		.amdhsa_exception_fp_ieee_inexact 0
		.amdhsa_exception_int_div_zero 0
	.end_amdhsa_kernel
	.section	.text._ZN7rocprim17ROCPRIM_400000_NS6detail17trampoline_kernelINS0_14default_configENS1_25partition_config_selectorILNS1_17partition_subalgoE8EaNS0_10empty_typeEbEEZZNS1_14partition_implILS5_8ELb0ES3_jPKaPS6_PKS6_NS0_5tupleIJPaS6_EEENSE_IJSB_SB_EEENS0_18inequality_wrapperIN6hipcub16HIPCUB_304000_NS8EqualityEEEPlJS6_EEE10hipError_tPvRmT3_T4_T5_T6_T7_T9_mT8_P12ihipStream_tbDpT10_ENKUlT_T0_E_clISt17integral_constantIbLb1EES16_IbLb0EEEEDaS12_S13_EUlS12_E_NS1_11comp_targetILNS1_3genE8ELNS1_11target_archE1030ELNS1_3gpuE2ELNS1_3repE0EEENS1_30default_config_static_selectorELNS0_4arch9wavefront6targetE0EEEvT1_,"axG",@progbits,_ZN7rocprim17ROCPRIM_400000_NS6detail17trampoline_kernelINS0_14default_configENS1_25partition_config_selectorILNS1_17partition_subalgoE8EaNS0_10empty_typeEbEEZZNS1_14partition_implILS5_8ELb0ES3_jPKaPS6_PKS6_NS0_5tupleIJPaS6_EEENSE_IJSB_SB_EEENS0_18inequality_wrapperIN6hipcub16HIPCUB_304000_NS8EqualityEEEPlJS6_EEE10hipError_tPvRmT3_T4_T5_T6_T7_T9_mT8_P12ihipStream_tbDpT10_ENKUlT_T0_E_clISt17integral_constantIbLb1EES16_IbLb0EEEEDaS12_S13_EUlS12_E_NS1_11comp_targetILNS1_3genE8ELNS1_11target_archE1030ELNS1_3gpuE2ELNS1_3repE0EEENS1_30default_config_static_selectorELNS0_4arch9wavefront6targetE0EEEvT1_,comdat
.Lfunc_end226:
	.size	_ZN7rocprim17ROCPRIM_400000_NS6detail17trampoline_kernelINS0_14default_configENS1_25partition_config_selectorILNS1_17partition_subalgoE8EaNS0_10empty_typeEbEEZZNS1_14partition_implILS5_8ELb0ES3_jPKaPS6_PKS6_NS0_5tupleIJPaS6_EEENSE_IJSB_SB_EEENS0_18inequality_wrapperIN6hipcub16HIPCUB_304000_NS8EqualityEEEPlJS6_EEE10hipError_tPvRmT3_T4_T5_T6_T7_T9_mT8_P12ihipStream_tbDpT10_ENKUlT_T0_E_clISt17integral_constantIbLb1EES16_IbLb0EEEEDaS12_S13_EUlS12_E_NS1_11comp_targetILNS1_3genE8ELNS1_11target_archE1030ELNS1_3gpuE2ELNS1_3repE0EEENS1_30default_config_static_selectorELNS0_4arch9wavefront6targetE0EEEvT1_, .Lfunc_end226-_ZN7rocprim17ROCPRIM_400000_NS6detail17trampoline_kernelINS0_14default_configENS1_25partition_config_selectorILNS1_17partition_subalgoE8EaNS0_10empty_typeEbEEZZNS1_14partition_implILS5_8ELb0ES3_jPKaPS6_PKS6_NS0_5tupleIJPaS6_EEENSE_IJSB_SB_EEENS0_18inequality_wrapperIN6hipcub16HIPCUB_304000_NS8EqualityEEEPlJS6_EEE10hipError_tPvRmT3_T4_T5_T6_T7_T9_mT8_P12ihipStream_tbDpT10_ENKUlT_T0_E_clISt17integral_constantIbLb1EES16_IbLb0EEEEDaS12_S13_EUlS12_E_NS1_11comp_targetILNS1_3genE8ELNS1_11target_archE1030ELNS1_3gpuE2ELNS1_3repE0EEENS1_30default_config_static_selectorELNS0_4arch9wavefront6targetE0EEEvT1_
                                        ; -- End function
	.set _ZN7rocprim17ROCPRIM_400000_NS6detail17trampoline_kernelINS0_14default_configENS1_25partition_config_selectorILNS1_17partition_subalgoE8EaNS0_10empty_typeEbEEZZNS1_14partition_implILS5_8ELb0ES3_jPKaPS6_PKS6_NS0_5tupleIJPaS6_EEENSE_IJSB_SB_EEENS0_18inequality_wrapperIN6hipcub16HIPCUB_304000_NS8EqualityEEEPlJS6_EEE10hipError_tPvRmT3_T4_T5_T6_T7_T9_mT8_P12ihipStream_tbDpT10_ENKUlT_T0_E_clISt17integral_constantIbLb1EES16_IbLb0EEEEDaS12_S13_EUlS12_E_NS1_11comp_targetILNS1_3genE8ELNS1_11target_archE1030ELNS1_3gpuE2ELNS1_3repE0EEENS1_30default_config_static_selectorELNS0_4arch9wavefront6targetE0EEEvT1_.num_vgpr, 0
	.set _ZN7rocprim17ROCPRIM_400000_NS6detail17trampoline_kernelINS0_14default_configENS1_25partition_config_selectorILNS1_17partition_subalgoE8EaNS0_10empty_typeEbEEZZNS1_14partition_implILS5_8ELb0ES3_jPKaPS6_PKS6_NS0_5tupleIJPaS6_EEENSE_IJSB_SB_EEENS0_18inequality_wrapperIN6hipcub16HIPCUB_304000_NS8EqualityEEEPlJS6_EEE10hipError_tPvRmT3_T4_T5_T6_T7_T9_mT8_P12ihipStream_tbDpT10_ENKUlT_T0_E_clISt17integral_constantIbLb1EES16_IbLb0EEEEDaS12_S13_EUlS12_E_NS1_11comp_targetILNS1_3genE8ELNS1_11target_archE1030ELNS1_3gpuE2ELNS1_3repE0EEENS1_30default_config_static_selectorELNS0_4arch9wavefront6targetE0EEEvT1_.num_agpr, 0
	.set _ZN7rocprim17ROCPRIM_400000_NS6detail17trampoline_kernelINS0_14default_configENS1_25partition_config_selectorILNS1_17partition_subalgoE8EaNS0_10empty_typeEbEEZZNS1_14partition_implILS5_8ELb0ES3_jPKaPS6_PKS6_NS0_5tupleIJPaS6_EEENSE_IJSB_SB_EEENS0_18inequality_wrapperIN6hipcub16HIPCUB_304000_NS8EqualityEEEPlJS6_EEE10hipError_tPvRmT3_T4_T5_T6_T7_T9_mT8_P12ihipStream_tbDpT10_ENKUlT_T0_E_clISt17integral_constantIbLb1EES16_IbLb0EEEEDaS12_S13_EUlS12_E_NS1_11comp_targetILNS1_3genE8ELNS1_11target_archE1030ELNS1_3gpuE2ELNS1_3repE0EEENS1_30default_config_static_selectorELNS0_4arch9wavefront6targetE0EEEvT1_.numbered_sgpr, 0
	.set _ZN7rocprim17ROCPRIM_400000_NS6detail17trampoline_kernelINS0_14default_configENS1_25partition_config_selectorILNS1_17partition_subalgoE8EaNS0_10empty_typeEbEEZZNS1_14partition_implILS5_8ELb0ES3_jPKaPS6_PKS6_NS0_5tupleIJPaS6_EEENSE_IJSB_SB_EEENS0_18inequality_wrapperIN6hipcub16HIPCUB_304000_NS8EqualityEEEPlJS6_EEE10hipError_tPvRmT3_T4_T5_T6_T7_T9_mT8_P12ihipStream_tbDpT10_ENKUlT_T0_E_clISt17integral_constantIbLb1EES16_IbLb0EEEEDaS12_S13_EUlS12_E_NS1_11comp_targetILNS1_3genE8ELNS1_11target_archE1030ELNS1_3gpuE2ELNS1_3repE0EEENS1_30default_config_static_selectorELNS0_4arch9wavefront6targetE0EEEvT1_.num_named_barrier, 0
	.set _ZN7rocprim17ROCPRIM_400000_NS6detail17trampoline_kernelINS0_14default_configENS1_25partition_config_selectorILNS1_17partition_subalgoE8EaNS0_10empty_typeEbEEZZNS1_14partition_implILS5_8ELb0ES3_jPKaPS6_PKS6_NS0_5tupleIJPaS6_EEENSE_IJSB_SB_EEENS0_18inequality_wrapperIN6hipcub16HIPCUB_304000_NS8EqualityEEEPlJS6_EEE10hipError_tPvRmT3_T4_T5_T6_T7_T9_mT8_P12ihipStream_tbDpT10_ENKUlT_T0_E_clISt17integral_constantIbLb1EES16_IbLb0EEEEDaS12_S13_EUlS12_E_NS1_11comp_targetILNS1_3genE8ELNS1_11target_archE1030ELNS1_3gpuE2ELNS1_3repE0EEENS1_30default_config_static_selectorELNS0_4arch9wavefront6targetE0EEEvT1_.private_seg_size, 0
	.set _ZN7rocprim17ROCPRIM_400000_NS6detail17trampoline_kernelINS0_14default_configENS1_25partition_config_selectorILNS1_17partition_subalgoE8EaNS0_10empty_typeEbEEZZNS1_14partition_implILS5_8ELb0ES3_jPKaPS6_PKS6_NS0_5tupleIJPaS6_EEENSE_IJSB_SB_EEENS0_18inequality_wrapperIN6hipcub16HIPCUB_304000_NS8EqualityEEEPlJS6_EEE10hipError_tPvRmT3_T4_T5_T6_T7_T9_mT8_P12ihipStream_tbDpT10_ENKUlT_T0_E_clISt17integral_constantIbLb1EES16_IbLb0EEEEDaS12_S13_EUlS12_E_NS1_11comp_targetILNS1_3genE8ELNS1_11target_archE1030ELNS1_3gpuE2ELNS1_3repE0EEENS1_30default_config_static_selectorELNS0_4arch9wavefront6targetE0EEEvT1_.uses_vcc, 0
	.set _ZN7rocprim17ROCPRIM_400000_NS6detail17trampoline_kernelINS0_14default_configENS1_25partition_config_selectorILNS1_17partition_subalgoE8EaNS0_10empty_typeEbEEZZNS1_14partition_implILS5_8ELb0ES3_jPKaPS6_PKS6_NS0_5tupleIJPaS6_EEENSE_IJSB_SB_EEENS0_18inequality_wrapperIN6hipcub16HIPCUB_304000_NS8EqualityEEEPlJS6_EEE10hipError_tPvRmT3_T4_T5_T6_T7_T9_mT8_P12ihipStream_tbDpT10_ENKUlT_T0_E_clISt17integral_constantIbLb1EES16_IbLb0EEEEDaS12_S13_EUlS12_E_NS1_11comp_targetILNS1_3genE8ELNS1_11target_archE1030ELNS1_3gpuE2ELNS1_3repE0EEENS1_30default_config_static_selectorELNS0_4arch9wavefront6targetE0EEEvT1_.uses_flat_scratch, 0
	.set _ZN7rocprim17ROCPRIM_400000_NS6detail17trampoline_kernelINS0_14default_configENS1_25partition_config_selectorILNS1_17partition_subalgoE8EaNS0_10empty_typeEbEEZZNS1_14partition_implILS5_8ELb0ES3_jPKaPS6_PKS6_NS0_5tupleIJPaS6_EEENSE_IJSB_SB_EEENS0_18inequality_wrapperIN6hipcub16HIPCUB_304000_NS8EqualityEEEPlJS6_EEE10hipError_tPvRmT3_T4_T5_T6_T7_T9_mT8_P12ihipStream_tbDpT10_ENKUlT_T0_E_clISt17integral_constantIbLb1EES16_IbLb0EEEEDaS12_S13_EUlS12_E_NS1_11comp_targetILNS1_3genE8ELNS1_11target_archE1030ELNS1_3gpuE2ELNS1_3repE0EEENS1_30default_config_static_selectorELNS0_4arch9wavefront6targetE0EEEvT1_.has_dyn_sized_stack, 0
	.set _ZN7rocprim17ROCPRIM_400000_NS6detail17trampoline_kernelINS0_14default_configENS1_25partition_config_selectorILNS1_17partition_subalgoE8EaNS0_10empty_typeEbEEZZNS1_14partition_implILS5_8ELb0ES3_jPKaPS6_PKS6_NS0_5tupleIJPaS6_EEENSE_IJSB_SB_EEENS0_18inequality_wrapperIN6hipcub16HIPCUB_304000_NS8EqualityEEEPlJS6_EEE10hipError_tPvRmT3_T4_T5_T6_T7_T9_mT8_P12ihipStream_tbDpT10_ENKUlT_T0_E_clISt17integral_constantIbLb1EES16_IbLb0EEEEDaS12_S13_EUlS12_E_NS1_11comp_targetILNS1_3genE8ELNS1_11target_archE1030ELNS1_3gpuE2ELNS1_3repE0EEENS1_30default_config_static_selectorELNS0_4arch9wavefront6targetE0EEEvT1_.has_recursion, 0
	.set _ZN7rocprim17ROCPRIM_400000_NS6detail17trampoline_kernelINS0_14default_configENS1_25partition_config_selectorILNS1_17partition_subalgoE8EaNS0_10empty_typeEbEEZZNS1_14partition_implILS5_8ELb0ES3_jPKaPS6_PKS6_NS0_5tupleIJPaS6_EEENSE_IJSB_SB_EEENS0_18inequality_wrapperIN6hipcub16HIPCUB_304000_NS8EqualityEEEPlJS6_EEE10hipError_tPvRmT3_T4_T5_T6_T7_T9_mT8_P12ihipStream_tbDpT10_ENKUlT_T0_E_clISt17integral_constantIbLb1EES16_IbLb0EEEEDaS12_S13_EUlS12_E_NS1_11comp_targetILNS1_3genE8ELNS1_11target_archE1030ELNS1_3gpuE2ELNS1_3repE0EEENS1_30default_config_static_selectorELNS0_4arch9wavefront6targetE0EEEvT1_.has_indirect_call, 0
	.section	.AMDGPU.csdata,"",@progbits
; Kernel info:
; codeLenInByte = 0
; TotalNumSgprs: 0
; NumVgprs: 0
; ScratchSize: 0
; MemoryBound: 0
; FloatMode: 240
; IeeeMode: 1
; LDSByteSize: 0 bytes/workgroup (compile time only)
; SGPRBlocks: 0
; VGPRBlocks: 0
; NumSGPRsForWavesPerEU: 1
; NumVGPRsForWavesPerEU: 1
; NamedBarCnt: 0
; Occupancy: 16
; WaveLimiterHint : 0
; COMPUTE_PGM_RSRC2:SCRATCH_EN: 0
; COMPUTE_PGM_RSRC2:USER_SGPR: 2
; COMPUTE_PGM_RSRC2:TRAP_HANDLER: 0
; COMPUTE_PGM_RSRC2:TGID_X_EN: 1
; COMPUTE_PGM_RSRC2:TGID_Y_EN: 0
; COMPUTE_PGM_RSRC2:TGID_Z_EN: 0
; COMPUTE_PGM_RSRC2:TIDIG_COMP_CNT: 0
	.section	.text._ZN7rocprim17ROCPRIM_400000_NS6detail17trampoline_kernelINS0_14default_configENS1_25partition_config_selectorILNS1_17partition_subalgoE8EaNS0_10empty_typeEbEEZZNS1_14partition_implILS5_8ELb0ES3_jPKaPS6_PKS6_NS0_5tupleIJPaS6_EEENSE_IJSB_SB_EEENS0_18inequality_wrapperIN6hipcub16HIPCUB_304000_NS8EqualityEEEPlJS6_EEE10hipError_tPvRmT3_T4_T5_T6_T7_T9_mT8_P12ihipStream_tbDpT10_ENKUlT_T0_E_clISt17integral_constantIbLb0EES16_IbLb1EEEEDaS12_S13_EUlS12_E_NS1_11comp_targetILNS1_3genE0ELNS1_11target_archE4294967295ELNS1_3gpuE0ELNS1_3repE0EEENS1_30default_config_static_selectorELNS0_4arch9wavefront6targetE0EEEvT1_,"axG",@progbits,_ZN7rocprim17ROCPRIM_400000_NS6detail17trampoline_kernelINS0_14default_configENS1_25partition_config_selectorILNS1_17partition_subalgoE8EaNS0_10empty_typeEbEEZZNS1_14partition_implILS5_8ELb0ES3_jPKaPS6_PKS6_NS0_5tupleIJPaS6_EEENSE_IJSB_SB_EEENS0_18inequality_wrapperIN6hipcub16HIPCUB_304000_NS8EqualityEEEPlJS6_EEE10hipError_tPvRmT3_T4_T5_T6_T7_T9_mT8_P12ihipStream_tbDpT10_ENKUlT_T0_E_clISt17integral_constantIbLb0EES16_IbLb1EEEEDaS12_S13_EUlS12_E_NS1_11comp_targetILNS1_3genE0ELNS1_11target_archE4294967295ELNS1_3gpuE0ELNS1_3repE0EEENS1_30default_config_static_selectorELNS0_4arch9wavefront6targetE0EEEvT1_,comdat
	.protected	_ZN7rocprim17ROCPRIM_400000_NS6detail17trampoline_kernelINS0_14default_configENS1_25partition_config_selectorILNS1_17partition_subalgoE8EaNS0_10empty_typeEbEEZZNS1_14partition_implILS5_8ELb0ES3_jPKaPS6_PKS6_NS0_5tupleIJPaS6_EEENSE_IJSB_SB_EEENS0_18inequality_wrapperIN6hipcub16HIPCUB_304000_NS8EqualityEEEPlJS6_EEE10hipError_tPvRmT3_T4_T5_T6_T7_T9_mT8_P12ihipStream_tbDpT10_ENKUlT_T0_E_clISt17integral_constantIbLb0EES16_IbLb1EEEEDaS12_S13_EUlS12_E_NS1_11comp_targetILNS1_3genE0ELNS1_11target_archE4294967295ELNS1_3gpuE0ELNS1_3repE0EEENS1_30default_config_static_selectorELNS0_4arch9wavefront6targetE0EEEvT1_ ; -- Begin function _ZN7rocprim17ROCPRIM_400000_NS6detail17trampoline_kernelINS0_14default_configENS1_25partition_config_selectorILNS1_17partition_subalgoE8EaNS0_10empty_typeEbEEZZNS1_14partition_implILS5_8ELb0ES3_jPKaPS6_PKS6_NS0_5tupleIJPaS6_EEENSE_IJSB_SB_EEENS0_18inequality_wrapperIN6hipcub16HIPCUB_304000_NS8EqualityEEEPlJS6_EEE10hipError_tPvRmT3_T4_T5_T6_T7_T9_mT8_P12ihipStream_tbDpT10_ENKUlT_T0_E_clISt17integral_constantIbLb0EES16_IbLb1EEEEDaS12_S13_EUlS12_E_NS1_11comp_targetILNS1_3genE0ELNS1_11target_archE4294967295ELNS1_3gpuE0ELNS1_3repE0EEENS1_30default_config_static_selectorELNS0_4arch9wavefront6targetE0EEEvT1_
	.globl	_ZN7rocprim17ROCPRIM_400000_NS6detail17trampoline_kernelINS0_14default_configENS1_25partition_config_selectorILNS1_17partition_subalgoE8EaNS0_10empty_typeEbEEZZNS1_14partition_implILS5_8ELb0ES3_jPKaPS6_PKS6_NS0_5tupleIJPaS6_EEENSE_IJSB_SB_EEENS0_18inequality_wrapperIN6hipcub16HIPCUB_304000_NS8EqualityEEEPlJS6_EEE10hipError_tPvRmT3_T4_T5_T6_T7_T9_mT8_P12ihipStream_tbDpT10_ENKUlT_T0_E_clISt17integral_constantIbLb0EES16_IbLb1EEEEDaS12_S13_EUlS12_E_NS1_11comp_targetILNS1_3genE0ELNS1_11target_archE4294967295ELNS1_3gpuE0ELNS1_3repE0EEENS1_30default_config_static_selectorELNS0_4arch9wavefront6targetE0EEEvT1_
	.p2align	8
	.type	_ZN7rocprim17ROCPRIM_400000_NS6detail17trampoline_kernelINS0_14default_configENS1_25partition_config_selectorILNS1_17partition_subalgoE8EaNS0_10empty_typeEbEEZZNS1_14partition_implILS5_8ELb0ES3_jPKaPS6_PKS6_NS0_5tupleIJPaS6_EEENSE_IJSB_SB_EEENS0_18inequality_wrapperIN6hipcub16HIPCUB_304000_NS8EqualityEEEPlJS6_EEE10hipError_tPvRmT3_T4_T5_T6_T7_T9_mT8_P12ihipStream_tbDpT10_ENKUlT_T0_E_clISt17integral_constantIbLb0EES16_IbLb1EEEEDaS12_S13_EUlS12_E_NS1_11comp_targetILNS1_3genE0ELNS1_11target_archE4294967295ELNS1_3gpuE0ELNS1_3repE0EEENS1_30default_config_static_selectorELNS0_4arch9wavefront6targetE0EEEvT1_,@function
_ZN7rocprim17ROCPRIM_400000_NS6detail17trampoline_kernelINS0_14default_configENS1_25partition_config_selectorILNS1_17partition_subalgoE8EaNS0_10empty_typeEbEEZZNS1_14partition_implILS5_8ELb0ES3_jPKaPS6_PKS6_NS0_5tupleIJPaS6_EEENSE_IJSB_SB_EEENS0_18inequality_wrapperIN6hipcub16HIPCUB_304000_NS8EqualityEEEPlJS6_EEE10hipError_tPvRmT3_T4_T5_T6_T7_T9_mT8_P12ihipStream_tbDpT10_ENKUlT_T0_E_clISt17integral_constantIbLb0EES16_IbLb1EEEEDaS12_S13_EUlS12_E_NS1_11comp_targetILNS1_3genE0ELNS1_11target_archE4294967295ELNS1_3gpuE0ELNS1_3repE0EEENS1_30default_config_static_selectorELNS0_4arch9wavefront6targetE0EEEvT1_: ; @_ZN7rocprim17ROCPRIM_400000_NS6detail17trampoline_kernelINS0_14default_configENS1_25partition_config_selectorILNS1_17partition_subalgoE8EaNS0_10empty_typeEbEEZZNS1_14partition_implILS5_8ELb0ES3_jPKaPS6_PKS6_NS0_5tupleIJPaS6_EEENSE_IJSB_SB_EEENS0_18inequality_wrapperIN6hipcub16HIPCUB_304000_NS8EqualityEEEPlJS6_EEE10hipError_tPvRmT3_T4_T5_T6_T7_T9_mT8_P12ihipStream_tbDpT10_ENKUlT_T0_E_clISt17integral_constantIbLb0EES16_IbLb1EEEEDaS12_S13_EUlS12_E_NS1_11comp_targetILNS1_3genE0ELNS1_11target_archE4294967295ELNS1_3gpuE0ELNS1_3repE0EEENS1_30default_config_static_selectorELNS0_4arch9wavefront6targetE0EEEvT1_
; %bb.0:
	s_clause 0x2
	s_load_b128 s[28:31], s[0:1], 0x40
	s_load_b64 s[8:9], s[0:1], 0x50
	s_load_b64 s[36:37], s[0:1], 0x60
	v_cmp_ne_u32_e64 s3, 0, v0
	v_cmp_eq_u32_e64 s2, 0, v0
	s_and_saveexec_b32 s4, s2
	s_cbranch_execz .LBB227_4
; %bb.1:
	s_mov_b32 s6, exec_lo
	s_mov_b32 s5, exec_lo
	v_mbcnt_lo_u32_b32 v1, s6, 0
                                        ; implicit-def: $vgpr2
	s_delay_alu instid0(VALU_DEP_1)
	v_cmpx_eq_u32_e32 0, v1
	s_cbranch_execz .LBB227_3
; %bb.2:
	s_load_b64 s[10:11], s[0:1], 0x70
	s_bcnt1_i32_b32 s6, s6
	s_delay_alu instid0(SALU_CYCLE_1)
	v_dual_mov_b32 v2, 0 :: v_dual_mov_b32 v3, s6
	s_wait_xcnt 0x0
	s_wait_kmcnt 0x0
	global_atomic_add_u32 v2, v2, v3, s[10:11] th:TH_ATOMIC_RETURN scope:SCOPE_DEV
.LBB227_3:
	s_wait_xcnt 0x0
	s_or_b32 exec_lo, exec_lo, s5
	s_wait_loadcnt 0x0
	v_readfirstlane_b32 s5, v2
	s_delay_alu instid0(VALU_DEP_1)
	v_dual_mov_b32 v2, 0 :: v_dual_add_nc_u32 v1, s5, v1
	ds_store_b32 v2, v1
.LBB227_4:
	s_or_b32 exec_lo, exec_lo, s4
	v_mov_b32_e32 v3, 0
	s_clause 0x2
	s_load_b128 s[4:7], s[0:1], 0x8
	s_load_b64 s[34:35], s[0:1], 0x28
	s_load_b32 s10, s[0:1], 0x68
	s_wait_dscnt 0x0
	s_barrier_signal -1
	s_barrier_wait -1
	ds_load_b32 v1, v3
	s_wait_dscnt 0x0
	s_barrier_signal -1
	s_barrier_wait -1
	s_wait_kmcnt 0x0
	global_load_b64 v[16:17], v3, s[30:31]
	s_mov_b32 s1, 0
	s_mul_i32 s0, s10, 0x1c00
	s_add_co_i32 s10, s10, -1
	s_add_nc_u64 s[12:13], s[6:7], s[0:1]
	s_add_co_i32 s0, s0, s6
	v_cmp_le_u64_e64 s1, s[8:9], s[12:13]
	v_readfirstlane_b32 s33, v1
	v_mul_lo_u32 v2, 0x1c00, v1
	s_sub_co_i32 s38, s8, s0
	s_cmp_eq_u32 s33, s10
	s_wait_xcnt 0x0
	s_cselect_b32 s30, -1, 0
	s_delay_alu instid0(SALU_CYCLE_1) | instskip(SKIP_2) | instid1(VALU_DEP_1)
	s_and_b32 s39, s1, s30
	s_add_nc_u64 s[0:1], s[4:5], s[6:7]
	s_xor_b32 s31, s39, -1
	v_add_nc_u64_e32 v[10:11], s[0:1], v[2:3]
	s_and_b32 vcc_lo, exec_lo, s31
	s_mov_b32 s0, -1
	s_cbranch_vccz .LBB227_6
; %bb.5:
	s_delay_alu instid0(VALU_DEP_1) | instskip(NEXT) | instid1(VALU_DEP_2)
	v_readfirstlane_b32 s0, v10
	v_readfirstlane_b32 s1, v11
	s_clause 0x1b
	global_load_u8 v1, v0, s[0:1]
	global_load_u8 v2, v0, s[0:1] offset:256
	global_load_u8 v3, v0, s[0:1] offset:512
	;; [unrolled: 1-line block ×27, first 2 shown]
	s_wait_xcnt 0x0
	s_mov_b32 s0, 0
	s_wait_loadcnt 0x1b
	ds_store_b8 v0, v1
	s_wait_loadcnt 0x1a
	ds_store_b8 v0, v2 offset:256
	s_wait_loadcnt 0x19
	ds_store_b8 v0, v3 offset:512
	;; [unrolled: 2-line block ×27, first 2 shown]
	s_wait_dscnt 0x0
	s_barrier_signal -1
	s_barrier_wait -1
.LBB227_6:
	s_and_not1_b32 vcc_lo, exec_lo, s0
	s_addk_co_i32 s38, 0x1c00
	s_cbranch_vccnz .LBB227_64
; %bb.7:
	v_mov_b32_e32 v2, 0
	s_mov_b32 s0, exec_lo
	s_delay_alu instid0(VALU_DEP_1)
	v_dual_mov_b32 v3, v2 :: v_dual_mov_b32 v4, v2
	v_dual_mov_b32 v5, v2 :: v_dual_mov_b32 v6, v2
	;; [unrolled: 1-line block ×3, first 2 shown]
	v_cmpx_gt_u32_e64 s38, v0
	s_cbranch_execz .LBB227_9
; %bb.8:
	v_readfirstlane_b32 s4, v10
	v_readfirstlane_b32 s5, v11
	v_dual_mov_b32 v19, v2 :: v_dual_mov_b32 v20, v2
	v_dual_mov_b32 v21, v2 :: v_dual_mov_b32 v22, v2
	global_load_u8 v18, v0, s[4:5]
	v_dual_mov_b32 v23, v2 :: v_dual_mov_b32 v24, v2
	s_wait_loadcnt 0x0
	v_dual_mov_b32 v2, v18 :: v_dual_mov_b32 v3, v19
	v_dual_mov_b32 v4, v20 :: v_dual_mov_b32 v5, v21
	s_delay_alu instid0(VALU_DEP_3)
	v_dual_mov_b32 v6, v22 :: v_dual_mov_b32 v7, v23
	v_mov_b32_e32 v8, v24
.LBB227_9:
	s_or_b32 exec_lo, exec_lo, s0
	v_or_b32_e32 v1, 0x100, v0
	s_mov_b32 s0, exec_lo
	s_delay_alu instid0(VALU_DEP_1)
	v_cmpx_gt_u32_e64 s38, v1
	s_cbranch_execz .LBB227_11
; %bb.10:
	v_readfirstlane_b32 s4, v10
	v_readfirstlane_b32 s5, v11
	global_load_u8 v1, v0, s[4:5] offset:256
	s_wait_loadcnt 0x0
	v_perm_b32 v2, v2, v1, 0x7060004
.LBB227_11:
	s_or_b32 exec_lo, exec_lo, s0
	v_or_b32_e32 v1, 0x200, v0
	s_mov_b32 s0, exec_lo
	s_delay_alu instid0(VALU_DEP_1)
	v_cmpx_gt_u32_e64 s38, v1
	s_cbranch_execz .LBB227_13
; %bb.12:
	v_readfirstlane_b32 s4, v10
	v_readfirstlane_b32 s5, v11
	global_load_u8 v1, v0, s[4:5] offset:512
	s_wait_loadcnt 0x0
	v_perm_b32 v2, v2, v1, 0x7000504
.LBB227_13:
	s_or_b32 exec_lo, exec_lo, s0
	v_or_b32_e32 v1, 0x300, v0
	s_mov_b32 s0, exec_lo
	s_delay_alu instid0(VALU_DEP_1)
	v_cmpx_gt_u32_e64 s38, v1
	s_cbranch_execz .LBB227_15
; %bb.14:
	v_readfirstlane_b32 s4, v10
	v_readfirstlane_b32 s5, v11
	global_load_u8 v1, v0, s[4:5] offset:768
	s_wait_loadcnt 0x0
	v_perm_b32 v2, v2, v1, 0x60504
.LBB227_15:
	s_or_b32 exec_lo, exec_lo, s0
	v_or_b32_e32 v1, 0x400, v0
	s_mov_b32 s0, exec_lo
	s_delay_alu instid0(VALU_DEP_1)
	v_cmpx_gt_u32_e64 s38, v1
	s_cbranch_execz .LBB227_17
; %bb.16:
	v_readfirstlane_b32 s4, v10
	v_readfirstlane_b32 s5, v11
	global_load_u8 v1, v0, s[4:5] offset:1024
	s_wait_loadcnt 0x0
	v_perm_b32 v3, v1, v3, 0x3020104
.LBB227_17:
	s_or_b32 exec_lo, exec_lo, s0
	v_or_b32_e32 v1, 0x500, v0
	s_mov_b32 s0, exec_lo
	s_delay_alu instid0(VALU_DEP_1)
	v_cmpx_gt_u32_e64 s38, v1
	s_cbranch_execz .LBB227_19
; %bb.18:
	v_readfirstlane_b32 s4, v10
	v_readfirstlane_b32 s5, v11
	global_load_u8 v1, v0, s[4:5] offset:1280
	s_wait_loadcnt 0x0
	v_perm_b32 v3, v3, v1, 0x7060004
.LBB227_19:
	s_or_b32 exec_lo, exec_lo, s0
	v_or_b32_e32 v1, 0x600, v0
	s_mov_b32 s0, exec_lo
	s_delay_alu instid0(VALU_DEP_1)
	v_cmpx_gt_u32_e64 s38, v1
	s_cbranch_execz .LBB227_21
; %bb.20:
	v_readfirstlane_b32 s4, v10
	v_readfirstlane_b32 s5, v11
	global_load_u8 v1, v0, s[4:5] offset:1536
	s_wait_loadcnt 0x0
	v_perm_b32 v3, v3, v1, 0x7000504
.LBB227_21:
	s_or_b32 exec_lo, exec_lo, s0
	v_or_b32_e32 v1, 0x700, v0
	s_mov_b32 s0, exec_lo
	s_delay_alu instid0(VALU_DEP_1)
	v_cmpx_gt_u32_e64 s38, v1
	s_cbranch_execz .LBB227_23
; %bb.22:
	v_readfirstlane_b32 s4, v10
	v_readfirstlane_b32 s5, v11
	global_load_u8 v1, v0, s[4:5] offset:1792
	s_wait_loadcnt 0x0
	v_perm_b32 v3, v3, v1, 0x60504
.LBB227_23:
	s_or_b32 exec_lo, exec_lo, s0
	v_or_b32_e32 v1, 0x800, v0
	s_mov_b32 s0, exec_lo
	s_delay_alu instid0(VALU_DEP_1)
	v_cmpx_gt_u32_e64 s38, v1
	s_cbranch_execz .LBB227_25
; %bb.24:
	v_readfirstlane_b32 s4, v10
	v_readfirstlane_b32 s5, v11
	global_load_u8 v1, v0, s[4:5] offset:2048
	s_wait_loadcnt 0x0
	v_perm_b32 v4, v1, v4, 0x3020104
.LBB227_25:
	s_or_b32 exec_lo, exec_lo, s0
	v_or_b32_e32 v1, 0x900, v0
	s_mov_b32 s0, exec_lo
	s_delay_alu instid0(VALU_DEP_1)
	v_cmpx_gt_u32_e64 s38, v1
	s_cbranch_execz .LBB227_27
; %bb.26:
	v_readfirstlane_b32 s4, v10
	v_readfirstlane_b32 s5, v11
	global_load_u8 v1, v0, s[4:5] offset:2304
	s_wait_loadcnt 0x0
	v_perm_b32 v4, v4, v1, 0x7060004
.LBB227_27:
	s_or_b32 exec_lo, exec_lo, s0
	v_or_b32_e32 v1, 0xa00, v0
	s_mov_b32 s0, exec_lo
	s_delay_alu instid0(VALU_DEP_1)
	v_cmpx_gt_u32_e64 s38, v1
	s_cbranch_execz .LBB227_29
; %bb.28:
	v_readfirstlane_b32 s4, v10
	v_readfirstlane_b32 s5, v11
	global_load_u8 v1, v0, s[4:5] offset:2560
	s_wait_loadcnt 0x0
	v_perm_b32 v4, v4, v1, 0x7000504
.LBB227_29:
	s_or_b32 exec_lo, exec_lo, s0
	v_or_b32_e32 v1, 0xb00, v0
	s_mov_b32 s0, exec_lo
	s_delay_alu instid0(VALU_DEP_1)
	v_cmpx_gt_u32_e64 s38, v1
	s_cbranch_execz .LBB227_31
; %bb.30:
	v_readfirstlane_b32 s4, v10
	v_readfirstlane_b32 s5, v11
	global_load_u8 v1, v0, s[4:5] offset:2816
	s_wait_loadcnt 0x0
	v_perm_b32 v4, v4, v1, 0x60504
.LBB227_31:
	s_or_b32 exec_lo, exec_lo, s0
	v_or_b32_e32 v1, 0xc00, v0
	s_mov_b32 s0, exec_lo
	s_delay_alu instid0(VALU_DEP_1)
	v_cmpx_gt_u32_e64 s38, v1
	s_cbranch_execz .LBB227_33
; %bb.32:
	v_readfirstlane_b32 s4, v10
	v_readfirstlane_b32 s5, v11
	global_load_u8 v1, v0, s[4:5] offset:3072
	s_wait_loadcnt 0x0
	v_perm_b32 v5, v1, v5, 0x3020104
.LBB227_33:
	s_or_b32 exec_lo, exec_lo, s0
	v_or_b32_e32 v1, 0xd00, v0
	s_mov_b32 s0, exec_lo
	s_delay_alu instid0(VALU_DEP_1)
	v_cmpx_gt_u32_e64 s38, v1
	s_cbranch_execz .LBB227_35
; %bb.34:
	v_readfirstlane_b32 s4, v10
	v_readfirstlane_b32 s5, v11
	global_load_u8 v1, v0, s[4:5] offset:3328
	s_wait_loadcnt 0x0
	v_perm_b32 v5, v5, v1, 0x7060004
.LBB227_35:
	s_or_b32 exec_lo, exec_lo, s0
	v_or_b32_e32 v1, 0xe00, v0
	s_mov_b32 s0, exec_lo
	s_delay_alu instid0(VALU_DEP_1)
	v_cmpx_gt_u32_e64 s38, v1
	s_cbranch_execz .LBB227_37
; %bb.36:
	v_readfirstlane_b32 s4, v10
	v_readfirstlane_b32 s5, v11
	global_load_u8 v1, v0, s[4:5] offset:3584
	s_wait_loadcnt 0x0
	v_perm_b32 v5, v5, v1, 0x7000504
.LBB227_37:
	s_or_b32 exec_lo, exec_lo, s0
	v_or_b32_e32 v1, 0xf00, v0
	s_mov_b32 s0, exec_lo
	s_delay_alu instid0(VALU_DEP_1)
	v_cmpx_gt_u32_e64 s38, v1
	s_cbranch_execz .LBB227_39
; %bb.38:
	v_readfirstlane_b32 s4, v10
	v_readfirstlane_b32 s5, v11
	global_load_u8 v1, v0, s[4:5] offset:3840
	s_wait_loadcnt 0x0
	v_perm_b32 v5, v5, v1, 0x60504
.LBB227_39:
	s_or_b32 exec_lo, exec_lo, s0
	v_or_b32_e32 v1, 0x1000, v0
	s_mov_b32 s0, exec_lo
	s_delay_alu instid0(VALU_DEP_1)
	v_cmpx_gt_u32_e64 s38, v1
	s_cbranch_execz .LBB227_41
; %bb.40:
	v_readfirstlane_b32 s4, v10
	v_readfirstlane_b32 s5, v11
	global_load_u8 v1, v0, s[4:5] offset:4096
	s_wait_loadcnt 0x0
	v_perm_b32 v6, v1, v6, 0x3020104
.LBB227_41:
	s_or_b32 exec_lo, exec_lo, s0
	v_or_b32_e32 v1, 0x1100, v0
	s_mov_b32 s0, exec_lo
	s_delay_alu instid0(VALU_DEP_1)
	v_cmpx_gt_u32_e64 s38, v1
	s_cbranch_execz .LBB227_43
; %bb.42:
	v_readfirstlane_b32 s4, v10
	v_readfirstlane_b32 s5, v11
	global_load_u8 v1, v0, s[4:5] offset:4352
	s_wait_loadcnt 0x0
	v_perm_b32 v6, v6, v1, 0x7060004
.LBB227_43:
	s_or_b32 exec_lo, exec_lo, s0
	v_or_b32_e32 v1, 0x1200, v0
	s_mov_b32 s0, exec_lo
	s_delay_alu instid0(VALU_DEP_1)
	v_cmpx_gt_u32_e64 s38, v1
	s_cbranch_execz .LBB227_45
; %bb.44:
	v_readfirstlane_b32 s4, v10
	v_readfirstlane_b32 s5, v11
	global_load_u8 v1, v0, s[4:5] offset:4608
	s_wait_loadcnt 0x0
	v_perm_b32 v6, v6, v1, 0x7000504
.LBB227_45:
	s_or_b32 exec_lo, exec_lo, s0
	v_or_b32_e32 v1, 0x1300, v0
	s_mov_b32 s0, exec_lo
	s_delay_alu instid0(VALU_DEP_1)
	v_cmpx_gt_u32_e64 s38, v1
	s_cbranch_execz .LBB227_47
; %bb.46:
	v_readfirstlane_b32 s4, v10
	v_readfirstlane_b32 s5, v11
	global_load_u8 v1, v0, s[4:5] offset:4864
	s_wait_loadcnt 0x0
	v_perm_b32 v6, v6, v1, 0x60504
.LBB227_47:
	s_or_b32 exec_lo, exec_lo, s0
	v_or_b32_e32 v1, 0x1400, v0
	s_mov_b32 s0, exec_lo
	s_delay_alu instid0(VALU_DEP_1)
	v_cmpx_gt_u32_e64 s38, v1
	s_cbranch_execz .LBB227_49
; %bb.48:
	v_readfirstlane_b32 s4, v10
	v_readfirstlane_b32 s5, v11
	global_load_u8 v1, v0, s[4:5] offset:5120
	s_wait_loadcnt 0x0
	v_perm_b32 v7, v1, v7, 0x3020104
.LBB227_49:
	s_or_b32 exec_lo, exec_lo, s0
	v_or_b32_e32 v1, 0x1500, v0
	s_mov_b32 s0, exec_lo
	s_delay_alu instid0(VALU_DEP_1)
	v_cmpx_gt_u32_e64 s38, v1
	s_cbranch_execz .LBB227_51
; %bb.50:
	v_readfirstlane_b32 s4, v10
	v_readfirstlane_b32 s5, v11
	global_load_u8 v1, v0, s[4:5] offset:5376
	s_wait_loadcnt 0x0
	v_perm_b32 v7, v7, v1, 0x7060004
.LBB227_51:
	s_or_b32 exec_lo, exec_lo, s0
	v_or_b32_e32 v1, 0x1600, v0
	s_mov_b32 s0, exec_lo
	s_delay_alu instid0(VALU_DEP_1)
	v_cmpx_gt_u32_e64 s38, v1
	s_cbranch_execz .LBB227_53
; %bb.52:
	v_readfirstlane_b32 s4, v10
	v_readfirstlane_b32 s5, v11
	global_load_u8 v1, v0, s[4:5] offset:5632
	s_wait_loadcnt 0x0
	v_perm_b32 v7, v7, v1, 0x7000504
.LBB227_53:
	s_or_b32 exec_lo, exec_lo, s0
	v_or_b32_e32 v1, 0x1700, v0
	s_mov_b32 s0, exec_lo
	s_delay_alu instid0(VALU_DEP_1)
	v_cmpx_gt_u32_e64 s38, v1
	s_cbranch_execz .LBB227_55
; %bb.54:
	v_readfirstlane_b32 s4, v10
	v_readfirstlane_b32 s5, v11
	global_load_u8 v1, v0, s[4:5] offset:5888
	s_wait_loadcnt 0x0
	v_perm_b32 v7, v7, v1, 0x60504
.LBB227_55:
	s_or_b32 exec_lo, exec_lo, s0
	v_or_b32_e32 v1, 0x1800, v0
	s_mov_b32 s0, exec_lo
	s_delay_alu instid0(VALU_DEP_1)
	v_cmpx_gt_u32_e64 s38, v1
	s_cbranch_execz .LBB227_57
; %bb.56:
	v_readfirstlane_b32 s4, v10
	v_readfirstlane_b32 s5, v11
	global_load_u8 v1, v0, s[4:5] offset:6144
	s_wait_loadcnt 0x0
	v_perm_b32 v8, v1, v8, 0x3020104
.LBB227_57:
	s_or_b32 exec_lo, exec_lo, s0
	v_or_b32_e32 v1, 0x1900, v0
	s_mov_b32 s0, exec_lo
	s_delay_alu instid0(VALU_DEP_1)
	v_cmpx_gt_u32_e64 s38, v1
	s_cbranch_execz .LBB227_59
; %bb.58:
	v_readfirstlane_b32 s4, v10
	v_readfirstlane_b32 s5, v11
	global_load_u8 v1, v0, s[4:5] offset:6400
	s_wait_loadcnt 0x0
	v_perm_b32 v8, v8, v1, 0x7060004
.LBB227_59:
	s_or_b32 exec_lo, exec_lo, s0
	v_or_b32_e32 v1, 0x1a00, v0
	s_mov_b32 s0, exec_lo
	s_delay_alu instid0(VALU_DEP_1)
	v_cmpx_gt_u32_e64 s38, v1
	s_cbranch_execz .LBB227_61
; %bb.60:
	v_readfirstlane_b32 s4, v10
	v_readfirstlane_b32 s5, v11
	global_load_u8 v1, v0, s[4:5] offset:6656
	s_wait_loadcnt 0x0
	v_perm_b32 v8, v8, v1, 0x7000504
.LBB227_61:
	s_or_b32 exec_lo, exec_lo, s0
	v_or_b32_e32 v1, 0x1b00, v0
	s_mov_b32 s0, exec_lo
	s_delay_alu instid0(VALU_DEP_1)
	v_cmpx_gt_u32_e64 s38, v1
	s_cbranch_execz .LBB227_63
; %bb.62:
	v_readfirstlane_b32 s4, v10
	v_readfirstlane_b32 s5, v11
	global_load_u8 v1, v0, s[4:5] offset:6912
	s_wait_loadcnt 0x0
	v_perm_b32 v8, v8, v1, 0x60504
.LBB227_63:
	s_or_b32 exec_lo, exec_lo, s0
	v_dual_lshrrev_b32 v1, 8, v2 :: v_dual_lshrrev_b32 v9, 24, v2
	v_dual_lshrrev_b32 v12, 8, v3 :: v_dual_lshrrev_b32 v13, 24, v3
	ds_store_b8 v0, v2
	ds_store_b8 v0, v1 offset:256
	ds_store_b8_d16_hi v0, v2 offset:512
	ds_store_b8 v0, v9 offset:768
	ds_store_b8 v0, v3 offset:1024
	;; [unrolled: 1-line block ×3, first 2 shown]
	ds_store_b8_d16_hi v0, v3 offset:1536
	ds_store_b8 v0, v13 offset:1792
	v_dual_lshrrev_b32 v1, 8, v4 :: v_dual_lshrrev_b32 v2, 24, v4
	v_dual_lshrrev_b32 v3, 8, v5 :: v_dual_lshrrev_b32 v9, 24, v5
	ds_store_b8 v0, v4 offset:2048
	ds_store_b8 v0, v1 offset:2304
	ds_store_b8_d16_hi v0, v4 offset:2560
	ds_store_b8 v0, v2 offset:2816
	ds_store_b8 v0, v5 offset:3072
	;; [unrolled: 1-line block ×3, first 2 shown]
	ds_store_b8_d16_hi v0, v5 offset:3584
	ds_store_b8 v0, v9 offset:3840
	v_dual_lshrrev_b32 v1, 8, v6 :: v_dual_lshrrev_b32 v2, 24, v6
	v_dual_lshrrev_b32 v3, 8, v7 :: v_dual_lshrrev_b32 v4, 24, v7
	;; [unrolled: 1-line block ×3, first 2 shown]
	ds_store_b8 v0, v6 offset:4096
	ds_store_b8 v0, v1 offset:4352
	ds_store_b8_d16_hi v0, v6 offset:4608
	ds_store_b8 v0, v2 offset:4864
	ds_store_b8 v0, v7 offset:5120
	ds_store_b8 v0, v3 offset:5376
	ds_store_b8_d16_hi v0, v7 offset:5632
	ds_store_b8 v0, v4 offset:5888
	;; [unrolled: 4-line block ×3, first 2 shown]
	s_wait_loadcnt_dscnt 0x0
	s_barrier_signal -1
	s_barrier_wait -1
.LBB227_64:
	v_mul_u32_u24_e32 v8, 28, v0
	s_wait_loadcnt 0x0
	s_cmp_lg_u32 s33, 0
	s_mov_b32 s41, 0
	s_cselect_b32 s40, -1, 0
	ds_load_2addr_b32 v[6:7], v8 offset1:1
	ds_load_2addr_b32 v[4:5], v8 offset0:2 offset1:3
	ds_load_2addr_b32 v[2:3], v8 offset0:4 offset1:5
	ds_load_b32 v22, v8 offset:24
	s_cmp_lg_u64 s[6:7], 0
	s_wait_dscnt 0x0
	s_cselect_b32 s0, -1, 0
	s_barrier_signal -1
	s_or_b32 s0, s0, s40
	s_barrier_wait -1
	s_and_b32 vcc_lo, exec_lo, s0
	v_dual_lshrrev_b32 v41, 8, v6 :: v_dual_lshrrev_b32 v40, 16, v6
	v_dual_lshrrev_b32 v39, 24, v6 :: v_dual_lshrrev_b32 v38, 8, v7
	;; [unrolled: 1-line block ×10, first 2 shown]
	v_lshrrev_b32_e32 v1, 24, v22
	s_cbranch_vccz .LBB227_69
; %bb.65:
	global_load_u8 v9, v[10:11], off offset:-1
	s_and_b32 vcc_lo, exec_lo, s31
	ds_store_b8 v0, v1
	s_cbranch_vccz .LBB227_70
; %bb.66:
	s_wait_loadcnt 0x0
	v_mov_b32_e32 v10, v9
	s_wait_dscnt 0x0
	s_barrier_signal -1
	s_barrier_wait -1
	s_and_saveexec_b32 s0, s3
; %bb.67:
	v_add_nc_u32_e32 v10, -1, v0
	ds_load_u8 v10, v10
; %bb.68:
	s_or_b32 exec_lo, exec_lo, s0
	v_and_b32_e32 v11, 0xff, v21
	v_and_b32_e32 v12, 0xff, v23
	;; [unrolled: 1-line block ×3, first 2 shown]
	s_wait_dscnt 0x0
	v_and_b32_e32 v10, 0xff, v10
	v_cmp_ne_u16_e32 vcc_lo, v11, v1
	v_cndmask_b32_e64 v42, 0, 1, vcc_lo
	v_cmp_ne_u16_e32 vcc_lo, v12, v11
	v_and_b32_e32 v11, 0xff, v25
	v_cndmask_b32_e64 v43, 0, 1, vcc_lo
	v_cmp_ne_u16_e32 vcc_lo, v13, v12
	v_and_b32_e32 v12, 0xff, v26
	v_cndmask_b32_e64 v44, 0, 1, vcc_lo
	v_cmp_ne_u16_e32 vcc_lo, v24, v13
	v_and_b32_e32 v13, 0xff, v3
	v_cndmask_b32_e64 v45, 0, 1, vcc_lo
	v_cmp_ne_u16_e32 vcc_lo, v11, v24
	v_cndmask_b32_e64 v46, 0, 1, vcc_lo
	v_cmp_ne_u16_e32 vcc_lo, v12, v11
	v_and_b32_e32 v11, 0xff, v28
	v_cndmask_b32_e64 v47, 0, 1, vcc_lo
	v_cmp_ne_u16_e32 vcc_lo, v13, v12
	v_and_b32_e32 v12, 0xff, v29
	v_cndmask_b32_e64 v48, 0, 1, vcc_lo
	v_cmp_ne_u16_e32 vcc_lo, v27, v13
	v_and_b32_e32 v13, 0xff, v2
	v_cndmask_b32_e64 v49, 0, 1, vcc_lo
	;; [unrolled: 11-line block ×6, first 2 shown]
	v_cmp_ne_u16_e32 vcc_lo, v11, v39
	s_delay_alu instid0(VALU_DEP_3)
	v_cmp_ne_u16_e64 s42, v10, v13
	v_cndmask_b32_e64 v66, 0, 1, vcc_lo
	v_cmp_ne_u16_e32 vcc_lo, v12, v11
	v_cndmask_b32_e64 v67, 0, 1, vcc_lo
	v_cmp_ne_u16_e32 vcc_lo, v13, v12
	v_cndmask_b32_e64 v68, 0, 1, vcc_lo
	s_branch .LBB227_74
.LBB227_69:
                                        ; implicit-def: $sgpr42
                                        ; implicit-def: $vgpr42
                                        ; implicit-def: $vgpr43
                                        ; implicit-def: $vgpr44
                                        ; implicit-def: $vgpr45
                                        ; implicit-def: $vgpr46
                                        ; implicit-def: $vgpr47
                                        ; implicit-def: $vgpr48
                                        ; implicit-def: $vgpr49
                                        ; implicit-def: $vgpr68
                                        ; implicit-def: $vgpr67
                                        ; implicit-def: $vgpr66
                                        ; implicit-def: $vgpr65
                                        ; implicit-def: $vgpr64
                                        ; implicit-def: $vgpr63
                                        ; implicit-def: $vgpr62
                                        ; implicit-def: $vgpr61
                                        ; implicit-def: $vgpr60
                                        ; implicit-def: $vgpr59
                                        ; implicit-def: $vgpr58
                                        ; implicit-def: $vgpr57
                                        ; implicit-def: $vgpr56
                                        ; implicit-def: $vgpr55
                                        ; implicit-def: $vgpr54
                                        ; implicit-def: $vgpr53
                                        ; implicit-def: $vgpr52
                                        ; implicit-def: $vgpr51
                                        ; implicit-def: $vgpr50
	s_branch .LBB227_75
.LBB227_70:
                                        ; implicit-def: $sgpr42
                                        ; implicit-def: $vgpr42
                                        ; implicit-def: $vgpr43
                                        ; implicit-def: $vgpr44
                                        ; implicit-def: $vgpr45
                                        ; implicit-def: $vgpr46
                                        ; implicit-def: $vgpr47
                                        ; implicit-def: $vgpr48
                                        ; implicit-def: $vgpr49
                                        ; implicit-def: $vgpr68
                                        ; implicit-def: $vgpr67
                                        ; implicit-def: $vgpr66
                                        ; implicit-def: $vgpr65
                                        ; implicit-def: $vgpr64
                                        ; implicit-def: $vgpr63
                                        ; implicit-def: $vgpr62
                                        ; implicit-def: $vgpr61
                                        ; implicit-def: $vgpr60
                                        ; implicit-def: $vgpr59
                                        ; implicit-def: $vgpr58
                                        ; implicit-def: $vgpr57
                                        ; implicit-def: $vgpr56
                                        ; implicit-def: $vgpr55
                                        ; implicit-def: $vgpr54
                                        ; implicit-def: $vgpr53
                                        ; implicit-def: $vgpr52
                                        ; implicit-def: $vgpr51
                                        ; implicit-def: $vgpr50
	s_cbranch_execz .LBB227_74
; %bb.71:
	s_wait_loadcnt_dscnt 0x0
	s_barrier_signal -1
	s_barrier_wait -1
	s_and_saveexec_b32 s0, s3
; %bb.72:
	v_add_nc_u32_e32 v9, -1, v0
	ds_load_u8 v9, v9
; %bb.73:
	s_or_b32 exec_lo, exec_lo, s0
	v_dual_add_nc_u32 v10, 27, v8 :: v_dual_add_nc_u32 v13, 26, v8
	v_and_b32_e32 v11, 0xff, v21
	v_and_b32_e32 v12, 0xff, v1
	v_and_b32_e32 v14, 0xff, v23
	s_delay_alu instid0(VALU_DEP_4)
	v_cmp_gt_u32_e32 vcc_lo, s38, v10
	v_add_nc_u32_e32 v10, 25, v8
	v_cmp_gt_u32_e64 s1, s38, v13
	v_cmp_ne_u16_e64 s0, v11, v12
	v_and_b32_e32 v12, 0xff, v22
	v_add_nc_u32_e32 v13, 23, v8
	v_cmp_ne_u16_e64 s4, v14, v11
	v_and_b32_e32 v11, 0xff, v24
	s_and_b32 s0, vcc_lo, s0
	v_cmp_gt_u32_e32 vcc_lo, s38, v10
	v_cndmask_b32_e64 v42, 0, 1, s0
	v_cmp_ne_u16_e64 s0, v12, v14
	v_add_nc_u32_e32 v10, 24, v8
	s_and_b32 s1, s1, s4
	v_and_b32_e32 v14, 0xff, v41
	v_cndmask_b32_e64 v43, 0, 1, s1
	s_and_b32 s0, vcc_lo, s0
	v_cmp_gt_u32_e64 s1, s38, v13
	v_cndmask_b32_e64 v44, 0, 1, s0
	v_cmp_ne_u16_e64 s0, v11, v12
	v_add_nc_u32_e32 v12, 22, v8
	v_cmp_gt_u32_e32 vcc_lo, s38, v10
	v_and_b32_e32 v10, 0xff, v25
	v_and_b32_e32 v13, 0xff, v26
	s_wait_dscnt 0x0
	v_and_b32_e32 v9, 0xff, v9
	s_and_b32 s0, vcc_lo, s0
	v_cmp_gt_u32_e32 vcc_lo, s38, v12
	v_cndmask_b32_e64 v45, 0, 1, s0
	v_cmp_ne_u16_e64 s0, v13, v10
	v_cmp_ne_u16_e64 s4, v10, v11
	v_dual_add_nc_u32 v10, 21, v8 :: v_dual_add_nc_u32 v12, 20, v8
	v_and_b32_e32 v11, 0xff, v3
	s_and_b32 s0, vcc_lo, s0
	s_and_b32 s1, s1, s4
	v_cndmask_b32_e64 v47, 0, 1, s0
	v_cmp_gt_u32_e32 vcc_lo, s38, v10
	v_cmp_ne_u16_e64 s0, v11, v13
	v_cndmask_b32_e64 v46, 0, 1, s1
	v_and_b32_e32 v10, 0xff, v27
	v_cmp_gt_u32_e64 s1, s38, v12
	v_add_nc_u32_e32 v12, 19, v8
	v_and_b32_e32 v13, 0xff, v28
	s_and_b32 s0, vcc_lo, s0
	v_cmp_ne_u16_e64 s4, v10, v11
	v_cndmask_b32_e64 v48, 0, 1, s0
	v_and_b32_e32 v11, 0xff, v29
	v_cmp_ne_u16_e64 s0, v13, v10
	v_add_nc_u32_e32 v10, 18, v8
	v_cmp_gt_u32_e32 vcc_lo, s38, v12
	v_add_nc_u32_e32 v12, 17, v8
	s_and_b32 s1, s1, s4
	s_delay_alu instid0(SALU_CYCLE_1)
	v_cndmask_b32_e64 v49, 0, 1, s1
	s_and_b32 s0, vcc_lo, s0
	v_cmp_gt_u32_e32 vcc_lo, s38, v10
	v_cndmask_b32_e64 v50, 0, 1, s0
	v_cmp_ne_u16_e64 s0, v11, v13
	v_and_b32_e32 v10, 0xff, v2
	v_and_b32_e32 v13, 0xff, v30
	s_and_b32 s0, vcc_lo, s0
	s_delay_alu instid0(VALU_DEP_2) | instskip(SKIP_1) | instid1(VALU_DEP_3)
	v_cmp_ne_u16_e64 s4, v10, v11
	v_cndmask_b32_e64 v51, 0, 1, s0
	v_cmp_ne_u16_e64 s0, v13, v10
	v_add_nc_u32_e32 v10, 15, v8
	v_cmp_gt_u32_e64 s1, s38, v12
	v_add_nc_u32_e32 v12, 16, v8
	v_and_b32_e32 v11, 0xff, v31
	s_and_b32 s1, s1, s4
	s_delay_alu instid0(VALU_DEP_2)
	v_cmp_gt_u32_e32 vcc_lo, s38, v12
	v_add_nc_u32_e32 v12, 14, v8
	v_cndmask_b32_e64 v52, 0, 1, s1
	s_and_b32 s0, vcc_lo, s0
	v_cmp_gt_u32_e32 vcc_lo, s38, v10
	v_cndmask_b32_e64 v53, 0, 1, s0
	v_cmp_ne_u16_e64 s0, v11, v13
	v_and_b32_e32 v10, 0xff, v32
	v_cmp_gt_u32_e64 s1, s38, v12
	v_add_nc_u32_e32 v12, 13, v8
	v_and_b32_e32 v13, 0xff, v5
	s_and_b32 s0, vcc_lo, s0
	v_cmp_ne_u16_e64 s4, v10, v11
	v_cndmask_b32_e64 v54, 0, 1, s0
	v_cmp_gt_u32_e32 vcc_lo, s38, v12
	v_cmp_ne_u16_e64 s0, v13, v10
	v_add_nc_u32_e32 v10, 12, v8
	v_and_b32_e32 v11, 0xff, v33
	v_add_nc_u32_e32 v12, 11, v8
	s_and_b32 s1, s1, s4
	s_and_b32 s0, vcc_lo, s0
	v_cmp_gt_u32_e32 vcc_lo, s38, v10
	v_cndmask_b32_e64 v56, 0, 1, s0
	v_cmp_ne_u16_e64 s0, v11, v13
	v_cndmask_b32_e64 v55, 0, 1, s1
	v_and_b32_e32 v10, 0xff, v34
	v_cmp_gt_u32_e64 s1, s38, v12
	v_add_nc_u32_e32 v12, 10, v8
	v_and_b32_e32 v13, 0xff, v35
	s_and_b32 s0, vcc_lo, s0
	v_cmp_ne_u16_e64 s4, v10, v11
	v_cndmask_b32_e64 v57, 0, 1, s0
	v_cmp_gt_u32_e32 vcc_lo, s38, v12
	v_cmp_ne_u16_e64 s0, v13, v10
	v_add_nc_u32_e32 v10, 9, v8
	v_and_b32_e32 v11, 0xff, v4
	v_add_nc_u32_e32 v12, 8, v8
	s_and_b32 s1, s1, s4
	s_and_b32 s0, vcc_lo, s0
	v_cmp_gt_u32_e32 vcc_lo, s38, v10
	v_cndmask_b32_e64 v59, 0, 1, s0
	v_cmp_ne_u16_e64 s0, v11, v13
	v_cndmask_b32_e64 v58, 0, 1, s1
	;; [unrolled: 18-line block ×3, first 2 shown]
	v_and_b32_e32 v10, 0xff, v7
	v_cmp_gt_u32_e64 s1, s38, v12
	v_add_nc_u32_e32 v12, 4, v8
	v_and_b32_e32 v13, 0xff, v39
	s_and_b32 s0, vcc_lo, s0
	v_cmp_ne_u16_e64 s4, v10, v11
	v_cndmask_b32_e64 v63, 0, 1, s0
	v_cmp_gt_u32_e32 vcc_lo, s38, v12
	v_cmp_ne_u16_e64 s0, v13, v10
	v_or_b32_e32 v10, 3, v8
	v_and_b32_e32 v11, 0xff, v40
	v_or_b32_e32 v12, 2, v8
	s_and_b32 s1, s1, s4
	s_and_b32 s0, vcc_lo, s0
	v_cmp_gt_u32_e32 vcc_lo, s38, v10
	v_cndmask_b32_e64 v65, 0, 1, s0
	v_cmp_ne_u16_e64 s0, v11, v13
	v_or_b32_e32 v10, 1, v8
	v_cmp_ne_u16_e64 s4, v14, v11
	v_and_b32_e32 v11, 0xff, v6
	v_cndmask_b32_e64 v64, 0, 1, s1
	v_cmp_gt_u32_e64 s1, s38, v12
	s_and_b32 s0, vcc_lo, s0
	v_cmp_gt_u32_e32 vcc_lo, s38, v10
	v_cndmask_b32_e64 v66, 0, 1, s0
	v_cmp_ne_u16_e64 s0, v11, v14
	s_and_b32 s1, s1, s4
	v_cmp_ne_u16_e64 s4, v9, v11
	v_cndmask_b32_e64 v67, 0, 1, s1
	v_cmp_gt_u32_e64 s1, s38, v8
	s_and_b32 s0, vcc_lo, s0
	s_delay_alu instid0(SALU_CYCLE_1)
	v_cndmask_b32_e64 v68, 0, 1, s0
	s_and_b32 s42, s1, s4
.LBB227_74:
	s_mov_b32 s41, -1
	s_cbranch_execnz .LBB227_83
.LBB227_75:
	s_delay_alu instid0(VALU_DEP_2)
	v_and_b32_e32 v79, 0xff, v21
	v_and_b32_e32 v78, 0xff, v23
	;; [unrolled: 1-line block ×18, first 2 shown]
	s_wait_xcnt 0x0
	v_and_b32_e32 v11, 0xff, v40
	v_and_b32_e32 v10, 0xff, v41
	s_wait_loadcnt 0x0
	v_and_b32_e32 v9, 0xff, v6
	s_and_b32 vcc_lo, exec_lo, s31
	ds_store_b8 v0, v1
	s_cbranch_vccz .LBB227_79
; %bb.76:
	v_cmp_ne_u16_e64 s0, v78, v79
	v_cmp_ne_u16_e64 s1, v77, v78
	;; [unrolled: 1-line block ×26, first 2 shown]
	v_cmp_ne_u16_e32 vcc_lo, v79, v1
	s_wait_dscnt 0x0
	s_barrier_signal -1
	s_barrier_wait -1
                                        ; implicit-def: $sgpr42
	s_and_saveexec_b32 s43, s3
	s_delay_alu instid0(SALU_CYCLE_1)
	s_xor_b32 s43, exec_lo, s43
	s_cbranch_execz .LBB227_78
; %bb.77:
	v_add_nc_u32_e32 v42, -1, v0
	s_or_b32 s41, s41, exec_lo
	ds_load_u8 v42, v42
	s_wait_dscnt 0x0
	v_cmp_ne_u16_e64 s42, v42, v9
.LBB227_78:
	s_or_b32 exec_lo, exec_lo, s43
	v_cndmask_b32_e64 v42, 0, 1, vcc_lo
	v_cndmask_b32_e64 v43, 0, 1, s0
	v_cndmask_b32_e64 v44, 0, 1, s1
	;; [unrolled: 1-line block ×26, first 2 shown]
	s_branch .LBB227_83
.LBB227_79:
                                        ; implicit-def: $sgpr42
                                        ; implicit-def: $vgpr42
                                        ; implicit-def: $vgpr43
                                        ; implicit-def: $vgpr44
                                        ; implicit-def: $vgpr45
                                        ; implicit-def: $vgpr46
                                        ; implicit-def: $vgpr47
                                        ; implicit-def: $vgpr48
                                        ; implicit-def: $vgpr49
                                        ; implicit-def: $vgpr68
                                        ; implicit-def: $vgpr67
                                        ; implicit-def: $vgpr66
                                        ; implicit-def: $vgpr65
                                        ; implicit-def: $vgpr64
                                        ; implicit-def: $vgpr63
                                        ; implicit-def: $vgpr62
                                        ; implicit-def: $vgpr61
                                        ; implicit-def: $vgpr60
                                        ; implicit-def: $vgpr59
                                        ; implicit-def: $vgpr58
                                        ; implicit-def: $vgpr57
                                        ; implicit-def: $vgpr56
                                        ; implicit-def: $vgpr55
                                        ; implicit-def: $vgpr54
                                        ; implicit-def: $vgpr53
                                        ; implicit-def: $vgpr52
                                        ; implicit-def: $vgpr51
                                        ; implicit-def: $vgpr50
	s_cbranch_execz .LBB227_83
; %bb.80:
	v_dual_add_nc_u32 v42, 27, v8 :: v_dual_add_nc_u32 v44, 26, v8
	v_and_b32_e32 v43, 0xff, v1
	v_add_nc_u32_e32 v45, 25, v8
	v_cmp_ne_u16_e64 s1, v78, v79
	s_delay_alu instid0(VALU_DEP_4)
	v_cmp_gt_u32_e32 vcc_lo, s38, v42
	v_add_nc_u32_e32 v42, 24, v8
	v_cmp_ne_u16_e64 s0, v79, v43
	v_cmp_gt_u32_e64 s4, s38, v44
	v_cmp_gt_u32_e64 s5, s38, v45
	v_and_b32_e32 v43, 0xff, v24
	v_dual_add_nc_u32 v44, 23, v8 :: v_dual_add_nc_u32 v45, 22, v8
	s_and_b32 s11, vcc_lo, s0
	v_cmp_ne_u16_e32 vcc_lo, v77, v78
	v_cmp_gt_u32_e64 s0, s38, v42
	v_add_nc_u32_e32 v42, 21, v8
	s_and_b32 s12, s4, s1
	v_cmp_ne_u16_e64 s1, v43, v77
	v_cmp_gt_u32_e64 s4, s38, v44
	s_and_b32 s13, s5, vcc_lo
	v_add_nc_u32_e32 v44, 19, v8
	v_cmp_gt_u32_e32 vcc_lo, s38, v42
	v_add_nc_u32_e32 v42, 20, v8
	v_cmp_ne_u16_e64 s6, v76, v43
	v_cmp_gt_u32_e64 s7, s38, v45
	s_and_b32 s14, s0, s1
	v_and_b32_e32 v43, 0xff, v27
	v_cmp_ne_u16_e64 s0, v74, v75
	v_add_nc_u32_e32 v45, 18, v8
	v_cmp_gt_u32_e64 s1, s38, v42
	v_add_nc_u32_e32 v42, 17, v8
	v_cmp_ne_u16_e64 s8, v75, v76
	s_and_b32 s15, s4, s6
	v_cmp_ne_u16_e64 s4, v43, v74
	v_cmp_gt_u32_e64 s5, s38, v44
	s_and_b32 s17, vcc_lo, s0
	v_add_nc_u32_e32 v44, 15, v8
	v_cmp_gt_u32_e32 vcc_lo, s38, v42
	v_add_nc_u32_e32 v42, 16, v8
	s_and_b32 s16, s7, s8
	v_cmp_ne_u16_e64 s6, v73, v43
	v_cmp_gt_u32_e64 s7, s38, v45
	v_cmp_ne_u16_e64 s8, v72, v73
	s_and_b32 s18, s1, s4
	v_and_b32_e32 v43, 0xff, v30
	v_cmp_ne_u16_e64 s0, v71, v72
	v_add_nc_u32_e32 v45, 14, v8
	v_cmp_gt_u32_e64 s1, s38, v42
	v_add_nc_u32_e32 v42, 13, v8
	s_and_b32 s19, s5, s6
	s_and_b32 s20, s7, s8
	v_cmp_ne_u16_e64 s4, v43, v71
	v_cmp_gt_u32_e64 s5, s38, v44
	v_cmp_ne_u16_e64 s6, v70, v43
	v_cmp_gt_u32_e64 s7, s38, v45
	v_cmp_ne_u16_e64 s8, v69, v70
	s_and_b32 s21, vcc_lo, s0
	v_and_b32_e32 v43, 0xff, v33
	v_add_nc_u32_e32 v44, 11, v8
	v_cmp_gt_u32_e32 vcc_lo, s38, v42
	v_dual_add_nc_u32 v42, 12, v8 :: v_dual_add_nc_u32 v45, 10, v8
	s_and_b32 s22, s1, s4
	s_and_b32 s23, s5, s6
	;; [unrolled: 1-line block ×3, first 2 shown]
	v_cmp_ne_u16_e64 s0, v20, v69
	v_cmp_ne_u16_e64 s4, v43, v20
	v_cmp_gt_u32_e64 s5, s38, v44
	v_cmp_ne_u16_e64 s6, v19, v43
	v_cmp_gt_u32_e64 s7, s38, v45
	v_cmp_ne_u16_e64 s8, v18, v19
	v_add_nc_u32_e32 v19, 9, v8
	v_and_b32_e32 v20, 0xff, v36
	v_cmp_gt_u32_e64 s1, s38, v42
	s_and_b32 s25, vcc_lo, s0
	s_and_b32 s27, s5, s6
	s_and_b32 s43, s7, s8
	v_add_nc_u32_e32 v42, 7, v8
	v_cmp_gt_u32_e32 vcc_lo, s38, v19
	v_add_nc_u32_e32 v19, 8, v8
	v_cmp_ne_u16_e64 s0, v15, v18
	v_cmp_ne_u16_e64 s6, v14, v20
	;; [unrolled: 1-line block ×3, first 2 shown]
	v_add_nc_u32_e32 v14, 5, v8
	s_and_b32 s26, s1, s4
	v_add_nc_u32_e32 v18, 6, v8
	v_cmp_gt_u32_e64 s1, s38, v19
	v_cmp_ne_u16_e64 s4, v20, v15
	s_and_b32 s44, vcc_lo, s0
	v_add_nc_u32_e32 v15, 4, v8
	v_cmp_gt_u32_e32 vcc_lo, s38, v14
	v_and_b32_e32 v14, 0xff, v39
	v_cmp_gt_u32_e64 s5, s38, v42
	v_cmp_gt_u32_e64 s7, s38, v18
	s_and_b32 s45, s1, s4
	v_cmp_ne_u16_e64 s0, v12, v13
	v_or_b32_e32 v13, 3, v8
	v_cmp_gt_u32_e64 s1, s38, v15
	v_or_b32_e32 v15, 2, v8
	v_cmp_ne_u16_e64 s4, v14, v12
	v_or_b32_e32 v12, 1, v8
	s_and_b32 s46, s5, s6
	s_and_b32 s47, s7, s8
	v_cmp_gt_u32_e64 s5, s38, v13
	v_cmp_ne_u16_e64 s6, v11, v14
	v_cmp_gt_u32_e64 s7, s38, v15
	v_cmp_ne_u16_e64 s8, v10, v11
	;; [unrolled: 2-line block ×3, first 2 shown]
	s_and_b32 s48, vcc_lo, s0
	s_and_b32 s1, s1, s4
	s_and_b32 s4, s5, s6
	;; [unrolled: 1-line block ×4, first 2 shown]
	s_wait_dscnt 0x0
	s_barrier_signal -1
	s_barrier_wait -1
                                        ; implicit-def: $sgpr42
	s_and_saveexec_b32 s7, s3
	s_cbranch_execz .LBB227_82
; %bb.81:
	v_add_nc_u32_e32 v10, -1, v0
	v_cmp_gt_u32_e32 vcc_lo, s38, v8
	s_or_b32 s41, s41, exec_lo
	ds_load_u8 v10, v10
	s_wait_dscnt 0x0
	v_and_b32_e32 v10, 0xff, v10
	s_delay_alu instid0(VALU_DEP_1)
	v_cmp_ne_u16_e64 s0, v10, v9
	s_and_b32 s42, vcc_lo, s0
.LBB227_82:
	s_or_b32 exec_lo, exec_lo, s7
	v_cndmask_b32_e64 v42, 0, 1, s11
	v_cndmask_b32_e64 v43, 0, 1, s12
	;; [unrolled: 1-line block ×27, first 2 shown]
.LBB227_83:
	v_mov_b32_e32 v69, 1
	s_wait_xcnt 0x0
	s_and_saveexec_b32 s0, s41
; %bb.84:
	v_cndmask_b32_e64 v69, 0, 1, s42
; %bb.85:
	s_or_b32 exec_lo, exec_lo, s0
	s_delay_alu instid0(SALU_CYCLE_1)
	s_and_not1_b32 vcc_lo, exec_lo, s39
	s_cbranch_vccnz .LBB227_87
; %bb.86:
	v_cmp_gt_u32_e32 vcc_lo, s38, v8
	s_wait_loadcnt 0x0
	v_or_b32_e32 v9, 1, v8
	v_or_b32_e32 v10, 2, v8
	v_dual_cndmask_b32 v69, 0, v69, vcc_lo :: v_dual_bitop2_b32 v11, 3, v8 bitop3:0x54
	s_delay_alu instid0(VALU_DEP_3)
	v_cmp_gt_u32_e32 vcc_lo, s38, v9
	v_add_nc_u32_e32 v9, 4, v8
	v_cndmask_b32_e32 v68, 0, v68, vcc_lo
	v_cmp_gt_u32_e32 vcc_lo, s38, v10
	v_dual_cndmask_b32 v67, 0, v67 :: v_dual_add_nc_u32 v10, 5, v8
	v_cmp_gt_u32_e32 vcc_lo, s38, v11
	v_dual_cndmask_b32 v66, 0, v66 :: v_dual_add_nc_u32 v11, 6, v8
	v_cmp_gt_u32_e32 vcc_lo, s38, v9
	v_dual_add_nc_u32 v9, 7, v8 :: v_dual_cndmask_b32 v65, 0, v65, vcc_lo
	v_cmp_gt_u32_e32 vcc_lo, s38, v10
	v_cndmask_b32_e32 v64, 0, v64, vcc_lo
	v_cmp_gt_u32_e32 vcc_lo, s38, v11
	v_dual_add_nc_u32 v11, 10, v8 :: v_dual_cndmask_b32 v63, 0, v63, vcc_lo
	v_cmp_gt_u32_e32 vcc_lo, s38, v9
	v_dual_add_nc_u32 v10, 8, v8 :: v_dual_add_nc_u32 v9, 9, v8
	v_cndmask_b32_e32 v62, 0, v62, vcc_lo
	s_delay_alu instid0(VALU_DEP_2) | instskip(SKIP_1) | instid1(VALU_DEP_4)
	v_cmp_gt_u32_e32 vcc_lo, s38, v10
	v_dual_cndmask_b32 v61, 0, v61 :: v_dual_add_nc_u32 v10, 11, v8
	v_cmp_gt_u32_e32 vcc_lo, s38, v9
	v_cndmask_b32_e32 v60, 0, v60, vcc_lo
	v_cmp_gt_u32_e32 vcc_lo, s38, v11
	v_dual_add_nc_u32 v11, 14, v8 :: v_dual_cndmask_b32 v59, 0, v59, vcc_lo
	v_cmp_gt_u32_e32 vcc_lo, s38, v10
	v_dual_add_nc_u32 v9, 12, v8 :: v_dual_add_nc_u32 v10, 13, v8
	v_cndmask_b32_e32 v58, 0, v58, vcc_lo
	s_delay_alu instid0(VALU_DEP_2) | instskip(SKIP_1) | instid1(VALU_DEP_4)
	v_cmp_gt_u32_e32 vcc_lo, s38, v9
	v_dual_add_nc_u32 v9, 15, v8 :: v_dual_cndmask_b32 v57, 0, v57, vcc_lo
	v_cmp_gt_u32_e32 vcc_lo, s38, v10
	v_cndmask_b32_e32 v56, 0, v56, vcc_lo
	v_cmp_gt_u32_e32 vcc_lo, s38, v11
	v_dual_add_nc_u32 v11, 18, v8 :: v_dual_cndmask_b32 v55, 0, v55, vcc_lo
	v_cmp_gt_u32_e32 vcc_lo, s38, v9
	v_dual_add_nc_u32 v10, 16, v8 :: v_dual_add_nc_u32 v9, 17, v8
	v_cndmask_b32_e32 v54, 0, v54, vcc_lo
	s_delay_alu instid0(VALU_DEP_2) | instskip(SKIP_1) | instid1(VALU_DEP_4)
	v_cmp_gt_u32_e32 vcc_lo, s38, v10
	v_dual_cndmask_b32 v53, 0, v53 :: v_dual_add_nc_u32 v10, 19, v8
	v_cmp_gt_u32_e32 vcc_lo, s38, v9
	v_cndmask_b32_e32 v52, 0, v52, vcc_lo
	v_cmp_gt_u32_e32 vcc_lo, s38, v11
	v_dual_add_nc_u32 v11, 22, v8 :: v_dual_cndmask_b32 v51, 0, v51, vcc_lo
	v_cmp_gt_u32_e32 vcc_lo, s38, v10
	v_dual_add_nc_u32 v9, 20, v8 :: v_dual_add_nc_u32 v10, 21, v8
	v_cndmask_b32_e32 v50, 0, v50, vcc_lo
	s_delay_alu instid0(VALU_DEP_2) | instskip(SKIP_1) | instid1(VALU_DEP_4)
	v_cmp_gt_u32_e32 vcc_lo, s38, v9
	v_dual_add_nc_u32 v9, 23, v8 :: v_dual_cndmask_b32 v49, 0, v49, vcc_lo
	v_cmp_gt_u32_e32 vcc_lo, s38, v10
	v_cndmask_b32_e32 v48, 0, v48, vcc_lo
	v_cmp_gt_u32_e32 vcc_lo, s38, v11
	v_dual_add_nc_u32 v11, 26, v8 :: v_dual_cndmask_b32 v47, 0, v47, vcc_lo
	v_cmp_gt_u32_e32 vcc_lo, s38, v9
	v_dual_add_nc_u32 v10, 24, v8 :: v_dual_add_nc_u32 v9, 25, v8
	v_dual_add_nc_u32 v8, 27, v8 :: v_dual_cndmask_b32 v46, 0, v46, vcc_lo
	s_delay_alu instid0(VALU_DEP_2) | instskip(SKIP_1) | instid1(VALU_DEP_4)
	v_cmp_gt_u32_e32 vcc_lo, s38, v10
	v_cndmask_b32_e32 v45, 0, v45, vcc_lo
	v_cmp_gt_u32_e32 vcc_lo, s38, v9
	v_cndmask_b32_e32 v44, 0, v44, vcc_lo
	;; [unrolled: 2-line block ×4, first 2 shown]
.LBB227_87:
	v_and_b32_e32 v70, 0xff, v51
	v_and_b32_e32 v90, 0xff, v50
	;; [unrolled: 1-line block ×6, first 2 shown]
	v_dual_add_nc_u32 v8, v70, v90 :: v_dual_bitop2_b32 v10, 31, v0 bitop3:0x54
	v_and_b32_e32 v75, 0xff, v57
	v_and_b32_e32 v76, 0xff, v56
	;; [unrolled: 1-line block ×3, first 2 shown]
	s_delay_alu instid0(VALU_DEP_4)
	v_add3_u32 v8, v8, v72, v71
	v_and_b32_e32 v78, 0xff, v58
	v_and_b32_e32 v79, 0xff, v61
	v_and_b32_e32 v80, 0xff, v60
	v_and_b32_e32 v81, 0xff, v63
	v_add3_u32 v8, v8, v74, v73
	v_and_b32_e32 v82, 0xff, v62
	v_and_b32_e32 v83, 0xff, v65
	v_and_b32_e32 v84, 0xff, v64
	v_and_b32_e32 v85, 0xff, v67
	;; [unrolled: 5-line block ×4, first 2 shown]
	v_add3_u32 v8, v8, v80, v79
	v_and_b32_e32 v97, 0xff, v44
	v_mbcnt_lo_u32_b32 v91, -1, 0
	v_and_b32_e32 v98, 0xff, v43
	s_wait_loadcnt 0x0
	v_and_b32_e32 v9, 0xff, v42
	v_add3_u32 v8, v8, v82, v81
	v_dual_lshrrev_b32 v99, 5, v0 :: v_dual_bitop2_b32 v11, 15, v91 bitop3:0x40
	v_and_b32_e32 v12, 16, v91
	v_cmp_eq_u32_e64 s0, v0, v10
	s_delay_alu instid0(VALU_DEP_4)
	v_add3_u32 v8, v8, v84, v83
	s_and_b32 vcc_lo, exec_lo, s40
	v_cmp_eq_u32_e64 s6, 0, v11
	v_cmp_lt_u32_e64 s5, 1, v11
	v_cmp_lt_u32_e64 s4, 3, v11
	v_add3_u32 v8, v8, v86, v85
	v_cmp_lt_u32_e64 s3, 7, v11
	v_cmp_eq_u32_e64 s1, 0, v12
	s_mov_b32 s7, -1
	s_wait_dscnt 0x0
	v_add3_u32 v8, v8, v89, v88
	s_barrier_signal -1
	s_barrier_wait -1
	s_delay_alu instid0(VALU_DEP_1) | instskip(NEXT) | instid1(VALU_DEP_1)
	v_add3_u32 v8, v8, v92, v93
	v_add3_u32 v8, v8, v94, v95
	s_delay_alu instid0(VALU_DEP_1) | instskip(NEXT) | instid1(VALU_DEP_1)
	v_add3_u32 v8, v8, v96, v97
	v_add3_u32 v100, v8, v98, v9
	s_cbranch_vccz .LBB227_109
; %bb.88:
	s_delay_alu instid0(VALU_DEP_1) | instskip(NEXT) | instid1(VALU_DEP_1)
	v_mov_b32_dpp v8, v100 row_shr:1 row_mask:0xf bank_mask:0xf
	v_cndmask_b32_e64 v8, v8, 0, s6
	s_delay_alu instid0(VALU_DEP_1) | instskip(NEXT) | instid1(VALU_DEP_1)
	v_add_nc_u32_e32 v8, v8, v100
	v_mov_b32_dpp v9, v8 row_shr:2 row_mask:0xf bank_mask:0xf
	s_delay_alu instid0(VALU_DEP_1) | instskip(NEXT) | instid1(VALU_DEP_1)
	v_cndmask_b32_e64 v9, 0, v9, s5
	v_add_nc_u32_e32 v8, v8, v9
	s_delay_alu instid0(VALU_DEP_1) | instskip(NEXT) | instid1(VALU_DEP_1)
	v_mov_b32_dpp v9, v8 row_shr:4 row_mask:0xf bank_mask:0xf
	v_cndmask_b32_e64 v9, 0, v9, s4
	s_delay_alu instid0(VALU_DEP_1) | instskip(NEXT) | instid1(VALU_DEP_1)
	v_add_nc_u32_e32 v8, v8, v9
	v_mov_b32_dpp v9, v8 row_shr:8 row_mask:0xf bank_mask:0xf
	s_delay_alu instid0(VALU_DEP_1) | instskip(NEXT) | instid1(VALU_DEP_1)
	v_cndmask_b32_e64 v9, 0, v9, s3
	v_add_nc_u32_e32 v8, v8, v9
	ds_swizzle_b32 v9, v8 offset:swizzle(BROADCAST,32,15)
	s_wait_dscnt 0x0
	v_cndmask_b32_e64 v9, v9, 0, s1
	s_delay_alu instid0(VALU_DEP_1)
	v_add_nc_u32_e32 v8, v8, v9
	s_and_saveexec_b32 s7, s0
; %bb.89:
	v_lshlrev_b32_e32 v9, 2, v99
	ds_store_b32 v9, v8
; %bb.90:
	s_or_b32 exec_lo, exec_lo, s7
	s_delay_alu instid0(SALU_CYCLE_1)
	s_mov_b32 s7, exec_lo
	s_wait_dscnt 0x0
	s_barrier_signal -1
	s_barrier_wait -1
	v_cmpx_gt_u32_e32 8, v0
	s_cbranch_execz .LBB227_92
; %bb.91:
	v_dual_lshlrev_b32 v9, 2, v0 :: v_dual_bitop2_b32 v11, 7, v91 bitop3:0x40
	ds_load_b32 v10, v9
	v_cmp_ne_u32_e32 vcc_lo, 0, v11
	s_wait_dscnt 0x0
	v_mov_b32_dpp v12, v10 row_shr:1 row_mask:0xf bank_mask:0xf
	s_delay_alu instid0(VALU_DEP_1) | instskip(SKIP_1) | instid1(VALU_DEP_2)
	v_cndmask_b32_e32 v12, 0, v12, vcc_lo
	v_cmp_lt_u32_e32 vcc_lo, 1, v11
	v_add_nc_u32_e32 v10, v12, v10
	s_delay_alu instid0(VALU_DEP_1) | instskip(NEXT) | instid1(VALU_DEP_1)
	v_mov_b32_dpp v12, v10 row_shr:2 row_mask:0xf bank_mask:0xf
	v_cndmask_b32_e32 v12, 0, v12, vcc_lo
	v_cmp_lt_u32_e32 vcc_lo, 3, v11
	s_delay_alu instid0(VALU_DEP_2) | instskip(NEXT) | instid1(VALU_DEP_1)
	v_add_nc_u32_e32 v10, v10, v12
	v_mov_b32_dpp v12, v10 row_shr:4 row_mask:0xf bank_mask:0xf
	s_delay_alu instid0(VALU_DEP_1) | instskip(NEXT) | instid1(VALU_DEP_1)
	v_cndmask_b32_e32 v11, 0, v12, vcc_lo
	v_add_nc_u32_e32 v10, v10, v11
	ds_store_b32 v9, v10
.LBB227_92:
	s_or_b32 exec_lo, exec_lo, s7
	s_delay_alu instid0(SALU_CYCLE_1)
	s_mov_b32 s8, exec_lo
	v_cmp_gt_u32_e32 vcc_lo, 32, v0
	s_wait_dscnt 0x0
	s_barrier_signal -1
	s_barrier_wait -1
                                        ; implicit-def: $vgpr20
	v_cmpx_lt_u32_e32 31, v0
	s_cbranch_execz .LBB227_94
; %bb.93:
	v_lshl_add_u32 v9, v99, 2, -4
	ds_load_b32 v20, v9
	s_wait_dscnt 0x0
	v_add_nc_u32_e32 v8, v20, v8
.LBB227_94:
	s_or_b32 exec_lo, exec_lo, s8
	v_sub_co_u32 v9, s7, v91, 1
	s_delay_alu instid0(VALU_DEP_1) | instskip(NEXT) | instid1(VALU_DEP_1)
	v_cmp_gt_i32_e64 s8, 0, v9
	v_cndmask_b32_e64 v9, v9, v91, s8
	s_delay_alu instid0(VALU_DEP_1)
	v_lshlrev_b32_e32 v9, 2, v9
	ds_bpermute_b32 v87, v9, v8
	s_and_saveexec_b32 s8, vcc_lo
	s_cbranch_execz .LBB227_114
; %bb.95:
	v_mov_b32_e32 v15, 0
	ds_load_b32 v8, v15 offset:28
	s_and_saveexec_b32 s9, s7
	s_cbranch_execz .LBB227_97
; %bb.96:
	s_add_co_i32 s10, s33, 32
	s_delay_alu instid0(SALU_CYCLE_1)
	v_dual_mov_b32 v9, 1 :: v_dual_mov_b32 v10, s10
	s_wait_dscnt 0x0
	global_store_b64 v10, v[8:9], s[36:37] scale_offset scope:SCOPE_DEV
.LBB227_97:
	s_wait_xcnt 0x0
	s_or_b32 exec_lo, exec_lo, s9
	v_xad_u32 v10, v91, -1, s33
	s_mov_b32 s10, 0
	s_mov_b32 s9, exec_lo
	s_delay_alu instid0(VALU_DEP_1) | instskip(SKIP_4) | instid1(VALU_DEP_1)
	v_add_nc_u32_e32 v14, 32, v10
	global_load_b64 v[12:13], v14, s[36:37] scale_offset scope:SCOPE_DEV
	s_wait_loadcnt 0x0
	v_and_b32_e32 v9, 0xff, v13
	s_wait_xcnt 0x0
	v_cmpx_eq_u16_e32 0, v9
	s_cbranch_execz .LBB227_101
; %bb.98:
	v_lshl_add_u64 v[14:15], v[14:15], 3, s[36:37]
.LBB227_99:                             ; =>This Inner Loop Header: Depth=1
	global_load_b64 v[12:13], v[14:15], off scope:SCOPE_DEV
	s_wait_loadcnt 0x0
	v_and_b32_e32 v9, 0xff, v13
	s_delay_alu instid0(VALU_DEP_1)
	v_cmp_ne_u16_e32 vcc_lo, 0, v9
	s_or_b32 s10, vcc_lo, s10
	s_wait_xcnt 0x0
	s_and_not1_b32 exec_lo, exec_lo, s10
	s_cbranch_execnz .LBB227_99
; %bb.100:
	s_or_b32 exec_lo, exec_lo, s10
.LBB227_101:
	s_delay_alu instid0(SALU_CYCLE_1)
	s_or_b32 exec_lo, exec_lo, s9
	v_cmp_ne_u32_e32 vcc_lo, 31, v91
	v_lshlrev_b32_e64 v19, v91, -1
	v_lshl_or_b32 v107, v91, 2, 64
	v_dual_add_nc_u32 v102, 2, v91 :: v_dual_add_nc_u32 v104, 4, v91
	v_add_co_ci_u32_e64 v9, null, 0, v91, vcc_lo
	v_dual_add_nc_u32 v106, 8, v91 :: v_dual_add_nc_u32 v108, 16, v91
	s_delay_alu instid0(VALU_DEP_2)
	v_lshlrev_b32_e32 v18, 2, v9
	v_and_b32_e32 v9, 0xff, v13
	ds_bpermute_b32 v11, v18, v12
	v_cmp_eq_u16_e32 vcc_lo, 2, v9
	v_and_or_b32 v9, vcc_lo, v19, 0x80000000
	v_cmp_gt_u32_e32 vcc_lo, 30, v91
	s_delay_alu instid0(VALU_DEP_2) | instskip(SKIP_1) | instid1(VALU_DEP_2)
	v_ctz_i32_b32_e32 v9, v9
	v_cndmask_b32_e64 v14, 0, 2, vcc_lo
	v_cmp_lt_u32_e32 vcc_lo, v91, v9
	s_delay_alu instid0(VALU_DEP_2) | instskip(SKIP_3) | instid1(VALU_DEP_2)
	v_add_lshl_u32 v101, v14, v91, 2
	s_wait_dscnt 0x0
	v_cndmask_b32_e32 v11, 0, v11, vcc_lo
	v_cmp_gt_u32_e32 vcc_lo, 28, v91
	v_add_nc_u32_e32 v11, v11, v12
	v_cndmask_b32_e64 v14, 0, 4, vcc_lo
	v_cmp_le_u32_e32 vcc_lo, v102, v9
	ds_bpermute_b32 v12, v101, v11
	v_add_lshl_u32 v103, v14, v91, 2
	s_wait_dscnt 0x0
	v_cndmask_b32_e32 v12, 0, v12, vcc_lo
	v_cmp_gt_u32_e32 vcc_lo, 24, v91
	v_cndmask_b32_e64 v14, 0, 8, vcc_lo
	v_cmp_le_u32_e32 vcc_lo, v104, v9
	s_delay_alu instid0(VALU_DEP_4) | instskip(NEXT) | instid1(VALU_DEP_3)
	v_add_nc_u32_e32 v11, v11, v12
	v_add_lshl_u32 v105, v14, v91, 2
	ds_bpermute_b32 v12, v103, v11
	s_wait_dscnt 0x0
	v_cndmask_b32_e32 v12, 0, v12, vcc_lo
	v_cmp_le_u32_e32 vcc_lo, v106, v9
	s_delay_alu instid0(VALU_DEP_2) | instskip(SKIP_4) | instid1(VALU_DEP_2)
	v_add_nc_u32_e32 v11, v11, v12
	ds_bpermute_b32 v12, v105, v11
	s_wait_dscnt 0x0
	v_cndmask_b32_e32 v12, 0, v12, vcc_lo
	v_cmp_le_u32_e32 vcc_lo, v108, v9
	v_add_nc_u32_e32 v11, v11, v12
	ds_bpermute_b32 v12, v107, v11
	s_wait_dscnt 0x0
	v_cndmask_b32_e32 v9, 0, v12, vcc_lo
	s_delay_alu instid0(VALU_DEP_1)
	v_dual_mov_b32 v11, 0 :: v_dual_add_nc_u32 v12, v11, v9
	s_branch .LBB227_104
.LBB227_102:                            ;   in Loop: Header=BB227_104 Depth=1
	s_or_b32 exec_lo, exec_lo, s9
	v_and_b32_e32 v14, 0xff, v13
	ds_bpermute_b32 v15, v18, v12
	v_subrev_nc_u32_e32 v10, 32, v10
	s_mov_b32 s9, 0
	v_cmp_eq_u16_e32 vcc_lo, 2, v14
	v_and_or_b32 v14, vcc_lo, v19, 0x80000000
	s_delay_alu instid0(VALU_DEP_1) | instskip(NEXT) | instid1(VALU_DEP_1)
	v_ctz_i32_b32_e32 v14, v14
	v_cmp_lt_u32_e32 vcc_lo, v91, v14
	s_wait_dscnt 0x0
	v_cndmask_b32_e32 v15, 0, v15, vcc_lo
	v_cmp_le_u32_e32 vcc_lo, v102, v14
	s_delay_alu instid0(VALU_DEP_2) | instskip(SKIP_4) | instid1(VALU_DEP_2)
	v_add_nc_u32_e32 v12, v15, v12
	ds_bpermute_b32 v15, v101, v12
	s_wait_dscnt 0x0
	v_cndmask_b32_e32 v15, 0, v15, vcc_lo
	v_cmp_le_u32_e32 vcc_lo, v104, v14
	v_add_nc_u32_e32 v12, v12, v15
	ds_bpermute_b32 v15, v103, v12
	s_wait_dscnt 0x0
	v_cndmask_b32_e32 v15, 0, v15, vcc_lo
	v_cmp_le_u32_e32 vcc_lo, v106, v14
	s_delay_alu instid0(VALU_DEP_2) | instskip(SKIP_4) | instid1(VALU_DEP_2)
	v_add_nc_u32_e32 v12, v12, v15
	ds_bpermute_b32 v15, v105, v12
	s_wait_dscnt 0x0
	v_cndmask_b32_e32 v15, 0, v15, vcc_lo
	v_cmp_le_u32_e32 vcc_lo, v108, v14
	v_add_nc_u32_e32 v12, v12, v15
	ds_bpermute_b32 v15, v107, v12
	s_wait_dscnt 0x0
	v_cndmask_b32_e32 v14, 0, v15, vcc_lo
	s_delay_alu instid0(VALU_DEP_1)
	v_add3_u32 v12, v14, v9, v12
.LBB227_103:                            ;   in Loop: Header=BB227_104 Depth=1
	s_and_b32 vcc_lo, exec_lo, s9
	s_cbranch_vccnz .LBB227_110
.LBB227_104:                            ; =>This Loop Header: Depth=1
                                        ;     Child Loop BB227_107 Depth 2
	v_and_b32_e32 v9, 0xff, v13
	s_mov_b32 s9, -1
                                        ; implicit-def: $vgpr13
	s_delay_alu instid0(VALU_DEP_1)
	v_cmp_ne_u16_e32 vcc_lo, 2, v9
	v_mov_b32_e32 v9, v12
                                        ; implicit-def: $vgpr12
	s_cmp_lg_u32 vcc_lo, exec_lo
	s_cbranch_scc1 .LBB227_103
; %bb.105:                              ;   in Loop: Header=BB227_104 Depth=1
	global_load_b64 v[12:13], v10, s[36:37] scale_offset scope:SCOPE_DEV
	s_mov_b32 s9, exec_lo
	s_wait_loadcnt 0x0
	v_and_b32_e32 v14, 0xff, v13
	s_wait_xcnt 0x0
	s_delay_alu instid0(VALU_DEP_1)
	v_cmpx_eq_u16_e32 0, v14
	s_cbranch_execz .LBB227_102
; %bb.106:                              ;   in Loop: Header=BB227_104 Depth=1
	v_lshl_add_u64 v[14:15], v[10:11], 3, s[36:37]
	s_mov_b32 s10, 0
.LBB227_107:                            ;   Parent Loop BB227_104 Depth=1
                                        ; =>  This Inner Loop Header: Depth=2
	global_load_b64 v[12:13], v[14:15], off scope:SCOPE_DEV
	s_wait_loadcnt 0x0
	v_and_b32_e32 v109, 0xff, v13
	s_delay_alu instid0(VALU_DEP_1)
	v_cmp_ne_u16_e32 vcc_lo, 0, v109
	s_or_b32 s10, vcc_lo, s10
	s_wait_xcnt 0x0
	s_and_not1_b32 exec_lo, exec_lo, s10
	s_cbranch_execnz .LBB227_107
; %bb.108:                              ;   in Loop: Header=BB227_104 Depth=1
	s_or_b32 exec_lo, exec_lo, s10
	s_branch .LBB227_102
.LBB227_109:
                                        ; implicit-def: $vgpr20
                                        ; implicit-def: $vgpr18
                                        ; implicit-def: $vgpr87
	s_and_b32 vcc_lo, exec_lo, s7
	s_cbranch_vccnz .LBB227_115
	s_branch .LBB227_124
.LBB227_110:
	s_and_saveexec_b32 s9, s7
	s_cbranch_execz .LBB227_112
; %bb.111:
	s_add_co_i32 s10, s33, 32
	v_dual_mov_b32 v11, 2 :: v_dual_add_nc_u32 v10, v9, v8
	v_dual_mov_b32 v12, s10 :: v_dual_mov_b32 v13, 0
	global_store_b64 v12, v[10:11], s[36:37] scale_offset scope:SCOPE_DEV
	ds_store_b64 v13, v[8:9] offset:7168
.LBB227_112:
	s_wait_xcnt 0x0
	s_or_b32 exec_lo, exec_lo, s9
	s_delay_alu instid0(SALU_CYCLE_1)
	s_and_b32 exec_lo, exec_lo, s2
; %bb.113:
	v_mov_b32_e32 v8, 0
	ds_store_b32 v8, v9 offset:28
.LBB227_114:
	s_or_b32 exec_lo, exec_lo, s8
	v_mov_b32_e32 v8, 0
	s_wait_storecnt_dscnt 0x0
	s_barrier_signal -1
	s_barrier_wait -1
	ds_load_b32 v9, v8 offset:28
	s_wait_dscnt 0x0
	s_barrier_signal -1
	s_barrier_wait -1
	ds_load_b64 v[18:19], v8 offset:7168
	v_cndmask_b32_e64 v8, v87, v20, s7
	s_delay_alu instid0(VALU_DEP_1) | instskip(SKIP_1) | instid1(VALU_DEP_1)
	v_cndmask_b32_e64 v8, v8, 0, s2
	s_wait_dscnt 0x0
	v_dual_mov_b32 v20, v19 :: v_dual_add_nc_u32 v87, v9, v8
	s_branch .LBB227_124
.LBB227_115:
	v_mov_b32_dpp v8, v100 row_shr:1 row_mask:0xf bank_mask:0xf
	s_delay_alu instid0(VALU_DEP_1) | instskip(NEXT) | instid1(VALU_DEP_1)
	v_cndmask_b32_e64 v8, v8, 0, s6
	v_add_nc_u32_e32 v8, v8, v100
	s_delay_alu instid0(VALU_DEP_1) | instskip(NEXT) | instid1(VALU_DEP_1)
	v_mov_b32_dpp v9, v8 row_shr:2 row_mask:0xf bank_mask:0xf
	v_cndmask_b32_e64 v9, 0, v9, s5
	s_delay_alu instid0(VALU_DEP_1) | instskip(NEXT) | instid1(VALU_DEP_1)
	v_add_nc_u32_e32 v8, v8, v9
	v_mov_b32_dpp v9, v8 row_shr:4 row_mask:0xf bank_mask:0xf
	s_delay_alu instid0(VALU_DEP_1) | instskip(NEXT) | instid1(VALU_DEP_1)
	v_cndmask_b32_e64 v9, 0, v9, s4
	v_add_nc_u32_e32 v8, v8, v9
	s_delay_alu instid0(VALU_DEP_1) | instskip(NEXT) | instid1(VALU_DEP_1)
	v_mov_b32_dpp v9, v8 row_shr:8 row_mask:0xf bank_mask:0xf
	v_cndmask_b32_e64 v9, 0, v9, s3
	s_delay_alu instid0(VALU_DEP_1) | instskip(SKIP_3) | instid1(VALU_DEP_1)
	v_add_nc_u32_e32 v8, v8, v9
	ds_swizzle_b32 v9, v8 offset:swizzle(BROADCAST,32,15)
	s_wait_dscnt 0x0
	v_cndmask_b32_e64 v9, v9, 0, s1
	v_add_nc_u32_e32 v8, v8, v9
	s_and_saveexec_b32 s1, s0
; %bb.116:
	v_lshlrev_b32_e32 v9, 2, v99
	ds_store_b32 v9, v8
; %bb.117:
	s_or_b32 exec_lo, exec_lo, s1
	s_delay_alu instid0(SALU_CYCLE_1)
	s_mov_b32 s0, exec_lo
	s_wait_dscnt 0x0
	s_barrier_signal -1
	s_barrier_wait -1
	v_cmpx_gt_u32_e32 8, v0
	s_cbranch_execz .LBB227_119
; %bb.118:
	v_dual_lshlrev_b32 v9, 2, v0 :: v_dual_bitop2_b32 v11, 7, v91 bitop3:0x40
	ds_load_b32 v10, v9
	v_cmp_ne_u32_e32 vcc_lo, 0, v11
	s_wait_dscnt 0x0
	v_mov_b32_dpp v12, v10 row_shr:1 row_mask:0xf bank_mask:0xf
	s_delay_alu instid0(VALU_DEP_1) | instskip(SKIP_1) | instid1(VALU_DEP_2)
	v_cndmask_b32_e32 v12, 0, v12, vcc_lo
	v_cmp_lt_u32_e32 vcc_lo, 1, v11
	v_add_nc_u32_e32 v10, v12, v10
	s_delay_alu instid0(VALU_DEP_1) | instskip(NEXT) | instid1(VALU_DEP_1)
	v_mov_b32_dpp v12, v10 row_shr:2 row_mask:0xf bank_mask:0xf
	v_cndmask_b32_e32 v12, 0, v12, vcc_lo
	v_cmp_lt_u32_e32 vcc_lo, 3, v11
	s_delay_alu instid0(VALU_DEP_2) | instskip(NEXT) | instid1(VALU_DEP_1)
	v_add_nc_u32_e32 v10, v10, v12
	v_mov_b32_dpp v12, v10 row_shr:4 row_mask:0xf bank_mask:0xf
	s_delay_alu instid0(VALU_DEP_1) | instskip(NEXT) | instid1(VALU_DEP_1)
	v_cndmask_b32_e32 v11, 0, v12, vcc_lo
	v_add_nc_u32_e32 v10, v10, v11
	ds_store_b32 v9, v10
.LBB227_119:
	s_or_b32 exec_lo, exec_lo, s0
	v_dual_mov_b32 v10, 0 :: v_dual_mov_b32 v9, 0
	s_mov_b32 s0, exec_lo
	s_wait_dscnt 0x0
	s_barrier_signal -1
	s_barrier_wait -1
	v_cmpx_lt_u32_e32 31, v0
; %bb.120:
	v_lshl_add_u32 v9, v99, 2, -4
	ds_load_b32 v9, v9
; %bb.121:
	s_or_b32 exec_lo, exec_lo, s0
	v_sub_co_u32 v11, vcc_lo, v91, 1
	ds_load_b32 v18, v10 offset:28
	s_wait_dscnt 0x1
	v_add_nc_u32_e32 v8, v9, v8
	v_cmp_gt_i32_e64 s0, 0, v11
	s_delay_alu instid0(VALU_DEP_1) | instskip(NEXT) | instid1(VALU_DEP_1)
	v_cndmask_b32_e64 v11, v11, v91, s0
	v_lshlrev_b32_e32 v11, 2, v11
	ds_bpermute_b32 v8, v11, v8
	s_and_saveexec_b32 s0, s2
	s_cbranch_execz .LBB227_123
; %bb.122:
	v_dual_mov_b32 v10, 0 :: v_dual_mov_b32 v19, 2
	s_wait_dscnt 0x1
	global_store_b64 v10, v[18:19], s[36:37] offset:256 scope:SCOPE_DEV
.LBB227_123:
	s_wait_xcnt 0x0
	s_or_b32 exec_lo, exec_lo, s0
	s_wait_dscnt 0x0
	v_dual_cndmask_b32 v8, v8, v9, vcc_lo :: v_dual_mov_b32 v20, 0
	s_wait_storecnt 0x0
	s_barrier_signal -1
	s_barrier_wait -1
	s_delay_alu instid0(VALU_DEP_1)
	v_cndmask_b32_e64 v87, v8, 0, s2
.LBB227_124:
	s_delay_alu instid0(VALU_DEP_1)
	v_add_nc_u32_e32 v91, v87, v88
	v_cmp_gt_u32_e32 vcc_lo, 0x101, v18
	v_add_nc_u64_e32 v[8:9], s[34:35], v[16:17]
	v_and_b32_e32 v69, 1, v69
	s_mov_b32 s0, -1
	v_add_nc_u32_e32 v89, v91, v89
	s_and_b32 vcc_lo, exec_lo, vcc_lo
	s_delay_alu instid0(VALU_DEP_1) | instskip(NEXT) | instid1(VALU_DEP_1)
	v_add_nc_u32_e32 v88, v89, v85
	v_add_nc_u32_e32 v86, v88, v86
	s_delay_alu instid0(VALU_DEP_1) | instskip(NEXT) | instid1(VALU_DEP_1)
	v_add_nc_u32_e32 v85, v86, v83
	v_add_nc_u32_e32 v84, v85, v84
	;; [unrolled: 3-line block ×12, first 2 shown]
	s_delay_alu instid0(VALU_DEP_1)
	v_add_nc_u32_e32 v10, v11, v98
	s_cbranch_vccnz .LBB227_128
; %bb.125:
	s_and_b32 vcc_lo, exec_lo, s0
	s_cbranch_vccnz .LBB227_185
.LBB227_126:
	s_and_b32 s0, s2, s30
	s_delay_alu instid0(SALU_CYCLE_1)
	s_and_saveexec_b32 s1, s0
	s_cbranch_execnz .LBB227_255
.LBB227_127:
	s_sendmsg sendmsg(MSG_DEALLOC_VGPRS)
	s_endpgm
.LBB227_128:
	v_add_nc_u32_e32 v90, v20, v18
	v_cmp_eq_u32_e64 s0, 1, v69
	s_delay_alu instid0(VALU_DEP_2) | instskip(SKIP_1) | instid1(SALU_CYCLE_1)
	v_cmp_lt_u32_e32 vcc_lo, v87, v90
	s_or_b32 s1, s31, vcc_lo
	s_and_b32 s1, s1, s0
	s_delay_alu instid0(SALU_CYCLE_1)
	s_and_saveexec_b32 s0, s1
	s_cbranch_execz .LBB227_130
; %bb.129:
	v_readfirstlane_b32 s4, v8
	v_readfirstlane_b32 s5, v9
	global_store_b8 v87, v6, s[4:5]
.LBB227_130:
	s_wait_xcnt 0x0
	s_or_b32 exec_lo, exec_lo, s0
	v_and_b32_e32 v92, 1, v68
	v_cmp_lt_u32_e32 vcc_lo, v91, v90
	s_delay_alu instid0(VALU_DEP_2) | instskip(SKIP_1) | instid1(SALU_CYCLE_1)
	v_cmp_eq_u32_e64 s0, 1, v92
	s_or_b32 s1, s31, vcc_lo
	s_and_b32 s1, s1, s0
	s_delay_alu instid0(SALU_CYCLE_1)
	s_and_saveexec_b32 s0, s1
	s_cbranch_execz .LBB227_132
; %bb.131:
	v_readfirstlane_b32 s4, v8
	v_readfirstlane_b32 s5, v9
	global_store_b8 v91, v41, s[4:5]
.LBB227_132:
	s_wait_xcnt 0x0
	s_or_b32 exec_lo, exec_lo, s0
	v_and_b32_e32 v92, 1, v67
	v_cmp_lt_u32_e32 vcc_lo, v89, v90
	s_delay_alu instid0(VALU_DEP_2) | instskip(SKIP_1) | instid1(SALU_CYCLE_1)
	v_cmp_eq_u32_e64 s0, 1, v92
	;; [unrolled: 16-line block ×27, first 2 shown]
	s_or_b32 s1, s31, vcc_lo
	s_and_b32 s1, s1, s0
	s_delay_alu instid0(SALU_CYCLE_1)
	s_and_saveexec_b32 s0, s1
	s_cbranch_execz .LBB227_184
; %bb.183:
	v_readfirstlane_b32 s4, v8
	v_readfirstlane_b32 s5, v9
	global_store_b8 v10, v1, s[4:5]
.LBB227_184:
	s_wait_xcnt 0x0
	s_or_b32 exec_lo, exec_lo, s0
	s_branch .LBB227_126
.LBB227_185:
	s_mov_b32 s0, exec_lo
	v_cmpx_eq_u32_e32 1, v69
; %bb.186:
	v_sub_nc_u32_e32 v69, v87, v20
	ds_store_b8 v69, v6
; %bb.187:
	s_or_b32 exec_lo, exec_lo, s0
	v_and_b32_e32 v6, 1, v68
	s_mov_b32 s0, exec_lo
	s_delay_alu instid0(VALU_DEP_1)
	v_cmpx_eq_u32_e32 1, v6
; %bb.188:
	v_sub_nc_u32_e32 v6, v91, v20
	ds_store_b8 v6, v41
; %bb.189:
	s_or_b32 exec_lo, exec_lo, s0
	v_and_b32_e32 v6, 1, v67
	s_mov_b32 s0, exec_lo
	s_delay_alu instid0(VALU_DEP_1)
	;; [unrolled: 9-line block ×27, first 2 shown]
	v_cmpx_eq_u32_e32 1, v2
; %bb.240:
	v_sub_nc_u32_e32 v2, v10, v20
	ds_store_b8 v2, v1
; %bb.241:
	s_or_b32 exec_lo, exec_lo, s0
	v_or_b32_e32 v1, 0x100, v0
	v_mov_b32_e32 v21, 0
	s_mov_b32 s4, -1
	s_mov_b32 s1, exec_lo
	s_wait_storecnt_dscnt 0x0
	v_max_u32_e32 v3, v18, v1
	v_add_nc_u64_e32 v[22:23], v[8:9], v[20:21]
	s_barrier_signal -1
	s_barrier_wait -1
	s_delay_alu instid0(VALU_DEP_2) | instskip(NEXT) | instid1(VALU_DEP_1)
	v_xad_u32 v2, v0, -1, v3
	v_cmp_gt_u32_e64 s0, 0x1f00, v2
	v_cmpx_lt_u32_e32 0x1eff, v2
	s_cbranch_execz .LBB227_251
; %bb.242:
	v_sub_nc_u32_e32 v3, v0, v3
	s_mov_b32 s3, exec_lo
	s_delay_alu instid0(VALU_DEP_1) | instskip(NEXT) | instid1(VALU_DEP_1)
	v_or_b32_e32 v3, 0xff, v3
	v_cmpx_ge_u32_e64 v3, v0
	s_cbranch_execz .LBB227_250
; %bb.243:
	v_or_b32_e32 v7, 0x700, v0
	v_or_b32_e32 v6, 0x600, v0
	v_dual_mov_b32 v24, 0 :: v_dual_lshrrev_b32 v19, 8, v2
	v_or_b32_e32 v5, 0x500, v0
	v_or_b32_e32 v4, 0x400, v0
	;; [unrolled: 1-line block ×4, first 2 shown]
	v_mov_b64_e32 v[14:15], v[6:7]
	v_mov_b64_e32 v[8:9], v[0:1]
	;; [unrolled: 1-line block ×3, first 2 shown]
	v_add_nc_u32_e32 v21, -7, v19
	v_mov_b64_e32 v[10:11], v[2:3]
	s_mov_b32 s4, exec_lo
	s_delay_alu instid0(VALU_DEP_2)
	v_cmpx_lt_u32_e32 7, v21
	s_cbranch_execz .LBB227_247
; %bb.244:
	v_dual_mov_b32 v25, 0 :: v_dual_lshrrev_b32 v8, 3, v21
	s_mov_b32 s5, 0
	s_mov_b32 s6, 0
	s_delay_alu instid0(VALU_DEP_1) | instskip(NEXT) | instid1(VALU_DEP_1)
	v_dual_mov_b32 v26, v0 :: v_dual_add_nc_u32 v8, 1, v8
	v_and_b32_e32 v27, 0x3ffffffe, v8
	v_mov_b64_e32 v[14:15], v[6:7]
	v_mov_b64_e32 v[12:13], v[4:5]
	;; [unrolled: 1-line block ×4, first 2 shown]
.LBB227_245:                            ; =>This Inner Loop Header: Depth=1
	s_delay_alu instid0(VALU_DEP_1)
	v_dual_mov_b32 v24, v8 :: v_dual_mov_b32 v35, v25
	v_add_nc_u32_e32 v27, -2, v27
	s_add_co_i32 s6, s6, 16
	s_delay_alu instid0(VALU_DEP_3) | instid1(SALU_CYCLE_1)
	v_dual_mov_b32 v1, s6 :: v_dual_add_nc_u32 v34, 0x800, v9
	s_delay_alu instid0(VALU_DEP_3)
	v_add_nc_u64_e32 v[36:37], v[22:23], v[24:25]
	v_dual_mov_b32 v24, v9 :: v_dual_add_nc_u32 v9, 0x1000, v9
	ds_load_u8 v44, v26
	ds_load_u8 v45, v26 offset:256
	ds_load_u8 v46, v26 offset:512
	;; [unrolled: 1-line block ×7, first 2 shown]
	v_dual_mov_b32 v5, v25 :: v_dual_add_nc_u32 v30, 0x800, v11
	v_add_nc_u64_e32 v[38:39], v[22:23], v[24:25]
	v_mov_b32_e32 v24, v10
	ds_load_u8 v52, v26 offset:2048
	ds_load_u8 v53, v26 offset:2304
	;; [unrolled: 1-line block ×8, first 2 shown]
	v_dual_mov_b32 v33, v25 :: v_dual_add_nc_u32 v2, 0x800, v15
	s_wait_dscnt 0xf
	global_store_b8 v[36:37], v44, off
	s_wait_dscnt 0xe
	global_store_b8 v[38:39], v45, off
	v_add_nc_u64_e32 v[40:41], v[22:23], v[24:25]
	v_dual_mov_b32 v24, v11 :: v_dual_add_nc_u32 v11, 0x1000, v11
	v_dual_mov_b32 v3, v25 :: v_dual_add_nc_u32 v32, 0x800, v10
	;; [unrolled: 1-line block ×3, first 2 shown]
	s_delay_alu instid0(VALU_DEP_3)
	v_add_nc_u64_e32 v[42:43], v[22:23], v[24:25]
	v_mov_b32_e32 v24, v12
	s_wait_dscnt 0xd
	global_store_b8 v[40:41], v46, off
	v_dual_mov_b32 v29, v25 :: v_dual_add_nc_u32 v6, 0x800, v13
	v_dual_mov_b32 v7, v25 :: v_dual_add_nc_u32 v28, 0x800, v12
	s_wait_xcnt 0x2
	v_add_nc_u64_e32 v[36:37], v[22:23], v[24:25]
	v_mov_b32_e32 v24, v13
	s_wait_dscnt 0xc
	global_store_b8 v[42:43], v47, off
	v_cmp_eq_u32_e32 vcc_lo, 0, v27
	v_add_nc_u32_e32 v26, 0x1000, v26
	v_add_nc_u64_e32 v[34:35], v[22:23], v[34:35]
	s_wait_xcnt 0x2
	v_add_nc_u64_e32 v[38:39], v[22:23], v[24:25]
	v_mov_b32_e32 v24, v14
	s_wait_dscnt 0xb
	global_store_b8 v[36:37], v48, off
	v_add_nc_u32_e32 v10, 0x1000, v10
	v_add_nc_u32_e32 v12, 0x1000, v12
	;; [unrolled: 1-line block ×3, first 2 shown]
	s_wait_xcnt 0x0
	v_add_nc_u64_e32 v[36:37], v[22:23], v[24:25]
	v_mov_b32_e32 v24, v15
	s_wait_dscnt 0xa
	global_store_b8 v[38:39], v49, off
	v_add_nc_u32_e32 v14, 0x1000, v14
	v_add_nc_u32_e32 v15, 0x1000, v15
	v_add_nc_u64_e32 v[32:33], v[22:23], v[32:33]
	s_wait_xcnt 0x0
	v_add_nc_u64_e32 v[38:39], v[22:23], v[24:25]
	v_add_nc_u32_e32 v24, 0x800, v8
	s_wait_dscnt 0x9
	global_store_b8 v[36:37], v50, off
	v_add_nc_u32_e32 v8, 0x1000, v8
	v_add_nc_u64_e32 v[30:31], v[22:23], v[30:31]
	v_add_nc_u64_e32 v[28:29], v[22:23], v[28:29]
	s_wait_xcnt 0x0
	v_add_nc_u64_e32 v[36:37], v[22:23], v[24:25]
	s_or_b32 s5, vcc_lo, s5
	v_add_nc_u64_e32 v[6:7], v[22:23], v[6:7]
	v_add_nc_u64_e32 v[4:5], v[22:23], v[4:5]
	;; [unrolled: 1-line block ×3, first 2 shown]
	s_wait_dscnt 0x8
	global_store_b8 v[38:39], v51, off
	s_wait_dscnt 0x7
	global_store_b8 v[36:37], v52, off
	;; [unrolled: 2-line block ×9, first 2 shown]
	s_wait_xcnt 0x0
	s_and_not1_b32 exec_lo, exec_lo, s5
	s_cbranch_execnz .LBB227_245
; %bb.246:
	s_or_b32 exec_lo, exec_lo, s5
	v_lshlrev_b32_e32 v24, 8, v1
.LBB227_247:
	s_or_b32 exec_lo, exec_lo, s4
	v_and_b32_e32 v1, 8, v21
	s_mov_b32 s4, exec_lo
	s_delay_alu instid0(VALU_DEP_1)
	v_cmpx_eq_u32_e32 0, v1
	s_cbranch_execz .LBB227_249
; %bb.248:
	v_dual_mov_b32 v3, 0 :: v_dual_mov_b32 v2, v8
	v_or_b32_e32 v1, v0, v24
	ds_load_u8 v21, v1
	ds_load_u8 v28, v1 offset:256
	ds_load_u8 v29, v1 offset:512
	;; [unrolled: 1-line block ×7, first 2 shown]
	v_add_nc_u64_e32 v[4:5], v[22:23], v[2:3]
	v_mov_b32_e32 v2, v9
	s_delay_alu instid0(VALU_DEP_1) | instskip(SKIP_1) | instid1(VALU_DEP_1)
	v_add_nc_u64_e32 v[6:7], v[22:23], v[2:3]
	v_mov_b32_e32 v2, v10
	v_add_nc_u64_e32 v[8:9], v[22:23], v[2:3]
	v_mov_b32_e32 v2, v11
	s_delay_alu instid0(VALU_DEP_1) | instskip(SKIP_1) | instid1(VALU_DEP_1)
	v_add_nc_u64_e32 v[10:11], v[22:23], v[2:3]
	v_mov_b32_e32 v2, v12
	;; [unrolled: 5-line block ×3, first 2 shown]
	v_add_nc_u64_e32 v[26:27], v[22:23], v[2:3]
	v_mov_b32_e32 v2, v15
	s_delay_alu instid0(VALU_DEP_1)
	v_add_nc_u64_e32 v[2:3], v[22:23], v[2:3]
	s_wait_dscnt 0x7
	global_store_b8 v[4:5], v21, off
	s_wait_dscnt 0x6
	global_store_b8 v[6:7], v28, off
	;; [unrolled: 2-line block ×8, first 2 shown]
.LBB227_249:
	s_wait_xcnt 0x0
	s_or_b32 exec_lo, exec_lo, s4
	v_add_nc_u32_e32 v1, 1, v19
	s_delay_alu instid0(VALU_DEP_1) | instskip(NEXT) | instid1(VALU_DEP_1)
	v_and_b32_e32 v2, 0x1fffff8, v1
	v_cmp_ne_u32_e32 vcc_lo, v1, v2
	v_lshl_or_b32 v0, v2, 8, v0
	s_or_not1_b32 s4, vcc_lo, exec_lo
.LBB227_250:
	s_or_b32 exec_lo, exec_lo, s3
	s_delay_alu instid0(SALU_CYCLE_1) | instskip(SKIP_1) | instid1(SALU_CYCLE_1)
	s_and_not1_b32 s0, s0, exec_lo
	s_and_b32 s3, s4, exec_lo
	s_or_b32 s0, s0, s3
.LBB227_251:
	s_or_b32 exec_lo, exec_lo, s1
	s_and_saveexec_b32 s1, s0
	s_cbranch_execz .LBB227_254
; %bb.252:
	s_mov_b32 s0, 0
.LBB227_253:                            ; =>This Inner Loop Header: Depth=1
	ds_load_u8 v1, v0
	v_readfirstlane_b32 s4, v22
	v_readfirstlane_b32 s5, v23
	s_wait_dscnt 0x0
	global_store_b8 v0, v1, s[4:5]
	s_wait_xcnt 0x0
	v_add_nc_u32_e32 v0, 0x100, v0
	s_delay_alu instid0(VALU_DEP_1) | instskip(SKIP_1) | instid1(SALU_CYCLE_1)
	v_cmp_ge_u32_e32 vcc_lo, v0, v18
	s_or_b32 s0, vcc_lo, s0
	s_and_not1_b32 exec_lo, exec_lo, s0
	s_cbranch_execnz .LBB227_253
.LBB227_254:
	s_or_b32 exec_lo, exec_lo, s1
	s_and_b32 s0, s2, s30
	s_delay_alu instid0(SALU_CYCLE_1)
	s_and_saveexec_b32 s1, s0
	s_cbranch_execz .LBB227_127
.LBB227_255:
	v_mov_b32_e32 v19, 0
	s_delay_alu instid0(VALU_DEP_1) | instskip(SKIP_1) | instid1(VALU_DEP_1)
	v_add_nc_u64_e32 v[0:1], v[16:17], v[18:19]
	v_mov_b32_e32 v21, v19
	v_add_nc_u64_e32 v[0:1], v[0:1], v[20:21]
	global_store_b64 v19, v[0:1], s[28:29]
	s_sendmsg sendmsg(MSG_DEALLOC_VGPRS)
	s_endpgm
	.section	.rodata,"a",@progbits
	.p2align	6, 0x0
	.amdhsa_kernel _ZN7rocprim17ROCPRIM_400000_NS6detail17trampoline_kernelINS0_14default_configENS1_25partition_config_selectorILNS1_17partition_subalgoE8EaNS0_10empty_typeEbEEZZNS1_14partition_implILS5_8ELb0ES3_jPKaPS6_PKS6_NS0_5tupleIJPaS6_EEENSE_IJSB_SB_EEENS0_18inequality_wrapperIN6hipcub16HIPCUB_304000_NS8EqualityEEEPlJS6_EEE10hipError_tPvRmT3_T4_T5_T6_T7_T9_mT8_P12ihipStream_tbDpT10_ENKUlT_T0_E_clISt17integral_constantIbLb0EES16_IbLb1EEEEDaS12_S13_EUlS12_E_NS1_11comp_targetILNS1_3genE0ELNS1_11target_archE4294967295ELNS1_3gpuE0ELNS1_3repE0EEENS1_30default_config_static_selectorELNS0_4arch9wavefront6targetE0EEEvT1_
		.amdhsa_group_segment_fixed_size 7176
		.amdhsa_private_segment_fixed_size 0
		.amdhsa_kernarg_size 128
		.amdhsa_user_sgpr_count 2
		.amdhsa_user_sgpr_dispatch_ptr 0
		.amdhsa_user_sgpr_queue_ptr 0
		.amdhsa_user_sgpr_kernarg_segment_ptr 1
		.amdhsa_user_sgpr_dispatch_id 0
		.amdhsa_user_sgpr_kernarg_preload_length 0
		.amdhsa_user_sgpr_kernarg_preload_offset 0
		.amdhsa_user_sgpr_private_segment_size 0
		.amdhsa_wavefront_size32 1
		.amdhsa_uses_dynamic_stack 0
		.amdhsa_enable_private_segment 0
		.amdhsa_system_sgpr_workgroup_id_x 1
		.amdhsa_system_sgpr_workgroup_id_y 0
		.amdhsa_system_sgpr_workgroup_id_z 0
		.amdhsa_system_sgpr_workgroup_info 0
		.amdhsa_system_vgpr_workitem_id 0
		.amdhsa_next_free_vgpr 110
		.amdhsa_next_free_sgpr 49
		.amdhsa_named_barrier_count 0
		.amdhsa_reserve_vcc 1
		.amdhsa_float_round_mode_32 0
		.amdhsa_float_round_mode_16_64 0
		.amdhsa_float_denorm_mode_32 3
		.amdhsa_float_denorm_mode_16_64 3
		.amdhsa_fp16_overflow 0
		.amdhsa_memory_ordered 1
		.amdhsa_forward_progress 1
		.amdhsa_inst_pref_size 112
		.amdhsa_round_robin_scheduling 0
		.amdhsa_exception_fp_ieee_invalid_op 0
		.amdhsa_exception_fp_denorm_src 0
		.amdhsa_exception_fp_ieee_div_zero 0
		.amdhsa_exception_fp_ieee_overflow 0
		.amdhsa_exception_fp_ieee_underflow 0
		.amdhsa_exception_fp_ieee_inexact 0
		.amdhsa_exception_int_div_zero 0
	.end_amdhsa_kernel
	.section	.text._ZN7rocprim17ROCPRIM_400000_NS6detail17trampoline_kernelINS0_14default_configENS1_25partition_config_selectorILNS1_17partition_subalgoE8EaNS0_10empty_typeEbEEZZNS1_14partition_implILS5_8ELb0ES3_jPKaPS6_PKS6_NS0_5tupleIJPaS6_EEENSE_IJSB_SB_EEENS0_18inequality_wrapperIN6hipcub16HIPCUB_304000_NS8EqualityEEEPlJS6_EEE10hipError_tPvRmT3_T4_T5_T6_T7_T9_mT8_P12ihipStream_tbDpT10_ENKUlT_T0_E_clISt17integral_constantIbLb0EES16_IbLb1EEEEDaS12_S13_EUlS12_E_NS1_11comp_targetILNS1_3genE0ELNS1_11target_archE4294967295ELNS1_3gpuE0ELNS1_3repE0EEENS1_30default_config_static_selectorELNS0_4arch9wavefront6targetE0EEEvT1_,"axG",@progbits,_ZN7rocprim17ROCPRIM_400000_NS6detail17trampoline_kernelINS0_14default_configENS1_25partition_config_selectorILNS1_17partition_subalgoE8EaNS0_10empty_typeEbEEZZNS1_14partition_implILS5_8ELb0ES3_jPKaPS6_PKS6_NS0_5tupleIJPaS6_EEENSE_IJSB_SB_EEENS0_18inequality_wrapperIN6hipcub16HIPCUB_304000_NS8EqualityEEEPlJS6_EEE10hipError_tPvRmT3_T4_T5_T6_T7_T9_mT8_P12ihipStream_tbDpT10_ENKUlT_T0_E_clISt17integral_constantIbLb0EES16_IbLb1EEEEDaS12_S13_EUlS12_E_NS1_11comp_targetILNS1_3genE0ELNS1_11target_archE4294967295ELNS1_3gpuE0ELNS1_3repE0EEENS1_30default_config_static_selectorELNS0_4arch9wavefront6targetE0EEEvT1_,comdat
.Lfunc_end227:
	.size	_ZN7rocprim17ROCPRIM_400000_NS6detail17trampoline_kernelINS0_14default_configENS1_25partition_config_selectorILNS1_17partition_subalgoE8EaNS0_10empty_typeEbEEZZNS1_14partition_implILS5_8ELb0ES3_jPKaPS6_PKS6_NS0_5tupleIJPaS6_EEENSE_IJSB_SB_EEENS0_18inequality_wrapperIN6hipcub16HIPCUB_304000_NS8EqualityEEEPlJS6_EEE10hipError_tPvRmT3_T4_T5_T6_T7_T9_mT8_P12ihipStream_tbDpT10_ENKUlT_T0_E_clISt17integral_constantIbLb0EES16_IbLb1EEEEDaS12_S13_EUlS12_E_NS1_11comp_targetILNS1_3genE0ELNS1_11target_archE4294967295ELNS1_3gpuE0ELNS1_3repE0EEENS1_30default_config_static_selectorELNS0_4arch9wavefront6targetE0EEEvT1_, .Lfunc_end227-_ZN7rocprim17ROCPRIM_400000_NS6detail17trampoline_kernelINS0_14default_configENS1_25partition_config_selectorILNS1_17partition_subalgoE8EaNS0_10empty_typeEbEEZZNS1_14partition_implILS5_8ELb0ES3_jPKaPS6_PKS6_NS0_5tupleIJPaS6_EEENSE_IJSB_SB_EEENS0_18inequality_wrapperIN6hipcub16HIPCUB_304000_NS8EqualityEEEPlJS6_EEE10hipError_tPvRmT3_T4_T5_T6_T7_T9_mT8_P12ihipStream_tbDpT10_ENKUlT_T0_E_clISt17integral_constantIbLb0EES16_IbLb1EEEEDaS12_S13_EUlS12_E_NS1_11comp_targetILNS1_3genE0ELNS1_11target_archE4294967295ELNS1_3gpuE0ELNS1_3repE0EEENS1_30default_config_static_selectorELNS0_4arch9wavefront6targetE0EEEvT1_
                                        ; -- End function
	.set _ZN7rocprim17ROCPRIM_400000_NS6detail17trampoline_kernelINS0_14default_configENS1_25partition_config_selectorILNS1_17partition_subalgoE8EaNS0_10empty_typeEbEEZZNS1_14partition_implILS5_8ELb0ES3_jPKaPS6_PKS6_NS0_5tupleIJPaS6_EEENSE_IJSB_SB_EEENS0_18inequality_wrapperIN6hipcub16HIPCUB_304000_NS8EqualityEEEPlJS6_EEE10hipError_tPvRmT3_T4_T5_T6_T7_T9_mT8_P12ihipStream_tbDpT10_ENKUlT_T0_E_clISt17integral_constantIbLb0EES16_IbLb1EEEEDaS12_S13_EUlS12_E_NS1_11comp_targetILNS1_3genE0ELNS1_11target_archE4294967295ELNS1_3gpuE0ELNS1_3repE0EEENS1_30default_config_static_selectorELNS0_4arch9wavefront6targetE0EEEvT1_.num_vgpr, 110
	.set _ZN7rocprim17ROCPRIM_400000_NS6detail17trampoline_kernelINS0_14default_configENS1_25partition_config_selectorILNS1_17partition_subalgoE8EaNS0_10empty_typeEbEEZZNS1_14partition_implILS5_8ELb0ES3_jPKaPS6_PKS6_NS0_5tupleIJPaS6_EEENSE_IJSB_SB_EEENS0_18inequality_wrapperIN6hipcub16HIPCUB_304000_NS8EqualityEEEPlJS6_EEE10hipError_tPvRmT3_T4_T5_T6_T7_T9_mT8_P12ihipStream_tbDpT10_ENKUlT_T0_E_clISt17integral_constantIbLb0EES16_IbLb1EEEEDaS12_S13_EUlS12_E_NS1_11comp_targetILNS1_3genE0ELNS1_11target_archE4294967295ELNS1_3gpuE0ELNS1_3repE0EEENS1_30default_config_static_selectorELNS0_4arch9wavefront6targetE0EEEvT1_.num_agpr, 0
	.set _ZN7rocprim17ROCPRIM_400000_NS6detail17trampoline_kernelINS0_14default_configENS1_25partition_config_selectorILNS1_17partition_subalgoE8EaNS0_10empty_typeEbEEZZNS1_14partition_implILS5_8ELb0ES3_jPKaPS6_PKS6_NS0_5tupleIJPaS6_EEENSE_IJSB_SB_EEENS0_18inequality_wrapperIN6hipcub16HIPCUB_304000_NS8EqualityEEEPlJS6_EEE10hipError_tPvRmT3_T4_T5_T6_T7_T9_mT8_P12ihipStream_tbDpT10_ENKUlT_T0_E_clISt17integral_constantIbLb0EES16_IbLb1EEEEDaS12_S13_EUlS12_E_NS1_11comp_targetILNS1_3genE0ELNS1_11target_archE4294967295ELNS1_3gpuE0ELNS1_3repE0EEENS1_30default_config_static_selectorELNS0_4arch9wavefront6targetE0EEEvT1_.numbered_sgpr, 49
	.set _ZN7rocprim17ROCPRIM_400000_NS6detail17trampoline_kernelINS0_14default_configENS1_25partition_config_selectorILNS1_17partition_subalgoE8EaNS0_10empty_typeEbEEZZNS1_14partition_implILS5_8ELb0ES3_jPKaPS6_PKS6_NS0_5tupleIJPaS6_EEENSE_IJSB_SB_EEENS0_18inequality_wrapperIN6hipcub16HIPCUB_304000_NS8EqualityEEEPlJS6_EEE10hipError_tPvRmT3_T4_T5_T6_T7_T9_mT8_P12ihipStream_tbDpT10_ENKUlT_T0_E_clISt17integral_constantIbLb0EES16_IbLb1EEEEDaS12_S13_EUlS12_E_NS1_11comp_targetILNS1_3genE0ELNS1_11target_archE4294967295ELNS1_3gpuE0ELNS1_3repE0EEENS1_30default_config_static_selectorELNS0_4arch9wavefront6targetE0EEEvT1_.num_named_barrier, 0
	.set _ZN7rocprim17ROCPRIM_400000_NS6detail17trampoline_kernelINS0_14default_configENS1_25partition_config_selectorILNS1_17partition_subalgoE8EaNS0_10empty_typeEbEEZZNS1_14partition_implILS5_8ELb0ES3_jPKaPS6_PKS6_NS0_5tupleIJPaS6_EEENSE_IJSB_SB_EEENS0_18inequality_wrapperIN6hipcub16HIPCUB_304000_NS8EqualityEEEPlJS6_EEE10hipError_tPvRmT3_T4_T5_T6_T7_T9_mT8_P12ihipStream_tbDpT10_ENKUlT_T0_E_clISt17integral_constantIbLb0EES16_IbLb1EEEEDaS12_S13_EUlS12_E_NS1_11comp_targetILNS1_3genE0ELNS1_11target_archE4294967295ELNS1_3gpuE0ELNS1_3repE0EEENS1_30default_config_static_selectorELNS0_4arch9wavefront6targetE0EEEvT1_.private_seg_size, 0
	.set _ZN7rocprim17ROCPRIM_400000_NS6detail17trampoline_kernelINS0_14default_configENS1_25partition_config_selectorILNS1_17partition_subalgoE8EaNS0_10empty_typeEbEEZZNS1_14partition_implILS5_8ELb0ES3_jPKaPS6_PKS6_NS0_5tupleIJPaS6_EEENSE_IJSB_SB_EEENS0_18inequality_wrapperIN6hipcub16HIPCUB_304000_NS8EqualityEEEPlJS6_EEE10hipError_tPvRmT3_T4_T5_T6_T7_T9_mT8_P12ihipStream_tbDpT10_ENKUlT_T0_E_clISt17integral_constantIbLb0EES16_IbLb1EEEEDaS12_S13_EUlS12_E_NS1_11comp_targetILNS1_3genE0ELNS1_11target_archE4294967295ELNS1_3gpuE0ELNS1_3repE0EEENS1_30default_config_static_selectorELNS0_4arch9wavefront6targetE0EEEvT1_.uses_vcc, 1
	.set _ZN7rocprim17ROCPRIM_400000_NS6detail17trampoline_kernelINS0_14default_configENS1_25partition_config_selectorILNS1_17partition_subalgoE8EaNS0_10empty_typeEbEEZZNS1_14partition_implILS5_8ELb0ES3_jPKaPS6_PKS6_NS0_5tupleIJPaS6_EEENSE_IJSB_SB_EEENS0_18inequality_wrapperIN6hipcub16HIPCUB_304000_NS8EqualityEEEPlJS6_EEE10hipError_tPvRmT3_T4_T5_T6_T7_T9_mT8_P12ihipStream_tbDpT10_ENKUlT_T0_E_clISt17integral_constantIbLb0EES16_IbLb1EEEEDaS12_S13_EUlS12_E_NS1_11comp_targetILNS1_3genE0ELNS1_11target_archE4294967295ELNS1_3gpuE0ELNS1_3repE0EEENS1_30default_config_static_selectorELNS0_4arch9wavefront6targetE0EEEvT1_.uses_flat_scratch, 0
	.set _ZN7rocprim17ROCPRIM_400000_NS6detail17trampoline_kernelINS0_14default_configENS1_25partition_config_selectorILNS1_17partition_subalgoE8EaNS0_10empty_typeEbEEZZNS1_14partition_implILS5_8ELb0ES3_jPKaPS6_PKS6_NS0_5tupleIJPaS6_EEENSE_IJSB_SB_EEENS0_18inequality_wrapperIN6hipcub16HIPCUB_304000_NS8EqualityEEEPlJS6_EEE10hipError_tPvRmT3_T4_T5_T6_T7_T9_mT8_P12ihipStream_tbDpT10_ENKUlT_T0_E_clISt17integral_constantIbLb0EES16_IbLb1EEEEDaS12_S13_EUlS12_E_NS1_11comp_targetILNS1_3genE0ELNS1_11target_archE4294967295ELNS1_3gpuE0ELNS1_3repE0EEENS1_30default_config_static_selectorELNS0_4arch9wavefront6targetE0EEEvT1_.has_dyn_sized_stack, 0
	.set _ZN7rocprim17ROCPRIM_400000_NS6detail17trampoline_kernelINS0_14default_configENS1_25partition_config_selectorILNS1_17partition_subalgoE8EaNS0_10empty_typeEbEEZZNS1_14partition_implILS5_8ELb0ES3_jPKaPS6_PKS6_NS0_5tupleIJPaS6_EEENSE_IJSB_SB_EEENS0_18inequality_wrapperIN6hipcub16HIPCUB_304000_NS8EqualityEEEPlJS6_EEE10hipError_tPvRmT3_T4_T5_T6_T7_T9_mT8_P12ihipStream_tbDpT10_ENKUlT_T0_E_clISt17integral_constantIbLb0EES16_IbLb1EEEEDaS12_S13_EUlS12_E_NS1_11comp_targetILNS1_3genE0ELNS1_11target_archE4294967295ELNS1_3gpuE0ELNS1_3repE0EEENS1_30default_config_static_selectorELNS0_4arch9wavefront6targetE0EEEvT1_.has_recursion, 0
	.set _ZN7rocprim17ROCPRIM_400000_NS6detail17trampoline_kernelINS0_14default_configENS1_25partition_config_selectorILNS1_17partition_subalgoE8EaNS0_10empty_typeEbEEZZNS1_14partition_implILS5_8ELb0ES3_jPKaPS6_PKS6_NS0_5tupleIJPaS6_EEENSE_IJSB_SB_EEENS0_18inequality_wrapperIN6hipcub16HIPCUB_304000_NS8EqualityEEEPlJS6_EEE10hipError_tPvRmT3_T4_T5_T6_T7_T9_mT8_P12ihipStream_tbDpT10_ENKUlT_T0_E_clISt17integral_constantIbLb0EES16_IbLb1EEEEDaS12_S13_EUlS12_E_NS1_11comp_targetILNS1_3genE0ELNS1_11target_archE4294967295ELNS1_3gpuE0ELNS1_3repE0EEENS1_30default_config_static_selectorELNS0_4arch9wavefront6targetE0EEEvT1_.has_indirect_call, 0
	.section	.AMDGPU.csdata,"",@progbits
; Kernel info:
; codeLenInByte = 14216
; TotalNumSgprs: 51
; NumVgprs: 110
; ScratchSize: 0
; MemoryBound: 0
; FloatMode: 240
; IeeeMode: 1
; LDSByteSize: 7176 bytes/workgroup (compile time only)
; SGPRBlocks: 0
; VGPRBlocks: 6
; NumSGPRsForWavesPerEU: 51
; NumVGPRsForWavesPerEU: 110
; NamedBarCnt: 0
; Occupancy: 9
; WaveLimiterHint : 1
; COMPUTE_PGM_RSRC2:SCRATCH_EN: 0
; COMPUTE_PGM_RSRC2:USER_SGPR: 2
; COMPUTE_PGM_RSRC2:TRAP_HANDLER: 0
; COMPUTE_PGM_RSRC2:TGID_X_EN: 1
; COMPUTE_PGM_RSRC2:TGID_Y_EN: 0
; COMPUTE_PGM_RSRC2:TGID_Z_EN: 0
; COMPUTE_PGM_RSRC2:TIDIG_COMP_CNT: 0
	.section	.text._ZN7rocprim17ROCPRIM_400000_NS6detail17trampoline_kernelINS0_14default_configENS1_25partition_config_selectorILNS1_17partition_subalgoE8EaNS0_10empty_typeEbEEZZNS1_14partition_implILS5_8ELb0ES3_jPKaPS6_PKS6_NS0_5tupleIJPaS6_EEENSE_IJSB_SB_EEENS0_18inequality_wrapperIN6hipcub16HIPCUB_304000_NS8EqualityEEEPlJS6_EEE10hipError_tPvRmT3_T4_T5_T6_T7_T9_mT8_P12ihipStream_tbDpT10_ENKUlT_T0_E_clISt17integral_constantIbLb0EES16_IbLb1EEEEDaS12_S13_EUlS12_E_NS1_11comp_targetILNS1_3genE5ELNS1_11target_archE942ELNS1_3gpuE9ELNS1_3repE0EEENS1_30default_config_static_selectorELNS0_4arch9wavefront6targetE0EEEvT1_,"axG",@progbits,_ZN7rocprim17ROCPRIM_400000_NS6detail17trampoline_kernelINS0_14default_configENS1_25partition_config_selectorILNS1_17partition_subalgoE8EaNS0_10empty_typeEbEEZZNS1_14partition_implILS5_8ELb0ES3_jPKaPS6_PKS6_NS0_5tupleIJPaS6_EEENSE_IJSB_SB_EEENS0_18inequality_wrapperIN6hipcub16HIPCUB_304000_NS8EqualityEEEPlJS6_EEE10hipError_tPvRmT3_T4_T5_T6_T7_T9_mT8_P12ihipStream_tbDpT10_ENKUlT_T0_E_clISt17integral_constantIbLb0EES16_IbLb1EEEEDaS12_S13_EUlS12_E_NS1_11comp_targetILNS1_3genE5ELNS1_11target_archE942ELNS1_3gpuE9ELNS1_3repE0EEENS1_30default_config_static_selectorELNS0_4arch9wavefront6targetE0EEEvT1_,comdat
	.protected	_ZN7rocprim17ROCPRIM_400000_NS6detail17trampoline_kernelINS0_14default_configENS1_25partition_config_selectorILNS1_17partition_subalgoE8EaNS0_10empty_typeEbEEZZNS1_14partition_implILS5_8ELb0ES3_jPKaPS6_PKS6_NS0_5tupleIJPaS6_EEENSE_IJSB_SB_EEENS0_18inequality_wrapperIN6hipcub16HIPCUB_304000_NS8EqualityEEEPlJS6_EEE10hipError_tPvRmT3_T4_T5_T6_T7_T9_mT8_P12ihipStream_tbDpT10_ENKUlT_T0_E_clISt17integral_constantIbLb0EES16_IbLb1EEEEDaS12_S13_EUlS12_E_NS1_11comp_targetILNS1_3genE5ELNS1_11target_archE942ELNS1_3gpuE9ELNS1_3repE0EEENS1_30default_config_static_selectorELNS0_4arch9wavefront6targetE0EEEvT1_ ; -- Begin function _ZN7rocprim17ROCPRIM_400000_NS6detail17trampoline_kernelINS0_14default_configENS1_25partition_config_selectorILNS1_17partition_subalgoE8EaNS0_10empty_typeEbEEZZNS1_14partition_implILS5_8ELb0ES3_jPKaPS6_PKS6_NS0_5tupleIJPaS6_EEENSE_IJSB_SB_EEENS0_18inequality_wrapperIN6hipcub16HIPCUB_304000_NS8EqualityEEEPlJS6_EEE10hipError_tPvRmT3_T4_T5_T6_T7_T9_mT8_P12ihipStream_tbDpT10_ENKUlT_T0_E_clISt17integral_constantIbLb0EES16_IbLb1EEEEDaS12_S13_EUlS12_E_NS1_11comp_targetILNS1_3genE5ELNS1_11target_archE942ELNS1_3gpuE9ELNS1_3repE0EEENS1_30default_config_static_selectorELNS0_4arch9wavefront6targetE0EEEvT1_
	.globl	_ZN7rocprim17ROCPRIM_400000_NS6detail17trampoline_kernelINS0_14default_configENS1_25partition_config_selectorILNS1_17partition_subalgoE8EaNS0_10empty_typeEbEEZZNS1_14partition_implILS5_8ELb0ES3_jPKaPS6_PKS6_NS0_5tupleIJPaS6_EEENSE_IJSB_SB_EEENS0_18inequality_wrapperIN6hipcub16HIPCUB_304000_NS8EqualityEEEPlJS6_EEE10hipError_tPvRmT3_T4_T5_T6_T7_T9_mT8_P12ihipStream_tbDpT10_ENKUlT_T0_E_clISt17integral_constantIbLb0EES16_IbLb1EEEEDaS12_S13_EUlS12_E_NS1_11comp_targetILNS1_3genE5ELNS1_11target_archE942ELNS1_3gpuE9ELNS1_3repE0EEENS1_30default_config_static_selectorELNS0_4arch9wavefront6targetE0EEEvT1_
	.p2align	8
	.type	_ZN7rocprim17ROCPRIM_400000_NS6detail17trampoline_kernelINS0_14default_configENS1_25partition_config_selectorILNS1_17partition_subalgoE8EaNS0_10empty_typeEbEEZZNS1_14partition_implILS5_8ELb0ES3_jPKaPS6_PKS6_NS0_5tupleIJPaS6_EEENSE_IJSB_SB_EEENS0_18inequality_wrapperIN6hipcub16HIPCUB_304000_NS8EqualityEEEPlJS6_EEE10hipError_tPvRmT3_T4_T5_T6_T7_T9_mT8_P12ihipStream_tbDpT10_ENKUlT_T0_E_clISt17integral_constantIbLb0EES16_IbLb1EEEEDaS12_S13_EUlS12_E_NS1_11comp_targetILNS1_3genE5ELNS1_11target_archE942ELNS1_3gpuE9ELNS1_3repE0EEENS1_30default_config_static_selectorELNS0_4arch9wavefront6targetE0EEEvT1_,@function
_ZN7rocprim17ROCPRIM_400000_NS6detail17trampoline_kernelINS0_14default_configENS1_25partition_config_selectorILNS1_17partition_subalgoE8EaNS0_10empty_typeEbEEZZNS1_14partition_implILS5_8ELb0ES3_jPKaPS6_PKS6_NS0_5tupleIJPaS6_EEENSE_IJSB_SB_EEENS0_18inequality_wrapperIN6hipcub16HIPCUB_304000_NS8EqualityEEEPlJS6_EEE10hipError_tPvRmT3_T4_T5_T6_T7_T9_mT8_P12ihipStream_tbDpT10_ENKUlT_T0_E_clISt17integral_constantIbLb0EES16_IbLb1EEEEDaS12_S13_EUlS12_E_NS1_11comp_targetILNS1_3genE5ELNS1_11target_archE942ELNS1_3gpuE9ELNS1_3repE0EEENS1_30default_config_static_selectorELNS0_4arch9wavefront6targetE0EEEvT1_: ; @_ZN7rocprim17ROCPRIM_400000_NS6detail17trampoline_kernelINS0_14default_configENS1_25partition_config_selectorILNS1_17partition_subalgoE8EaNS0_10empty_typeEbEEZZNS1_14partition_implILS5_8ELb0ES3_jPKaPS6_PKS6_NS0_5tupleIJPaS6_EEENSE_IJSB_SB_EEENS0_18inequality_wrapperIN6hipcub16HIPCUB_304000_NS8EqualityEEEPlJS6_EEE10hipError_tPvRmT3_T4_T5_T6_T7_T9_mT8_P12ihipStream_tbDpT10_ENKUlT_T0_E_clISt17integral_constantIbLb0EES16_IbLb1EEEEDaS12_S13_EUlS12_E_NS1_11comp_targetILNS1_3genE5ELNS1_11target_archE942ELNS1_3gpuE9ELNS1_3repE0EEENS1_30default_config_static_selectorELNS0_4arch9wavefront6targetE0EEEvT1_
; %bb.0:
	.section	.rodata,"a",@progbits
	.p2align	6, 0x0
	.amdhsa_kernel _ZN7rocprim17ROCPRIM_400000_NS6detail17trampoline_kernelINS0_14default_configENS1_25partition_config_selectorILNS1_17partition_subalgoE8EaNS0_10empty_typeEbEEZZNS1_14partition_implILS5_8ELb0ES3_jPKaPS6_PKS6_NS0_5tupleIJPaS6_EEENSE_IJSB_SB_EEENS0_18inequality_wrapperIN6hipcub16HIPCUB_304000_NS8EqualityEEEPlJS6_EEE10hipError_tPvRmT3_T4_T5_T6_T7_T9_mT8_P12ihipStream_tbDpT10_ENKUlT_T0_E_clISt17integral_constantIbLb0EES16_IbLb1EEEEDaS12_S13_EUlS12_E_NS1_11comp_targetILNS1_3genE5ELNS1_11target_archE942ELNS1_3gpuE9ELNS1_3repE0EEENS1_30default_config_static_selectorELNS0_4arch9wavefront6targetE0EEEvT1_
		.amdhsa_group_segment_fixed_size 0
		.amdhsa_private_segment_fixed_size 0
		.amdhsa_kernarg_size 128
		.amdhsa_user_sgpr_count 2
		.amdhsa_user_sgpr_dispatch_ptr 0
		.amdhsa_user_sgpr_queue_ptr 0
		.amdhsa_user_sgpr_kernarg_segment_ptr 1
		.amdhsa_user_sgpr_dispatch_id 0
		.amdhsa_user_sgpr_kernarg_preload_length 0
		.amdhsa_user_sgpr_kernarg_preload_offset 0
		.amdhsa_user_sgpr_private_segment_size 0
		.amdhsa_wavefront_size32 1
		.amdhsa_uses_dynamic_stack 0
		.amdhsa_enable_private_segment 0
		.amdhsa_system_sgpr_workgroup_id_x 1
		.amdhsa_system_sgpr_workgroup_id_y 0
		.amdhsa_system_sgpr_workgroup_id_z 0
		.amdhsa_system_sgpr_workgroup_info 0
		.amdhsa_system_vgpr_workitem_id 0
		.amdhsa_next_free_vgpr 1
		.amdhsa_next_free_sgpr 1
		.amdhsa_named_barrier_count 0
		.amdhsa_reserve_vcc 0
		.amdhsa_float_round_mode_32 0
		.amdhsa_float_round_mode_16_64 0
		.amdhsa_float_denorm_mode_32 3
		.amdhsa_float_denorm_mode_16_64 3
		.amdhsa_fp16_overflow 0
		.amdhsa_memory_ordered 1
		.amdhsa_forward_progress 1
		.amdhsa_inst_pref_size 0
		.amdhsa_round_robin_scheduling 0
		.amdhsa_exception_fp_ieee_invalid_op 0
		.amdhsa_exception_fp_denorm_src 0
		.amdhsa_exception_fp_ieee_div_zero 0
		.amdhsa_exception_fp_ieee_overflow 0
		.amdhsa_exception_fp_ieee_underflow 0
		.amdhsa_exception_fp_ieee_inexact 0
		.amdhsa_exception_int_div_zero 0
	.end_amdhsa_kernel
	.section	.text._ZN7rocprim17ROCPRIM_400000_NS6detail17trampoline_kernelINS0_14default_configENS1_25partition_config_selectorILNS1_17partition_subalgoE8EaNS0_10empty_typeEbEEZZNS1_14partition_implILS5_8ELb0ES3_jPKaPS6_PKS6_NS0_5tupleIJPaS6_EEENSE_IJSB_SB_EEENS0_18inequality_wrapperIN6hipcub16HIPCUB_304000_NS8EqualityEEEPlJS6_EEE10hipError_tPvRmT3_T4_T5_T6_T7_T9_mT8_P12ihipStream_tbDpT10_ENKUlT_T0_E_clISt17integral_constantIbLb0EES16_IbLb1EEEEDaS12_S13_EUlS12_E_NS1_11comp_targetILNS1_3genE5ELNS1_11target_archE942ELNS1_3gpuE9ELNS1_3repE0EEENS1_30default_config_static_selectorELNS0_4arch9wavefront6targetE0EEEvT1_,"axG",@progbits,_ZN7rocprim17ROCPRIM_400000_NS6detail17trampoline_kernelINS0_14default_configENS1_25partition_config_selectorILNS1_17partition_subalgoE8EaNS0_10empty_typeEbEEZZNS1_14partition_implILS5_8ELb0ES3_jPKaPS6_PKS6_NS0_5tupleIJPaS6_EEENSE_IJSB_SB_EEENS0_18inequality_wrapperIN6hipcub16HIPCUB_304000_NS8EqualityEEEPlJS6_EEE10hipError_tPvRmT3_T4_T5_T6_T7_T9_mT8_P12ihipStream_tbDpT10_ENKUlT_T0_E_clISt17integral_constantIbLb0EES16_IbLb1EEEEDaS12_S13_EUlS12_E_NS1_11comp_targetILNS1_3genE5ELNS1_11target_archE942ELNS1_3gpuE9ELNS1_3repE0EEENS1_30default_config_static_selectorELNS0_4arch9wavefront6targetE0EEEvT1_,comdat
.Lfunc_end228:
	.size	_ZN7rocprim17ROCPRIM_400000_NS6detail17trampoline_kernelINS0_14default_configENS1_25partition_config_selectorILNS1_17partition_subalgoE8EaNS0_10empty_typeEbEEZZNS1_14partition_implILS5_8ELb0ES3_jPKaPS6_PKS6_NS0_5tupleIJPaS6_EEENSE_IJSB_SB_EEENS0_18inequality_wrapperIN6hipcub16HIPCUB_304000_NS8EqualityEEEPlJS6_EEE10hipError_tPvRmT3_T4_T5_T6_T7_T9_mT8_P12ihipStream_tbDpT10_ENKUlT_T0_E_clISt17integral_constantIbLb0EES16_IbLb1EEEEDaS12_S13_EUlS12_E_NS1_11comp_targetILNS1_3genE5ELNS1_11target_archE942ELNS1_3gpuE9ELNS1_3repE0EEENS1_30default_config_static_selectorELNS0_4arch9wavefront6targetE0EEEvT1_, .Lfunc_end228-_ZN7rocprim17ROCPRIM_400000_NS6detail17trampoline_kernelINS0_14default_configENS1_25partition_config_selectorILNS1_17partition_subalgoE8EaNS0_10empty_typeEbEEZZNS1_14partition_implILS5_8ELb0ES3_jPKaPS6_PKS6_NS0_5tupleIJPaS6_EEENSE_IJSB_SB_EEENS0_18inequality_wrapperIN6hipcub16HIPCUB_304000_NS8EqualityEEEPlJS6_EEE10hipError_tPvRmT3_T4_T5_T6_T7_T9_mT8_P12ihipStream_tbDpT10_ENKUlT_T0_E_clISt17integral_constantIbLb0EES16_IbLb1EEEEDaS12_S13_EUlS12_E_NS1_11comp_targetILNS1_3genE5ELNS1_11target_archE942ELNS1_3gpuE9ELNS1_3repE0EEENS1_30default_config_static_selectorELNS0_4arch9wavefront6targetE0EEEvT1_
                                        ; -- End function
	.set _ZN7rocprim17ROCPRIM_400000_NS6detail17trampoline_kernelINS0_14default_configENS1_25partition_config_selectorILNS1_17partition_subalgoE8EaNS0_10empty_typeEbEEZZNS1_14partition_implILS5_8ELb0ES3_jPKaPS6_PKS6_NS0_5tupleIJPaS6_EEENSE_IJSB_SB_EEENS0_18inequality_wrapperIN6hipcub16HIPCUB_304000_NS8EqualityEEEPlJS6_EEE10hipError_tPvRmT3_T4_T5_T6_T7_T9_mT8_P12ihipStream_tbDpT10_ENKUlT_T0_E_clISt17integral_constantIbLb0EES16_IbLb1EEEEDaS12_S13_EUlS12_E_NS1_11comp_targetILNS1_3genE5ELNS1_11target_archE942ELNS1_3gpuE9ELNS1_3repE0EEENS1_30default_config_static_selectorELNS0_4arch9wavefront6targetE0EEEvT1_.num_vgpr, 0
	.set _ZN7rocprim17ROCPRIM_400000_NS6detail17trampoline_kernelINS0_14default_configENS1_25partition_config_selectorILNS1_17partition_subalgoE8EaNS0_10empty_typeEbEEZZNS1_14partition_implILS5_8ELb0ES3_jPKaPS6_PKS6_NS0_5tupleIJPaS6_EEENSE_IJSB_SB_EEENS0_18inequality_wrapperIN6hipcub16HIPCUB_304000_NS8EqualityEEEPlJS6_EEE10hipError_tPvRmT3_T4_T5_T6_T7_T9_mT8_P12ihipStream_tbDpT10_ENKUlT_T0_E_clISt17integral_constantIbLb0EES16_IbLb1EEEEDaS12_S13_EUlS12_E_NS1_11comp_targetILNS1_3genE5ELNS1_11target_archE942ELNS1_3gpuE9ELNS1_3repE0EEENS1_30default_config_static_selectorELNS0_4arch9wavefront6targetE0EEEvT1_.num_agpr, 0
	.set _ZN7rocprim17ROCPRIM_400000_NS6detail17trampoline_kernelINS0_14default_configENS1_25partition_config_selectorILNS1_17partition_subalgoE8EaNS0_10empty_typeEbEEZZNS1_14partition_implILS5_8ELb0ES3_jPKaPS6_PKS6_NS0_5tupleIJPaS6_EEENSE_IJSB_SB_EEENS0_18inequality_wrapperIN6hipcub16HIPCUB_304000_NS8EqualityEEEPlJS6_EEE10hipError_tPvRmT3_T4_T5_T6_T7_T9_mT8_P12ihipStream_tbDpT10_ENKUlT_T0_E_clISt17integral_constantIbLb0EES16_IbLb1EEEEDaS12_S13_EUlS12_E_NS1_11comp_targetILNS1_3genE5ELNS1_11target_archE942ELNS1_3gpuE9ELNS1_3repE0EEENS1_30default_config_static_selectorELNS0_4arch9wavefront6targetE0EEEvT1_.numbered_sgpr, 0
	.set _ZN7rocprim17ROCPRIM_400000_NS6detail17trampoline_kernelINS0_14default_configENS1_25partition_config_selectorILNS1_17partition_subalgoE8EaNS0_10empty_typeEbEEZZNS1_14partition_implILS5_8ELb0ES3_jPKaPS6_PKS6_NS0_5tupleIJPaS6_EEENSE_IJSB_SB_EEENS0_18inequality_wrapperIN6hipcub16HIPCUB_304000_NS8EqualityEEEPlJS6_EEE10hipError_tPvRmT3_T4_T5_T6_T7_T9_mT8_P12ihipStream_tbDpT10_ENKUlT_T0_E_clISt17integral_constantIbLb0EES16_IbLb1EEEEDaS12_S13_EUlS12_E_NS1_11comp_targetILNS1_3genE5ELNS1_11target_archE942ELNS1_3gpuE9ELNS1_3repE0EEENS1_30default_config_static_selectorELNS0_4arch9wavefront6targetE0EEEvT1_.num_named_barrier, 0
	.set _ZN7rocprim17ROCPRIM_400000_NS6detail17trampoline_kernelINS0_14default_configENS1_25partition_config_selectorILNS1_17partition_subalgoE8EaNS0_10empty_typeEbEEZZNS1_14partition_implILS5_8ELb0ES3_jPKaPS6_PKS6_NS0_5tupleIJPaS6_EEENSE_IJSB_SB_EEENS0_18inequality_wrapperIN6hipcub16HIPCUB_304000_NS8EqualityEEEPlJS6_EEE10hipError_tPvRmT3_T4_T5_T6_T7_T9_mT8_P12ihipStream_tbDpT10_ENKUlT_T0_E_clISt17integral_constantIbLb0EES16_IbLb1EEEEDaS12_S13_EUlS12_E_NS1_11comp_targetILNS1_3genE5ELNS1_11target_archE942ELNS1_3gpuE9ELNS1_3repE0EEENS1_30default_config_static_selectorELNS0_4arch9wavefront6targetE0EEEvT1_.private_seg_size, 0
	.set _ZN7rocprim17ROCPRIM_400000_NS6detail17trampoline_kernelINS0_14default_configENS1_25partition_config_selectorILNS1_17partition_subalgoE8EaNS0_10empty_typeEbEEZZNS1_14partition_implILS5_8ELb0ES3_jPKaPS6_PKS6_NS0_5tupleIJPaS6_EEENSE_IJSB_SB_EEENS0_18inequality_wrapperIN6hipcub16HIPCUB_304000_NS8EqualityEEEPlJS6_EEE10hipError_tPvRmT3_T4_T5_T6_T7_T9_mT8_P12ihipStream_tbDpT10_ENKUlT_T0_E_clISt17integral_constantIbLb0EES16_IbLb1EEEEDaS12_S13_EUlS12_E_NS1_11comp_targetILNS1_3genE5ELNS1_11target_archE942ELNS1_3gpuE9ELNS1_3repE0EEENS1_30default_config_static_selectorELNS0_4arch9wavefront6targetE0EEEvT1_.uses_vcc, 0
	.set _ZN7rocprim17ROCPRIM_400000_NS6detail17trampoline_kernelINS0_14default_configENS1_25partition_config_selectorILNS1_17partition_subalgoE8EaNS0_10empty_typeEbEEZZNS1_14partition_implILS5_8ELb0ES3_jPKaPS6_PKS6_NS0_5tupleIJPaS6_EEENSE_IJSB_SB_EEENS0_18inequality_wrapperIN6hipcub16HIPCUB_304000_NS8EqualityEEEPlJS6_EEE10hipError_tPvRmT3_T4_T5_T6_T7_T9_mT8_P12ihipStream_tbDpT10_ENKUlT_T0_E_clISt17integral_constantIbLb0EES16_IbLb1EEEEDaS12_S13_EUlS12_E_NS1_11comp_targetILNS1_3genE5ELNS1_11target_archE942ELNS1_3gpuE9ELNS1_3repE0EEENS1_30default_config_static_selectorELNS0_4arch9wavefront6targetE0EEEvT1_.uses_flat_scratch, 0
	.set _ZN7rocprim17ROCPRIM_400000_NS6detail17trampoline_kernelINS0_14default_configENS1_25partition_config_selectorILNS1_17partition_subalgoE8EaNS0_10empty_typeEbEEZZNS1_14partition_implILS5_8ELb0ES3_jPKaPS6_PKS6_NS0_5tupleIJPaS6_EEENSE_IJSB_SB_EEENS0_18inequality_wrapperIN6hipcub16HIPCUB_304000_NS8EqualityEEEPlJS6_EEE10hipError_tPvRmT3_T4_T5_T6_T7_T9_mT8_P12ihipStream_tbDpT10_ENKUlT_T0_E_clISt17integral_constantIbLb0EES16_IbLb1EEEEDaS12_S13_EUlS12_E_NS1_11comp_targetILNS1_3genE5ELNS1_11target_archE942ELNS1_3gpuE9ELNS1_3repE0EEENS1_30default_config_static_selectorELNS0_4arch9wavefront6targetE0EEEvT1_.has_dyn_sized_stack, 0
	.set _ZN7rocprim17ROCPRIM_400000_NS6detail17trampoline_kernelINS0_14default_configENS1_25partition_config_selectorILNS1_17partition_subalgoE8EaNS0_10empty_typeEbEEZZNS1_14partition_implILS5_8ELb0ES3_jPKaPS6_PKS6_NS0_5tupleIJPaS6_EEENSE_IJSB_SB_EEENS0_18inequality_wrapperIN6hipcub16HIPCUB_304000_NS8EqualityEEEPlJS6_EEE10hipError_tPvRmT3_T4_T5_T6_T7_T9_mT8_P12ihipStream_tbDpT10_ENKUlT_T0_E_clISt17integral_constantIbLb0EES16_IbLb1EEEEDaS12_S13_EUlS12_E_NS1_11comp_targetILNS1_3genE5ELNS1_11target_archE942ELNS1_3gpuE9ELNS1_3repE0EEENS1_30default_config_static_selectorELNS0_4arch9wavefront6targetE0EEEvT1_.has_recursion, 0
	.set _ZN7rocprim17ROCPRIM_400000_NS6detail17trampoline_kernelINS0_14default_configENS1_25partition_config_selectorILNS1_17partition_subalgoE8EaNS0_10empty_typeEbEEZZNS1_14partition_implILS5_8ELb0ES3_jPKaPS6_PKS6_NS0_5tupleIJPaS6_EEENSE_IJSB_SB_EEENS0_18inequality_wrapperIN6hipcub16HIPCUB_304000_NS8EqualityEEEPlJS6_EEE10hipError_tPvRmT3_T4_T5_T6_T7_T9_mT8_P12ihipStream_tbDpT10_ENKUlT_T0_E_clISt17integral_constantIbLb0EES16_IbLb1EEEEDaS12_S13_EUlS12_E_NS1_11comp_targetILNS1_3genE5ELNS1_11target_archE942ELNS1_3gpuE9ELNS1_3repE0EEENS1_30default_config_static_selectorELNS0_4arch9wavefront6targetE0EEEvT1_.has_indirect_call, 0
	.section	.AMDGPU.csdata,"",@progbits
; Kernel info:
; codeLenInByte = 0
; TotalNumSgprs: 0
; NumVgprs: 0
; ScratchSize: 0
; MemoryBound: 0
; FloatMode: 240
; IeeeMode: 1
; LDSByteSize: 0 bytes/workgroup (compile time only)
; SGPRBlocks: 0
; VGPRBlocks: 0
; NumSGPRsForWavesPerEU: 1
; NumVGPRsForWavesPerEU: 1
; NamedBarCnt: 0
; Occupancy: 16
; WaveLimiterHint : 0
; COMPUTE_PGM_RSRC2:SCRATCH_EN: 0
; COMPUTE_PGM_RSRC2:USER_SGPR: 2
; COMPUTE_PGM_RSRC2:TRAP_HANDLER: 0
; COMPUTE_PGM_RSRC2:TGID_X_EN: 1
; COMPUTE_PGM_RSRC2:TGID_Y_EN: 0
; COMPUTE_PGM_RSRC2:TGID_Z_EN: 0
; COMPUTE_PGM_RSRC2:TIDIG_COMP_CNT: 0
	.section	.text._ZN7rocprim17ROCPRIM_400000_NS6detail17trampoline_kernelINS0_14default_configENS1_25partition_config_selectorILNS1_17partition_subalgoE8EaNS0_10empty_typeEbEEZZNS1_14partition_implILS5_8ELb0ES3_jPKaPS6_PKS6_NS0_5tupleIJPaS6_EEENSE_IJSB_SB_EEENS0_18inequality_wrapperIN6hipcub16HIPCUB_304000_NS8EqualityEEEPlJS6_EEE10hipError_tPvRmT3_T4_T5_T6_T7_T9_mT8_P12ihipStream_tbDpT10_ENKUlT_T0_E_clISt17integral_constantIbLb0EES16_IbLb1EEEEDaS12_S13_EUlS12_E_NS1_11comp_targetILNS1_3genE4ELNS1_11target_archE910ELNS1_3gpuE8ELNS1_3repE0EEENS1_30default_config_static_selectorELNS0_4arch9wavefront6targetE0EEEvT1_,"axG",@progbits,_ZN7rocprim17ROCPRIM_400000_NS6detail17trampoline_kernelINS0_14default_configENS1_25partition_config_selectorILNS1_17partition_subalgoE8EaNS0_10empty_typeEbEEZZNS1_14partition_implILS5_8ELb0ES3_jPKaPS6_PKS6_NS0_5tupleIJPaS6_EEENSE_IJSB_SB_EEENS0_18inequality_wrapperIN6hipcub16HIPCUB_304000_NS8EqualityEEEPlJS6_EEE10hipError_tPvRmT3_T4_T5_T6_T7_T9_mT8_P12ihipStream_tbDpT10_ENKUlT_T0_E_clISt17integral_constantIbLb0EES16_IbLb1EEEEDaS12_S13_EUlS12_E_NS1_11comp_targetILNS1_3genE4ELNS1_11target_archE910ELNS1_3gpuE8ELNS1_3repE0EEENS1_30default_config_static_selectorELNS0_4arch9wavefront6targetE0EEEvT1_,comdat
	.protected	_ZN7rocprim17ROCPRIM_400000_NS6detail17trampoline_kernelINS0_14default_configENS1_25partition_config_selectorILNS1_17partition_subalgoE8EaNS0_10empty_typeEbEEZZNS1_14partition_implILS5_8ELb0ES3_jPKaPS6_PKS6_NS0_5tupleIJPaS6_EEENSE_IJSB_SB_EEENS0_18inequality_wrapperIN6hipcub16HIPCUB_304000_NS8EqualityEEEPlJS6_EEE10hipError_tPvRmT3_T4_T5_T6_T7_T9_mT8_P12ihipStream_tbDpT10_ENKUlT_T0_E_clISt17integral_constantIbLb0EES16_IbLb1EEEEDaS12_S13_EUlS12_E_NS1_11comp_targetILNS1_3genE4ELNS1_11target_archE910ELNS1_3gpuE8ELNS1_3repE0EEENS1_30default_config_static_selectorELNS0_4arch9wavefront6targetE0EEEvT1_ ; -- Begin function _ZN7rocprim17ROCPRIM_400000_NS6detail17trampoline_kernelINS0_14default_configENS1_25partition_config_selectorILNS1_17partition_subalgoE8EaNS0_10empty_typeEbEEZZNS1_14partition_implILS5_8ELb0ES3_jPKaPS6_PKS6_NS0_5tupleIJPaS6_EEENSE_IJSB_SB_EEENS0_18inequality_wrapperIN6hipcub16HIPCUB_304000_NS8EqualityEEEPlJS6_EEE10hipError_tPvRmT3_T4_T5_T6_T7_T9_mT8_P12ihipStream_tbDpT10_ENKUlT_T0_E_clISt17integral_constantIbLb0EES16_IbLb1EEEEDaS12_S13_EUlS12_E_NS1_11comp_targetILNS1_3genE4ELNS1_11target_archE910ELNS1_3gpuE8ELNS1_3repE0EEENS1_30default_config_static_selectorELNS0_4arch9wavefront6targetE0EEEvT1_
	.globl	_ZN7rocprim17ROCPRIM_400000_NS6detail17trampoline_kernelINS0_14default_configENS1_25partition_config_selectorILNS1_17partition_subalgoE8EaNS0_10empty_typeEbEEZZNS1_14partition_implILS5_8ELb0ES3_jPKaPS6_PKS6_NS0_5tupleIJPaS6_EEENSE_IJSB_SB_EEENS0_18inequality_wrapperIN6hipcub16HIPCUB_304000_NS8EqualityEEEPlJS6_EEE10hipError_tPvRmT3_T4_T5_T6_T7_T9_mT8_P12ihipStream_tbDpT10_ENKUlT_T0_E_clISt17integral_constantIbLb0EES16_IbLb1EEEEDaS12_S13_EUlS12_E_NS1_11comp_targetILNS1_3genE4ELNS1_11target_archE910ELNS1_3gpuE8ELNS1_3repE0EEENS1_30default_config_static_selectorELNS0_4arch9wavefront6targetE0EEEvT1_
	.p2align	8
	.type	_ZN7rocprim17ROCPRIM_400000_NS6detail17trampoline_kernelINS0_14default_configENS1_25partition_config_selectorILNS1_17partition_subalgoE8EaNS0_10empty_typeEbEEZZNS1_14partition_implILS5_8ELb0ES3_jPKaPS6_PKS6_NS0_5tupleIJPaS6_EEENSE_IJSB_SB_EEENS0_18inequality_wrapperIN6hipcub16HIPCUB_304000_NS8EqualityEEEPlJS6_EEE10hipError_tPvRmT3_T4_T5_T6_T7_T9_mT8_P12ihipStream_tbDpT10_ENKUlT_T0_E_clISt17integral_constantIbLb0EES16_IbLb1EEEEDaS12_S13_EUlS12_E_NS1_11comp_targetILNS1_3genE4ELNS1_11target_archE910ELNS1_3gpuE8ELNS1_3repE0EEENS1_30default_config_static_selectorELNS0_4arch9wavefront6targetE0EEEvT1_,@function
_ZN7rocprim17ROCPRIM_400000_NS6detail17trampoline_kernelINS0_14default_configENS1_25partition_config_selectorILNS1_17partition_subalgoE8EaNS0_10empty_typeEbEEZZNS1_14partition_implILS5_8ELb0ES3_jPKaPS6_PKS6_NS0_5tupleIJPaS6_EEENSE_IJSB_SB_EEENS0_18inequality_wrapperIN6hipcub16HIPCUB_304000_NS8EqualityEEEPlJS6_EEE10hipError_tPvRmT3_T4_T5_T6_T7_T9_mT8_P12ihipStream_tbDpT10_ENKUlT_T0_E_clISt17integral_constantIbLb0EES16_IbLb1EEEEDaS12_S13_EUlS12_E_NS1_11comp_targetILNS1_3genE4ELNS1_11target_archE910ELNS1_3gpuE8ELNS1_3repE0EEENS1_30default_config_static_selectorELNS0_4arch9wavefront6targetE0EEEvT1_: ; @_ZN7rocprim17ROCPRIM_400000_NS6detail17trampoline_kernelINS0_14default_configENS1_25partition_config_selectorILNS1_17partition_subalgoE8EaNS0_10empty_typeEbEEZZNS1_14partition_implILS5_8ELb0ES3_jPKaPS6_PKS6_NS0_5tupleIJPaS6_EEENSE_IJSB_SB_EEENS0_18inequality_wrapperIN6hipcub16HIPCUB_304000_NS8EqualityEEEPlJS6_EEE10hipError_tPvRmT3_T4_T5_T6_T7_T9_mT8_P12ihipStream_tbDpT10_ENKUlT_T0_E_clISt17integral_constantIbLb0EES16_IbLb1EEEEDaS12_S13_EUlS12_E_NS1_11comp_targetILNS1_3genE4ELNS1_11target_archE910ELNS1_3gpuE8ELNS1_3repE0EEENS1_30default_config_static_selectorELNS0_4arch9wavefront6targetE0EEEvT1_
; %bb.0:
	.section	.rodata,"a",@progbits
	.p2align	6, 0x0
	.amdhsa_kernel _ZN7rocprim17ROCPRIM_400000_NS6detail17trampoline_kernelINS0_14default_configENS1_25partition_config_selectorILNS1_17partition_subalgoE8EaNS0_10empty_typeEbEEZZNS1_14partition_implILS5_8ELb0ES3_jPKaPS6_PKS6_NS0_5tupleIJPaS6_EEENSE_IJSB_SB_EEENS0_18inequality_wrapperIN6hipcub16HIPCUB_304000_NS8EqualityEEEPlJS6_EEE10hipError_tPvRmT3_T4_T5_T6_T7_T9_mT8_P12ihipStream_tbDpT10_ENKUlT_T0_E_clISt17integral_constantIbLb0EES16_IbLb1EEEEDaS12_S13_EUlS12_E_NS1_11comp_targetILNS1_3genE4ELNS1_11target_archE910ELNS1_3gpuE8ELNS1_3repE0EEENS1_30default_config_static_selectorELNS0_4arch9wavefront6targetE0EEEvT1_
		.amdhsa_group_segment_fixed_size 0
		.amdhsa_private_segment_fixed_size 0
		.amdhsa_kernarg_size 128
		.amdhsa_user_sgpr_count 2
		.amdhsa_user_sgpr_dispatch_ptr 0
		.amdhsa_user_sgpr_queue_ptr 0
		.amdhsa_user_sgpr_kernarg_segment_ptr 1
		.amdhsa_user_sgpr_dispatch_id 0
		.amdhsa_user_sgpr_kernarg_preload_length 0
		.amdhsa_user_sgpr_kernarg_preload_offset 0
		.amdhsa_user_sgpr_private_segment_size 0
		.amdhsa_wavefront_size32 1
		.amdhsa_uses_dynamic_stack 0
		.amdhsa_enable_private_segment 0
		.amdhsa_system_sgpr_workgroup_id_x 1
		.amdhsa_system_sgpr_workgroup_id_y 0
		.amdhsa_system_sgpr_workgroup_id_z 0
		.amdhsa_system_sgpr_workgroup_info 0
		.amdhsa_system_vgpr_workitem_id 0
		.amdhsa_next_free_vgpr 1
		.amdhsa_next_free_sgpr 1
		.amdhsa_named_barrier_count 0
		.amdhsa_reserve_vcc 0
		.amdhsa_float_round_mode_32 0
		.amdhsa_float_round_mode_16_64 0
		.amdhsa_float_denorm_mode_32 3
		.amdhsa_float_denorm_mode_16_64 3
		.amdhsa_fp16_overflow 0
		.amdhsa_memory_ordered 1
		.amdhsa_forward_progress 1
		.amdhsa_inst_pref_size 0
		.amdhsa_round_robin_scheduling 0
		.amdhsa_exception_fp_ieee_invalid_op 0
		.amdhsa_exception_fp_denorm_src 0
		.amdhsa_exception_fp_ieee_div_zero 0
		.amdhsa_exception_fp_ieee_overflow 0
		.amdhsa_exception_fp_ieee_underflow 0
		.amdhsa_exception_fp_ieee_inexact 0
		.amdhsa_exception_int_div_zero 0
	.end_amdhsa_kernel
	.section	.text._ZN7rocprim17ROCPRIM_400000_NS6detail17trampoline_kernelINS0_14default_configENS1_25partition_config_selectorILNS1_17partition_subalgoE8EaNS0_10empty_typeEbEEZZNS1_14partition_implILS5_8ELb0ES3_jPKaPS6_PKS6_NS0_5tupleIJPaS6_EEENSE_IJSB_SB_EEENS0_18inequality_wrapperIN6hipcub16HIPCUB_304000_NS8EqualityEEEPlJS6_EEE10hipError_tPvRmT3_T4_T5_T6_T7_T9_mT8_P12ihipStream_tbDpT10_ENKUlT_T0_E_clISt17integral_constantIbLb0EES16_IbLb1EEEEDaS12_S13_EUlS12_E_NS1_11comp_targetILNS1_3genE4ELNS1_11target_archE910ELNS1_3gpuE8ELNS1_3repE0EEENS1_30default_config_static_selectorELNS0_4arch9wavefront6targetE0EEEvT1_,"axG",@progbits,_ZN7rocprim17ROCPRIM_400000_NS6detail17trampoline_kernelINS0_14default_configENS1_25partition_config_selectorILNS1_17partition_subalgoE8EaNS0_10empty_typeEbEEZZNS1_14partition_implILS5_8ELb0ES3_jPKaPS6_PKS6_NS0_5tupleIJPaS6_EEENSE_IJSB_SB_EEENS0_18inequality_wrapperIN6hipcub16HIPCUB_304000_NS8EqualityEEEPlJS6_EEE10hipError_tPvRmT3_T4_T5_T6_T7_T9_mT8_P12ihipStream_tbDpT10_ENKUlT_T0_E_clISt17integral_constantIbLb0EES16_IbLb1EEEEDaS12_S13_EUlS12_E_NS1_11comp_targetILNS1_3genE4ELNS1_11target_archE910ELNS1_3gpuE8ELNS1_3repE0EEENS1_30default_config_static_selectorELNS0_4arch9wavefront6targetE0EEEvT1_,comdat
.Lfunc_end229:
	.size	_ZN7rocprim17ROCPRIM_400000_NS6detail17trampoline_kernelINS0_14default_configENS1_25partition_config_selectorILNS1_17partition_subalgoE8EaNS0_10empty_typeEbEEZZNS1_14partition_implILS5_8ELb0ES3_jPKaPS6_PKS6_NS0_5tupleIJPaS6_EEENSE_IJSB_SB_EEENS0_18inequality_wrapperIN6hipcub16HIPCUB_304000_NS8EqualityEEEPlJS6_EEE10hipError_tPvRmT3_T4_T5_T6_T7_T9_mT8_P12ihipStream_tbDpT10_ENKUlT_T0_E_clISt17integral_constantIbLb0EES16_IbLb1EEEEDaS12_S13_EUlS12_E_NS1_11comp_targetILNS1_3genE4ELNS1_11target_archE910ELNS1_3gpuE8ELNS1_3repE0EEENS1_30default_config_static_selectorELNS0_4arch9wavefront6targetE0EEEvT1_, .Lfunc_end229-_ZN7rocprim17ROCPRIM_400000_NS6detail17trampoline_kernelINS0_14default_configENS1_25partition_config_selectorILNS1_17partition_subalgoE8EaNS0_10empty_typeEbEEZZNS1_14partition_implILS5_8ELb0ES3_jPKaPS6_PKS6_NS0_5tupleIJPaS6_EEENSE_IJSB_SB_EEENS0_18inequality_wrapperIN6hipcub16HIPCUB_304000_NS8EqualityEEEPlJS6_EEE10hipError_tPvRmT3_T4_T5_T6_T7_T9_mT8_P12ihipStream_tbDpT10_ENKUlT_T0_E_clISt17integral_constantIbLb0EES16_IbLb1EEEEDaS12_S13_EUlS12_E_NS1_11comp_targetILNS1_3genE4ELNS1_11target_archE910ELNS1_3gpuE8ELNS1_3repE0EEENS1_30default_config_static_selectorELNS0_4arch9wavefront6targetE0EEEvT1_
                                        ; -- End function
	.set _ZN7rocprim17ROCPRIM_400000_NS6detail17trampoline_kernelINS0_14default_configENS1_25partition_config_selectorILNS1_17partition_subalgoE8EaNS0_10empty_typeEbEEZZNS1_14partition_implILS5_8ELb0ES3_jPKaPS6_PKS6_NS0_5tupleIJPaS6_EEENSE_IJSB_SB_EEENS0_18inequality_wrapperIN6hipcub16HIPCUB_304000_NS8EqualityEEEPlJS6_EEE10hipError_tPvRmT3_T4_T5_T6_T7_T9_mT8_P12ihipStream_tbDpT10_ENKUlT_T0_E_clISt17integral_constantIbLb0EES16_IbLb1EEEEDaS12_S13_EUlS12_E_NS1_11comp_targetILNS1_3genE4ELNS1_11target_archE910ELNS1_3gpuE8ELNS1_3repE0EEENS1_30default_config_static_selectorELNS0_4arch9wavefront6targetE0EEEvT1_.num_vgpr, 0
	.set _ZN7rocprim17ROCPRIM_400000_NS6detail17trampoline_kernelINS0_14default_configENS1_25partition_config_selectorILNS1_17partition_subalgoE8EaNS0_10empty_typeEbEEZZNS1_14partition_implILS5_8ELb0ES3_jPKaPS6_PKS6_NS0_5tupleIJPaS6_EEENSE_IJSB_SB_EEENS0_18inequality_wrapperIN6hipcub16HIPCUB_304000_NS8EqualityEEEPlJS6_EEE10hipError_tPvRmT3_T4_T5_T6_T7_T9_mT8_P12ihipStream_tbDpT10_ENKUlT_T0_E_clISt17integral_constantIbLb0EES16_IbLb1EEEEDaS12_S13_EUlS12_E_NS1_11comp_targetILNS1_3genE4ELNS1_11target_archE910ELNS1_3gpuE8ELNS1_3repE0EEENS1_30default_config_static_selectorELNS0_4arch9wavefront6targetE0EEEvT1_.num_agpr, 0
	.set _ZN7rocprim17ROCPRIM_400000_NS6detail17trampoline_kernelINS0_14default_configENS1_25partition_config_selectorILNS1_17partition_subalgoE8EaNS0_10empty_typeEbEEZZNS1_14partition_implILS5_8ELb0ES3_jPKaPS6_PKS6_NS0_5tupleIJPaS6_EEENSE_IJSB_SB_EEENS0_18inequality_wrapperIN6hipcub16HIPCUB_304000_NS8EqualityEEEPlJS6_EEE10hipError_tPvRmT3_T4_T5_T6_T7_T9_mT8_P12ihipStream_tbDpT10_ENKUlT_T0_E_clISt17integral_constantIbLb0EES16_IbLb1EEEEDaS12_S13_EUlS12_E_NS1_11comp_targetILNS1_3genE4ELNS1_11target_archE910ELNS1_3gpuE8ELNS1_3repE0EEENS1_30default_config_static_selectorELNS0_4arch9wavefront6targetE0EEEvT1_.numbered_sgpr, 0
	.set _ZN7rocprim17ROCPRIM_400000_NS6detail17trampoline_kernelINS0_14default_configENS1_25partition_config_selectorILNS1_17partition_subalgoE8EaNS0_10empty_typeEbEEZZNS1_14partition_implILS5_8ELb0ES3_jPKaPS6_PKS6_NS0_5tupleIJPaS6_EEENSE_IJSB_SB_EEENS0_18inequality_wrapperIN6hipcub16HIPCUB_304000_NS8EqualityEEEPlJS6_EEE10hipError_tPvRmT3_T4_T5_T6_T7_T9_mT8_P12ihipStream_tbDpT10_ENKUlT_T0_E_clISt17integral_constantIbLb0EES16_IbLb1EEEEDaS12_S13_EUlS12_E_NS1_11comp_targetILNS1_3genE4ELNS1_11target_archE910ELNS1_3gpuE8ELNS1_3repE0EEENS1_30default_config_static_selectorELNS0_4arch9wavefront6targetE0EEEvT1_.num_named_barrier, 0
	.set _ZN7rocprim17ROCPRIM_400000_NS6detail17trampoline_kernelINS0_14default_configENS1_25partition_config_selectorILNS1_17partition_subalgoE8EaNS0_10empty_typeEbEEZZNS1_14partition_implILS5_8ELb0ES3_jPKaPS6_PKS6_NS0_5tupleIJPaS6_EEENSE_IJSB_SB_EEENS0_18inequality_wrapperIN6hipcub16HIPCUB_304000_NS8EqualityEEEPlJS6_EEE10hipError_tPvRmT3_T4_T5_T6_T7_T9_mT8_P12ihipStream_tbDpT10_ENKUlT_T0_E_clISt17integral_constantIbLb0EES16_IbLb1EEEEDaS12_S13_EUlS12_E_NS1_11comp_targetILNS1_3genE4ELNS1_11target_archE910ELNS1_3gpuE8ELNS1_3repE0EEENS1_30default_config_static_selectorELNS0_4arch9wavefront6targetE0EEEvT1_.private_seg_size, 0
	.set _ZN7rocprim17ROCPRIM_400000_NS6detail17trampoline_kernelINS0_14default_configENS1_25partition_config_selectorILNS1_17partition_subalgoE8EaNS0_10empty_typeEbEEZZNS1_14partition_implILS5_8ELb0ES3_jPKaPS6_PKS6_NS0_5tupleIJPaS6_EEENSE_IJSB_SB_EEENS0_18inequality_wrapperIN6hipcub16HIPCUB_304000_NS8EqualityEEEPlJS6_EEE10hipError_tPvRmT3_T4_T5_T6_T7_T9_mT8_P12ihipStream_tbDpT10_ENKUlT_T0_E_clISt17integral_constantIbLb0EES16_IbLb1EEEEDaS12_S13_EUlS12_E_NS1_11comp_targetILNS1_3genE4ELNS1_11target_archE910ELNS1_3gpuE8ELNS1_3repE0EEENS1_30default_config_static_selectorELNS0_4arch9wavefront6targetE0EEEvT1_.uses_vcc, 0
	.set _ZN7rocprim17ROCPRIM_400000_NS6detail17trampoline_kernelINS0_14default_configENS1_25partition_config_selectorILNS1_17partition_subalgoE8EaNS0_10empty_typeEbEEZZNS1_14partition_implILS5_8ELb0ES3_jPKaPS6_PKS6_NS0_5tupleIJPaS6_EEENSE_IJSB_SB_EEENS0_18inequality_wrapperIN6hipcub16HIPCUB_304000_NS8EqualityEEEPlJS6_EEE10hipError_tPvRmT3_T4_T5_T6_T7_T9_mT8_P12ihipStream_tbDpT10_ENKUlT_T0_E_clISt17integral_constantIbLb0EES16_IbLb1EEEEDaS12_S13_EUlS12_E_NS1_11comp_targetILNS1_3genE4ELNS1_11target_archE910ELNS1_3gpuE8ELNS1_3repE0EEENS1_30default_config_static_selectorELNS0_4arch9wavefront6targetE0EEEvT1_.uses_flat_scratch, 0
	.set _ZN7rocprim17ROCPRIM_400000_NS6detail17trampoline_kernelINS0_14default_configENS1_25partition_config_selectorILNS1_17partition_subalgoE8EaNS0_10empty_typeEbEEZZNS1_14partition_implILS5_8ELb0ES3_jPKaPS6_PKS6_NS0_5tupleIJPaS6_EEENSE_IJSB_SB_EEENS0_18inequality_wrapperIN6hipcub16HIPCUB_304000_NS8EqualityEEEPlJS6_EEE10hipError_tPvRmT3_T4_T5_T6_T7_T9_mT8_P12ihipStream_tbDpT10_ENKUlT_T0_E_clISt17integral_constantIbLb0EES16_IbLb1EEEEDaS12_S13_EUlS12_E_NS1_11comp_targetILNS1_3genE4ELNS1_11target_archE910ELNS1_3gpuE8ELNS1_3repE0EEENS1_30default_config_static_selectorELNS0_4arch9wavefront6targetE0EEEvT1_.has_dyn_sized_stack, 0
	.set _ZN7rocprim17ROCPRIM_400000_NS6detail17trampoline_kernelINS0_14default_configENS1_25partition_config_selectorILNS1_17partition_subalgoE8EaNS0_10empty_typeEbEEZZNS1_14partition_implILS5_8ELb0ES3_jPKaPS6_PKS6_NS0_5tupleIJPaS6_EEENSE_IJSB_SB_EEENS0_18inequality_wrapperIN6hipcub16HIPCUB_304000_NS8EqualityEEEPlJS6_EEE10hipError_tPvRmT3_T4_T5_T6_T7_T9_mT8_P12ihipStream_tbDpT10_ENKUlT_T0_E_clISt17integral_constantIbLb0EES16_IbLb1EEEEDaS12_S13_EUlS12_E_NS1_11comp_targetILNS1_3genE4ELNS1_11target_archE910ELNS1_3gpuE8ELNS1_3repE0EEENS1_30default_config_static_selectorELNS0_4arch9wavefront6targetE0EEEvT1_.has_recursion, 0
	.set _ZN7rocprim17ROCPRIM_400000_NS6detail17trampoline_kernelINS0_14default_configENS1_25partition_config_selectorILNS1_17partition_subalgoE8EaNS0_10empty_typeEbEEZZNS1_14partition_implILS5_8ELb0ES3_jPKaPS6_PKS6_NS0_5tupleIJPaS6_EEENSE_IJSB_SB_EEENS0_18inequality_wrapperIN6hipcub16HIPCUB_304000_NS8EqualityEEEPlJS6_EEE10hipError_tPvRmT3_T4_T5_T6_T7_T9_mT8_P12ihipStream_tbDpT10_ENKUlT_T0_E_clISt17integral_constantIbLb0EES16_IbLb1EEEEDaS12_S13_EUlS12_E_NS1_11comp_targetILNS1_3genE4ELNS1_11target_archE910ELNS1_3gpuE8ELNS1_3repE0EEENS1_30default_config_static_selectorELNS0_4arch9wavefront6targetE0EEEvT1_.has_indirect_call, 0
	.section	.AMDGPU.csdata,"",@progbits
; Kernel info:
; codeLenInByte = 0
; TotalNumSgprs: 0
; NumVgprs: 0
; ScratchSize: 0
; MemoryBound: 0
; FloatMode: 240
; IeeeMode: 1
; LDSByteSize: 0 bytes/workgroup (compile time only)
; SGPRBlocks: 0
; VGPRBlocks: 0
; NumSGPRsForWavesPerEU: 1
; NumVGPRsForWavesPerEU: 1
; NamedBarCnt: 0
; Occupancy: 16
; WaveLimiterHint : 0
; COMPUTE_PGM_RSRC2:SCRATCH_EN: 0
; COMPUTE_PGM_RSRC2:USER_SGPR: 2
; COMPUTE_PGM_RSRC2:TRAP_HANDLER: 0
; COMPUTE_PGM_RSRC2:TGID_X_EN: 1
; COMPUTE_PGM_RSRC2:TGID_Y_EN: 0
; COMPUTE_PGM_RSRC2:TGID_Z_EN: 0
; COMPUTE_PGM_RSRC2:TIDIG_COMP_CNT: 0
	.section	.text._ZN7rocprim17ROCPRIM_400000_NS6detail17trampoline_kernelINS0_14default_configENS1_25partition_config_selectorILNS1_17partition_subalgoE8EaNS0_10empty_typeEbEEZZNS1_14partition_implILS5_8ELb0ES3_jPKaPS6_PKS6_NS0_5tupleIJPaS6_EEENSE_IJSB_SB_EEENS0_18inequality_wrapperIN6hipcub16HIPCUB_304000_NS8EqualityEEEPlJS6_EEE10hipError_tPvRmT3_T4_T5_T6_T7_T9_mT8_P12ihipStream_tbDpT10_ENKUlT_T0_E_clISt17integral_constantIbLb0EES16_IbLb1EEEEDaS12_S13_EUlS12_E_NS1_11comp_targetILNS1_3genE3ELNS1_11target_archE908ELNS1_3gpuE7ELNS1_3repE0EEENS1_30default_config_static_selectorELNS0_4arch9wavefront6targetE0EEEvT1_,"axG",@progbits,_ZN7rocprim17ROCPRIM_400000_NS6detail17trampoline_kernelINS0_14default_configENS1_25partition_config_selectorILNS1_17partition_subalgoE8EaNS0_10empty_typeEbEEZZNS1_14partition_implILS5_8ELb0ES3_jPKaPS6_PKS6_NS0_5tupleIJPaS6_EEENSE_IJSB_SB_EEENS0_18inequality_wrapperIN6hipcub16HIPCUB_304000_NS8EqualityEEEPlJS6_EEE10hipError_tPvRmT3_T4_T5_T6_T7_T9_mT8_P12ihipStream_tbDpT10_ENKUlT_T0_E_clISt17integral_constantIbLb0EES16_IbLb1EEEEDaS12_S13_EUlS12_E_NS1_11comp_targetILNS1_3genE3ELNS1_11target_archE908ELNS1_3gpuE7ELNS1_3repE0EEENS1_30default_config_static_selectorELNS0_4arch9wavefront6targetE0EEEvT1_,comdat
	.protected	_ZN7rocprim17ROCPRIM_400000_NS6detail17trampoline_kernelINS0_14default_configENS1_25partition_config_selectorILNS1_17partition_subalgoE8EaNS0_10empty_typeEbEEZZNS1_14partition_implILS5_8ELb0ES3_jPKaPS6_PKS6_NS0_5tupleIJPaS6_EEENSE_IJSB_SB_EEENS0_18inequality_wrapperIN6hipcub16HIPCUB_304000_NS8EqualityEEEPlJS6_EEE10hipError_tPvRmT3_T4_T5_T6_T7_T9_mT8_P12ihipStream_tbDpT10_ENKUlT_T0_E_clISt17integral_constantIbLb0EES16_IbLb1EEEEDaS12_S13_EUlS12_E_NS1_11comp_targetILNS1_3genE3ELNS1_11target_archE908ELNS1_3gpuE7ELNS1_3repE0EEENS1_30default_config_static_selectorELNS0_4arch9wavefront6targetE0EEEvT1_ ; -- Begin function _ZN7rocprim17ROCPRIM_400000_NS6detail17trampoline_kernelINS0_14default_configENS1_25partition_config_selectorILNS1_17partition_subalgoE8EaNS0_10empty_typeEbEEZZNS1_14partition_implILS5_8ELb0ES3_jPKaPS6_PKS6_NS0_5tupleIJPaS6_EEENSE_IJSB_SB_EEENS0_18inequality_wrapperIN6hipcub16HIPCUB_304000_NS8EqualityEEEPlJS6_EEE10hipError_tPvRmT3_T4_T5_T6_T7_T9_mT8_P12ihipStream_tbDpT10_ENKUlT_T0_E_clISt17integral_constantIbLb0EES16_IbLb1EEEEDaS12_S13_EUlS12_E_NS1_11comp_targetILNS1_3genE3ELNS1_11target_archE908ELNS1_3gpuE7ELNS1_3repE0EEENS1_30default_config_static_selectorELNS0_4arch9wavefront6targetE0EEEvT1_
	.globl	_ZN7rocprim17ROCPRIM_400000_NS6detail17trampoline_kernelINS0_14default_configENS1_25partition_config_selectorILNS1_17partition_subalgoE8EaNS0_10empty_typeEbEEZZNS1_14partition_implILS5_8ELb0ES3_jPKaPS6_PKS6_NS0_5tupleIJPaS6_EEENSE_IJSB_SB_EEENS0_18inequality_wrapperIN6hipcub16HIPCUB_304000_NS8EqualityEEEPlJS6_EEE10hipError_tPvRmT3_T4_T5_T6_T7_T9_mT8_P12ihipStream_tbDpT10_ENKUlT_T0_E_clISt17integral_constantIbLb0EES16_IbLb1EEEEDaS12_S13_EUlS12_E_NS1_11comp_targetILNS1_3genE3ELNS1_11target_archE908ELNS1_3gpuE7ELNS1_3repE0EEENS1_30default_config_static_selectorELNS0_4arch9wavefront6targetE0EEEvT1_
	.p2align	8
	.type	_ZN7rocprim17ROCPRIM_400000_NS6detail17trampoline_kernelINS0_14default_configENS1_25partition_config_selectorILNS1_17partition_subalgoE8EaNS0_10empty_typeEbEEZZNS1_14partition_implILS5_8ELb0ES3_jPKaPS6_PKS6_NS0_5tupleIJPaS6_EEENSE_IJSB_SB_EEENS0_18inequality_wrapperIN6hipcub16HIPCUB_304000_NS8EqualityEEEPlJS6_EEE10hipError_tPvRmT3_T4_T5_T6_T7_T9_mT8_P12ihipStream_tbDpT10_ENKUlT_T0_E_clISt17integral_constantIbLb0EES16_IbLb1EEEEDaS12_S13_EUlS12_E_NS1_11comp_targetILNS1_3genE3ELNS1_11target_archE908ELNS1_3gpuE7ELNS1_3repE0EEENS1_30default_config_static_selectorELNS0_4arch9wavefront6targetE0EEEvT1_,@function
_ZN7rocprim17ROCPRIM_400000_NS6detail17trampoline_kernelINS0_14default_configENS1_25partition_config_selectorILNS1_17partition_subalgoE8EaNS0_10empty_typeEbEEZZNS1_14partition_implILS5_8ELb0ES3_jPKaPS6_PKS6_NS0_5tupleIJPaS6_EEENSE_IJSB_SB_EEENS0_18inequality_wrapperIN6hipcub16HIPCUB_304000_NS8EqualityEEEPlJS6_EEE10hipError_tPvRmT3_T4_T5_T6_T7_T9_mT8_P12ihipStream_tbDpT10_ENKUlT_T0_E_clISt17integral_constantIbLb0EES16_IbLb1EEEEDaS12_S13_EUlS12_E_NS1_11comp_targetILNS1_3genE3ELNS1_11target_archE908ELNS1_3gpuE7ELNS1_3repE0EEENS1_30default_config_static_selectorELNS0_4arch9wavefront6targetE0EEEvT1_: ; @_ZN7rocprim17ROCPRIM_400000_NS6detail17trampoline_kernelINS0_14default_configENS1_25partition_config_selectorILNS1_17partition_subalgoE8EaNS0_10empty_typeEbEEZZNS1_14partition_implILS5_8ELb0ES3_jPKaPS6_PKS6_NS0_5tupleIJPaS6_EEENSE_IJSB_SB_EEENS0_18inequality_wrapperIN6hipcub16HIPCUB_304000_NS8EqualityEEEPlJS6_EEE10hipError_tPvRmT3_T4_T5_T6_T7_T9_mT8_P12ihipStream_tbDpT10_ENKUlT_T0_E_clISt17integral_constantIbLb0EES16_IbLb1EEEEDaS12_S13_EUlS12_E_NS1_11comp_targetILNS1_3genE3ELNS1_11target_archE908ELNS1_3gpuE7ELNS1_3repE0EEENS1_30default_config_static_selectorELNS0_4arch9wavefront6targetE0EEEvT1_
; %bb.0:
	.section	.rodata,"a",@progbits
	.p2align	6, 0x0
	.amdhsa_kernel _ZN7rocprim17ROCPRIM_400000_NS6detail17trampoline_kernelINS0_14default_configENS1_25partition_config_selectorILNS1_17partition_subalgoE8EaNS0_10empty_typeEbEEZZNS1_14partition_implILS5_8ELb0ES3_jPKaPS6_PKS6_NS0_5tupleIJPaS6_EEENSE_IJSB_SB_EEENS0_18inequality_wrapperIN6hipcub16HIPCUB_304000_NS8EqualityEEEPlJS6_EEE10hipError_tPvRmT3_T4_T5_T6_T7_T9_mT8_P12ihipStream_tbDpT10_ENKUlT_T0_E_clISt17integral_constantIbLb0EES16_IbLb1EEEEDaS12_S13_EUlS12_E_NS1_11comp_targetILNS1_3genE3ELNS1_11target_archE908ELNS1_3gpuE7ELNS1_3repE0EEENS1_30default_config_static_selectorELNS0_4arch9wavefront6targetE0EEEvT1_
		.amdhsa_group_segment_fixed_size 0
		.amdhsa_private_segment_fixed_size 0
		.amdhsa_kernarg_size 128
		.amdhsa_user_sgpr_count 2
		.amdhsa_user_sgpr_dispatch_ptr 0
		.amdhsa_user_sgpr_queue_ptr 0
		.amdhsa_user_sgpr_kernarg_segment_ptr 1
		.amdhsa_user_sgpr_dispatch_id 0
		.amdhsa_user_sgpr_kernarg_preload_length 0
		.amdhsa_user_sgpr_kernarg_preload_offset 0
		.amdhsa_user_sgpr_private_segment_size 0
		.amdhsa_wavefront_size32 1
		.amdhsa_uses_dynamic_stack 0
		.amdhsa_enable_private_segment 0
		.amdhsa_system_sgpr_workgroup_id_x 1
		.amdhsa_system_sgpr_workgroup_id_y 0
		.amdhsa_system_sgpr_workgroup_id_z 0
		.amdhsa_system_sgpr_workgroup_info 0
		.amdhsa_system_vgpr_workitem_id 0
		.amdhsa_next_free_vgpr 1
		.amdhsa_next_free_sgpr 1
		.amdhsa_named_barrier_count 0
		.amdhsa_reserve_vcc 0
		.amdhsa_float_round_mode_32 0
		.amdhsa_float_round_mode_16_64 0
		.amdhsa_float_denorm_mode_32 3
		.amdhsa_float_denorm_mode_16_64 3
		.amdhsa_fp16_overflow 0
		.amdhsa_memory_ordered 1
		.amdhsa_forward_progress 1
		.amdhsa_inst_pref_size 0
		.amdhsa_round_robin_scheduling 0
		.amdhsa_exception_fp_ieee_invalid_op 0
		.amdhsa_exception_fp_denorm_src 0
		.amdhsa_exception_fp_ieee_div_zero 0
		.amdhsa_exception_fp_ieee_overflow 0
		.amdhsa_exception_fp_ieee_underflow 0
		.amdhsa_exception_fp_ieee_inexact 0
		.amdhsa_exception_int_div_zero 0
	.end_amdhsa_kernel
	.section	.text._ZN7rocprim17ROCPRIM_400000_NS6detail17trampoline_kernelINS0_14default_configENS1_25partition_config_selectorILNS1_17partition_subalgoE8EaNS0_10empty_typeEbEEZZNS1_14partition_implILS5_8ELb0ES3_jPKaPS6_PKS6_NS0_5tupleIJPaS6_EEENSE_IJSB_SB_EEENS0_18inequality_wrapperIN6hipcub16HIPCUB_304000_NS8EqualityEEEPlJS6_EEE10hipError_tPvRmT3_T4_T5_T6_T7_T9_mT8_P12ihipStream_tbDpT10_ENKUlT_T0_E_clISt17integral_constantIbLb0EES16_IbLb1EEEEDaS12_S13_EUlS12_E_NS1_11comp_targetILNS1_3genE3ELNS1_11target_archE908ELNS1_3gpuE7ELNS1_3repE0EEENS1_30default_config_static_selectorELNS0_4arch9wavefront6targetE0EEEvT1_,"axG",@progbits,_ZN7rocprim17ROCPRIM_400000_NS6detail17trampoline_kernelINS0_14default_configENS1_25partition_config_selectorILNS1_17partition_subalgoE8EaNS0_10empty_typeEbEEZZNS1_14partition_implILS5_8ELb0ES3_jPKaPS6_PKS6_NS0_5tupleIJPaS6_EEENSE_IJSB_SB_EEENS0_18inequality_wrapperIN6hipcub16HIPCUB_304000_NS8EqualityEEEPlJS6_EEE10hipError_tPvRmT3_T4_T5_T6_T7_T9_mT8_P12ihipStream_tbDpT10_ENKUlT_T0_E_clISt17integral_constantIbLb0EES16_IbLb1EEEEDaS12_S13_EUlS12_E_NS1_11comp_targetILNS1_3genE3ELNS1_11target_archE908ELNS1_3gpuE7ELNS1_3repE0EEENS1_30default_config_static_selectorELNS0_4arch9wavefront6targetE0EEEvT1_,comdat
.Lfunc_end230:
	.size	_ZN7rocprim17ROCPRIM_400000_NS6detail17trampoline_kernelINS0_14default_configENS1_25partition_config_selectorILNS1_17partition_subalgoE8EaNS0_10empty_typeEbEEZZNS1_14partition_implILS5_8ELb0ES3_jPKaPS6_PKS6_NS0_5tupleIJPaS6_EEENSE_IJSB_SB_EEENS0_18inequality_wrapperIN6hipcub16HIPCUB_304000_NS8EqualityEEEPlJS6_EEE10hipError_tPvRmT3_T4_T5_T6_T7_T9_mT8_P12ihipStream_tbDpT10_ENKUlT_T0_E_clISt17integral_constantIbLb0EES16_IbLb1EEEEDaS12_S13_EUlS12_E_NS1_11comp_targetILNS1_3genE3ELNS1_11target_archE908ELNS1_3gpuE7ELNS1_3repE0EEENS1_30default_config_static_selectorELNS0_4arch9wavefront6targetE0EEEvT1_, .Lfunc_end230-_ZN7rocprim17ROCPRIM_400000_NS6detail17trampoline_kernelINS0_14default_configENS1_25partition_config_selectorILNS1_17partition_subalgoE8EaNS0_10empty_typeEbEEZZNS1_14partition_implILS5_8ELb0ES3_jPKaPS6_PKS6_NS0_5tupleIJPaS6_EEENSE_IJSB_SB_EEENS0_18inequality_wrapperIN6hipcub16HIPCUB_304000_NS8EqualityEEEPlJS6_EEE10hipError_tPvRmT3_T4_T5_T6_T7_T9_mT8_P12ihipStream_tbDpT10_ENKUlT_T0_E_clISt17integral_constantIbLb0EES16_IbLb1EEEEDaS12_S13_EUlS12_E_NS1_11comp_targetILNS1_3genE3ELNS1_11target_archE908ELNS1_3gpuE7ELNS1_3repE0EEENS1_30default_config_static_selectorELNS0_4arch9wavefront6targetE0EEEvT1_
                                        ; -- End function
	.set _ZN7rocprim17ROCPRIM_400000_NS6detail17trampoline_kernelINS0_14default_configENS1_25partition_config_selectorILNS1_17partition_subalgoE8EaNS0_10empty_typeEbEEZZNS1_14partition_implILS5_8ELb0ES3_jPKaPS6_PKS6_NS0_5tupleIJPaS6_EEENSE_IJSB_SB_EEENS0_18inequality_wrapperIN6hipcub16HIPCUB_304000_NS8EqualityEEEPlJS6_EEE10hipError_tPvRmT3_T4_T5_T6_T7_T9_mT8_P12ihipStream_tbDpT10_ENKUlT_T0_E_clISt17integral_constantIbLb0EES16_IbLb1EEEEDaS12_S13_EUlS12_E_NS1_11comp_targetILNS1_3genE3ELNS1_11target_archE908ELNS1_3gpuE7ELNS1_3repE0EEENS1_30default_config_static_selectorELNS0_4arch9wavefront6targetE0EEEvT1_.num_vgpr, 0
	.set _ZN7rocprim17ROCPRIM_400000_NS6detail17trampoline_kernelINS0_14default_configENS1_25partition_config_selectorILNS1_17partition_subalgoE8EaNS0_10empty_typeEbEEZZNS1_14partition_implILS5_8ELb0ES3_jPKaPS6_PKS6_NS0_5tupleIJPaS6_EEENSE_IJSB_SB_EEENS0_18inequality_wrapperIN6hipcub16HIPCUB_304000_NS8EqualityEEEPlJS6_EEE10hipError_tPvRmT3_T4_T5_T6_T7_T9_mT8_P12ihipStream_tbDpT10_ENKUlT_T0_E_clISt17integral_constantIbLb0EES16_IbLb1EEEEDaS12_S13_EUlS12_E_NS1_11comp_targetILNS1_3genE3ELNS1_11target_archE908ELNS1_3gpuE7ELNS1_3repE0EEENS1_30default_config_static_selectorELNS0_4arch9wavefront6targetE0EEEvT1_.num_agpr, 0
	.set _ZN7rocprim17ROCPRIM_400000_NS6detail17trampoline_kernelINS0_14default_configENS1_25partition_config_selectorILNS1_17partition_subalgoE8EaNS0_10empty_typeEbEEZZNS1_14partition_implILS5_8ELb0ES3_jPKaPS6_PKS6_NS0_5tupleIJPaS6_EEENSE_IJSB_SB_EEENS0_18inequality_wrapperIN6hipcub16HIPCUB_304000_NS8EqualityEEEPlJS6_EEE10hipError_tPvRmT3_T4_T5_T6_T7_T9_mT8_P12ihipStream_tbDpT10_ENKUlT_T0_E_clISt17integral_constantIbLb0EES16_IbLb1EEEEDaS12_S13_EUlS12_E_NS1_11comp_targetILNS1_3genE3ELNS1_11target_archE908ELNS1_3gpuE7ELNS1_3repE0EEENS1_30default_config_static_selectorELNS0_4arch9wavefront6targetE0EEEvT1_.numbered_sgpr, 0
	.set _ZN7rocprim17ROCPRIM_400000_NS6detail17trampoline_kernelINS0_14default_configENS1_25partition_config_selectorILNS1_17partition_subalgoE8EaNS0_10empty_typeEbEEZZNS1_14partition_implILS5_8ELb0ES3_jPKaPS6_PKS6_NS0_5tupleIJPaS6_EEENSE_IJSB_SB_EEENS0_18inequality_wrapperIN6hipcub16HIPCUB_304000_NS8EqualityEEEPlJS6_EEE10hipError_tPvRmT3_T4_T5_T6_T7_T9_mT8_P12ihipStream_tbDpT10_ENKUlT_T0_E_clISt17integral_constantIbLb0EES16_IbLb1EEEEDaS12_S13_EUlS12_E_NS1_11comp_targetILNS1_3genE3ELNS1_11target_archE908ELNS1_3gpuE7ELNS1_3repE0EEENS1_30default_config_static_selectorELNS0_4arch9wavefront6targetE0EEEvT1_.num_named_barrier, 0
	.set _ZN7rocprim17ROCPRIM_400000_NS6detail17trampoline_kernelINS0_14default_configENS1_25partition_config_selectorILNS1_17partition_subalgoE8EaNS0_10empty_typeEbEEZZNS1_14partition_implILS5_8ELb0ES3_jPKaPS6_PKS6_NS0_5tupleIJPaS6_EEENSE_IJSB_SB_EEENS0_18inequality_wrapperIN6hipcub16HIPCUB_304000_NS8EqualityEEEPlJS6_EEE10hipError_tPvRmT3_T4_T5_T6_T7_T9_mT8_P12ihipStream_tbDpT10_ENKUlT_T0_E_clISt17integral_constantIbLb0EES16_IbLb1EEEEDaS12_S13_EUlS12_E_NS1_11comp_targetILNS1_3genE3ELNS1_11target_archE908ELNS1_3gpuE7ELNS1_3repE0EEENS1_30default_config_static_selectorELNS0_4arch9wavefront6targetE0EEEvT1_.private_seg_size, 0
	.set _ZN7rocprim17ROCPRIM_400000_NS6detail17trampoline_kernelINS0_14default_configENS1_25partition_config_selectorILNS1_17partition_subalgoE8EaNS0_10empty_typeEbEEZZNS1_14partition_implILS5_8ELb0ES3_jPKaPS6_PKS6_NS0_5tupleIJPaS6_EEENSE_IJSB_SB_EEENS0_18inequality_wrapperIN6hipcub16HIPCUB_304000_NS8EqualityEEEPlJS6_EEE10hipError_tPvRmT3_T4_T5_T6_T7_T9_mT8_P12ihipStream_tbDpT10_ENKUlT_T0_E_clISt17integral_constantIbLb0EES16_IbLb1EEEEDaS12_S13_EUlS12_E_NS1_11comp_targetILNS1_3genE3ELNS1_11target_archE908ELNS1_3gpuE7ELNS1_3repE0EEENS1_30default_config_static_selectorELNS0_4arch9wavefront6targetE0EEEvT1_.uses_vcc, 0
	.set _ZN7rocprim17ROCPRIM_400000_NS6detail17trampoline_kernelINS0_14default_configENS1_25partition_config_selectorILNS1_17partition_subalgoE8EaNS0_10empty_typeEbEEZZNS1_14partition_implILS5_8ELb0ES3_jPKaPS6_PKS6_NS0_5tupleIJPaS6_EEENSE_IJSB_SB_EEENS0_18inequality_wrapperIN6hipcub16HIPCUB_304000_NS8EqualityEEEPlJS6_EEE10hipError_tPvRmT3_T4_T5_T6_T7_T9_mT8_P12ihipStream_tbDpT10_ENKUlT_T0_E_clISt17integral_constantIbLb0EES16_IbLb1EEEEDaS12_S13_EUlS12_E_NS1_11comp_targetILNS1_3genE3ELNS1_11target_archE908ELNS1_3gpuE7ELNS1_3repE0EEENS1_30default_config_static_selectorELNS0_4arch9wavefront6targetE0EEEvT1_.uses_flat_scratch, 0
	.set _ZN7rocprim17ROCPRIM_400000_NS6detail17trampoline_kernelINS0_14default_configENS1_25partition_config_selectorILNS1_17partition_subalgoE8EaNS0_10empty_typeEbEEZZNS1_14partition_implILS5_8ELb0ES3_jPKaPS6_PKS6_NS0_5tupleIJPaS6_EEENSE_IJSB_SB_EEENS0_18inequality_wrapperIN6hipcub16HIPCUB_304000_NS8EqualityEEEPlJS6_EEE10hipError_tPvRmT3_T4_T5_T6_T7_T9_mT8_P12ihipStream_tbDpT10_ENKUlT_T0_E_clISt17integral_constantIbLb0EES16_IbLb1EEEEDaS12_S13_EUlS12_E_NS1_11comp_targetILNS1_3genE3ELNS1_11target_archE908ELNS1_3gpuE7ELNS1_3repE0EEENS1_30default_config_static_selectorELNS0_4arch9wavefront6targetE0EEEvT1_.has_dyn_sized_stack, 0
	.set _ZN7rocprim17ROCPRIM_400000_NS6detail17trampoline_kernelINS0_14default_configENS1_25partition_config_selectorILNS1_17partition_subalgoE8EaNS0_10empty_typeEbEEZZNS1_14partition_implILS5_8ELb0ES3_jPKaPS6_PKS6_NS0_5tupleIJPaS6_EEENSE_IJSB_SB_EEENS0_18inequality_wrapperIN6hipcub16HIPCUB_304000_NS8EqualityEEEPlJS6_EEE10hipError_tPvRmT3_T4_T5_T6_T7_T9_mT8_P12ihipStream_tbDpT10_ENKUlT_T0_E_clISt17integral_constantIbLb0EES16_IbLb1EEEEDaS12_S13_EUlS12_E_NS1_11comp_targetILNS1_3genE3ELNS1_11target_archE908ELNS1_3gpuE7ELNS1_3repE0EEENS1_30default_config_static_selectorELNS0_4arch9wavefront6targetE0EEEvT1_.has_recursion, 0
	.set _ZN7rocprim17ROCPRIM_400000_NS6detail17trampoline_kernelINS0_14default_configENS1_25partition_config_selectorILNS1_17partition_subalgoE8EaNS0_10empty_typeEbEEZZNS1_14partition_implILS5_8ELb0ES3_jPKaPS6_PKS6_NS0_5tupleIJPaS6_EEENSE_IJSB_SB_EEENS0_18inequality_wrapperIN6hipcub16HIPCUB_304000_NS8EqualityEEEPlJS6_EEE10hipError_tPvRmT3_T4_T5_T6_T7_T9_mT8_P12ihipStream_tbDpT10_ENKUlT_T0_E_clISt17integral_constantIbLb0EES16_IbLb1EEEEDaS12_S13_EUlS12_E_NS1_11comp_targetILNS1_3genE3ELNS1_11target_archE908ELNS1_3gpuE7ELNS1_3repE0EEENS1_30default_config_static_selectorELNS0_4arch9wavefront6targetE0EEEvT1_.has_indirect_call, 0
	.section	.AMDGPU.csdata,"",@progbits
; Kernel info:
; codeLenInByte = 0
; TotalNumSgprs: 0
; NumVgprs: 0
; ScratchSize: 0
; MemoryBound: 0
; FloatMode: 240
; IeeeMode: 1
; LDSByteSize: 0 bytes/workgroup (compile time only)
; SGPRBlocks: 0
; VGPRBlocks: 0
; NumSGPRsForWavesPerEU: 1
; NumVGPRsForWavesPerEU: 1
; NamedBarCnt: 0
; Occupancy: 16
; WaveLimiterHint : 0
; COMPUTE_PGM_RSRC2:SCRATCH_EN: 0
; COMPUTE_PGM_RSRC2:USER_SGPR: 2
; COMPUTE_PGM_RSRC2:TRAP_HANDLER: 0
; COMPUTE_PGM_RSRC2:TGID_X_EN: 1
; COMPUTE_PGM_RSRC2:TGID_Y_EN: 0
; COMPUTE_PGM_RSRC2:TGID_Z_EN: 0
; COMPUTE_PGM_RSRC2:TIDIG_COMP_CNT: 0
	.section	.text._ZN7rocprim17ROCPRIM_400000_NS6detail17trampoline_kernelINS0_14default_configENS1_25partition_config_selectorILNS1_17partition_subalgoE8EaNS0_10empty_typeEbEEZZNS1_14partition_implILS5_8ELb0ES3_jPKaPS6_PKS6_NS0_5tupleIJPaS6_EEENSE_IJSB_SB_EEENS0_18inequality_wrapperIN6hipcub16HIPCUB_304000_NS8EqualityEEEPlJS6_EEE10hipError_tPvRmT3_T4_T5_T6_T7_T9_mT8_P12ihipStream_tbDpT10_ENKUlT_T0_E_clISt17integral_constantIbLb0EES16_IbLb1EEEEDaS12_S13_EUlS12_E_NS1_11comp_targetILNS1_3genE2ELNS1_11target_archE906ELNS1_3gpuE6ELNS1_3repE0EEENS1_30default_config_static_selectorELNS0_4arch9wavefront6targetE0EEEvT1_,"axG",@progbits,_ZN7rocprim17ROCPRIM_400000_NS6detail17trampoline_kernelINS0_14default_configENS1_25partition_config_selectorILNS1_17partition_subalgoE8EaNS0_10empty_typeEbEEZZNS1_14partition_implILS5_8ELb0ES3_jPKaPS6_PKS6_NS0_5tupleIJPaS6_EEENSE_IJSB_SB_EEENS0_18inequality_wrapperIN6hipcub16HIPCUB_304000_NS8EqualityEEEPlJS6_EEE10hipError_tPvRmT3_T4_T5_T6_T7_T9_mT8_P12ihipStream_tbDpT10_ENKUlT_T0_E_clISt17integral_constantIbLb0EES16_IbLb1EEEEDaS12_S13_EUlS12_E_NS1_11comp_targetILNS1_3genE2ELNS1_11target_archE906ELNS1_3gpuE6ELNS1_3repE0EEENS1_30default_config_static_selectorELNS0_4arch9wavefront6targetE0EEEvT1_,comdat
	.protected	_ZN7rocprim17ROCPRIM_400000_NS6detail17trampoline_kernelINS0_14default_configENS1_25partition_config_selectorILNS1_17partition_subalgoE8EaNS0_10empty_typeEbEEZZNS1_14partition_implILS5_8ELb0ES3_jPKaPS6_PKS6_NS0_5tupleIJPaS6_EEENSE_IJSB_SB_EEENS0_18inequality_wrapperIN6hipcub16HIPCUB_304000_NS8EqualityEEEPlJS6_EEE10hipError_tPvRmT3_T4_T5_T6_T7_T9_mT8_P12ihipStream_tbDpT10_ENKUlT_T0_E_clISt17integral_constantIbLb0EES16_IbLb1EEEEDaS12_S13_EUlS12_E_NS1_11comp_targetILNS1_3genE2ELNS1_11target_archE906ELNS1_3gpuE6ELNS1_3repE0EEENS1_30default_config_static_selectorELNS0_4arch9wavefront6targetE0EEEvT1_ ; -- Begin function _ZN7rocprim17ROCPRIM_400000_NS6detail17trampoline_kernelINS0_14default_configENS1_25partition_config_selectorILNS1_17partition_subalgoE8EaNS0_10empty_typeEbEEZZNS1_14partition_implILS5_8ELb0ES3_jPKaPS6_PKS6_NS0_5tupleIJPaS6_EEENSE_IJSB_SB_EEENS0_18inequality_wrapperIN6hipcub16HIPCUB_304000_NS8EqualityEEEPlJS6_EEE10hipError_tPvRmT3_T4_T5_T6_T7_T9_mT8_P12ihipStream_tbDpT10_ENKUlT_T0_E_clISt17integral_constantIbLb0EES16_IbLb1EEEEDaS12_S13_EUlS12_E_NS1_11comp_targetILNS1_3genE2ELNS1_11target_archE906ELNS1_3gpuE6ELNS1_3repE0EEENS1_30default_config_static_selectorELNS0_4arch9wavefront6targetE0EEEvT1_
	.globl	_ZN7rocprim17ROCPRIM_400000_NS6detail17trampoline_kernelINS0_14default_configENS1_25partition_config_selectorILNS1_17partition_subalgoE8EaNS0_10empty_typeEbEEZZNS1_14partition_implILS5_8ELb0ES3_jPKaPS6_PKS6_NS0_5tupleIJPaS6_EEENSE_IJSB_SB_EEENS0_18inequality_wrapperIN6hipcub16HIPCUB_304000_NS8EqualityEEEPlJS6_EEE10hipError_tPvRmT3_T4_T5_T6_T7_T9_mT8_P12ihipStream_tbDpT10_ENKUlT_T0_E_clISt17integral_constantIbLb0EES16_IbLb1EEEEDaS12_S13_EUlS12_E_NS1_11comp_targetILNS1_3genE2ELNS1_11target_archE906ELNS1_3gpuE6ELNS1_3repE0EEENS1_30default_config_static_selectorELNS0_4arch9wavefront6targetE0EEEvT1_
	.p2align	8
	.type	_ZN7rocprim17ROCPRIM_400000_NS6detail17trampoline_kernelINS0_14default_configENS1_25partition_config_selectorILNS1_17partition_subalgoE8EaNS0_10empty_typeEbEEZZNS1_14partition_implILS5_8ELb0ES3_jPKaPS6_PKS6_NS0_5tupleIJPaS6_EEENSE_IJSB_SB_EEENS0_18inequality_wrapperIN6hipcub16HIPCUB_304000_NS8EqualityEEEPlJS6_EEE10hipError_tPvRmT3_T4_T5_T6_T7_T9_mT8_P12ihipStream_tbDpT10_ENKUlT_T0_E_clISt17integral_constantIbLb0EES16_IbLb1EEEEDaS12_S13_EUlS12_E_NS1_11comp_targetILNS1_3genE2ELNS1_11target_archE906ELNS1_3gpuE6ELNS1_3repE0EEENS1_30default_config_static_selectorELNS0_4arch9wavefront6targetE0EEEvT1_,@function
_ZN7rocprim17ROCPRIM_400000_NS6detail17trampoline_kernelINS0_14default_configENS1_25partition_config_selectorILNS1_17partition_subalgoE8EaNS0_10empty_typeEbEEZZNS1_14partition_implILS5_8ELb0ES3_jPKaPS6_PKS6_NS0_5tupleIJPaS6_EEENSE_IJSB_SB_EEENS0_18inequality_wrapperIN6hipcub16HIPCUB_304000_NS8EqualityEEEPlJS6_EEE10hipError_tPvRmT3_T4_T5_T6_T7_T9_mT8_P12ihipStream_tbDpT10_ENKUlT_T0_E_clISt17integral_constantIbLb0EES16_IbLb1EEEEDaS12_S13_EUlS12_E_NS1_11comp_targetILNS1_3genE2ELNS1_11target_archE906ELNS1_3gpuE6ELNS1_3repE0EEENS1_30default_config_static_selectorELNS0_4arch9wavefront6targetE0EEEvT1_: ; @_ZN7rocprim17ROCPRIM_400000_NS6detail17trampoline_kernelINS0_14default_configENS1_25partition_config_selectorILNS1_17partition_subalgoE8EaNS0_10empty_typeEbEEZZNS1_14partition_implILS5_8ELb0ES3_jPKaPS6_PKS6_NS0_5tupleIJPaS6_EEENSE_IJSB_SB_EEENS0_18inequality_wrapperIN6hipcub16HIPCUB_304000_NS8EqualityEEEPlJS6_EEE10hipError_tPvRmT3_T4_T5_T6_T7_T9_mT8_P12ihipStream_tbDpT10_ENKUlT_T0_E_clISt17integral_constantIbLb0EES16_IbLb1EEEEDaS12_S13_EUlS12_E_NS1_11comp_targetILNS1_3genE2ELNS1_11target_archE906ELNS1_3gpuE6ELNS1_3repE0EEENS1_30default_config_static_selectorELNS0_4arch9wavefront6targetE0EEEvT1_
; %bb.0:
	.section	.rodata,"a",@progbits
	.p2align	6, 0x0
	.amdhsa_kernel _ZN7rocprim17ROCPRIM_400000_NS6detail17trampoline_kernelINS0_14default_configENS1_25partition_config_selectorILNS1_17partition_subalgoE8EaNS0_10empty_typeEbEEZZNS1_14partition_implILS5_8ELb0ES3_jPKaPS6_PKS6_NS0_5tupleIJPaS6_EEENSE_IJSB_SB_EEENS0_18inequality_wrapperIN6hipcub16HIPCUB_304000_NS8EqualityEEEPlJS6_EEE10hipError_tPvRmT3_T4_T5_T6_T7_T9_mT8_P12ihipStream_tbDpT10_ENKUlT_T0_E_clISt17integral_constantIbLb0EES16_IbLb1EEEEDaS12_S13_EUlS12_E_NS1_11comp_targetILNS1_3genE2ELNS1_11target_archE906ELNS1_3gpuE6ELNS1_3repE0EEENS1_30default_config_static_selectorELNS0_4arch9wavefront6targetE0EEEvT1_
		.amdhsa_group_segment_fixed_size 0
		.amdhsa_private_segment_fixed_size 0
		.amdhsa_kernarg_size 128
		.amdhsa_user_sgpr_count 2
		.amdhsa_user_sgpr_dispatch_ptr 0
		.amdhsa_user_sgpr_queue_ptr 0
		.amdhsa_user_sgpr_kernarg_segment_ptr 1
		.amdhsa_user_sgpr_dispatch_id 0
		.amdhsa_user_sgpr_kernarg_preload_length 0
		.amdhsa_user_sgpr_kernarg_preload_offset 0
		.amdhsa_user_sgpr_private_segment_size 0
		.amdhsa_wavefront_size32 1
		.amdhsa_uses_dynamic_stack 0
		.amdhsa_enable_private_segment 0
		.amdhsa_system_sgpr_workgroup_id_x 1
		.amdhsa_system_sgpr_workgroup_id_y 0
		.amdhsa_system_sgpr_workgroup_id_z 0
		.amdhsa_system_sgpr_workgroup_info 0
		.amdhsa_system_vgpr_workitem_id 0
		.amdhsa_next_free_vgpr 1
		.amdhsa_next_free_sgpr 1
		.amdhsa_named_barrier_count 0
		.amdhsa_reserve_vcc 0
		.amdhsa_float_round_mode_32 0
		.amdhsa_float_round_mode_16_64 0
		.amdhsa_float_denorm_mode_32 3
		.amdhsa_float_denorm_mode_16_64 3
		.amdhsa_fp16_overflow 0
		.amdhsa_memory_ordered 1
		.amdhsa_forward_progress 1
		.amdhsa_inst_pref_size 0
		.amdhsa_round_robin_scheduling 0
		.amdhsa_exception_fp_ieee_invalid_op 0
		.amdhsa_exception_fp_denorm_src 0
		.amdhsa_exception_fp_ieee_div_zero 0
		.amdhsa_exception_fp_ieee_overflow 0
		.amdhsa_exception_fp_ieee_underflow 0
		.amdhsa_exception_fp_ieee_inexact 0
		.amdhsa_exception_int_div_zero 0
	.end_amdhsa_kernel
	.section	.text._ZN7rocprim17ROCPRIM_400000_NS6detail17trampoline_kernelINS0_14default_configENS1_25partition_config_selectorILNS1_17partition_subalgoE8EaNS0_10empty_typeEbEEZZNS1_14partition_implILS5_8ELb0ES3_jPKaPS6_PKS6_NS0_5tupleIJPaS6_EEENSE_IJSB_SB_EEENS0_18inequality_wrapperIN6hipcub16HIPCUB_304000_NS8EqualityEEEPlJS6_EEE10hipError_tPvRmT3_T4_T5_T6_T7_T9_mT8_P12ihipStream_tbDpT10_ENKUlT_T0_E_clISt17integral_constantIbLb0EES16_IbLb1EEEEDaS12_S13_EUlS12_E_NS1_11comp_targetILNS1_3genE2ELNS1_11target_archE906ELNS1_3gpuE6ELNS1_3repE0EEENS1_30default_config_static_selectorELNS0_4arch9wavefront6targetE0EEEvT1_,"axG",@progbits,_ZN7rocprim17ROCPRIM_400000_NS6detail17trampoline_kernelINS0_14default_configENS1_25partition_config_selectorILNS1_17partition_subalgoE8EaNS0_10empty_typeEbEEZZNS1_14partition_implILS5_8ELb0ES3_jPKaPS6_PKS6_NS0_5tupleIJPaS6_EEENSE_IJSB_SB_EEENS0_18inequality_wrapperIN6hipcub16HIPCUB_304000_NS8EqualityEEEPlJS6_EEE10hipError_tPvRmT3_T4_T5_T6_T7_T9_mT8_P12ihipStream_tbDpT10_ENKUlT_T0_E_clISt17integral_constantIbLb0EES16_IbLb1EEEEDaS12_S13_EUlS12_E_NS1_11comp_targetILNS1_3genE2ELNS1_11target_archE906ELNS1_3gpuE6ELNS1_3repE0EEENS1_30default_config_static_selectorELNS0_4arch9wavefront6targetE0EEEvT1_,comdat
.Lfunc_end231:
	.size	_ZN7rocprim17ROCPRIM_400000_NS6detail17trampoline_kernelINS0_14default_configENS1_25partition_config_selectorILNS1_17partition_subalgoE8EaNS0_10empty_typeEbEEZZNS1_14partition_implILS5_8ELb0ES3_jPKaPS6_PKS6_NS0_5tupleIJPaS6_EEENSE_IJSB_SB_EEENS0_18inequality_wrapperIN6hipcub16HIPCUB_304000_NS8EqualityEEEPlJS6_EEE10hipError_tPvRmT3_T4_T5_T6_T7_T9_mT8_P12ihipStream_tbDpT10_ENKUlT_T0_E_clISt17integral_constantIbLb0EES16_IbLb1EEEEDaS12_S13_EUlS12_E_NS1_11comp_targetILNS1_3genE2ELNS1_11target_archE906ELNS1_3gpuE6ELNS1_3repE0EEENS1_30default_config_static_selectorELNS0_4arch9wavefront6targetE0EEEvT1_, .Lfunc_end231-_ZN7rocprim17ROCPRIM_400000_NS6detail17trampoline_kernelINS0_14default_configENS1_25partition_config_selectorILNS1_17partition_subalgoE8EaNS0_10empty_typeEbEEZZNS1_14partition_implILS5_8ELb0ES3_jPKaPS6_PKS6_NS0_5tupleIJPaS6_EEENSE_IJSB_SB_EEENS0_18inequality_wrapperIN6hipcub16HIPCUB_304000_NS8EqualityEEEPlJS6_EEE10hipError_tPvRmT3_T4_T5_T6_T7_T9_mT8_P12ihipStream_tbDpT10_ENKUlT_T0_E_clISt17integral_constantIbLb0EES16_IbLb1EEEEDaS12_S13_EUlS12_E_NS1_11comp_targetILNS1_3genE2ELNS1_11target_archE906ELNS1_3gpuE6ELNS1_3repE0EEENS1_30default_config_static_selectorELNS0_4arch9wavefront6targetE0EEEvT1_
                                        ; -- End function
	.set _ZN7rocprim17ROCPRIM_400000_NS6detail17trampoline_kernelINS0_14default_configENS1_25partition_config_selectorILNS1_17partition_subalgoE8EaNS0_10empty_typeEbEEZZNS1_14partition_implILS5_8ELb0ES3_jPKaPS6_PKS6_NS0_5tupleIJPaS6_EEENSE_IJSB_SB_EEENS0_18inequality_wrapperIN6hipcub16HIPCUB_304000_NS8EqualityEEEPlJS6_EEE10hipError_tPvRmT3_T4_T5_T6_T7_T9_mT8_P12ihipStream_tbDpT10_ENKUlT_T0_E_clISt17integral_constantIbLb0EES16_IbLb1EEEEDaS12_S13_EUlS12_E_NS1_11comp_targetILNS1_3genE2ELNS1_11target_archE906ELNS1_3gpuE6ELNS1_3repE0EEENS1_30default_config_static_selectorELNS0_4arch9wavefront6targetE0EEEvT1_.num_vgpr, 0
	.set _ZN7rocprim17ROCPRIM_400000_NS6detail17trampoline_kernelINS0_14default_configENS1_25partition_config_selectorILNS1_17partition_subalgoE8EaNS0_10empty_typeEbEEZZNS1_14partition_implILS5_8ELb0ES3_jPKaPS6_PKS6_NS0_5tupleIJPaS6_EEENSE_IJSB_SB_EEENS0_18inequality_wrapperIN6hipcub16HIPCUB_304000_NS8EqualityEEEPlJS6_EEE10hipError_tPvRmT3_T4_T5_T6_T7_T9_mT8_P12ihipStream_tbDpT10_ENKUlT_T0_E_clISt17integral_constantIbLb0EES16_IbLb1EEEEDaS12_S13_EUlS12_E_NS1_11comp_targetILNS1_3genE2ELNS1_11target_archE906ELNS1_3gpuE6ELNS1_3repE0EEENS1_30default_config_static_selectorELNS0_4arch9wavefront6targetE0EEEvT1_.num_agpr, 0
	.set _ZN7rocprim17ROCPRIM_400000_NS6detail17trampoline_kernelINS0_14default_configENS1_25partition_config_selectorILNS1_17partition_subalgoE8EaNS0_10empty_typeEbEEZZNS1_14partition_implILS5_8ELb0ES3_jPKaPS6_PKS6_NS0_5tupleIJPaS6_EEENSE_IJSB_SB_EEENS0_18inequality_wrapperIN6hipcub16HIPCUB_304000_NS8EqualityEEEPlJS6_EEE10hipError_tPvRmT3_T4_T5_T6_T7_T9_mT8_P12ihipStream_tbDpT10_ENKUlT_T0_E_clISt17integral_constantIbLb0EES16_IbLb1EEEEDaS12_S13_EUlS12_E_NS1_11comp_targetILNS1_3genE2ELNS1_11target_archE906ELNS1_3gpuE6ELNS1_3repE0EEENS1_30default_config_static_selectorELNS0_4arch9wavefront6targetE0EEEvT1_.numbered_sgpr, 0
	.set _ZN7rocprim17ROCPRIM_400000_NS6detail17trampoline_kernelINS0_14default_configENS1_25partition_config_selectorILNS1_17partition_subalgoE8EaNS0_10empty_typeEbEEZZNS1_14partition_implILS5_8ELb0ES3_jPKaPS6_PKS6_NS0_5tupleIJPaS6_EEENSE_IJSB_SB_EEENS0_18inequality_wrapperIN6hipcub16HIPCUB_304000_NS8EqualityEEEPlJS6_EEE10hipError_tPvRmT3_T4_T5_T6_T7_T9_mT8_P12ihipStream_tbDpT10_ENKUlT_T0_E_clISt17integral_constantIbLb0EES16_IbLb1EEEEDaS12_S13_EUlS12_E_NS1_11comp_targetILNS1_3genE2ELNS1_11target_archE906ELNS1_3gpuE6ELNS1_3repE0EEENS1_30default_config_static_selectorELNS0_4arch9wavefront6targetE0EEEvT1_.num_named_barrier, 0
	.set _ZN7rocprim17ROCPRIM_400000_NS6detail17trampoline_kernelINS0_14default_configENS1_25partition_config_selectorILNS1_17partition_subalgoE8EaNS0_10empty_typeEbEEZZNS1_14partition_implILS5_8ELb0ES3_jPKaPS6_PKS6_NS0_5tupleIJPaS6_EEENSE_IJSB_SB_EEENS0_18inequality_wrapperIN6hipcub16HIPCUB_304000_NS8EqualityEEEPlJS6_EEE10hipError_tPvRmT3_T4_T5_T6_T7_T9_mT8_P12ihipStream_tbDpT10_ENKUlT_T0_E_clISt17integral_constantIbLb0EES16_IbLb1EEEEDaS12_S13_EUlS12_E_NS1_11comp_targetILNS1_3genE2ELNS1_11target_archE906ELNS1_3gpuE6ELNS1_3repE0EEENS1_30default_config_static_selectorELNS0_4arch9wavefront6targetE0EEEvT1_.private_seg_size, 0
	.set _ZN7rocprim17ROCPRIM_400000_NS6detail17trampoline_kernelINS0_14default_configENS1_25partition_config_selectorILNS1_17partition_subalgoE8EaNS0_10empty_typeEbEEZZNS1_14partition_implILS5_8ELb0ES3_jPKaPS6_PKS6_NS0_5tupleIJPaS6_EEENSE_IJSB_SB_EEENS0_18inequality_wrapperIN6hipcub16HIPCUB_304000_NS8EqualityEEEPlJS6_EEE10hipError_tPvRmT3_T4_T5_T6_T7_T9_mT8_P12ihipStream_tbDpT10_ENKUlT_T0_E_clISt17integral_constantIbLb0EES16_IbLb1EEEEDaS12_S13_EUlS12_E_NS1_11comp_targetILNS1_3genE2ELNS1_11target_archE906ELNS1_3gpuE6ELNS1_3repE0EEENS1_30default_config_static_selectorELNS0_4arch9wavefront6targetE0EEEvT1_.uses_vcc, 0
	.set _ZN7rocprim17ROCPRIM_400000_NS6detail17trampoline_kernelINS0_14default_configENS1_25partition_config_selectorILNS1_17partition_subalgoE8EaNS0_10empty_typeEbEEZZNS1_14partition_implILS5_8ELb0ES3_jPKaPS6_PKS6_NS0_5tupleIJPaS6_EEENSE_IJSB_SB_EEENS0_18inequality_wrapperIN6hipcub16HIPCUB_304000_NS8EqualityEEEPlJS6_EEE10hipError_tPvRmT3_T4_T5_T6_T7_T9_mT8_P12ihipStream_tbDpT10_ENKUlT_T0_E_clISt17integral_constantIbLb0EES16_IbLb1EEEEDaS12_S13_EUlS12_E_NS1_11comp_targetILNS1_3genE2ELNS1_11target_archE906ELNS1_3gpuE6ELNS1_3repE0EEENS1_30default_config_static_selectorELNS0_4arch9wavefront6targetE0EEEvT1_.uses_flat_scratch, 0
	.set _ZN7rocprim17ROCPRIM_400000_NS6detail17trampoline_kernelINS0_14default_configENS1_25partition_config_selectorILNS1_17partition_subalgoE8EaNS0_10empty_typeEbEEZZNS1_14partition_implILS5_8ELb0ES3_jPKaPS6_PKS6_NS0_5tupleIJPaS6_EEENSE_IJSB_SB_EEENS0_18inequality_wrapperIN6hipcub16HIPCUB_304000_NS8EqualityEEEPlJS6_EEE10hipError_tPvRmT3_T4_T5_T6_T7_T9_mT8_P12ihipStream_tbDpT10_ENKUlT_T0_E_clISt17integral_constantIbLb0EES16_IbLb1EEEEDaS12_S13_EUlS12_E_NS1_11comp_targetILNS1_3genE2ELNS1_11target_archE906ELNS1_3gpuE6ELNS1_3repE0EEENS1_30default_config_static_selectorELNS0_4arch9wavefront6targetE0EEEvT1_.has_dyn_sized_stack, 0
	.set _ZN7rocprim17ROCPRIM_400000_NS6detail17trampoline_kernelINS0_14default_configENS1_25partition_config_selectorILNS1_17partition_subalgoE8EaNS0_10empty_typeEbEEZZNS1_14partition_implILS5_8ELb0ES3_jPKaPS6_PKS6_NS0_5tupleIJPaS6_EEENSE_IJSB_SB_EEENS0_18inequality_wrapperIN6hipcub16HIPCUB_304000_NS8EqualityEEEPlJS6_EEE10hipError_tPvRmT3_T4_T5_T6_T7_T9_mT8_P12ihipStream_tbDpT10_ENKUlT_T0_E_clISt17integral_constantIbLb0EES16_IbLb1EEEEDaS12_S13_EUlS12_E_NS1_11comp_targetILNS1_3genE2ELNS1_11target_archE906ELNS1_3gpuE6ELNS1_3repE0EEENS1_30default_config_static_selectorELNS0_4arch9wavefront6targetE0EEEvT1_.has_recursion, 0
	.set _ZN7rocprim17ROCPRIM_400000_NS6detail17trampoline_kernelINS0_14default_configENS1_25partition_config_selectorILNS1_17partition_subalgoE8EaNS0_10empty_typeEbEEZZNS1_14partition_implILS5_8ELb0ES3_jPKaPS6_PKS6_NS0_5tupleIJPaS6_EEENSE_IJSB_SB_EEENS0_18inequality_wrapperIN6hipcub16HIPCUB_304000_NS8EqualityEEEPlJS6_EEE10hipError_tPvRmT3_T4_T5_T6_T7_T9_mT8_P12ihipStream_tbDpT10_ENKUlT_T0_E_clISt17integral_constantIbLb0EES16_IbLb1EEEEDaS12_S13_EUlS12_E_NS1_11comp_targetILNS1_3genE2ELNS1_11target_archE906ELNS1_3gpuE6ELNS1_3repE0EEENS1_30default_config_static_selectorELNS0_4arch9wavefront6targetE0EEEvT1_.has_indirect_call, 0
	.section	.AMDGPU.csdata,"",@progbits
; Kernel info:
; codeLenInByte = 0
; TotalNumSgprs: 0
; NumVgprs: 0
; ScratchSize: 0
; MemoryBound: 0
; FloatMode: 240
; IeeeMode: 1
; LDSByteSize: 0 bytes/workgroup (compile time only)
; SGPRBlocks: 0
; VGPRBlocks: 0
; NumSGPRsForWavesPerEU: 1
; NumVGPRsForWavesPerEU: 1
; NamedBarCnt: 0
; Occupancy: 16
; WaveLimiterHint : 0
; COMPUTE_PGM_RSRC2:SCRATCH_EN: 0
; COMPUTE_PGM_RSRC2:USER_SGPR: 2
; COMPUTE_PGM_RSRC2:TRAP_HANDLER: 0
; COMPUTE_PGM_RSRC2:TGID_X_EN: 1
; COMPUTE_PGM_RSRC2:TGID_Y_EN: 0
; COMPUTE_PGM_RSRC2:TGID_Z_EN: 0
; COMPUTE_PGM_RSRC2:TIDIG_COMP_CNT: 0
	.section	.text._ZN7rocprim17ROCPRIM_400000_NS6detail17trampoline_kernelINS0_14default_configENS1_25partition_config_selectorILNS1_17partition_subalgoE8EaNS0_10empty_typeEbEEZZNS1_14partition_implILS5_8ELb0ES3_jPKaPS6_PKS6_NS0_5tupleIJPaS6_EEENSE_IJSB_SB_EEENS0_18inequality_wrapperIN6hipcub16HIPCUB_304000_NS8EqualityEEEPlJS6_EEE10hipError_tPvRmT3_T4_T5_T6_T7_T9_mT8_P12ihipStream_tbDpT10_ENKUlT_T0_E_clISt17integral_constantIbLb0EES16_IbLb1EEEEDaS12_S13_EUlS12_E_NS1_11comp_targetILNS1_3genE10ELNS1_11target_archE1200ELNS1_3gpuE4ELNS1_3repE0EEENS1_30default_config_static_selectorELNS0_4arch9wavefront6targetE0EEEvT1_,"axG",@progbits,_ZN7rocprim17ROCPRIM_400000_NS6detail17trampoline_kernelINS0_14default_configENS1_25partition_config_selectorILNS1_17partition_subalgoE8EaNS0_10empty_typeEbEEZZNS1_14partition_implILS5_8ELb0ES3_jPKaPS6_PKS6_NS0_5tupleIJPaS6_EEENSE_IJSB_SB_EEENS0_18inequality_wrapperIN6hipcub16HIPCUB_304000_NS8EqualityEEEPlJS6_EEE10hipError_tPvRmT3_T4_T5_T6_T7_T9_mT8_P12ihipStream_tbDpT10_ENKUlT_T0_E_clISt17integral_constantIbLb0EES16_IbLb1EEEEDaS12_S13_EUlS12_E_NS1_11comp_targetILNS1_3genE10ELNS1_11target_archE1200ELNS1_3gpuE4ELNS1_3repE0EEENS1_30default_config_static_selectorELNS0_4arch9wavefront6targetE0EEEvT1_,comdat
	.protected	_ZN7rocprim17ROCPRIM_400000_NS6detail17trampoline_kernelINS0_14default_configENS1_25partition_config_selectorILNS1_17partition_subalgoE8EaNS0_10empty_typeEbEEZZNS1_14partition_implILS5_8ELb0ES3_jPKaPS6_PKS6_NS0_5tupleIJPaS6_EEENSE_IJSB_SB_EEENS0_18inequality_wrapperIN6hipcub16HIPCUB_304000_NS8EqualityEEEPlJS6_EEE10hipError_tPvRmT3_T4_T5_T6_T7_T9_mT8_P12ihipStream_tbDpT10_ENKUlT_T0_E_clISt17integral_constantIbLb0EES16_IbLb1EEEEDaS12_S13_EUlS12_E_NS1_11comp_targetILNS1_3genE10ELNS1_11target_archE1200ELNS1_3gpuE4ELNS1_3repE0EEENS1_30default_config_static_selectorELNS0_4arch9wavefront6targetE0EEEvT1_ ; -- Begin function _ZN7rocprim17ROCPRIM_400000_NS6detail17trampoline_kernelINS0_14default_configENS1_25partition_config_selectorILNS1_17partition_subalgoE8EaNS0_10empty_typeEbEEZZNS1_14partition_implILS5_8ELb0ES3_jPKaPS6_PKS6_NS0_5tupleIJPaS6_EEENSE_IJSB_SB_EEENS0_18inequality_wrapperIN6hipcub16HIPCUB_304000_NS8EqualityEEEPlJS6_EEE10hipError_tPvRmT3_T4_T5_T6_T7_T9_mT8_P12ihipStream_tbDpT10_ENKUlT_T0_E_clISt17integral_constantIbLb0EES16_IbLb1EEEEDaS12_S13_EUlS12_E_NS1_11comp_targetILNS1_3genE10ELNS1_11target_archE1200ELNS1_3gpuE4ELNS1_3repE0EEENS1_30default_config_static_selectorELNS0_4arch9wavefront6targetE0EEEvT1_
	.globl	_ZN7rocprim17ROCPRIM_400000_NS6detail17trampoline_kernelINS0_14default_configENS1_25partition_config_selectorILNS1_17partition_subalgoE8EaNS0_10empty_typeEbEEZZNS1_14partition_implILS5_8ELb0ES3_jPKaPS6_PKS6_NS0_5tupleIJPaS6_EEENSE_IJSB_SB_EEENS0_18inequality_wrapperIN6hipcub16HIPCUB_304000_NS8EqualityEEEPlJS6_EEE10hipError_tPvRmT3_T4_T5_T6_T7_T9_mT8_P12ihipStream_tbDpT10_ENKUlT_T0_E_clISt17integral_constantIbLb0EES16_IbLb1EEEEDaS12_S13_EUlS12_E_NS1_11comp_targetILNS1_3genE10ELNS1_11target_archE1200ELNS1_3gpuE4ELNS1_3repE0EEENS1_30default_config_static_selectorELNS0_4arch9wavefront6targetE0EEEvT1_
	.p2align	8
	.type	_ZN7rocprim17ROCPRIM_400000_NS6detail17trampoline_kernelINS0_14default_configENS1_25partition_config_selectorILNS1_17partition_subalgoE8EaNS0_10empty_typeEbEEZZNS1_14partition_implILS5_8ELb0ES3_jPKaPS6_PKS6_NS0_5tupleIJPaS6_EEENSE_IJSB_SB_EEENS0_18inequality_wrapperIN6hipcub16HIPCUB_304000_NS8EqualityEEEPlJS6_EEE10hipError_tPvRmT3_T4_T5_T6_T7_T9_mT8_P12ihipStream_tbDpT10_ENKUlT_T0_E_clISt17integral_constantIbLb0EES16_IbLb1EEEEDaS12_S13_EUlS12_E_NS1_11comp_targetILNS1_3genE10ELNS1_11target_archE1200ELNS1_3gpuE4ELNS1_3repE0EEENS1_30default_config_static_selectorELNS0_4arch9wavefront6targetE0EEEvT1_,@function
_ZN7rocprim17ROCPRIM_400000_NS6detail17trampoline_kernelINS0_14default_configENS1_25partition_config_selectorILNS1_17partition_subalgoE8EaNS0_10empty_typeEbEEZZNS1_14partition_implILS5_8ELb0ES3_jPKaPS6_PKS6_NS0_5tupleIJPaS6_EEENSE_IJSB_SB_EEENS0_18inequality_wrapperIN6hipcub16HIPCUB_304000_NS8EqualityEEEPlJS6_EEE10hipError_tPvRmT3_T4_T5_T6_T7_T9_mT8_P12ihipStream_tbDpT10_ENKUlT_T0_E_clISt17integral_constantIbLb0EES16_IbLb1EEEEDaS12_S13_EUlS12_E_NS1_11comp_targetILNS1_3genE10ELNS1_11target_archE1200ELNS1_3gpuE4ELNS1_3repE0EEENS1_30default_config_static_selectorELNS0_4arch9wavefront6targetE0EEEvT1_: ; @_ZN7rocprim17ROCPRIM_400000_NS6detail17trampoline_kernelINS0_14default_configENS1_25partition_config_selectorILNS1_17partition_subalgoE8EaNS0_10empty_typeEbEEZZNS1_14partition_implILS5_8ELb0ES3_jPKaPS6_PKS6_NS0_5tupleIJPaS6_EEENSE_IJSB_SB_EEENS0_18inequality_wrapperIN6hipcub16HIPCUB_304000_NS8EqualityEEEPlJS6_EEE10hipError_tPvRmT3_T4_T5_T6_T7_T9_mT8_P12ihipStream_tbDpT10_ENKUlT_T0_E_clISt17integral_constantIbLb0EES16_IbLb1EEEEDaS12_S13_EUlS12_E_NS1_11comp_targetILNS1_3genE10ELNS1_11target_archE1200ELNS1_3gpuE4ELNS1_3repE0EEENS1_30default_config_static_selectorELNS0_4arch9wavefront6targetE0EEEvT1_
; %bb.0:
	.section	.rodata,"a",@progbits
	.p2align	6, 0x0
	.amdhsa_kernel _ZN7rocprim17ROCPRIM_400000_NS6detail17trampoline_kernelINS0_14default_configENS1_25partition_config_selectorILNS1_17partition_subalgoE8EaNS0_10empty_typeEbEEZZNS1_14partition_implILS5_8ELb0ES3_jPKaPS6_PKS6_NS0_5tupleIJPaS6_EEENSE_IJSB_SB_EEENS0_18inequality_wrapperIN6hipcub16HIPCUB_304000_NS8EqualityEEEPlJS6_EEE10hipError_tPvRmT3_T4_T5_T6_T7_T9_mT8_P12ihipStream_tbDpT10_ENKUlT_T0_E_clISt17integral_constantIbLb0EES16_IbLb1EEEEDaS12_S13_EUlS12_E_NS1_11comp_targetILNS1_3genE10ELNS1_11target_archE1200ELNS1_3gpuE4ELNS1_3repE0EEENS1_30default_config_static_selectorELNS0_4arch9wavefront6targetE0EEEvT1_
		.amdhsa_group_segment_fixed_size 0
		.amdhsa_private_segment_fixed_size 0
		.amdhsa_kernarg_size 128
		.amdhsa_user_sgpr_count 2
		.amdhsa_user_sgpr_dispatch_ptr 0
		.amdhsa_user_sgpr_queue_ptr 0
		.amdhsa_user_sgpr_kernarg_segment_ptr 1
		.amdhsa_user_sgpr_dispatch_id 0
		.amdhsa_user_sgpr_kernarg_preload_length 0
		.amdhsa_user_sgpr_kernarg_preload_offset 0
		.amdhsa_user_sgpr_private_segment_size 0
		.amdhsa_wavefront_size32 1
		.amdhsa_uses_dynamic_stack 0
		.amdhsa_enable_private_segment 0
		.amdhsa_system_sgpr_workgroup_id_x 1
		.amdhsa_system_sgpr_workgroup_id_y 0
		.amdhsa_system_sgpr_workgroup_id_z 0
		.amdhsa_system_sgpr_workgroup_info 0
		.amdhsa_system_vgpr_workitem_id 0
		.amdhsa_next_free_vgpr 1
		.amdhsa_next_free_sgpr 1
		.amdhsa_named_barrier_count 0
		.amdhsa_reserve_vcc 0
		.amdhsa_float_round_mode_32 0
		.amdhsa_float_round_mode_16_64 0
		.amdhsa_float_denorm_mode_32 3
		.amdhsa_float_denorm_mode_16_64 3
		.amdhsa_fp16_overflow 0
		.amdhsa_memory_ordered 1
		.amdhsa_forward_progress 1
		.amdhsa_inst_pref_size 0
		.amdhsa_round_robin_scheduling 0
		.amdhsa_exception_fp_ieee_invalid_op 0
		.amdhsa_exception_fp_denorm_src 0
		.amdhsa_exception_fp_ieee_div_zero 0
		.amdhsa_exception_fp_ieee_overflow 0
		.amdhsa_exception_fp_ieee_underflow 0
		.amdhsa_exception_fp_ieee_inexact 0
		.amdhsa_exception_int_div_zero 0
	.end_amdhsa_kernel
	.section	.text._ZN7rocprim17ROCPRIM_400000_NS6detail17trampoline_kernelINS0_14default_configENS1_25partition_config_selectorILNS1_17partition_subalgoE8EaNS0_10empty_typeEbEEZZNS1_14partition_implILS5_8ELb0ES3_jPKaPS6_PKS6_NS0_5tupleIJPaS6_EEENSE_IJSB_SB_EEENS0_18inequality_wrapperIN6hipcub16HIPCUB_304000_NS8EqualityEEEPlJS6_EEE10hipError_tPvRmT3_T4_T5_T6_T7_T9_mT8_P12ihipStream_tbDpT10_ENKUlT_T0_E_clISt17integral_constantIbLb0EES16_IbLb1EEEEDaS12_S13_EUlS12_E_NS1_11comp_targetILNS1_3genE10ELNS1_11target_archE1200ELNS1_3gpuE4ELNS1_3repE0EEENS1_30default_config_static_selectorELNS0_4arch9wavefront6targetE0EEEvT1_,"axG",@progbits,_ZN7rocprim17ROCPRIM_400000_NS6detail17trampoline_kernelINS0_14default_configENS1_25partition_config_selectorILNS1_17partition_subalgoE8EaNS0_10empty_typeEbEEZZNS1_14partition_implILS5_8ELb0ES3_jPKaPS6_PKS6_NS0_5tupleIJPaS6_EEENSE_IJSB_SB_EEENS0_18inequality_wrapperIN6hipcub16HIPCUB_304000_NS8EqualityEEEPlJS6_EEE10hipError_tPvRmT3_T4_T5_T6_T7_T9_mT8_P12ihipStream_tbDpT10_ENKUlT_T0_E_clISt17integral_constantIbLb0EES16_IbLb1EEEEDaS12_S13_EUlS12_E_NS1_11comp_targetILNS1_3genE10ELNS1_11target_archE1200ELNS1_3gpuE4ELNS1_3repE0EEENS1_30default_config_static_selectorELNS0_4arch9wavefront6targetE0EEEvT1_,comdat
.Lfunc_end232:
	.size	_ZN7rocprim17ROCPRIM_400000_NS6detail17trampoline_kernelINS0_14default_configENS1_25partition_config_selectorILNS1_17partition_subalgoE8EaNS0_10empty_typeEbEEZZNS1_14partition_implILS5_8ELb0ES3_jPKaPS6_PKS6_NS0_5tupleIJPaS6_EEENSE_IJSB_SB_EEENS0_18inequality_wrapperIN6hipcub16HIPCUB_304000_NS8EqualityEEEPlJS6_EEE10hipError_tPvRmT3_T4_T5_T6_T7_T9_mT8_P12ihipStream_tbDpT10_ENKUlT_T0_E_clISt17integral_constantIbLb0EES16_IbLb1EEEEDaS12_S13_EUlS12_E_NS1_11comp_targetILNS1_3genE10ELNS1_11target_archE1200ELNS1_3gpuE4ELNS1_3repE0EEENS1_30default_config_static_selectorELNS0_4arch9wavefront6targetE0EEEvT1_, .Lfunc_end232-_ZN7rocprim17ROCPRIM_400000_NS6detail17trampoline_kernelINS0_14default_configENS1_25partition_config_selectorILNS1_17partition_subalgoE8EaNS0_10empty_typeEbEEZZNS1_14partition_implILS5_8ELb0ES3_jPKaPS6_PKS6_NS0_5tupleIJPaS6_EEENSE_IJSB_SB_EEENS0_18inequality_wrapperIN6hipcub16HIPCUB_304000_NS8EqualityEEEPlJS6_EEE10hipError_tPvRmT3_T4_T5_T6_T7_T9_mT8_P12ihipStream_tbDpT10_ENKUlT_T0_E_clISt17integral_constantIbLb0EES16_IbLb1EEEEDaS12_S13_EUlS12_E_NS1_11comp_targetILNS1_3genE10ELNS1_11target_archE1200ELNS1_3gpuE4ELNS1_3repE0EEENS1_30default_config_static_selectorELNS0_4arch9wavefront6targetE0EEEvT1_
                                        ; -- End function
	.set _ZN7rocprim17ROCPRIM_400000_NS6detail17trampoline_kernelINS0_14default_configENS1_25partition_config_selectorILNS1_17partition_subalgoE8EaNS0_10empty_typeEbEEZZNS1_14partition_implILS5_8ELb0ES3_jPKaPS6_PKS6_NS0_5tupleIJPaS6_EEENSE_IJSB_SB_EEENS0_18inequality_wrapperIN6hipcub16HIPCUB_304000_NS8EqualityEEEPlJS6_EEE10hipError_tPvRmT3_T4_T5_T6_T7_T9_mT8_P12ihipStream_tbDpT10_ENKUlT_T0_E_clISt17integral_constantIbLb0EES16_IbLb1EEEEDaS12_S13_EUlS12_E_NS1_11comp_targetILNS1_3genE10ELNS1_11target_archE1200ELNS1_3gpuE4ELNS1_3repE0EEENS1_30default_config_static_selectorELNS0_4arch9wavefront6targetE0EEEvT1_.num_vgpr, 0
	.set _ZN7rocprim17ROCPRIM_400000_NS6detail17trampoline_kernelINS0_14default_configENS1_25partition_config_selectorILNS1_17partition_subalgoE8EaNS0_10empty_typeEbEEZZNS1_14partition_implILS5_8ELb0ES3_jPKaPS6_PKS6_NS0_5tupleIJPaS6_EEENSE_IJSB_SB_EEENS0_18inequality_wrapperIN6hipcub16HIPCUB_304000_NS8EqualityEEEPlJS6_EEE10hipError_tPvRmT3_T4_T5_T6_T7_T9_mT8_P12ihipStream_tbDpT10_ENKUlT_T0_E_clISt17integral_constantIbLb0EES16_IbLb1EEEEDaS12_S13_EUlS12_E_NS1_11comp_targetILNS1_3genE10ELNS1_11target_archE1200ELNS1_3gpuE4ELNS1_3repE0EEENS1_30default_config_static_selectorELNS0_4arch9wavefront6targetE0EEEvT1_.num_agpr, 0
	.set _ZN7rocprim17ROCPRIM_400000_NS6detail17trampoline_kernelINS0_14default_configENS1_25partition_config_selectorILNS1_17partition_subalgoE8EaNS0_10empty_typeEbEEZZNS1_14partition_implILS5_8ELb0ES3_jPKaPS6_PKS6_NS0_5tupleIJPaS6_EEENSE_IJSB_SB_EEENS0_18inequality_wrapperIN6hipcub16HIPCUB_304000_NS8EqualityEEEPlJS6_EEE10hipError_tPvRmT3_T4_T5_T6_T7_T9_mT8_P12ihipStream_tbDpT10_ENKUlT_T0_E_clISt17integral_constantIbLb0EES16_IbLb1EEEEDaS12_S13_EUlS12_E_NS1_11comp_targetILNS1_3genE10ELNS1_11target_archE1200ELNS1_3gpuE4ELNS1_3repE0EEENS1_30default_config_static_selectorELNS0_4arch9wavefront6targetE0EEEvT1_.numbered_sgpr, 0
	.set _ZN7rocprim17ROCPRIM_400000_NS6detail17trampoline_kernelINS0_14default_configENS1_25partition_config_selectorILNS1_17partition_subalgoE8EaNS0_10empty_typeEbEEZZNS1_14partition_implILS5_8ELb0ES3_jPKaPS6_PKS6_NS0_5tupleIJPaS6_EEENSE_IJSB_SB_EEENS0_18inequality_wrapperIN6hipcub16HIPCUB_304000_NS8EqualityEEEPlJS6_EEE10hipError_tPvRmT3_T4_T5_T6_T7_T9_mT8_P12ihipStream_tbDpT10_ENKUlT_T0_E_clISt17integral_constantIbLb0EES16_IbLb1EEEEDaS12_S13_EUlS12_E_NS1_11comp_targetILNS1_3genE10ELNS1_11target_archE1200ELNS1_3gpuE4ELNS1_3repE0EEENS1_30default_config_static_selectorELNS0_4arch9wavefront6targetE0EEEvT1_.num_named_barrier, 0
	.set _ZN7rocprim17ROCPRIM_400000_NS6detail17trampoline_kernelINS0_14default_configENS1_25partition_config_selectorILNS1_17partition_subalgoE8EaNS0_10empty_typeEbEEZZNS1_14partition_implILS5_8ELb0ES3_jPKaPS6_PKS6_NS0_5tupleIJPaS6_EEENSE_IJSB_SB_EEENS0_18inequality_wrapperIN6hipcub16HIPCUB_304000_NS8EqualityEEEPlJS6_EEE10hipError_tPvRmT3_T4_T5_T6_T7_T9_mT8_P12ihipStream_tbDpT10_ENKUlT_T0_E_clISt17integral_constantIbLb0EES16_IbLb1EEEEDaS12_S13_EUlS12_E_NS1_11comp_targetILNS1_3genE10ELNS1_11target_archE1200ELNS1_3gpuE4ELNS1_3repE0EEENS1_30default_config_static_selectorELNS0_4arch9wavefront6targetE0EEEvT1_.private_seg_size, 0
	.set _ZN7rocprim17ROCPRIM_400000_NS6detail17trampoline_kernelINS0_14default_configENS1_25partition_config_selectorILNS1_17partition_subalgoE8EaNS0_10empty_typeEbEEZZNS1_14partition_implILS5_8ELb0ES3_jPKaPS6_PKS6_NS0_5tupleIJPaS6_EEENSE_IJSB_SB_EEENS0_18inequality_wrapperIN6hipcub16HIPCUB_304000_NS8EqualityEEEPlJS6_EEE10hipError_tPvRmT3_T4_T5_T6_T7_T9_mT8_P12ihipStream_tbDpT10_ENKUlT_T0_E_clISt17integral_constantIbLb0EES16_IbLb1EEEEDaS12_S13_EUlS12_E_NS1_11comp_targetILNS1_3genE10ELNS1_11target_archE1200ELNS1_3gpuE4ELNS1_3repE0EEENS1_30default_config_static_selectorELNS0_4arch9wavefront6targetE0EEEvT1_.uses_vcc, 0
	.set _ZN7rocprim17ROCPRIM_400000_NS6detail17trampoline_kernelINS0_14default_configENS1_25partition_config_selectorILNS1_17partition_subalgoE8EaNS0_10empty_typeEbEEZZNS1_14partition_implILS5_8ELb0ES3_jPKaPS6_PKS6_NS0_5tupleIJPaS6_EEENSE_IJSB_SB_EEENS0_18inequality_wrapperIN6hipcub16HIPCUB_304000_NS8EqualityEEEPlJS6_EEE10hipError_tPvRmT3_T4_T5_T6_T7_T9_mT8_P12ihipStream_tbDpT10_ENKUlT_T0_E_clISt17integral_constantIbLb0EES16_IbLb1EEEEDaS12_S13_EUlS12_E_NS1_11comp_targetILNS1_3genE10ELNS1_11target_archE1200ELNS1_3gpuE4ELNS1_3repE0EEENS1_30default_config_static_selectorELNS0_4arch9wavefront6targetE0EEEvT1_.uses_flat_scratch, 0
	.set _ZN7rocprim17ROCPRIM_400000_NS6detail17trampoline_kernelINS0_14default_configENS1_25partition_config_selectorILNS1_17partition_subalgoE8EaNS0_10empty_typeEbEEZZNS1_14partition_implILS5_8ELb0ES3_jPKaPS6_PKS6_NS0_5tupleIJPaS6_EEENSE_IJSB_SB_EEENS0_18inequality_wrapperIN6hipcub16HIPCUB_304000_NS8EqualityEEEPlJS6_EEE10hipError_tPvRmT3_T4_T5_T6_T7_T9_mT8_P12ihipStream_tbDpT10_ENKUlT_T0_E_clISt17integral_constantIbLb0EES16_IbLb1EEEEDaS12_S13_EUlS12_E_NS1_11comp_targetILNS1_3genE10ELNS1_11target_archE1200ELNS1_3gpuE4ELNS1_3repE0EEENS1_30default_config_static_selectorELNS0_4arch9wavefront6targetE0EEEvT1_.has_dyn_sized_stack, 0
	.set _ZN7rocprim17ROCPRIM_400000_NS6detail17trampoline_kernelINS0_14default_configENS1_25partition_config_selectorILNS1_17partition_subalgoE8EaNS0_10empty_typeEbEEZZNS1_14partition_implILS5_8ELb0ES3_jPKaPS6_PKS6_NS0_5tupleIJPaS6_EEENSE_IJSB_SB_EEENS0_18inequality_wrapperIN6hipcub16HIPCUB_304000_NS8EqualityEEEPlJS6_EEE10hipError_tPvRmT3_T4_T5_T6_T7_T9_mT8_P12ihipStream_tbDpT10_ENKUlT_T0_E_clISt17integral_constantIbLb0EES16_IbLb1EEEEDaS12_S13_EUlS12_E_NS1_11comp_targetILNS1_3genE10ELNS1_11target_archE1200ELNS1_3gpuE4ELNS1_3repE0EEENS1_30default_config_static_selectorELNS0_4arch9wavefront6targetE0EEEvT1_.has_recursion, 0
	.set _ZN7rocprim17ROCPRIM_400000_NS6detail17trampoline_kernelINS0_14default_configENS1_25partition_config_selectorILNS1_17partition_subalgoE8EaNS0_10empty_typeEbEEZZNS1_14partition_implILS5_8ELb0ES3_jPKaPS6_PKS6_NS0_5tupleIJPaS6_EEENSE_IJSB_SB_EEENS0_18inequality_wrapperIN6hipcub16HIPCUB_304000_NS8EqualityEEEPlJS6_EEE10hipError_tPvRmT3_T4_T5_T6_T7_T9_mT8_P12ihipStream_tbDpT10_ENKUlT_T0_E_clISt17integral_constantIbLb0EES16_IbLb1EEEEDaS12_S13_EUlS12_E_NS1_11comp_targetILNS1_3genE10ELNS1_11target_archE1200ELNS1_3gpuE4ELNS1_3repE0EEENS1_30default_config_static_selectorELNS0_4arch9wavefront6targetE0EEEvT1_.has_indirect_call, 0
	.section	.AMDGPU.csdata,"",@progbits
; Kernel info:
; codeLenInByte = 0
; TotalNumSgprs: 0
; NumVgprs: 0
; ScratchSize: 0
; MemoryBound: 0
; FloatMode: 240
; IeeeMode: 1
; LDSByteSize: 0 bytes/workgroup (compile time only)
; SGPRBlocks: 0
; VGPRBlocks: 0
; NumSGPRsForWavesPerEU: 1
; NumVGPRsForWavesPerEU: 1
; NamedBarCnt: 0
; Occupancy: 16
; WaveLimiterHint : 0
; COMPUTE_PGM_RSRC2:SCRATCH_EN: 0
; COMPUTE_PGM_RSRC2:USER_SGPR: 2
; COMPUTE_PGM_RSRC2:TRAP_HANDLER: 0
; COMPUTE_PGM_RSRC2:TGID_X_EN: 1
; COMPUTE_PGM_RSRC2:TGID_Y_EN: 0
; COMPUTE_PGM_RSRC2:TGID_Z_EN: 0
; COMPUTE_PGM_RSRC2:TIDIG_COMP_CNT: 0
	.section	.text._ZN7rocprim17ROCPRIM_400000_NS6detail17trampoline_kernelINS0_14default_configENS1_25partition_config_selectorILNS1_17partition_subalgoE8EaNS0_10empty_typeEbEEZZNS1_14partition_implILS5_8ELb0ES3_jPKaPS6_PKS6_NS0_5tupleIJPaS6_EEENSE_IJSB_SB_EEENS0_18inequality_wrapperIN6hipcub16HIPCUB_304000_NS8EqualityEEEPlJS6_EEE10hipError_tPvRmT3_T4_T5_T6_T7_T9_mT8_P12ihipStream_tbDpT10_ENKUlT_T0_E_clISt17integral_constantIbLb0EES16_IbLb1EEEEDaS12_S13_EUlS12_E_NS1_11comp_targetILNS1_3genE9ELNS1_11target_archE1100ELNS1_3gpuE3ELNS1_3repE0EEENS1_30default_config_static_selectorELNS0_4arch9wavefront6targetE0EEEvT1_,"axG",@progbits,_ZN7rocprim17ROCPRIM_400000_NS6detail17trampoline_kernelINS0_14default_configENS1_25partition_config_selectorILNS1_17partition_subalgoE8EaNS0_10empty_typeEbEEZZNS1_14partition_implILS5_8ELb0ES3_jPKaPS6_PKS6_NS0_5tupleIJPaS6_EEENSE_IJSB_SB_EEENS0_18inequality_wrapperIN6hipcub16HIPCUB_304000_NS8EqualityEEEPlJS6_EEE10hipError_tPvRmT3_T4_T5_T6_T7_T9_mT8_P12ihipStream_tbDpT10_ENKUlT_T0_E_clISt17integral_constantIbLb0EES16_IbLb1EEEEDaS12_S13_EUlS12_E_NS1_11comp_targetILNS1_3genE9ELNS1_11target_archE1100ELNS1_3gpuE3ELNS1_3repE0EEENS1_30default_config_static_selectorELNS0_4arch9wavefront6targetE0EEEvT1_,comdat
	.protected	_ZN7rocprim17ROCPRIM_400000_NS6detail17trampoline_kernelINS0_14default_configENS1_25partition_config_selectorILNS1_17partition_subalgoE8EaNS0_10empty_typeEbEEZZNS1_14partition_implILS5_8ELb0ES3_jPKaPS6_PKS6_NS0_5tupleIJPaS6_EEENSE_IJSB_SB_EEENS0_18inequality_wrapperIN6hipcub16HIPCUB_304000_NS8EqualityEEEPlJS6_EEE10hipError_tPvRmT3_T4_T5_T6_T7_T9_mT8_P12ihipStream_tbDpT10_ENKUlT_T0_E_clISt17integral_constantIbLb0EES16_IbLb1EEEEDaS12_S13_EUlS12_E_NS1_11comp_targetILNS1_3genE9ELNS1_11target_archE1100ELNS1_3gpuE3ELNS1_3repE0EEENS1_30default_config_static_selectorELNS0_4arch9wavefront6targetE0EEEvT1_ ; -- Begin function _ZN7rocprim17ROCPRIM_400000_NS6detail17trampoline_kernelINS0_14default_configENS1_25partition_config_selectorILNS1_17partition_subalgoE8EaNS0_10empty_typeEbEEZZNS1_14partition_implILS5_8ELb0ES3_jPKaPS6_PKS6_NS0_5tupleIJPaS6_EEENSE_IJSB_SB_EEENS0_18inequality_wrapperIN6hipcub16HIPCUB_304000_NS8EqualityEEEPlJS6_EEE10hipError_tPvRmT3_T4_T5_T6_T7_T9_mT8_P12ihipStream_tbDpT10_ENKUlT_T0_E_clISt17integral_constantIbLb0EES16_IbLb1EEEEDaS12_S13_EUlS12_E_NS1_11comp_targetILNS1_3genE9ELNS1_11target_archE1100ELNS1_3gpuE3ELNS1_3repE0EEENS1_30default_config_static_selectorELNS0_4arch9wavefront6targetE0EEEvT1_
	.globl	_ZN7rocprim17ROCPRIM_400000_NS6detail17trampoline_kernelINS0_14default_configENS1_25partition_config_selectorILNS1_17partition_subalgoE8EaNS0_10empty_typeEbEEZZNS1_14partition_implILS5_8ELb0ES3_jPKaPS6_PKS6_NS0_5tupleIJPaS6_EEENSE_IJSB_SB_EEENS0_18inequality_wrapperIN6hipcub16HIPCUB_304000_NS8EqualityEEEPlJS6_EEE10hipError_tPvRmT3_T4_T5_T6_T7_T9_mT8_P12ihipStream_tbDpT10_ENKUlT_T0_E_clISt17integral_constantIbLb0EES16_IbLb1EEEEDaS12_S13_EUlS12_E_NS1_11comp_targetILNS1_3genE9ELNS1_11target_archE1100ELNS1_3gpuE3ELNS1_3repE0EEENS1_30default_config_static_selectorELNS0_4arch9wavefront6targetE0EEEvT1_
	.p2align	8
	.type	_ZN7rocprim17ROCPRIM_400000_NS6detail17trampoline_kernelINS0_14default_configENS1_25partition_config_selectorILNS1_17partition_subalgoE8EaNS0_10empty_typeEbEEZZNS1_14partition_implILS5_8ELb0ES3_jPKaPS6_PKS6_NS0_5tupleIJPaS6_EEENSE_IJSB_SB_EEENS0_18inequality_wrapperIN6hipcub16HIPCUB_304000_NS8EqualityEEEPlJS6_EEE10hipError_tPvRmT3_T4_T5_T6_T7_T9_mT8_P12ihipStream_tbDpT10_ENKUlT_T0_E_clISt17integral_constantIbLb0EES16_IbLb1EEEEDaS12_S13_EUlS12_E_NS1_11comp_targetILNS1_3genE9ELNS1_11target_archE1100ELNS1_3gpuE3ELNS1_3repE0EEENS1_30default_config_static_selectorELNS0_4arch9wavefront6targetE0EEEvT1_,@function
_ZN7rocprim17ROCPRIM_400000_NS6detail17trampoline_kernelINS0_14default_configENS1_25partition_config_selectorILNS1_17partition_subalgoE8EaNS0_10empty_typeEbEEZZNS1_14partition_implILS5_8ELb0ES3_jPKaPS6_PKS6_NS0_5tupleIJPaS6_EEENSE_IJSB_SB_EEENS0_18inequality_wrapperIN6hipcub16HIPCUB_304000_NS8EqualityEEEPlJS6_EEE10hipError_tPvRmT3_T4_T5_T6_T7_T9_mT8_P12ihipStream_tbDpT10_ENKUlT_T0_E_clISt17integral_constantIbLb0EES16_IbLb1EEEEDaS12_S13_EUlS12_E_NS1_11comp_targetILNS1_3genE9ELNS1_11target_archE1100ELNS1_3gpuE3ELNS1_3repE0EEENS1_30default_config_static_selectorELNS0_4arch9wavefront6targetE0EEEvT1_: ; @_ZN7rocprim17ROCPRIM_400000_NS6detail17trampoline_kernelINS0_14default_configENS1_25partition_config_selectorILNS1_17partition_subalgoE8EaNS0_10empty_typeEbEEZZNS1_14partition_implILS5_8ELb0ES3_jPKaPS6_PKS6_NS0_5tupleIJPaS6_EEENSE_IJSB_SB_EEENS0_18inequality_wrapperIN6hipcub16HIPCUB_304000_NS8EqualityEEEPlJS6_EEE10hipError_tPvRmT3_T4_T5_T6_T7_T9_mT8_P12ihipStream_tbDpT10_ENKUlT_T0_E_clISt17integral_constantIbLb0EES16_IbLb1EEEEDaS12_S13_EUlS12_E_NS1_11comp_targetILNS1_3genE9ELNS1_11target_archE1100ELNS1_3gpuE3ELNS1_3repE0EEENS1_30default_config_static_selectorELNS0_4arch9wavefront6targetE0EEEvT1_
; %bb.0:
	.section	.rodata,"a",@progbits
	.p2align	6, 0x0
	.amdhsa_kernel _ZN7rocprim17ROCPRIM_400000_NS6detail17trampoline_kernelINS0_14default_configENS1_25partition_config_selectorILNS1_17partition_subalgoE8EaNS0_10empty_typeEbEEZZNS1_14partition_implILS5_8ELb0ES3_jPKaPS6_PKS6_NS0_5tupleIJPaS6_EEENSE_IJSB_SB_EEENS0_18inequality_wrapperIN6hipcub16HIPCUB_304000_NS8EqualityEEEPlJS6_EEE10hipError_tPvRmT3_T4_T5_T6_T7_T9_mT8_P12ihipStream_tbDpT10_ENKUlT_T0_E_clISt17integral_constantIbLb0EES16_IbLb1EEEEDaS12_S13_EUlS12_E_NS1_11comp_targetILNS1_3genE9ELNS1_11target_archE1100ELNS1_3gpuE3ELNS1_3repE0EEENS1_30default_config_static_selectorELNS0_4arch9wavefront6targetE0EEEvT1_
		.amdhsa_group_segment_fixed_size 0
		.amdhsa_private_segment_fixed_size 0
		.amdhsa_kernarg_size 128
		.amdhsa_user_sgpr_count 2
		.amdhsa_user_sgpr_dispatch_ptr 0
		.amdhsa_user_sgpr_queue_ptr 0
		.amdhsa_user_sgpr_kernarg_segment_ptr 1
		.amdhsa_user_sgpr_dispatch_id 0
		.amdhsa_user_sgpr_kernarg_preload_length 0
		.amdhsa_user_sgpr_kernarg_preload_offset 0
		.amdhsa_user_sgpr_private_segment_size 0
		.amdhsa_wavefront_size32 1
		.amdhsa_uses_dynamic_stack 0
		.amdhsa_enable_private_segment 0
		.amdhsa_system_sgpr_workgroup_id_x 1
		.amdhsa_system_sgpr_workgroup_id_y 0
		.amdhsa_system_sgpr_workgroup_id_z 0
		.amdhsa_system_sgpr_workgroup_info 0
		.amdhsa_system_vgpr_workitem_id 0
		.amdhsa_next_free_vgpr 1
		.amdhsa_next_free_sgpr 1
		.amdhsa_named_barrier_count 0
		.amdhsa_reserve_vcc 0
		.amdhsa_float_round_mode_32 0
		.amdhsa_float_round_mode_16_64 0
		.amdhsa_float_denorm_mode_32 3
		.amdhsa_float_denorm_mode_16_64 3
		.amdhsa_fp16_overflow 0
		.amdhsa_memory_ordered 1
		.amdhsa_forward_progress 1
		.amdhsa_inst_pref_size 0
		.amdhsa_round_robin_scheduling 0
		.amdhsa_exception_fp_ieee_invalid_op 0
		.amdhsa_exception_fp_denorm_src 0
		.amdhsa_exception_fp_ieee_div_zero 0
		.amdhsa_exception_fp_ieee_overflow 0
		.amdhsa_exception_fp_ieee_underflow 0
		.amdhsa_exception_fp_ieee_inexact 0
		.amdhsa_exception_int_div_zero 0
	.end_amdhsa_kernel
	.section	.text._ZN7rocprim17ROCPRIM_400000_NS6detail17trampoline_kernelINS0_14default_configENS1_25partition_config_selectorILNS1_17partition_subalgoE8EaNS0_10empty_typeEbEEZZNS1_14partition_implILS5_8ELb0ES3_jPKaPS6_PKS6_NS0_5tupleIJPaS6_EEENSE_IJSB_SB_EEENS0_18inequality_wrapperIN6hipcub16HIPCUB_304000_NS8EqualityEEEPlJS6_EEE10hipError_tPvRmT3_T4_T5_T6_T7_T9_mT8_P12ihipStream_tbDpT10_ENKUlT_T0_E_clISt17integral_constantIbLb0EES16_IbLb1EEEEDaS12_S13_EUlS12_E_NS1_11comp_targetILNS1_3genE9ELNS1_11target_archE1100ELNS1_3gpuE3ELNS1_3repE0EEENS1_30default_config_static_selectorELNS0_4arch9wavefront6targetE0EEEvT1_,"axG",@progbits,_ZN7rocprim17ROCPRIM_400000_NS6detail17trampoline_kernelINS0_14default_configENS1_25partition_config_selectorILNS1_17partition_subalgoE8EaNS0_10empty_typeEbEEZZNS1_14partition_implILS5_8ELb0ES3_jPKaPS6_PKS6_NS0_5tupleIJPaS6_EEENSE_IJSB_SB_EEENS0_18inequality_wrapperIN6hipcub16HIPCUB_304000_NS8EqualityEEEPlJS6_EEE10hipError_tPvRmT3_T4_T5_T6_T7_T9_mT8_P12ihipStream_tbDpT10_ENKUlT_T0_E_clISt17integral_constantIbLb0EES16_IbLb1EEEEDaS12_S13_EUlS12_E_NS1_11comp_targetILNS1_3genE9ELNS1_11target_archE1100ELNS1_3gpuE3ELNS1_3repE0EEENS1_30default_config_static_selectorELNS0_4arch9wavefront6targetE0EEEvT1_,comdat
.Lfunc_end233:
	.size	_ZN7rocprim17ROCPRIM_400000_NS6detail17trampoline_kernelINS0_14default_configENS1_25partition_config_selectorILNS1_17partition_subalgoE8EaNS0_10empty_typeEbEEZZNS1_14partition_implILS5_8ELb0ES3_jPKaPS6_PKS6_NS0_5tupleIJPaS6_EEENSE_IJSB_SB_EEENS0_18inequality_wrapperIN6hipcub16HIPCUB_304000_NS8EqualityEEEPlJS6_EEE10hipError_tPvRmT3_T4_T5_T6_T7_T9_mT8_P12ihipStream_tbDpT10_ENKUlT_T0_E_clISt17integral_constantIbLb0EES16_IbLb1EEEEDaS12_S13_EUlS12_E_NS1_11comp_targetILNS1_3genE9ELNS1_11target_archE1100ELNS1_3gpuE3ELNS1_3repE0EEENS1_30default_config_static_selectorELNS0_4arch9wavefront6targetE0EEEvT1_, .Lfunc_end233-_ZN7rocprim17ROCPRIM_400000_NS6detail17trampoline_kernelINS0_14default_configENS1_25partition_config_selectorILNS1_17partition_subalgoE8EaNS0_10empty_typeEbEEZZNS1_14partition_implILS5_8ELb0ES3_jPKaPS6_PKS6_NS0_5tupleIJPaS6_EEENSE_IJSB_SB_EEENS0_18inequality_wrapperIN6hipcub16HIPCUB_304000_NS8EqualityEEEPlJS6_EEE10hipError_tPvRmT3_T4_T5_T6_T7_T9_mT8_P12ihipStream_tbDpT10_ENKUlT_T0_E_clISt17integral_constantIbLb0EES16_IbLb1EEEEDaS12_S13_EUlS12_E_NS1_11comp_targetILNS1_3genE9ELNS1_11target_archE1100ELNS1_3gpuE3ELNS1_3repE0EEENS1_30default_config_static_selectorELNS0_4arch9wavefront6targetE0EEEvT1_
                                        ; -- End function
	.set _ZN7rocprim17ROCPRIM_400000_NS6detail17trampoline_kernelINS0_14default_configENS1_25partition_config_selectorILNS1_17partition_subalgoE8EaNS0_10empty_typeEbEEZZNS1_14partition_implILS5_8ELb0ES3_jPKaPS6_PKS6_NS0_5tupleIJPaS6_EEENSE_IJSB_SB_EEENS0_18inequality_wrapperIN6hipcub16HIPCUB_304000_NS8EqualityEEEPlJS6_EEE10hipError_tPvRmT3_T4_T5_T6_T7_T9_mT8_P12ihipStream_tbDpT10_ENKUlT_T0_E_clISt17integral_constantIbLb0EES16_IbLb1EEEEDaS12_S13_EUlS12_E_NS1_11comp_targetILNS1_3genE9ELNS1_11target_archE1100ELNS1_3gpuE3ELNS1_3repE0EEENS1_30default_config_static_selectorELNS0_4arch9wavefront6targetE0EEEvT1_.num_vgpr, 0
	.set _ZN7rocprim17ROCPRIM_400000_NS6detail17trampoline_kernelINS0_14default_configENS1_25partition_config_selectorILNS1_17partition_subalgoE8EaNS0_10empty_typeEbEEZZNS1_14partition_implILS5_8ELb0ES3_jPKaPS6_PKS6_NS0_5tupleIJPaS6_EEENSE_IJSB_SB_EEENS0_18inequality_wrapperIN6hipcub16HIPCUB_304000_NS8EqualityEEEPlJS6_EEE10hipError_tPvRmT3_T4_T5_T6_T7_T9_mT8_P12ihipStream_tbDpT10_ENKUlT_T0_E_clISt17integral_constantIbLb0EES16_IbLb1EEEEDaS12_S13_EUlS12_E_NS1_11comp_targetILNS1_3genE9ELNS1_11target_archE1100ELNS1_3gpuE3ELNS1_3repE0EEENS1_30default_config_static_selectorELNS0_4arch9wavefront6targetE0EEEvT1_.num_agpr, 0
	.set _ZN7rocprim17ROCPRIM_400000_NS6detail17trampoline_kernelINS0_14default_configENS1_25partition_config_selectorILNS1_17partition_subalgoE8EaNS0_10empty_typeEbEEZZNS1_14partition_implILS5_8ELb0ES3_jPKaPS6_PKS6_NS0_5tupleIJPaS6_EEENSE_IJSB_SB_EEENS0_18inequality_wrapperIN6hipcub16HIPCUB_304000_NS8EqualityEEEPlJS6_EEE10hipError_tPvRmT3_T4_T5_T6_T7_T9_mT8_P12ihipStream_tbDpT10_ENKUlT_T0_E_clISt17integral_constantIbLb0EES16_IbLb1EEEEDaS12_S13_EUlS12_E_NS1_11comp_targetILNS1_3genE9ELNS1_11target_archE1100ELNS1_3gpuE3ELNS1_3repE0EEENS1_30default_config_static_selectorELNS0_4arch9wavefront6targetE0EEEvT1_.numbered_sgpr, 0
	.set _ZN7rocprim17ROCPRIM_400000_NS6detail17trampoline_kernelINS0_14default_configENS1_25partition_config_selectorILNS1_17partition_subalgoE8EaNS0_10empty_typeEbEEZZNS1_14partition_implILS5_8ELb0ES3_jPKaPS6_PKS6_NS0_5tupleIJPaS6_EEENSE_IJSB_SB_EEENS0_18inequality_wrapperIN6hipcub16HIPCUB_304000_NS8EqualityEEEPlJS6_EEE10hipError_tPvRmT3_T4_T5_T6_T7_T9_mT8_P12ihipStream_tbDpT10_ENKUlT_T0_E_clISt17integral_constantIbLb0EES16_IbLb1EEEEDaS12_S13_EUlS12_E_NS1_11comp_targetILNS1_3genE9ELNS1_11target_archE1100ELNS1_3gpuE3ELNS1_3repE0EEENS1_30default_config_static_selectorELNS0_4arch9wavefront6targetE0EEEvT1_.num_named_barrier, 0
	.set _ZN7rocprim17ROCPRIM_400000_NS6detail17trampoline_kernelINS0_14default_configENS1_25partition_config_selectorILNS1_17partition_subalgoE8EaNS0_10empty_typeEbEEZZNS1_14partition_implILS5_8ELb0ES3_jPKaPS6_PKS6_NS0_5tupleIJPaS6_EEENSE_IJSB_SB_EEENS0_18inequality_wrapperIN6hipcub16HIPCUB_304000_NS8EqualityEEEPlJS6_EEE10hipError_tPvRmT3_T4_T5_T6_T7_T9_mT8_P12ihipStream_tbDpT10_ENKUlT_T0_E_clISt17integral_constantIbLb0EES16_IbLb1EEEEDaS12_S13_EUlS12_E_NS1_11comp_targetILNS1_3genE9ELNS1_11target_archE1100ELNS1_3gpuE3ELNS1_3repE0EEENS1_30default_config_static_selectorELNS0_4arch9wavefront6targetE0EEEvT1_.private_seg_size, 0
	.set _ZN7rocprim17ROCPRIM_400000_NS6detail17trampoline_kernelINS0_14default_configENS1_25partition_config_selectorILNS1_17partition_subalgoE8EaNS0_10empty_typeEbEEZZNS1_14partition_implILS5_8ELb0ES3_jPKaPS6_PKS6_NS0_5tupleIJPaS6_EEENSE_IJSB_SB_EEENS0_18inequality_wrapperIN6hipcub16HIPCUB_304000_NS8EqualityEEEPlJS6_EEE10hipError_tPvRmT3_T4_T5_T6_T7_T9_mT8_P12ihipStream_tbDpT10_ENKUlT_T0_E_clISt17integral_constantIbLb0EES16_IbLb1EEEEDaS12_S13_EUlS12_E_NS1_11comp_targetILNS1_3genE9ELNS1_11target_archE1100ELNS1_3gpuE3ELNS1_3repE0EEENS1_30default_config_static_selectorELNS0_4arch9wavefront6targetE0EEEvT1_.uses_vcc, 0
	.set _ZN7rocprim17ROCPRIM_400000_NS6detail17trampoline_kernelINS0_14default_configENS1_25partition_config_selectorILNS1_17partition_subalgoE8EaNS0_10empty_typeEbEEZZNS1_14partition_implILS5_8ELb0ES3_jPKaPS6_PKS6_NS0_5tupleIJPaS6_EEENSE_IJSB_SB_EEENS0_18inequality_wrapperIN6hipcub16HIPCUB_304000_NS8EqualityEEEPlJS6_EEE10hipError_tPvRmT3_T4_T5_T6_T7_T9_mT8_P12ihipStream_tbDpT10_ENKUlT_T0_E_clISt17integral_constantIbLb0EES16_IbLb1EEEEDaS12_S13_EUlS12_E_NS1_11comp_targetILNS1_3genE9ELNS1_11target_archE1100ELNS1_3gpuE3ELNS1_3repE0EEENS1_30default_config_static_selectorELNS0_4arch9wavefront6targetE0EEEvT1_.uses_flat_scratch, 0
	.set _ZN7rocprim17ROCPRIM_400000_NS6detail17trampoline_kernelINS0_14default_configENS1_25partition_config_selectorILNS1_17partition_subalgoE8EaNS0_10empty_typeEbEEZZNS1_14partition_implILS5_8ELb0ES3_jPKaPS6_PKS6_NS0_5tupleIJPaS6_EEENSE_IJSB_SB_EEENS0_18inequality_wrapperIN6hipcub16HIPCUB_304000_NS8EqualityEEEPlJS6_EEE10hipError_tPvRmT3_T4_T5_T6_T7_T9_mT8_P12ihipStream_tbDpT10_ENKUlT_T0_E_clISt17integral_constantIbLb0EES16_IbLb1EEEEDaS12_S13_EUlS12_E_NS1_11comp_targetILNS1_3genE9ELNS1_11target_archE1100ELNS1_3gpuE3ELNS1_3repE0EEENS1_30default_config_static_selectorELNS0_4arch9wavefront6targetE0EEEvT1_.has_dyn_sized_stack, 0
	.set _ZN7rocprim17ROCPRIM_400000_NS6detail17trampoline_kernelINS0_14default_configENS1_25partition_config_selectorILNS1_17partition_subalgoE8EaNS0_10empty_typeEbEEZZNS1_14partition_implILS5_8ELb0ES3_jPKaPS6_PKS6_NS0_5tupleIJPaS6_EEENSE_IJSB_SB_EEENS0_18inequality_wrapperIN6hipcub16HIPCUB_304000_NS8EqualityEEEPlJS6_EEE10hipError_tPvRmT3_T4_T5_T6_T7_T9_mT8_P12ihipStream_tbDpT10_ENKUlT_T0_E_clISt17integral_constantIbLb0EES16_IbLb1EEEEDaS12_S13_EUlS12_E_NS1_11comp_targetILNS1_3genE9ELNS1_11target_archE1100ELNS1_3gpuE3ELNS1_3repE0EEENS1_30default_config_static_selectorELNS0_4arch9wavefront6targetE0EEEvT1_.has_recursion, 0
	.set _ZN7rocprim17ROCPRIM_400000_NS6detail17trampoline_kernelINS0_14default_configENS1_25partition_config_selectorILNS1_17partition_subalgoE8EaNS0_10empty_typeEbEEZZNS1_14partition_implILS5_8ELb0ES3_jPKaPS6_PKS6_NS0_5tupleIJPaS6_EEENSE_IJSB_SB_EEENS0_18inequality_wrapperIN6hipcub16HIPCUB_304000_NS8EqualityEEEPlJS6_EEE10hipError_tPvRmT3_T4_T5_T6_T7_T9_mT8_P12ihipStream_tbDpT10_ENKUlT_T0_E_clISt17integral_constantIbLb0EES16_IbLb1EEEEDaS12_S13_EUlS12_E_NS1_11comp_targetILNS1_3genE9ELNS1_11target_archE1100ELNS1_3gpuE3ELNS1_3repE0EEENS1_30default_config_static_selectorELNS0_4arch9wavefront6targetE0EEEvT1_.has_indirect_call, 0
	.section	.AMDGPU.csdata,"",@progbits
; Kernel info:
; codeLenInByte = 0
; TotalNumSgprs: 0
; NumVgprs: 0
; ScratchSize: 0
; MemoryBound: 0
; FloatMode: 240
; IeeeMode: 1
; LDSByteSize: 0 bytes/workgroup (compile time only)
; SGPRBlocks: 0
; VGPRBlocks: 0
; NumSGPRsForWavesPerEU: 1
; NumVGPRsForWavesPerEU: 1
; NamedBarCnt: 0
; Occupancy: 16
; WaveLimiterHint : 0
; COMPUTE_PGM_RSRC2:SCRATCH_EN: 0
; COMPUTE_PGM_RSRC2:USER_SGPR: 2
; COMPUTE_PGM_RSRC2:TRAP_HANDLER: 0
; COMPUTE_PGM_RSRC2:TGID_X_EN: 1
; COMPUTE_PGM_RSRC2:TGID_Y_EN: 0
; COMPUTE_PGM_RSRC2:TGID_Z_EN: 0
; COMPUTE_PGM_RSRC2:TIDIG_COMP_CNT: 0
	.section	.text._ZN7rocprim17ROCPRIM_400000_NS6detail17trampoline_kernelINS0_14default_configENS1_25partition_config_selectorILNS1_17partition_subalgoE8EaNS0_10empty_typeEbEEZZNS1_14partition_implILS5_8ELb0ES3_jPKaPS6_PKS6_NS0_5tupleIJPaS6_EEENSE_IJSB_SB_EEENS0_18inequality_wrapperIN6hipcub16HIPCUB_304000_NS8EqualityEEEPlJS6_EEE10hipError_tPvRmT3_T4_T5_T6_T7_T9_mT8_P12ihipStream_tbDpT10_ENKUlT_T0_E_clISt17integral_constantIbLb0EES16_IbLb1EEEEDaS12_S13_EUlS12_E_NS1_11comp_targetILNS1_3genE8ELNS1_11target_archE1030ELNS1_3gpuE2ELNS1_3repE0EEENS1_30default_config_static_selectorELNS0_4arch9wavefront6targetE0EEEvT1_,"axG",@progbits,_ZN7rocprim17ROCPRIM_400000_NS6detail17trampoline_kernelINS0_14default_configENS1_25partition_config_selectorILNS1_17partition_subalgoE8EaNS0_10empty_typeEbEEZZNS1_14partition_implILS5_8ELb0ES3_jPKaPS6_PKS6_NS0_5tupleIJPaS6_EEENSE_IJSB_SB_EEENS0_18inequality_wrapperIN6hipcub16HIPCUB_304000_NS8EqualityEEEPlJS6_EEE10hipError_tPvRmT3_T4_T5_T6_T7_T9_mT8_P12ihipStream_tbDpT10_ENKUlT_T0_E_clISt17integral_constantIbLb0EES16_IbLb1EEEEDaS12_S13_EUlS12_E_NS1_11comp_targetILNS1_3genE8ELNS1_11target_archE1030ELNS1_3gpuE2ELNS1_3repE0EEENS1_30default_config_static_selectorELNS0_4arch9wavefront6targetE0EEEvT1_,comdat
	.protected	_ZN7rocprim17ROCPRIM_400000_NS6detail17trampoline_kernelINS0_14default_configENS1_25partition_config_selectorILNS1_17partition_subalgoE8EaNS0_10empty_typeEbEEZZNS1_14partition_implILS5_8ELb0ES3_jPKaPS6_PKS6_NS0_5tupleIJPaS6_EEENSE_IJSB_SB_EEENS0_18inequality_wrapperIN6hipcub16HIPCUB_304000_NS8EqualityEEEPlJS6_EEE10hipError_tPvRmT3_T4_T5_T6_T7_T9_mT8_P12ihipStream_tbDpT10_ENKUlT_T0_E_clISt17integral_constantIbLb0EES16_IbLb1EEEEDaS12_S13_EUlS12_E_NS1_11comp_targetILNS1_3genE8ELNS1_11target_archE1030ELNS1_3gpuE2ELNS1_3repE0EEENS1_30default_config_static_selectorELNS0_4arch9wavefront6targetE0EEEvT1_ ; -- Begin function _ZN7rocprim17ROCPRIM_400000_NS6detail17trampoline_kernelINS0_14default_configENS1_25partition_config_selectorILNS1_17partition_subalgoE8EaNS0_10empty_typeEbEEZZNS1_14partition_implILS5_8ELb0ES3_jPKaPS6_PKS6_NS0_5tupleIJPaS6_EEENSE_IJSB_SB_EEENS0_18inequality_wrapperIN6hipcub16HIPCUB_304000_NS8EqualityEEEPlJS6_EEE10hipError_tPvRmT3_T4_T5_T6_T7_T9_mT8_P12ihipStream_tbDpT10_ENKUlT_T0_E_clISt17integral_constantIbLb0EES16_IbLb1EEEEDaS12_S13_EUlS12_E_NS1_11comp_targetILNS1_3genE8ELNS1_11target_archE1030ELNS1_3gpuE2ELNS1_3repE0EEENS1_30default_config_static_selectorELNS0_4arch9wavefront6targetE0EEEvT1_
	.globl	_ZN7rocprim17ROCPRIM_400000_NS6detail17trampoline_kernelINS0_14default_configENS1_25partition_config_selectorILNS1_17partition_subalgoE8EaNS0_10empty_typeEbEEZZNS1_14partition_implILS5_8ELb0ES3_jPKaPS6_PKS6_NS0_5tupleIJPaS6_EEENSE_IJSB_SB_EEENS0_18inequality_wrapperIN6hipcub16HIPCUB_304000_NS8EqualityEEEPlJS6_EEE10hipError_tPvRmT3_T4_T5_T6_T7_T9_mT8_P12ihipStream_tbDpT10_ENKUlT_T0_E_clISt17integral_constantIbLb0EES16_IbLb1EEEEDaS12_S13_EUlS12_E_NS1_11comp_targetILNS1_3genE8ELNS1_11target_archE1030ELNS1_3gpuE2ELNS1_3repE0EEENS1_30default_config_static_selectorELNS0_4arch9wavefront6targetE0EEEvT1_
	.p2align	8
	.type	_ZN7rocprim17ROCPRIM_400000_NS6detail17trampoline_kernelINS0_14default_configENS1_25partition_config_selectorILNS1_17partition_subalgoE8EaNS0_10empty_typeEbEEZZNS1_14partition_implILS5_8ELb0ES3_jPKaPS6_PKS6_NS0_5tupleIJPaS6_EEENSE_IJSB_SB_EEENS0_18inequality_wrapperIN6hipcub16HIPCUB_304000_NS8EqualityEEEPlJS6_EEE10hipError_tPvRmT3_T4_T5_T6_T7_T9_mT8_P12ihipStream_tbDpT10_ENKUlT_T0_E_clISt17integral_constantIbLb0EES16_IbLb1EEEEDaS12_S13_EUlS12_E_NS1_11comp_targetILNS1_3genE8ELNS1_11target_archE1030ELNS1_3gpuE2ELNS1_3repE0EEENS1_30default_config_static_selectorELNS0_4arch9wavefront6targetE0EEEvT1_,@function
_ZN7rocprim17ROCPRIM_400000_NS6detail17trampoline_kernelINS0_14default_configENS1_25partition_config_selectorILNS1_17partition_subalgoE8EaNS0_10empty_typeEbEEZZNS1_14partition_implILS5_8ELb0ES3_jPKaPS6_PKS6_NS0_5tupleIJPaS6_EEENSE_IJSB_SB_EEENS0_18inequality_wrapperIN6hipcub16HIPCUB_304000_NS8EqualityEEEPlJS6_EEE10hipError_tPvRmT3_T4_T5_T6_T7_T9_mT8_P12ihipStream_tbDpT10_ENKUlT_T0_E_clISt17integral_constantIbLb0EES16_IbLb1EEEEDaS12_S13_EUlS12_E_NS1_11comp_targetILNS1_3genE8ELNS1_11target_archE1030ELNS1_3gpuE2ELNS1_3repE0EEENS1_30default_config_static_selectorELNS0_4arch9wavefront6targetE0EEEvT1_: ; @_ZN7rocprim17ROCPRIM_400000_NS6detail17trampoline_kernelINS0_14default_configENS1_25partition_config_selectorILNS1_17partition_subalgoE8EaNS0_10empty_typeEbEEZZNS1_14partition_implILS5_8ELb0ES3_jPKaPS6_PKS6_NS0_5tupleIJPaS6_EEENSE_IJSB_SB_EEENS0_18inequality_wrapperIN6hipcub16HIPCUB_304000_NS8EqualityEEEPlJS6_EEE10hipError_tPvRmT3_T4_T5_T6_T7_T9_mT8_P12ihipStream_tbDpT10_ENKUlT_T0_E_clISt17integral_constantIbLb0EES16_IbLb1EEEEDaS12_S13_EUlS12_E_NS1_11comp_targetILNS1_3genE8ELNS1_11target_archE1030ELNS1_3gpuE2ELNS1_3repE0EEENS1_30default_config_static_selectorELNS0_4arch9wavefront6targetE0EEEvT1_
; %bb.0:
	.section	.rodata,"a",@progbits
	.p2align	6, 0x0
	.amdhsa_kernel _ZN7rocprim17ROCPRIM_400000_NS6detail17trampoline_kernelINS0_14default_configENS1_25partition_config_selectorILNS1_17partition_subalgoE8EaNS0_10empty_typeEbEEZZNS1_14partition_implILS5_8ELb0ES3_jPKaPS6_PKS6_NS0_5tupleIJPaS6_EEENSE_IJSB_SB_EEENS0_18inequality_wrapperIN6hipcub16HIPCUB_304000_NS8EqualityEEEPlJS6_EEE10hipError_tPvRmT3_T4_T5_T6_T7_T9_mT8_P12ihipStream_tbDpT10_ENKUlT_T0_E_clISt17integral_constantIbLb0EES16_IbLb1EEEEDaS12_S13_EUlS12_E_NS1_11comp_targetILNS1_3genE8ELNS1_11target_archE1030ELNS1_3gpuE2ELNS1_3repE0EEENS1_30default_config_static_selectorELNS0_4arch9wavefront6targetE0EEEvT1_
		.amdhsa_group_segment_fixed_size 0
		.amdhsa_private_segment_fixed_size 0
		.amdhsa_kernarg_size 128
		.amdhsa_user_sgpr_count 2
		.amdhsa_user_sgpr_dispatch_ptr 0
		.amdhsa_user_sgpr_queue_ptr 0
		.amdhsa_user_sgpr_kernarg_segment_ptr 1
		.amdhsa_user_sgpr_dispatch_id 0
		.amdhsa_user_sgpr_kernarg_preload_length 0
		.amdhsa_user_sgpr_kernarg_preload_offset 0
		.amdhsa_user_sgpr_private_segment_size 0
		.amdhsa_wavefront_size32 1
		.amdhsa_uses_dynamic_stack 0
		.amdhsa_enable_private_segment 0
		.amdhsa_system_sgpr_workgroup_id_x 1
		.amdhsa_system_sgpr_workgroup_id_y 0
		.amdhsa_system_sgpr_workgroup_id_z 0
		.amdhsa_system_sgpr_workgroup_info 0
		.amdhsa_system_vgpr_workitem_id 0
		.amdhsa_next_free_vgpr 1
		.amdhsa_next_free_sgpr 1
		.amdhsa_named_barrier_count 0
		.amdhsa_reserve_vcc 0
		.amdhsa_float_round_mode_32 0
		.amdhsa_float_round_mode_16_64 0
		.amdhsa_float_denorm_mode_32 3
		.amdhsa_float_denorm_mode_16_64 3
		.amdhsa_fp16_overflow 0
		.amdhsa_memory_ordered 1
		.amdhsa_forward_progress 1
		.amdhsa_inst_pref_size 0
		.amdhsa_round_robin_scheduling 0
		.amdhsa_exception_fp_ieee_invalid_op 0
		.amdhsa_exception_fp_denorm_src 0
		.amdhsa_exception_fp_ieee_div_zero 0
		.amdhsa_exception_fp_ieee_overflow 0
		.amdhsa_exception_fp_ieee_underflow 0
		.amdhsa_exception_fp_ieee_inexact 0
		.amdhsa_exception_int_div_zero 0
	.end_amdhsa_kernel
	.section	.text._ZN7rocprim17ROCPRIM_400000_NS6detail17trampoline_kernelINS0_14default_configENS1_25partition_config_selectorILNS1_17partition_subalgoE8EaNS0_10empty_typeEbEEZZNS1_14partition_implILS5_8ELb0ES3_jPKaPS6_PKS6_NS0_5tupleIJPaS6_EEENSE_IJSB_SB_EEENS0_18inequality_wrapperIN6hipcub16HIPCUB_304000_NS8EqualityEEEPlJS6_EEE10hipError_tPvRmT3_T4_T5_T6_T7_T9_mT8_P12ihipStream_tbDpT10_ENKUlT_T0_E_clISt17integral_constantIbLb0EES16_IbLb1EEEEDaS12_S13_EUlS12_E_NS1_11comp_targetILNS1_3genE8ELNS1_11target_archE1030ELNS1_3gpuE2ELNS1_3repE0EEENS1_30default_config_static_selectorELNS0_4arch9wavefront6targetE0EEEvT1_,"axG",@progbits,_ZN7rocprim17ROCPRIM_400000_NS6detail17trampoline_kernelINS0_14default_configENS1_25partition_config_selectorILNS1_17partition_subalgoE8EaNS0_10empty_typeEbEEZZNS1_14partition_implILS5_8ELb0ES3_jPKaPS6_PKS6_NS0_5tupleIJPaS6_EEENSE_IJSB_SB_EEENS0_18inequality_wrapperIN6hipcub16HIPCUB_304000_NS8EqualityEEEPlJS6_EEE10hipError_tPvRmT3_T4_T5_T6_T7_T9_mT8_P12ihipStream_tbDpT10_ENKUlT_T0_E_clISt17integral_constantIbLb0EES16_IbLb1EEEEDaS12_S13_EUlS12_E_NS1_11comp_targetILNS1_3genE8ELNS1_11target_archE1030ELNS1_3gpuE2ELNS1_3repE0EEENS1_30default_config_static_selectorELNS0_4arch9wavefront6targetE0EEEvT1_,comdat
.Lfunc_end234:
	.size	_ZN7rocprim17ROCPRIM_400000_NS6detail17trampoline_kernelINS0_14default_configENS1_25partition_config_selectorILNS1_17partition_subalgoE8EaNS0_10empty_typeEbEEZZNS1_14partition_implILS5_8ELb0ES3_jPKaPS6_PKS6_NS0_5tupleIJPaS6_EEENSE_IJSB_SB_EEENS0_18inequality_wrapperIN6hipcub16HIPCUB_304000_NS8EqualityEEEPlJS6_EEE10hipError_tPvRmT3_T4_T5_T6_T7_T9_mT8_P12ihipStream_tbDpT10_ENKUlT_T0_E_clISt17integral_constantIbLb0EES16_IbLb1EEEEDaS12_S13_EUlS12_E_NS1_11comp_targetILNS1_3genE8ELNS1_11target_archE1030ELNS1_3gpuE2ELNS1_3repE0EEENS1_30default_config_static_selectorELNS0_4arch9wavefront6targetE0EEEvT1_, .Lfunc_end234-_ZN7rocprim17ROCPRIM_400000_NS6detail17trampoline_kernelINS0_14default_configENS1_25partition_config_selectorILNS1_17partition_subalgoE8EaNS0_10empty_typeEbEEZZNS1_14partition_implILS5_8ELb0ES3_jPKaPS6_PKS6_NS0_5tupleIJPaS6_EEENSE_IJSB_SB_EEENS0_18inequality_wrapperIN6hipcub16HIPCUB_304000_NS8EqualityEEEPlJS6_EEE10hipError_tPvRmT3_T4_T5_T6_T7_T9_mT8_P12ihipStream_tbDpT10_ENKUlT_T0_E_clISt17integral_constantIbLb0EES16_IbLb1EEEEDaS12_S13_EUlS12_E_NS1_11comp_targetILNS1_3genE8ELNS1_11target_archE1030ELNS1_3gpuE2ELNS1_3repE0EEENS1_30default_config_static_selectorELNS0_4arch9wavefront6targetE0EEEvT1_
                                        ; -- End function
	.set _ZN7rocprim17ROCPRIM_400000_NS6detail17trampoline_kernelINS0_14default_configENS1_25partition_config_selectorILNS1_17partition_subalgoE8EaNS0_10empty_typeEbEEZZNS1_14partition_implILS5_8ELb0ES3_jPKaPS6_PKS6_NS0_5tupleIJPaS6_EEENSE_IJSB_SB_EEENS0_18inequality_wrapperIN6hipcub16HIPCUB_304000_NS8EqualityEEEPlJS6_EEE10hipError_tPvRmT3_T4_T5_T6_T7_T9_mT8_P12ihipStream_tbDpT10_ENKUlT_T0_E_clISt17integral_constantIbLb0EES16_IbLb1EEEEDaS12_S13_EUlS12_E_NS1_11comp_targetILNS1_3genE8ELNS1_11target_archE1030ELNS1_3gpuE2ELNS1_3repE0EEENS1_30default_config_static_selectorELNS0_4arch9wavefront6targetE0EEEvT1_.num_vgpr, 0
	.set _ZN7rocprim17ROCPRIM_400000_NS6detail17trampoline_kernelINS0_14default_configENS1_25partition_config_selectorILNS1_17partition_subalgoE8EaNS0_10empty_typeEbEEZZNS1_14partition_implILS5_8ELb0ES3_jPKaPS6_PKS6_NS0_5tupleIJPaS6_EEENSE_IJSB_SB_EEENS0_18inequality_wrapperIN6hipcub16HIPCUB_304000_NS8EqualityEEEPlJS6_EEE10hipError_tPvRmT3_T4_T5_T6_T7_T9_mT8_P12ihipStream_tbDpT10_ENKUlT_T0_E_clISt17integral_constantIbLb0EES16_IbLb1EEEEDaS12_S13_EUlS12_E_NS1_11comp_targetILNS1_3genE8ELNS1_11target_archE1030ELNS1_3gpuE2ELNS1_3repE0EEENS1_30default_config_static_selectorELNS0_4arch9wavefront6targetE0EEEvT1_.num_agpr, 0
	.set _ZN7rocprim17ROCPRIM_400000_NS6detail17trampoline_kernelINS0_14default_configENS1_25partition_config_selectorILNS1_17partition_subalgoE8EaNS0_10empty_typeEbEEZZNS1_14partition_implILS5_8ELb0ES3_jPKaPS6_PKS6_NS0_5tupleIJPaS6_EEENSE_IJSB_SB_EEENS0_18inequality_wrapperIN6hipcub16HIPCUB_304000_NS8EqualityEEEPlJS6_EEE10hipError_tPvRmT3_T4_T5_T6_T7_T9_mT8_P12ihipStream_tbDpT10_ENKUlT_T0_E_clISt17integral_constantIbLb0EES16_IbLb1EEEEDaS12_S13_EUlS12_E_NS1_11comp_targetILNS1_3genE8ELNS1_11target_archE1030ELNS1_3gpuE2ELNS1_3repE0EEENS1_30default_config_static_selectorELNS0_4arch9wavefront6targetE0EEEvT1_.numbered_sgpr, 0
	.set _ZN7rocprim17ROCPRIM_400000_NS6detail17trampoline_kernelINS0_14default_configENS1_25partition_config_selectorILNS1_17partition_subalgoE8EaNS0_10empty_typeEbEEZZNS1_14partition_implILS5_8ELb0ES3_jPKaPS6_PKS6_NS0_5tupleIJPaS6_EEENSE_IJSB_SB_EEENS0_18inequality_wrapperIN6hipcub16HIPCUB_304000_NS8EqualityEEEPlJS6_EEE10hipError_tPvRmT3_T4_T5_T6_T7_T9_mT8_P12ihipStream_tbDpT10_ENKUlT_T0_E_clISt17integral_constantIbLb0EES16_IbLb1EEEEDaS12_S13_EUlS12_E_NS1_11comp_targetILNS1_3genE8ELNS1_11target_archE1030ELNS1_3gpuE2ELNS1_3repE0EEENS1_30default_config_static_selectorELNS0_4arch9wavefront6targetE0EEEvT1_.num_named_barrier, 0
	.set _ZN7rocprim17ROCPRIM_400000_NS6detail17trampoline_kernelINS0_14default_configENS1_25partition_config_selectorILNS1_17partition_subalgoE8EaNS0_10empty_typeEbEEZZNS1_14partition_implILS5_8ELb0ES3_jPKaPS6_PKS6_NS0_5tupleIJPaS6_EEENSE_IJSB_SB_EEENS0_18inequality_wrapperIN6hipcub16HIPCUB_304000_NS8EqualityEEEPlJS6_EEE10hipError_tPvRmT3_T4_T5_T6_T7_T9_mT8_P12ihipStream_tbDpT10_ENKUlT_T0_E_clISt17integral_constantIbLb0EES16_IbLb1EEEEDaS12_S13_EUlS12_E_NS1_11comp_targetILNS1_3genE8ELNS1_11target_archE1030ELNS1_3gpuE2ELNS1_3repE0EEENS1_30default_config_static_selectorELNS0_4arch9wavefront6targetE0EEEvT1_.private_seg_size, 0
	.set _ZN7rocprim17ROCPRIM_400000_NS6detail17trampoline_kernelINS0_14default_configENS1_25partition_config_selectorILNS1_17partition_subalgoE8EaNS0_10empty_typeEbEEZZNS1_14partition_implILS5_8ELb0ES3_jPKaPS6_PKS6_NS0_5tupleIJPaS6_EEENSE_IJSB_SB_EEENS0_18inequality_wrapperIN6hipcub16HIPCUB_304000_NS8EqualityEEEPlJS6_EEE10hipError_tPvRmT3_T4_T5_T6_T7_T9_mT8_P12ihipStream_tbDpT10_ENKUlT_T0_E_clISt17integral_constantIbLb0EES16_IbLb1EEEEDaS12_S13_EUlS12_E_NS1_11comp_targetILNS1_3genE8ELNS1_11target_archE1030ELNS1_3gpuE2ELNS1_3repE0EEENS1_30default_config_static_selectorELNS0_4arch9wavefront6targetE0EEEvT1_.uses_vcc, 0
	.set _ZN7rocprim17ROCPRIM_400000_NS6detail17trampoline_kernelINS0_14default_configENS1_25partition_config_selectorILNS1_17partition_subalgoE8EaNS0_10empty_typeEbEEZZNS1_14partition_implILS5_8ELb0ES3_jPKaPS6_PKS6_NS0_5tupleIJPaS6_EEENSE_IJSB_SB_EEENS0_18inequality_wrapperIN6hipcub16HIPCUB_304000_NS8EqualityEEEPlJS6_EEE10hipError_tPvRmT3_T4_T5_T6_T7_T9_mT8_P12ihipStream_tbDpT10_ENKUlT_T0_E_clISt17integral_constantIbLb0EES16_IbLb1EEEEDaS12_S13_EUlS12_E_NS1_11comp_targetILNS1_3genE8ELNS1_11target_archE1030ELNS1_3gpuE2ELNS1_3repE0EEENS1_30default_config_static_selectorELNS0_4arch9wavefront6targetE0EEEvT1_.uses_flat_scratch, 0
	.set _ZN7rocprim17ROCPRIM_400000_NS6detail17trampoline_kernelINS0_14default_configENS1_25partition_config_selectorILNS1_17partition_subalgoE8EaNS0_10empty_typeEbEEZZNS1_14partition_implILS5_8ELb0ES3_jPKaPS6_PKS6_NS0_5tupleIJPaS6_EEENSE_IJSB_SB_EEENS0_18inequality_wrapperIN6hipcub16HIPCUB_304000_NS8EqualityEEEPlJS6_EEE10hipError_tPvRmT3_T4_T5_T6_T7_T9_mT8_P12ihipStream_tbDpT10_ENKUlT_T0_E_clISt17integral_constantIbLb0EES16_IbLb1EEEEDaS12_S13_EUlS12_E_NS1_11comp_targetILNS1_3genE8ELNS1_11target_archE1030ELNS1_3gpuE2ELNS1_3repE0EEENS1_30default_config_static_selectorELNS0_4arch9wavefront6targetE0EEEvT1_.has_dyn_sized_stack, 0
	.set _ZN7rocprim17ROCPRIM_400000_NS6detail17trampoline_kernelINS0_14default_configENS1_25partition_config_selectorILNS1_17partition_subalgoE8EaNS0_10empty_typeEbEEZZNS1_14partition_implILS5_8ELb0ES3_jPKaPS6_PKS6_NS0_5tupleIJPaS6_EEENSE_IJSB_SB_EEENS0_18inequality_wrapperIN6hipcub16HIPCUB_304000_NS8EqualityEEEPlJS6_EEE10hipError_tPvRmT3_T4_T5_T6_T7_T9_mT8_P12ihipStream_tbDpT10_ENKUlT_T0_E_clISt17integral_constantIbLb0EES16_IbLb1EEEEDaS12_S13_EUlS12_E_NS1_11comp_targetILNS1_3genE8ELNS1_11target_archE1030ELNS1_3gpuE2ELNS1_3repE0EEENS1_30default_config_static_selectorELNS0_4arch9wavefront6targetE0EEEvT1_.has_recursion, 0
	.set _ZN7rocprim17ROCPRIM_400000_NS6detail17trampoline_kernelINS0_14default_configENS1_25partition_config_selectorILNS1_17partition_subalgoE8EaNS0_10empty_typeEbEEZZNS1_14partition_implILS5_8ELb0ES3_jPKaPS6_PKS6_NS0_5tupleIJPaS6_EEENSE_IJSB_SB_EEENS0_18inequality_wrapperIN6hipcub16HIPCUB_304000_NS8EqualityEEEPlJS6_EEE10hipError_tPvRmT3_T4_T5_T6_T7_T9_mT8_P12ihipStream_tbDpT10_ENKUlT_T0_E_clISt17integral_constantIbLb0EES16_IbLb1EEEEDaS12_S13_EUlS12_E_NS1_11comp_targetILNS1_3genE8ELNS1_11target_archE1030ELNS1_3gpuE2ELNS1_3repE0EEENS1_30default_config_static_selectorELNS0_4arch9wavefront6targetE0EEEvT1_.has_indirect_call, 0
	.section	.AMDGPU.csdata,"",@progbits
; Kernel info:
; codeLenInByte = 0
; TotalNumSgprs: 0
; NumVgprs: 0
; ScratchSize: 0
; MemoryBound: 0
; FloatMode: 240
; IeeeMode: 1
; LDSByteSize: 0 bytes/workgroup (compile time only)
; SGPRBlocks: 0
; VGPRBlocks: 0
; NumSGPRsForWavesPerEU: 1
; NumVGPRsForWavesPerEU: 1
; NamedBarCnt: 0
; Occupancy: 16
; WaveLimiterHint : 0
; COMPUTE_PGM_RSRC2:SCRATCH_EN: 0
; COMPUTE_PGM_RSRC2:USER_SGPR: 2
; COMPUTE_PGM_RSRC2:TRAP_HANDLER: 0
; COMPUTE_PGM_RSRC2:TGID_X_EN: 1
; COMPUTE_PGM_RSRC2:TGID_Y_EN: 0
; COMPUTE_PGM_RSRC2:TGID_Z_EN: 0
; COMPUTE_PGM_RSRC2:TIDIG_COMP_CNT: 0
	.section	.text._ZN7rocprim17ROCPRIM_400000_NS6detail17trampoline_kernelINS0_14default_configENS1_33run_length_encode_config_selectorIajNS0_4plusIjEEEEZZNS1_33reduce_by_key_impl_wrapped_configILNS1_25lookback_scan_determinismE0ES3_S7_PKaNS0_17constant_iteratorIjlEEPaPlSF_S6_NS0_8equal_toIaEEEE10hipError_tPvRmT2_T3_mT4_T5_T6_T7_T8_P12ihipStream_tbENKUlT_T0_E_clISt17integral_constantIbLb0EESZ_EEDaSU_SV_EUlSU_E_NS1_11comp_targetILNS1_3genE0ELNS1_11target_archE4294967295ELNS1_3gpuE0ELNS1_3repE0EEENS1_30default_config_static_selectorELNS0_4arch9wavefront6targetE0EEEvT1_,"axG",@progbits,_ZN7rocprim17ROCPRIM_400000_NS6detail17trampoline_kernelINS0_14default_configENS1_33run_length_encode_config_selectorIajNS0_4plusIjEEEEZZNS1_33reduce_by_key_impl_wrapped_configILNS1_25lookback_scan_determinismE0ES3_S7_PKaNS0_17constant_iteratorIjlEEPaPlSF_S6_NS0_8equal_toIaEEEE10hipError_tPvRmT2_T3_mT4_T5_T6_T7_T8_P12ihipStream_tbENKUlT_T0_E_clISt17integral_constantIbLb0EESZ_EEDaSU_SV_EUlSU_E_NS1_11comp_targetILNS1_3genE0ELNS1_11target_archE4294967295ELNS1_3gpuE0ELNS1_3repE0EEENS1_30default_config_static_selectorELNS0_4arch9wavefront6targetE0EEEvT1_,comdat
	.protected	_ZN7rocprim17ROCPRIM_400000_NS6detail17trampoline_kernelINS0_14default_configENS1_33run_length_encode_config_selectorIajNS0_4plusIjEEEEZZNS1_33reduce_by_key_impl_wrapped_configILNS1_25lookback_scan_determinismE0ES3_S7_PKaNS0_17constant_iteratorIjlEEPaPlSF_S6_NS0_8equal_toIaEEEE10hipError_tPvRmT2_T3_mT4_T5_T6_T7_T8_P12ihipStream_tbENKUlT_T0_E_clISt17integral_constantIbLb0EESZ_EEDaSU_SV_EUlSU_E_NS1_11comp_targetILNS1_3genE0ELNS1_11target_archE4294967295ELNS1_3gpuE0ELNS1_3repE0EEENS1_30default_config_static_selectorELNS0_4arch9wavefront6targetE0EEEvT1_ ; -- Begin function _ZN7rocprim17ROCPRIM_400000_NS6detail17trampoline_kernelINS0_14default_configENS1_33run_length_encode_config_selectorIajNS0_4plusIjEEEEZZNS1_33reduce_by_key_impl_wrapped_configILNS1_25lookback_scan_determinismE0ES3_S7_PKaNS0_17constant_iteratorIjlEEPaPlSF_S6_NS0_8equal_toIaEEEE10hipError_tPvRmT2_T3_mT4_T5_T6_T7_T8_P12ihipStream_tbENKUlT_T0_E_clISt17integral_constantIbLb0EESZ_EEDaSU_SV_EUlSU_E_NS1_11comp_targetILNS1_3genE0ELNS1_11target_archE4294967295ELNS1_3gpuE0ELNS1_3repE0EEENS1_30default_config_static_selectorELNS0_4arch9wavefront6targetE0EEEvT1_
	.globl	_ZN7rocprim17ROCPRIM_400000_NS6detail17trampoline_kernelINS0_14default_configENS1_33run_length_encode_config_selectorIajNS0_4plusIjEEEEZZNS1_33reduce_by_key_impl_wrapped_configILNS1_25lookback_scan_determinismE0ES3_S7_PKaNS0_17constant_iteratorIjlEEPaPlSF_S6_NS0_8equal_toIaEEEE10hipError_tPvRmT2_T3_mT4_T5_T6_T7_T8_P12ihipStream_tbENKUlT_T0_E_clISt17integral_constantIbLb0EESZ_EEDaSU_SV_EUlSU_E_NS1_11comp_targetILNS1_3genE0ELNS1_11target_archE4294967295ELNS1_3gpuE0ELNS1_3repE0EEENS1_30default_config_static_selectorELNS0_4arch9wavefront6targetE0EEEvT1_
	.p2align	8
	.type	_ZN7rocprim17ROCPRIM_400000_NS6detail17trampoline_kernelINS0_14default_configENS1_33run_length_encode_config_selectorIajNS0_4plusIjEEEEZZNS1_33reduce_by_key_impl_wrapped_configILNS1_25lookback_scan_determinismE0ES3_S7_PKaNS0_17constant_iteratorIjlEEPaPlSF_S6_NS0_8equal_toIaEEEE10hipError_tPvRmT2_T3_mT4_T5_T6_T7_T8_P12ihipStream_tbENKUlT_T0_E_clISt17integral_constantIbLb0EESZ_EEDaSU_SV_EUlSU_E_NS1_11comp_targetILNS1_3genE0ELNS1_11target_archE4294967295ELNS1_3gpuE0ELNS1_3repE0EEENS1_30default_config_static_selectorELNS0_4arch9wavefront6targetE0EEEvT1_,@function
_ZN7rocprim17ROCPRIM_400000_NS6detail17trampoline_kernelINS0_14default_configENS1_33run_length_encode_config_selectorIajNS0_4plusIjEEEEZZNS1_33reduce_by_key_impl_wrapped_configILNS1_25lookback_scan_determinismE0ES3_S7_PKaNS0_17constant_iteratorIjlEEPaPlSF_S6_NS0_8equal_toIaEEEE10hipError_tPvRmT2_T3_mT4_T5_T6_T7_T8_P12ihipStream_tbENKUlT_T0_E_clISt17integral_constantIbLb0EESZ_EEDaSU_SV_EUlSU_E_NS1_11comp_targetILNS1_3genE0ELNS1_11target_archE4294967295ELNS1_3gpuE0ELNS1_3repE0EEENS1_30default_config_static_selectorELNS0_4arch9wavefront6targetE0EEEvT1_: ; @_ZN7rocprim17ROCPRIM_400000_NS6detail17trampoline_kernelINS0_14default_configENS1_33run_length_encode_config_selectorIajNS0_4plusIjEEEEZZNS1_33reduce_by_key_impl_wrapped_configILNS1_25lookback_scan_determinismE0ES3_S7_PKaNS0_17constant_iteratorIjlEEPaPlSF_S6_NS0_8equal_toIaEEEE10hipError_tPvRmT2_T3_mT4_T5_T6_T7_T8_P12ihipStream_tbENKUlT_T0_E_clISt17integral_constantIbLb0EESZ_EEDaSU_SV_EUlSU_E_NS1_11comp_targetILNS1_3genE0ELNS1_11target_archE4294967295ELNS1_3gpuE0ELNS1_3repE0EEENS1_30default_config_static_selectorELNS0_4arch9wavefront6targetE0EEEvT1_
; %bb.0:
	s_clause 0x1
	s_load_b256 s[16:23], s[0:1], 0x40
	s_load_b128 s[8:11], s[0:1], 0x0
	s_bfe_u32 s4, ttmp6, 0x4000c
	s_load_b128 s[24:27], s[0:1], 0x60
	s_add_co_i32 s6, s4, 1
	s_load_b32 s4, s[0:1], 0x10
	s_and_b32 s2, ttmp6, 15
	s_mul_i32 s6, ttmp9, s6
	s_getreg_b32 s5, hwreg(HW_REG_IB_STS2, 6, 4)
	s_add_co_i32 s2, s2, s6
	s_mov_b32 s3, 0
	s_cmp_eq_u32 s5, 0
	s_mov_b32 s29, s3
	s_cselect_b32 s28, ttmp9, s2
	v_mad_u32_u24 v2, v0, 13, v0
	s_mul_i32 s2, s28, 0xe00
	s_wait_kmcnt 0x0
	s_mul_u64 s[6:7], s[20:21], s[18:19]
	s_add_nc_u64 s[12:13], s[22:23], -1
	s_add_nc_u64 s[22:23], s[6:7], s[28:29]
	s_add_nc_u64 s[6:7], s[8:9], s[10:11]
	s_cmp_eq_u64 s[22:23], s[12:13]
	s_add_nc_u64 s[20:21], s[6:7], s[2:3]
	s_cselect_b32 s15, -1, 0
	s_cmp_lg_u64 s[22:23], s[12:13]
	s_mul_i32 s29, s12, 0xfffff200
	s_cselect_b32 s2, -1, 0
	s_and_b32 vcc_lo, exec_lo, s15
	s_cbranch_vccnz .LBB235_2
; %bb.1:
	s_clause 0xd
	global_load_u8 v1, v0, s[20:21]
	global_load_u8 v3, v0, s[20:21] offset:256
	global_load_u8 v4, v0, s[20:21] offset:512
	;; [unrolled: 1-line block ×13, first 2 shown]
	s_mov_b32 s5, 0
	s_mov_b32 s3, -1
	s_wait_loadcnt 0xd
	ds_store_b8 v0, v1
	s_wait_loadcnt 0xc
	ds_store_b8 v0, v3 offset:256
	s_wait_loadcnt 0xb
	ds_store_b8 v0, v4 offset:512
	;; [unrolled: 2-line block ×13, first 2 shown]
	s_wait_dscnt 0x0
	s_barrier_signal -1
	s_barrier_wait -1
	ds_load_u16 v1, v2
	ds_load_b96 v[10:12], v2 offset:2
	s_wait_dscnt 0x1
	v_lshrrev_b16 v13, 8, v1
	s_branch .LBB235_3
.LBB235_2:
	s_mov_b32 s5, -1
                                        ; implicit-def: $vgpr10
                                        ; implicit-def: $vgpr1
                                        ; implicit-def: $vgpr13
.LBB235_3:
	v_dual_mov_b32 v50, s4 :: v_dual_mov_b32 v51, s4
	v_dual_mov_b32 v52, s4 :: v_dual_mov_b32 v54, s4
	;; [unrolled: 1-line block ×6, first 2 shown]
	v_mov_b32_e32 v53, s4
	s_and_not1_b32 vcc_lo, exec_lo, s5
	s_add_co_i32 s29, s29, s24
                                        ; implicit-def: $vgpr76
	s_cbranch_vccnz .LBB235_33
; %bb.4:
	s_mov_b32 s3, exec_lo
                                        ; implicit-def: $vgpr1
	v_cmpx_gt_u32_e64 s29, v0
	s_cbranch_execz .LBB235_6
; %bb.5:
	global_load_u8 v1, v0, s[20:21]
.LBB235_6:
	s_wait_xcnt 0x0
	s_or_b32 exec_lo, exec_lo, s3
	v_or_b32_e32 v3, 0x100, v0
	s_delay_alu instid0(VALU_DEP_1)
	v_cmp_gt_u32_e32 vcc_lo, s29, v3
                                        ; implicit-def: $vgpr3
	s_and_saveexec_b32 s3, vcc_lo
	s_cbranch_execz .LBB235_8
; %bb.7:
	global_load_u8 v3, v0, s[20:21] offset:256
.LBB235_8:
	s_wait_xcnt 0x0
	s_or_b32 exec_lo, exec_lo, s3
	v_or_b32_e32 v4, 0x200, v0
	s_delay_alu instid0(VALU_DEP_1)
	v_cmp_gt_u32_e32 vcc_lo, s29, v4
                                        ; implicit-def: $vgpr4
	s_and_saveexec_b32 s3, vcc_lo
	s_cbranch_execz .LBB235_10
; %bb.9:
	global_load_u8 v4, v0, s[20:21] offset:512
.LBB235_10:
	s_wait_xcnt 0x0
	s_or_b32 exec_lo, exec_lo, s3
	v_or_b32_e32 v5, 0x300, v0
	s_delay_alu instid0(VALU_DEP_1)
	v_cmp_gt_u32_e32 vcc_lo, s29, v5
                                        ; implicit-def: $vgpr5
	s_and_saveexec_b32 s3, vcc_lo
	s_cbranch_execz .LBB235_12
; %bb.11:
	global_load_u8 v5, v0, s[20:21] offset:768
.LBB235_12:
	s_wait_xcnt 0x0
	s_or_b32 exec_lo, exec_lo, s3
	v_or_b32_e32 v6, 0x400, v0
	s_delay_alu instid0(VALU_DEP_1)
	v_cmp_gt_u32_e32 vcc_lo, s29, v6
                                        ; implicit-def: $vgpr6
	s_and_saveexec_b32 s3, vcc_lo
	s_cbranch_execz .LBB235_14
; %bb.13:
	global_load_u8 v6, v0, s[20:21] offset:1024
.LBB235_14:
	s_wait_xcnt 0x0
	s_or_b32 exec_lo, exec_lo, s3
	v_or_b32_e32 v7, 0x500, v0
	s_delay_alu instid0(VALU_DEP_1)
	v_cmp_gt_u32_e32 vcc_lo, s29, v7
                                        ; implicit-def: $vgpr7
	s_and_saveexec_b32 s3, vcc_lo
	s_cbranch_execz .LBB235_16
; %bb.15:
	global_load_u8 v7, v0, s[20:21] offset:1280
.LBB235_16:
	s_wait_xcnt 0x0
	s_or_b32 exec_lo, exec_lo, s3
	v_or_b32_e32 v8, 0x600, v0
	s_delay_alu instid0(VALU_DEP_1)
	v_cmp_gt_u32_e32 vcc_lo, s29, v8
                                        ; implicit-def: $vgpr8
	s_and_saveexec_b32 s3, vcc_lo
	s_cbranch_execz .LBB235_18
; %bb.17:
	global_load_u8 v8, v0, s[20:21] offset:1536
.LBB235_18:
	s_wait_xcnt 0x0
	s_or_b32 exec_lo, exec_lo, s3
	v_or_b32_e32 v9, 0x700, v0
	s_delay_alu instid0(VALU_DEP_1)
	v_cmp_gt_u32_e32 vcc_lo, s29, v9
                                        ; implicit-def: $vgpr9
	s_and_saveexec_b32 s3, vcc_lo
	s_cbranch_execz .LBB235_20
; %bb.19:
	global_load_u8 v9, v0, s[20:21] offset:1792
.LBB235_20:
	s_wait_xcnt 0x0
	s_or_b32 exec_lo, exec_lo, s3
	s_wait_dscnt 0x0
	v_or_b32_e32 v10, 0x800, v0
	s_delay_alu instid0(VALU_DEP_1)
	v_cmp_gt_u32_e32 vcc_lo, s29, v10
                                        ; implicit-def: $vgpr10
	s_and_saveexec_b32 s3, vcc_lo
	s_cbranch_execz .LBB235_22
; %bb.21:
	global_load_u8 v10, v0, s[20:21] offset:2048
.LBB235_22:
	s_wait_xcnt 0x0
	s_or_b32 exec_lo, exec_lo, s3
	v_or_b32_e32 v11, 0x900, v0
	s_delay_alu instid0(VALU_DEP_1)
	v_cmp_gt_u32_e32 vcc_lo, s29, v11
                                        ; implicit-def: $vgpr11
	s_and_saveexec_b32 s3, vcc_lo
	s_cbranch_execz .LBB235_24
; %bb.23:
	global_load_u8 v11, v0, s[20:21] offset:2304
.LBB235_24:
	s_wait_xcnt 0x0
	s_or_b32 exec_lo, exec_lo, s3
	v_or_b32_e32 v12, 0xa00, v0
	s_delay_alu instid0(VALU_DEP_1)
	v_cmp_gt_u32_e32 vcc_lo, s29, v12
                                        ; implicit-def: $vgpr12
	s_and_saveexec_b32 s3, vcc_lo
	s_cbranch_execz .LBB235_26
; %bb.25:
	global_load_u8 v12, v0, s[20:21] offset:2560
.LBB235_26:
	s_wait_xcnt 0x0
	s_or_b32 exec_lo, exec_lo, s3
	v_or_b32_e32 v13, 0xb00, v0
	s_delay_alu instid0(VALU_DEP_1)
	v_cmp_gt_u32_e32 vcc_lo, s29, v13
                                        ; implicit-def: $vgpr13
	s_and_saveexec_b32 s3, vcc_lo
	s_cbranch_execz .LBB235_28
; %bb.27:
	global_load_u8 v13, v0, s[20:21] offset:2816
.LBB235_28:
	s_wait_xcnt 0x0
	s_or_b32 exec_lo, exec_lo, s3
	v_or_b32_e32 v14, 0xc00, v0
	s_delay_alu instid0(VALU_DEP_1)
	v_cmp_gt_u32_e32 vcc_lo, s29, v14
                                        ; implicit-def: $vgpr14
	s_and_saveexec_b32 s3, vcc_lo
	s_cbranch_execz .LBB235_30
; %bb.29:
	global_load_u8 v14, v0, s[20:21] offset:3072
.LBB235_30:
	s_wait_xcnt 0x0
	s_or_b32 exec_lo, exec_lo, s3
	v_or_b32_e32 v15, 0xd00, v0
	s_delay_alu instid0(VALU_DEP_1)
	v_cmp_gt_u32_e32 vcc_lo, s29, v15
                                        ; implicit-def: $vgpr15
	s_and_saveexec_b32 s3, vcc_lo
	s_cbranch_execz .LBB235_32
; %bb.31:
	global_load_u8 v15, v0, s[20:21] offset:3328
.LBB235_32:
	s_wait_xcnt 0x0
	s_or_b32 exec_lo, exec_lo, s3
	s_wait_loadcnt 0x0
	ds_store_b8 v0, v1
	ds_store_b8 v0, v3 offset:256
	ds_store_b8 v0, v4 offset:512
	;; [unrolled: 1-line block ×13, first 2 shown]
	v_mul_u32_u24_e32 v3, 14, v0
	s_wait_dscnt 0x0
	s_barrier_signal -1
	s_barrier_wait -1
	ds_load_u16 v1, v2
	ds_load_b96 v[10:12], v2 offset:2
	v_dual_mov_b32 v76, 0 :: v_dual_bitop2_b32 v2, 1, v3 bitop3:0x54
	v_cmp_gt_u32_e32 vcc_lo, s29, v3
	v_mad_u32_u24 v3, v0, 14, 2
	v_mad_u32_u24 v4, v0, 14, 4
	v_cndmask_b32_e64 v53, 0, s4, vcc_lo
	v_cmp_gt_u32_e32 vcc_lo, s29, v2
	v_mad_u32_u24 v2, v0, 14, 3
	v_cndmask_b32_e64 v55, 0, s4, vcc_lo
	v_cmp_gt_u32_e32 vcc_lo, s29, v3
	v_mad_u32_u24 v3, v0, 14, 5
	s_wait_dscnt 0x1
	v_lshrrev_b16 v13, 8, v1
	v_cndmask_b32_e64 v72, 0, s4, vcc_lo
	v_cmp_gt_u32_e32 vcc_lo, s29, v2
	v_mad_u32_u24 v2, v0, 14, 6
	v_cndmask_b32_e64 v74, 0, s4, vcc_lo
	v_cmp_gt_u32_e32 vcc_lo, s29, v4
	v_mad_u32_u24 v4, v0, 14, 8
	;; [unrolled: 3-line block ×8, first 2 shown]
	v_cndmask_b32_e64 v52, 0, s4, vcc_lo
	v_cmp_gt_u32_e32 vcc_lo, s29, v2
	s_delay_alu instid0(VALU_DEP_3)
	v_cmp_gt_u32_e64 s3, s29, v3
	v_cndmask_b32_e64 v51, 0, s4, vcc_lo
	v_cmp_gt_u32_e32 vcc_lo, s29, v4
	v_cndmask_b32_e64 v50, 0, s4, vcc_lo
.LBB235_33:
	s_delay_alu instid0(VALU_DEP_4)
	s_and_saveexec_b32 s5, s3
; %bb.34:
	v_mov_b32_e32 v76, s4
; %bb.35:
	s_or_b32 exec_lo, exec_lo, s5
	s_load_b64 s[30:31], s[0:1], 0x70
	s_cmp_eq_u64 s[22:23], 0
	s_wait_dscnt 0x0
	s_cselect_b32 s33, -1, 0
	s_cmp_lg_u64 s[22:23], 0
	s_barrier_signal -1
	s_cselect_b32 s36, -1, 0
	s_and_b32 vcc_lo, exec_lo, s2
	s_barrier_wait -1
	s_cbranch_vccz .LBB235_40
; %bb.36:
	s_and_b32 vcc_lo, exec_lo, s36
	s_cbranch_vccz .LBB235_41
; %bb.37:
	v_dual_mov_b32 v2, 0 :: v_dual_lshrrev_b32 v3, 16, v12
	v_dual_lshrrev_b32 v4, 24, v12 :: v_dual_lshrrev_b32 v5, 8, v12
	v_dual_lshrrev_b32 v6, 16, v11 :: v_dual_lshrrev_b32 v7, 16, v10
	global_load_u8 v2, v2, s[20:21] offset:-1
	v_and_b32_e32 v3, 0xff, v3
	v_and_b32_e32 v5, 0xff, v5
	ds_store_b8 v0, v4
	v_and_b32_e32 v8, 0xff, v12
	v_lshrrev_b32_e32 v9, 8, v11
	v_cmp_ne_u16_e32 vcc_lo, v3, v4
	v_lshrrev_b32_e32 v4, 24, v11
	v_cmp_ne_u16_e64 s2, v5, v3
	v_and_b32_e32 v3, 0xff, v6
	v_cmp_ne_u16_e64 s3, v8, v5
	v_and_b32_e32 v5, 0xff, v9
	;; [unrolled: 2-line block ×3, first 2 shown]
	v_lshrrev_b32_e32 v8, 24, v10
	v_cmp_ne_u16_e64 s5, v3, v4
	v_lshrrev_b32_e32 v4, 8, v10
	v_cmp_ne_u16_e64 s6, v5, v3
	v_cmp_ne_u16_e64 s7, v6, v5
	;; [unrolled: 1-line block ×3, first 2 shown]
	v_and_b32_e32 v5, 0xff, v7
	v_and_b32_e32 v4, 0xff, v4
	;; [unrolled: 1-line block ×5, first 2 shown]
	v_cmp_ne_u16_e64 s13, v5, v8
	v_cmp_ne_u16_e64 s9, v4, v5
	;; [unrolled: 1-line block ×5, first 2 shown]
	s_mov_b32 s37, 0
	s_mov_b32 s34, exec_lo
	s_wait_loadcnt_dscnt 0x0
	s_barrier_signal -1
	s_barrier_wait -1
	v_cmpx_ne_u32_e32 0, v0
; %bb.38:
	v_add_nc_u32_e32 v2, -1, v0
	ds_load_u8 v2, v2
; %bb.39:
	s_or_b32 exec_lo, exec_lo, s34
	s_wait_dscnt 0x0
	v_and_b32_e32 v2, 0xff, v2
	v_cndmask_b32_e64 v61, 0, 1, vcc_lo
	v_cndmask_b32_e64 v59, 0, 1, s2
	v_cndmask_b32_e64 v56, 0, 1, s3
	;; [unrolled: 1-line block ×12, first 2 shown]
	v_cmp_ne_u16_e64 s35, v2, v3
	s_mov_b32 s34, -1
	s_and_b32 vcc_lo, exec_lo, s37
	s_cbranch_vccnz .LBB235_42
	s_branch .LBB235_45
.LBB235_40:
	s_mov_b32 s34, 0
                                        ; implicit-def: $sgpr35
                                        ; implicit-def: $vgpr61
                                        ; implicit-def: $vgpr59
                                        ; implicit-def: $vgpr56
                                        ; implicit-def: $vgpr21
                                        ; implicit-def: $vgpr57
                                        ; implicit-def: $vgpr58
                                        ; implicit-def: $vgpr60
                                        ; implicit-def: $vgpr62
                                        ; implicit-def: $vgpr64
                                        ; implicit-def: $vgpr63
                                        ; implicit-def: $vgpr65
                                        ; implicit-def: $vgpr66
                                        ; implicit-def: $vgpr67
	s_cbranch_execnz .LBB235_46
	s_branch .LBB235_54
.LBB235_41:
	s_mov_b32 s34, 0
                                        ; implicit-def: $sgpr35
                                        ; implicit-def: $vgpr61
                                        ; implicit-def: $vgpr59
                                        ; implicit-def: $vgpr56
                                        ; implicit-def: $vgpr21
                                        ; implicit-def: $vgpr57
                                        ; implicit-def: $vgpr58
                                        ; implicit-def: $vgpr60
                                        ; implicit-def: $vgpr62
                                        ; implicit-def: $vgpr64
                                        ; implicit-def: $vgpr63
                                        ; implicit-def: $vgpr65
                                        ; implicit-def: $vgpr66
                                        ; implicit-def: $vgpr67
	s_cbranch_execz .LBB235_45
.LBB235_42:
	v_dual_lshrrev_b32 v2, 16, v12 :: v_dual_lshrrev_b32 v3, 16, v11
	v_dual_lshrrev_b32 v4, 8, v12 :: v_dual_lshrrev_b32 v5, 16, v10
	;; [unrolled: 1-line block ×3, first 2 shown]
	s_delay_alu instid0(VALU_DEP_3) | instskip(SKIP_1) | instid1(VALU_DEP_4)
	v_and_b32_e32 v2, 0xff, v2
	v_and_b32_e32 v7, 0xff, v12
	;; [unrolled: 1-line block ×3, first 2 shown]
	ds_store_b8 v0, v6
	v_cmp_ne_u32_e64 s14, 0, v0
	v_cmp_ne_u16_e32 vcc_lo, v2, v6
	v_lshrrev_b32_e32 v6, 8, v11
	v_cmp_ne_u16_e64 s2, v4, v2
	v_cmp_ne_u16_e64 s3, v7, v4
	v_and_b32_e32 v2, 0xff, v3
	v_cmp_ne_u16_e64 s4, v8, v7
	v_and_b32_e32 v4, 0xff, v11
	v_lshrrev_b32_e32 v7, 8, v10
	v_and_b32_e32 v3, 0xff, v6
	v_lshrrev_b32_e32 v6, 24, v10
	v_cmp_ne_u16_e64 s5, v2, v8
	s_wait_dscnt 0x0
	s_barrier_signal -1
	v_cmp_ne_u16_e64 s6, v3, v2
	v_cmp_ne_u16_e64 s7, v4, v3
	v_cmp_ne_u16_e64 s8, v6, v4
	v_and_b32_e32 v3, 0xff, v5
	v_and_b32_e32 v4, 0xff, v7
	;; [unrolled: 1-line block ×5, first 2 shown]
	v_cmp_ne_u16_e64 s9, v3, v6
	v_cmp_ne_u16_e64 s10, v4, v3
	v_cmp_ne_u16_e64 s11, v5, v4
	v_cmp_ne_u16_e64 s12, v7, v5
	v_cmp_ne_u16_e64 s13, v2, v7
	s_barrier_wait -1
                                        ; implicit-def: $sgpr35
	s_and_saveexec_b32 s37, s14
	s_delay_alu instid0(SALU_CYCLE_1)
	s_xor_b32 s14, exec_lo, s37
	s_cbranch_execz .LBB235_44
; %bb.43:
	v_add_nc_u32_e32 v3, -1, v0
	s_or_b32 s34, s34, exec_lo
	ds_load_u8 v3, v3
	s_wait_dscnt 0x0
	v_cmp_ne_u16_e64 s35, v3, v2
.LBB235_44:
	s_or_b32 exec_lo, exec_lo, s14
	v_cndmask_b32_e64 v61, 0, 1, vcc_lo
	v_cndmask_b32_e64 v59, 0, 1, s2
	v_cndmask_b32_e64 v56, 0, 1, s3
	;; [unrolled: 1-line block ×12, first 2 shown]
.LBB235_45:
	s_branch .LBB235_54
.LBB235_46:
	s_mov_b64 s[2:3], 0xfffffffffffff200
	v_dual_lshrrev_b32 v39, 16, v12 :: v_dual_lshrrev_b32 v37, 16, v11
	s_mul_u64 s[4:5], s[22:23], s[2:3]
	v_lshrrev_b32_e32 v35, 16, v10
	v_mul_u32_u24_e32 v2, 14, v0
	v_mad_u32_u24 v4, v0, 14, 13
	v_mad_u32_u24 v30, v0, 14, 12
	v_mad_u32_u24 v28, v0, 14, 11
	v_and_b32_e32 v38, 0xff, v12
	v_mad_u32_u24 v26, v0, 14, 10
	v_mad_u32_u24 v24, v0, 14, 9
	v_mad_u32_u24 v22, v0, 14, 8
	v_mad_u32_u24 v20, v0, 14, 7
	v_and_b32_e32 v36, 0xff, v11
	v_mad_u32_u24 v18, v0, 14, 6
	;; [unrolled: 5-line block ×3, first 2 shown]
	v_and_b32_e32 v34, 0xff, v13
	v_and_b32_e32 v32, 0xff, v1
	v_cmp_ne_u32_e64 s2, 0, v0
	s_and_b32 vcc_lo, exec_lo, s36
	s_add_nc_u64 s[12:13], s[4:5], s[24:25]
	s_cbranch_vccz .LBB235_50
; %bb.47:
	v_dual_mov_b32 v5, 0 :: v_dual_lshrrev_b32 v3, 24, v12
	v_lshrrev_b32_e32 v7, 8, v12
	v_and_b32_e32 v9, 0xff, v39
	s_delay_alu instid0(VALU_DEP_3)
	v_dual_mov_b32 v43, v5 :: v_dual_bitop2_b32 v42, 1, v2 bitop3:0x54
	global_load_u8 v40, v5, s[20:21] offset:-1
	v_mov_b32_e32 v31, v5
	v_and_b32_e32 v7, 0xff, v7
	v_dual_mov_b32 v29, v5 :: v_dual_mov_b32 v27, v5
	v_cmp_gt_u64_e32 vcc_lo, s[12:13], v[4:5]
	v_cmp_ne_u16_e64 s3, v9, v3
	s_delay_alu instid0(VALU_DEP_4)
	v_cmp_ne_u16_e64 s5, v7, v9
	v_lshrrev_b32_e32 v9, 24, v11
	ds_store_b8 v0, v3
	v_dual_lshrrev_b32 v3, 8, v11 :: v_dual_mov_b32 v25, v5
	v_mov_b32_e32 v23, v5
	v_cmp_gt_u64_e64 s4, s[12:13], v[30:31]
	v_cmp_gt_u64_e64 s6, s[12:13], v[28:29]
	v_cmp_ne_u16_e64 s7, v38, v7
	v_and_b32_e32 v7, 0xff, v37
	v_and_b32_e32 v3, 0xff, v3
	s_and_b32 s14, vcc_lo, s3
	v_cmp_gt_u64_e32 vcc_lo, s[12:13], v[24:25]
	v_dual_mov_b32 v21, v5 :: v_dual_mov_b32 v19, v5
	v_cmp_ne_u16_e64 s3, v7, v9
	s_wait_xcnt 0x0
	s_and_b32 s20, s4, s5
	s_and_b32 s21, s6, s7
	v_cmp_ne_u16_e64 s5, v3, v7
	v_cmp_ne_u16_e64 s7, v36, v3
	v_dual_lshrrev_b32 v3, 24, v10 :: v_dual_mov_b32 v17, v5
	s_and_b32 s24, vcc_lo, s3
	v_cmp_gt_u64_e32 vcc_lo, s[12:13], v[18:19]
	v_and_b32_e32 v19, 0xff, v35
	s_delay_alu instid0(VALU_DEP_3)
	v_cmp_ne_u16_e64 s3, v3, v36
	v_dual_mov_b32 v15, v5 :: v_dual_lshrrev_b32 v7, 8, v10
	v_cmp_gt_u64_e64 s8, s[12:13], v[26:27]
	v_cmp_gt_u64_e64 s4, s[12:13], v[22:23]
	;; [unrolled: 1-line block ×3, first 2 shown]
	v_cmp_ne_u16_e64 s9, v9, v38
	s_and_b32 s34, vcc_lo, s3
	v_cmp_ne_u16_e64 s3, v19, v3
	v_and_b32_e32 v3, 0xff, v7
	v_dual_mov_b32 v9, v5 :: v_dual_mov_b32 v7, v5
	s_and_b32 s22, s8, s9
	s_and_b32 s25, s4, s5
	;; [unrolled: 1-line block ×3, first 2 shown]
	v_cmp_gt_u64_e32 vcc_lo, s[12:13], v[16:17]
	v_cmp_gt_u64_e64 s4, s[12:13], v[14:15]
	v_cmp_gt_u64_e64 s6, s[12:13], v[8:9]
	;; [unrolled: 1-line block ×4, first 2 shown]
	v_cmp_ne_u16_e64 s5, v3, v19
	v_cmp_ne_u16_e64 s7, v33, v3
	;; [unrolled: 1-line block ×4, first 2 shown]
	s_and_b32 s36, vcc_lo, s3
	s_and_b32 s35, s4, s5
	s_and_b32 s4, s6, s7
	;; [unrolled: 1-line block ×4, first 2 shown]
	s_mov_b32 s3, 0
	s_wait_loadcnt_dscnt 0x0
	s_barrier_signal -1
	s_barrier_wait -1
	s_and_saveexec_b32 s7, s2
; %bb.48:
	v_add_nc_u32_e32 v3, -1, v0
	ds_load_u8 v40, v3
; %bb.49:
	s_or_b32 exec_lo, exec_lo, s7
	v_mov_b32_e32 v3, v5
	s_wait_dscnt 0x0
	v_and_b32_e32 v5, 0xff, v40
	v_cndmask_b32_e64 v61, 0, 1, s14
	v_cndmask_b32_e64 v59, 0, 1, s20
	;; [unrolled: 1-line block ×3, first 2 shown]
	v_cmp_gt_u64_e32 vcc_lo, s[12:13], v[2:3]
	v_cmp_ne_u16_e64 s2, v5, v32
	v_cndmask_b32_e64 v21, 0, 1, s22
	v_cndmask_b32_e64 v57, 0, 1, s24
	;; [unrolled: 1-line block ×10, first 2 shown]
	s_and_b32 s35, vcc_lo, s2
	s_mov_b32 s34, -1
	s_and_b32 vcc_lo, exec_lo, s3
	s_cbranch_vccnz .LBB235_51
	s_branch .LBB235_54
.LBB235_50:
                                        ; implicit-def: $sgpr35
                                        ; implicit-def: $vgpr61
                                        ; implicit-def: $vgpr59
                                        ; implicit-def: $vgpr56
                                        ; implicit-def: $vgpr21
                                        ; implicit-def: $vgpr57
                                        ; implicit-def: $vgpr58
                                        ; implicit-def: $vgpr60
                                        ; implicit-def: $vgpr62
                                        ; implicit-def: $vgpr64
                                        ; implicit-def: $vgpr63
                                        ; implicit-def: $vgpr65
                                        ; implicit-def: $vgpr66
                                        ; implicit-def: $vgpr67
	s_cbranch_execz .LBB235_54
.LBB235_51:
	v_dual_lshrrev_b32 v3, 24, v12 :: v_dual_mov_b32 v5, 0
	v_and_b32_e32 v7, 0xff, v39
	v_lshrrev_b32_e32 v9, 8, v12
	v_cmp_ne_u16_e64 s9, v34, v33
	ds_store_b8 v0, v3
	v_cmp_gt_u64_e32 vcc_lo, s[12:13], v[4:5]
	v_dual_mov_b32 v29, v5 :: v_dual_mov_b32 v27, v5
	v_mov_b32_e32 v31, v5
	v_cmp_ne_u16_e64 s2, v7, v3
	v_and_b32_e32 v3, 0xff, v9
	v_lshrrev_b32_e32 v4, 24, v11
	v_cmp_gt_u64_e64 s7, s[12:13], v[26:27]
	v_dual_mov_b32 v25, v5 :: v_dual_mov_b32 v23, v5
	s_delay_alu instid0(VALU_DEP_4)
	v_cmp_ne_u16_e64 s5, v3, v7
	v_cmp_ne_u16_e64 s6, v38, v3
	s_and_b32 s11, vcc_lo, s2
	v_lshrrev_b32_e32 v3, 8, v11
	v_cmp_ne_u16_e32 vcc_lo, v4, v38
	v_and_b32_e32 v7, 0xff, v37
	v_cmp_gt_u64_e64 s4, s[12:13], v[28:29]
	v_dual_mov_b32 v21, v5 :: v_dual_mov_b32 v19, v5
	s_and_b32 s21, s7, vcc_lo
	v_cmp_gt_u64_e32 vcc_lo, s[12:13], v[24:25]
	v_cmp_ne_u16_e64 s2, v7, v4
	v_and_b32_e32 v3, 0xff, v3
	v_dual_mov_b32 v17, v5 :: v_dual_lshrrev_b32 v4, 24, v10
	v_cmp_gt_u64_e64 s3, s[12:13], v[30:31]
	s_and_b32 s20, s4, s6
	s_and_b32 s22, vcc_lo, s2
	v_cmp_gt_u64_e32 vcc_lo, s[12:13], v[18:19]
	v_cmp_ne_u16_e64 s4, v3, v7
	v_cmp_ne_u16_e64 s6, v36, v3
	;; [unrolled: 1-line block ×3, first 2 shown]
	v_and_b32_e32 v3, 0xff, v35
	v_dual_lshrrev_b32 v7, 8, v10 :: v_dual_mov_b32 v15, v5
	s_and_b32 s14, s3, s5
	v_cmp_gt_u64_e64 s3, s[12:13], v[22:23]
	v_cmp_gt_u64_e64 s5, s[12:13], v[20:21]
	s_and_b32 s25, vcc_lo, s2
	v_cmp_gt_u64_e32 vcc_lo, s[12:13], v[16:17]
	v_cmp_ne_u16_e64 s2, v3, v4
	v_and_b32_e32 v16, 0xff, v7
	v_dual_mov_b32 v9, v5 :: v_dual_mov_b32 v7, v5
	v_or_b32_e32 v4, 1, v2
	s_and_b32 s23, s3, s4
	s_and_b32 s24, s5, s6
	v_cmp_gt_u64_e64 s3, s[12:13], v[14:15]
	v_cmp_gt_u64_e64 s5, s[12:13], v[8:9]
	;; [unrolled: 1-line block ×4, first 2 shown]
	v_cmp_ne_u16_e64 s4, v16, v3
	v_cmp_ne_u16_e64 s6, v33, v16
	;; [unrolled: 1-line block ×3, first 2 shown]
	s_and_b32 s36, vcc_lo, s2
	s_wait_dscnt 0x0
	s_and_b32 s3, s3, s4
	s_and_b32 s4, s5, s6
	;; [unrolled: 1-line block ×4, first 2 shown]
	s_mov_b32 s7, exec_lo
	s_barrier_signal -1
	s_barrier_wait -1
                                        ; implicit-def: $sgpr35
	v_cmpx_ne_u32_e32 0, v0
	s_cbranch_execz .LBB235_53
; %bb.52:
	v_add_nc_u32_e32 v3, -1, v0
	s_or_b32 s34, s34, exec_lo
	ds_load_u8 v4, v3
	v_mov_b32_e32 v3, v5
	s_delay_alu instid0(VALU_DEP_1) | instskip(SKIP_2) | instid1(VALU_DEP_1)
	v_cmp_gt_u64_e32 vcc_lo, s[12:13], v[2:3]
	s_wait_dscnt 0x0
	v_and_b32_e32 v4, 0xff, v4
	v_cmp_ne_u16_e64 s2, v4, v32
	s_and_b32 s35, vcc_lo, s2
.LBB235_53:
	s_or_b32 exec_lo, exec_lo, s7
	v_cndmask_b32_e64 v61, 0, 1, s11
	v_cndmask_b32_e64 v59, 0, 1, s14
	;; [unrolled: 1-line block ×13, first 2 shown]
.LBB235_54:
	v_mov_b32_e32 v68, 1
	s_and_saveexec_b32 s2, s34
; %bb.55:
	v_cndmask_b32_e64 v68, 0, 1, s35
; %bb.56:
	s_or_b32 exec_lo, exec_lo, s2
	s_clause 0x1
	s_load_b128 s[20:23], s[0:1], 0x20
	s_load_b64 s[24:25], s[0:1], 0x30
	v_add_nc_u32_e32 v2, v67, v68
	v_cmp_eq_u32_e64 s11, 0, v67
	v_cmp_eq_u32_e64 s10, 0, v66
	;; [unrolled: 1-line block ×4, first 2 shown]
	v_add3_u32 v80, v2, v66, v65
	v_cmp_eq_u32_e64 s7, 0, v64
	v_cmp_eq_u32_e64 s6, 0, v62
	;; [unrolled: 1-line block ×6, first 2 shown]
	s_wait_xcnt 0x0
	v_cmp_eq_u32_e64 s1, 0, v56
	v_cmp_eq_u32_e64 s0, 0, v59
	v_mbcnt_lo_u32_b32 v77, -1, 0
	v_dual_lshrrev_b32 v78, 5, v0 :: v_dual_bitop2_b32 v79, 31, v0 bitop3:0x54
	s_cmp_eq_u64 s[18:19], 0
	v_cmp_eq_u32_e32 vcc_lo, 0, v61
	s_cselect_b32 s18, -1, 0
	s_cmp_lg_u32 s28, 0
	s_cbranch_scc0 .LBB235_77
; %bb.57:
	v_add3_u32 v3, v80, v63, v64
	v_cndmask_b32_e64 v2, 0, v53, s11
	v_and_b32_e32 v5, 15, v77
	s_delay_alu instid0(VALU_DEP_3) | instskip(NEXT) | instid1(VALU_DEP_3)
	v_add3_u32 v3, v3, v62, v60
	v_add_nc_u32_e32 v2, v2, v55
	s_delay_alu instid0(VALU_DEP_2) | instskip(NEXT) | instid1(VALU_DEP_1)
	v_add3_u32 v3, v3, v58, v57
	v_add3_u32 v3, v3, v21, v56
	s_delay_alu instid0(VALU_DEP_1) | instskip(NEXT) | instid1(VALU_DEP_4)
	v_add3_u32 v3, v3, v59, v61
	v_cndmask_b32_e64 v2, 0, v2, s10
	s_delay_alu instid0(VALU_DEP_2) | instskip(NEXT) | instid1(VALU_DEP_2)
	v_mov_b32_dpp v6, v3 row_shr:1 row_mask:0xf bank_mask:0xf
	v_add_nc_u32_e32 v2, v2, v72
	s_delay_alu instid0(VALU_DEP_1) | instskip(NEXT) | instid1(VALU_DEP_1)
	v_cndmask_b32_e64 v2, 0, v2, s9
	v_add_nc_u32_e32 v2, v2, v74
	s_delay_alu instid0(VALU_DEP_1) | instskip(NEXT) | instid1(VALU_DEP_1)
	v_cndmask_b32_e64 v2, 0, v2, s8
	;; [unrolled: 3-line block ×10, first 2 shown]
	v_add_nc_u32_e32 v2, v2, v50
	s_delay_alu instid0(VALU_DEP_1) | instskip(SKIP_1) | instid1(VALU_DEP_2)
	v_cndmask_b32_e32 v2, 0, v2, vcc_lo
	v_cmp_eq_u32_e32 vcc_lo, 0, v3
	v_add_nc_u32_e32 v2, v2, v76
	s_delay_alu instid0(VALU_DEP_1) | instskip(NEXT) | instid1(VALU_DEP_1)
	v_mov_b32_dpp v4, v2 row_shr:1 row_mask:0xf bank_mask:0xf
	v_cndmask_b32_e32 v4, 0, v4, vcc_lo
	v_cmp_eq_u32_e32 vcc_lo, 0, v5
	v_cndmask_b32_e64 v6, v6, 0, vcc_lo
	s_delay_alu instid0(VALU_DEP_3) | instskip(SKIP_1) | instid1(VALU_DEP_2)
	v_cndmask_b32_e64 v4, v4, 0, vcc_lo
	v_cmp_lt_u32_e32 vcc_lo, 1, v5
	v_dual_add_nc_u32 v3, v6, v3 :: v_dual_add_nc_u32 v2, v4, v2
	s_delay_alu instid0(VALU_DEP_1) | instskip(SKIP_1) | instid1(VALU_DEP_3)
	v_mov_b32_dpp v4, v3 row_shr:2 row_mask:0xf bank_mask:0xf
	v_cmp_eq_u32_e64 s12, 0, v3
	v_mov_b32_dpp v6, v2 row_shr:2 row_mask:0xf bank_mask:0xf
	s_delay_alu instid0(VALU_DEP_3) | instskip(SKIP_1) | instid1(VALU_DEP_2)
	v_cndmask_b32_e32 v4, 0, v4, vcc_lo
	s_and_b32 vcc_lo, vcc_lo, s12
	v_cndmask_b32_e32 v6, 0, v6, vcc_lo
	v_cmp_lt_u32_e32 vcc_lo, 3, v5
	s_delay_alu instid0(VALU_DEP_2) | instskip(NEXT) | instid1(VALU_DEP_1)
	v_dual_add_nc_u32 v3, v3, v4 :: v_dual_add_nc_u32 v2, v6, v2
	v_mov_b32_dpp v4, v3 row_shr:4 row_mask:0xf bank_mask:0xf
	v_cmp_eq_u32_e64 s12, 0, v3
	s_delay_alu instid0(VALU_DEP_3) | instskip(NEXT) | instid1(VALU_DEP_3)
	v_mov_b32_dpp v6, v2 row_shr:4 row_mask:0xf bank_mask:0xf
	v_cndmask_b32_e32 v4, 0, v4, vcc_lo
	s_and_b32 vcc_lo, vcc_lo, s12
	s_delay_alu instid0(VALU_DEP_2) | instskip(SKIP_1) | instid1(VALU_DEP_2)
	v_cndmask_b32_e32 v6, 0, v6, vcc_lo
	v_cmp_lt_u32_e32 vcc_lo, 7, v5
	v_dual_add_nc_u32 v3, v4, v3 :: v_dual_add_nc_u32 v2, v2, v6
	v_bfe_i32 v6, v77, 4, 1
	s_delay_alu instid0(VALU_DEP_2) | instskip(SKIP_1) | instid1(VALU_DEP_4)
	v_mov_b32_dpp v4, v3 row_shr:8 row_mask:0xf bank_mask:0xf
	v_cmp_eq_u32_e64 s12, 0, v3
	v_mov_b32_dpp v5, v2 row_shr:8 row_mask:0xf bank_mask:0xf
	s_delay_alu instid0(VALU_DEP_3) | instskip(SKIP_2) | instid1(VALU_DEP_2)
	v_cndmask_b32_e32 v4, 0, v4, vcc_lo
	s_and_b32 vcc_lo, vcc_lo, s12
	s_mov_b32 s12, exec_lo
	v_cndmask_b32_e32 v5, 0, v5, vcc_lo
	s_delay_alu instid0(VALU_DEP_1)
	v_dual_add_nc_u32 v5, v5, v2 :: v_dual_add_nc_u32 v2, v4, v3
	ds_swizzle_b32 v3, v5 offset:swizzle(BROADCAST,32,15)
	ds_swizzle_b32 v4, v2 offset:swizzle(BROADCAST,32,15)
	v_cmp_eq_u32_e32 vcc_lo, 0, v2
	s_wait_dscnt 0x0
	v_dual_cndmask_b32 v3, 0, v3, vcc_lo :: v_dual_bitop2_b32 v4, v6, v4 bitop3:0x40
	s_delay_alu instid0(VALU_DEP_1) | instskip(NEXT) | instid1(VALU_DEP_1)
	v_dual_add_nc_u32 v2, v4, v2 :: v_dual_bitop2_b32 v3, v6, v3 bitop3:0x40
	v_dual_lshlrev_b32 v4, 3, v78 :: v_dual_add_nc_u32 v3, v3, v5
	v_cmpx_eq_u32_e64 v0, v79
; %bb.58:
	ds_store_b64 v4, v[2:3] offset:528
; %bb.59:
	s_or_b32 exec_lo, exec_lo, s12
	s_delay_alu instid0(SALU_CYCLE_1)
	s_mov_b32 s13, exec_lo
	s_wait_dscnt 0x0
	s_barrier_signal -1
	s_barrier_wait -1
	v_cmpx_gt_u32_e32 8, v0
	s_cbranch_execz .LBB235_61
; %bb.60:
	v_dual_lshlrev_b32 v5, 3, v0 :: v_dual_bitop2_b32 v9, 7, v77 bitop3:0x40
	ds_load_b64 v[6:7], v5 offset:528
	s_wait_dscnt 0x0
	v_mov_b32_dpp v8, v7 row_shr:1 row_mask:0xf bank_mask:0xf
	v_cmp_eq_u32_e32 vcc_lo, 0, v6
	v_mov_b32_dpp v14, v6 row_shr:1 row_mask:0xf bank_mask:0xf
	s_delay_alu instid0(VALU_DEP_3) | instskip(SKIP_1) | instid1(VALU_DEP_3)
	v_cndmask_b32_e32 v8, 0, v8, vcc_lo
	v_cmp_eq_u32_e32 vcc_lo, 0, v9
	v_cndmask_b32_e64 v14, v14, 0, vcc_lo
	s_delay_alu instid0(VALU_DEP_1) | instskip(NEXT) | instid1(VALU_DEP_4)
	v_add_nc_u32_e32 v6, v14, v6
	v_cndmask_b32_e64 v8, v8, 0, vcc_lo
	v_cmp_lt_u32_e32 vcc_lo, 1, v9
	s_delay_alu instid0(VALU_DEP_3) | instskip(NEXT) | instid1(VALU_DEP_3)
	v_cmp_eq_u32_e64 s12, 0, v6
	v_add_nc_u32_e32 v7, v8, v7
	v_mov_b32_dpp v8, v6 row_shr:2 row_mask:0xf bank_mask:0xf
	s_delay_alu instid0(VALU_DEP_1) | instskip(NEXT) | instid1(VALU_DEP_3)
	v_cndmask_b32_e32 v8, 0, v8, vcc_lo
	v_mov_b32_dpp v14, v7 row_shr:2 row_mask:0xf bank_mask:0xf
	s_and_b32 vcc_lo, vcc_lo, s12
	s_delay_alu instid0(VALU_DEP_2) | instskip(NEXT) | instid1(VALU_DEP_1)
	v_add_nc_u32_e32 v6, v8, v6
	v_mov_b32_dpp v8, v6 row_shr:4 row_mask:0xf bank_mask:0xf
	s_delay_alu instid0(VALU_DEP_3) | instskip(SKIP_1) | instid1(VALU_DEP_2)
	v_cndmask_b32_e32 v14, 0, v14, vcc_lo
	v_cmp_lt_u32_e32 vcc_lo, 3, v9
	v_dual_cndmask_b32 v8, 0, v8 :: v_dual_add_nc_u32 v7, v14, v7
	v_cmp_eq_u32_e64 s12, 0, v6
	s_delay_alu instid0(VALU_DEP_2) | instskip(NEXT) | instid1(VALU_DEP_3)
	v_add_nc_u32_e32 v6, v8, v6
	v_mov_b32_dpp v9, v7 row_shr:4 row_mask:0xf bank_mask:0xf
	s_and_b32 vcc_lo, vcc_lo, s12
	s_delay_alu instid0(VALU_DEP_1) | instskip(NEXT) | instid1(VALU_DEP_1)
	v_cndmask_b32_e32 v9, 0, v9, vcc_lo
	v_add_nc_u32_e32 v7, v9, v7
	ds_store_b64 v5, v[6:7] offset:528
.LBB235_61:
	s_or_b32 exec_lo, exec_lo, s13
	v_dual_mov_b32 v14, 0 :: v_dual_mov_b32 v15, 0
	s_mov_b32 s13, exec_lo
	v_cmp_gt_u32_e32 vcc_lo, 32, v0
	s_wait_dscnt 0x0
	s_barrier_signal -1
	s_barrier_wait -1
	v_cmpx_lt_u32_e32 31, v0
	s_cbranch_execz .LBB235_63
; %bb.62:
	ds_load_b64 v[14:15], v4 offset:520
	v_cmp_eq_u32_e64 s12, 0, v2
	s_wait_dscnt 0x0
	s_delay_alu instid0(VALU_DEP_1) | instskip(NEXT) | instid1(VALU_DEP_1)
	v_dual_cndmask_b32 v4, 0, v15, s12 :: v_dual_add_nc_u32 v2, v14, v2
	v_add_nc_u32_e32 v3, v4, v3
.LBB235_63:
	s_or_b32 exec_lo, exec_lo, s13
	v_sub_co_u32 v4, s12, v77, 1
	s_delay_alu instid0(VALU_DEP_1) | instskip(NEXT) | instid1(VALU_DEP_1)
	v_cmp_gt_i32_e64 s13, 0, v4
	v_cndmask_b32_e64 v4, v4, v77, s13
	s_delay_alu instid0(VALU_DEP_1)
	v_lshlrev_b32_e32 v4, 2, v4
	ds_bpermute_b32 v20, v4, v2
	ds_bpermute_b32 v22, v4, v3
	s_and_saveexec_b32 s19, vcc_lo
	s_cbranch_execz .LBB235_82
; %bb.64:
	v_mov_b32_e32 v5, 0
	ds_load_b64 v[2:3], v5 offset:584
	s_and_saveexec_b32 s13, s12
	s_cbranch_execz .LBB235_66
; %bb.65:
	s_add_co_i32 s34, s28, 32
	s_mov_b32 s35, 0
	v_mov_b32_e32 v4, 1
	s_lshl_b64 s[34:35], s[34:35], 4
	s_delay_alu instid0(SALU_CYCLE_1) | instskip(NEXT) | instid1(SALU_CYCLE_1)
	s_add_nc_u64 s[34:35], s[16:17], s[34:35]
	v_mov_b64_e32 v[6:7], s[34:35]
	s_wait_dscnt 0x0
	;;#ASMSTART
	global_store_b128 v[6:7], v[2:5] off scope:SCOPE_DEV	
s_wait_storecnt 0x0
	;;#ASMEND
.LBB235_66:
	s_or_b32 exec_lo, exec_lo, s13
	v_xad_u32 v16, v77, -1, s28
	s_mov_b32 s14, 0
	s_mov_b32 s13, exec_lo
	s_delay_alu instid0(VALU_DEP_1) | instskip(NEXT) | instid1(VALU_DEP_1)
	v_add_nc_u32_e32 v4, 32, v16
	v_lshl_add_u64 v[4:5], v[4:5], 4, s[16:17]
	;;#ASMSTART
	global_load_b128 v[6:9], v[4:5] off scope:SCOPE_DEV	
s_wait_loadcnt 0x0
	;;#ASMEND
	v_and_b32_e32 v9, 0xff, v8
	s_delay_alu instid0(VALU_DEP_1)
	v_cmpx_eq_u16_e32 0, v9
	s_cbranch_execz .LBB235_69
.LBB235_67:                             ; =>This Inner Loop Header: Depth=1
	;;#ASMSTART
	global_load_b128 v[6:9], v[4:5] off scope:SCOPE_DEV	
s_wait_loadcnt 0x0
	;;#ASMEND
	v_and_b32_e32 v9, 0xff, v8
	s_delay_alu instid0(VALU_DEP_1) | instskip(SKIP_1) | instid1(SALU_CYCLE_1)
	v_cmp_ne_u16_e32 vcc_lo, 0, v9
	s_or_b32 s14, vcc_lo, s14
	s_and_not1_b32 exec_lo, exec_lo, s14
	s_cbranch_execnz .LBB235_67
; %bb.68:
	s_or_b32 exec_lo, exec_lo, s14
.LBB235_69:
	s_delay_alu instid0(SALU_CYCLE_1)
	s_or_b32 exec_lo, exec_lo, s13
	v_cmp_ne_u32_e32 vcc_lo, 31, v77
	v_lshlrev_b32_e64 v24, v77, -1
	v_cmp_gt_u32_e64 s14, 30, v77
	v_lshl_or_b32 v31, v77, 2, 64
	v_add_nc_u32_e32 v26, 2, v77
	v_add_co_ci_u32_e64 v4, null, 0, v77, vcc_lo
	s_delay_alu instid0(VALU_DEP_4) | instskip(SKIP_1) | instid1(VALU_DEP_3)
	v_cndmask_b32_e64 v17, 0, 2, s14
	v_dual_add_nc_u32 v28, 4, v77 :: v_dual_add_nc_u32 v30, 8, v77
	v_lshlrev_b32_e32 v23, 2, v4
	v_and_b32_e32 v4, 0xff, v8
	s_delay_alu instid0(VALU_DEP_4)
	v_add_lshl_u32 v25, v17, v77, 2
	v_add_nc_u32_e32 v32, 16, v77
	ds_bpermute_b32 v5, v23, v6
	v_cmp_eq_u16_e32 vcc_lo, 2, v4
	v_and_or_b32 v9, vcc_lo, v24, 0x80000000
	v_cmp_eq_u32_e32 vcc_lo, 0, v6
	s_delay_alu instid0(VALU_DEP_2) | instskip(NEXT) | instid1(VALU_DEP_1)
	v_ctz_i32_b32_e32 v9, v9
	v_cmp_lt_u32_e64 s13, v77, v9
	s_wait_dscnt 0x0
	s_delay_alu instid0(VALU_DEP_1) | instskip(SKIP_4) | instid1(VALU_DEP_1)
	v_cndmask_b32_e64 v5, 0, v5, s13
	ds_bpermute_b32 v4, v23, v7
	s_and_b32 vcc_lo, s13, vcc_lo
	s_wait_dscnt 0x0
	v_dual_cndmask_b32 v4, 0, v4 :: v_dual_add_nc_u32 v5, v5, v6
	v_cmp_eq_u32_e32 vcc_lo, 0, v5
	s_delay_alu instid0(VALU_DEP_2)
	v_add_nc_u32_e32 v4, v4, v7
	ds_bpermute_b32 v7, v25, v4
	s_wait_dscnt 0x0
	v_cndmask_b32_e32 v6, 0, v7, vcc_lo
	ds_bpermute_b32 v7, v25, v5
	v_cmp_gt_u32_e32 vcc_lo, 28, v77
	v_cndmask_b32_e64 v17, 0, 4, vcc_lo
	v_cmp_gt_u32_e32 vcc_lo, v26, v9
	s_delay_alu instid0(VALU_DEP_2) | instskip(SKIP_2) | instid1(VALU_DEP_1)
	v_add_lshl_u32 v27, v17, v77, 2
	s_wait_dscnt 0x0
	v_cndmask_b32_e64 v7, v7, 0, vcc_lo
	v_add_nc_u32_e32 v5, v5, v7
	v_cndmask_b32_e64 v6, v6, 0, vcc_lo
	ds_bpermute_b32 v7, v27, v5
	v_add_nc_u32_e32 v4, v6, v4
	v_cmp_eq_u32_e32 vcc_lo, 0, v5
	ds_bpermute_b32 v6, v27, v4
	s_wait_dscnt 0x0
	v_cndmask_b32_e32 v6, 0, v6, vcc_lo
	v_cmp_gt_u32_e32 vcc_lo, 24, v77
	v_cndmask_b32_e64 v17, 0, 8, vcc_lo
	v_cmp_gt_u32_e32 vcc_lo, v28, v9
	s_delay_alu instid0(VALU_DEP_2) | instskip(SKIP_1) | instid1(VALU_DEP_1)
	v_add_lshl_u32 v29, v17, v77, 2
	v_cndmask_b32_e64 v7, v7, 0, vcc_lo
	v_dual_mov_b32 v17, 0 :: v_dual_add_nc_u32 v5, v5, v7
	v_cndmask_b32_e64 v6, v6, 0, vcc_lo
	ds_bpermute_b32 v7, v29, v5
	v_add_nc_u32_e32 v4, v4, v6
	v_cmp_eq_u32_e32 vcc_lo, 0, v5
	ds_bpermute_b32 v6, v29, v4
	s_wait_dscnt 0x0
	v_cndmask_b32_e32 v6, 0, v6, vcc_lo
	v_cmp_gt_u32_e32 vcc_lo, v30, v9
	s_delay_alu instid0(VALU_DEP_2) | instskip(NEXT) | instid1(VALU_DEP_1)
	v_cndmask_b32_e64 v6, v6, 0, vcc_lo
	v_add_nc_u32_e32 v4, v4, v6
	v_cndmask_b32_e64 v6, v7, 0, vcc_lo
	s_delay_alu instid0(VALU_DEP_1)
	v_add_nc_u32_e32 v5, v5, v6
	ds_bpermute_b32 v7, v31, v4
	ds_bpermute_b32 v6, v31, v5
	v_cmp_eq_u32_e32 vcc_lo, 0, v5
	s_wait_dscnt 0x1
	v_cndmask_b32_e32 v7, 0, v7, vcc_lo
	v_cmp_gt_u32_e32 vcc_lo, v32, v9
	s_wait_dscnt 0x0
	v_cndmask_b32_e64 v6, v6, 0, vcc_lo
	s_delay_alu instid0(VALU_DEP_1) | instskip(SKIP_1) | instid1(VALU_DEP_1)
	v_add_nc_u32_e32 v6, v6, v5
	v_cndmask_b32_e64 v7, v7, 0, vcc_lo
	v_add_nc_u32_e32 v7, v7, v4
	s_branch .LBB235_73
.LBB235_70:                             ;   in Loop: Header=BB235_73 Depth=1
	s_or_b32 exec_lo, exec_lo, s14
.LBB235_71:                             ;   in Loop: Header=BB235_73 Depth=1
	s_delay_alu instid0(SALU_CYCLE_1)
	s_or_b32 exec_lo, exec_lo, s13
	v_and_b32_e32 v9, 0xff, v8
	ds_bpermute_b32 v18, v23, v6
	v_subrev_nc_u32_e32 v16, 32, v16
	v_cmp_eq_u16_e32 vcc_lo, 2, v9
	ds_bpermute_b32 v9, v23, v7
	v_and_or_b32 v19, vcc_lo, v24, 0x80000000
	v_cmp_eq_u32_e32 vcc_lo, 0, v6
	s_delay_alu instid0(VALU_DEP_2) | instskip(NEXT) | instid1(VALU_DEP_1)
	v_ctz_i32_b32_e32 v19, v19
	v_cmp_lt_u32_e64 s13, v77, v19
	s_and_b32 vcc_lo, s13, vcc_lo
	s_wait_dscnt 0x0
	v_dual_cndmask_b32 v18, 0, v18, s13 :: v_dual_cndmask_b32 v9, 0, v9, vcc_lo
	s_mov_b32 s13, 0
	s_delay_alu instid0(VALU_DEP_1)
	v_dual_add_nc_u32 v6, v18, v6 :: v_dual_add_nc_u32 v7, v9, v7
	ds_bpermute_b32 v18, v25, v6
	ds_bpermute_b32 v9, v25, v7
	v_cmp_eq_u32_e32 vcc_lo, 0, v6
	s_wait_dscnt 0x0
	v_cndmask_b32_e32 v9, 0, v9, vcc_lo
	v_cmp_gt_u32_e32 vcc_lo, v26, v19
	v_cndmask_b32_e64 v18, v18, 0, vcc_lo
	s_delay_alu instid0(VALU_DEP_1) | instskip(NEXT) | instid1(VALU_DEP_4)
	v_add_nc_u32_e32 v6, v6, v18
	v_cndmask_b32_e64 v9, v9, 0, vcc_lo
	s_delay_alu instid0(VALU_DEP_2) | instskip(NEXT) | instid1(VALU_DEP_2)
	v_cmp_eq_u32_e32 vcc_lo, 0, v6
	v_add_nc_u32_e32 v7, v9, v7
	ds_bpermute_b32 v18, v27, v6
	ds_bpermute_b32 v9, v27, v7
	s_wait_dscnt 0x0
	v_cndmask_b32_e32 v9, 0, v9, vcc_lo
	v_cmp_gt_u32_e32 vcc_lo, v28, v19
	s_delay_alu instid0(VALU_DEP_2) | instskip(SKIP_1) | instid1(VALU_DEP_1)
	v_cndmask_b32_e64 v9, v9, 0, vcc_lo
	v_cndmask_b32_e64 v18, v18, 0, vcc_lo
	v_dual_add_nc_u32 v7, v7, v9 :: v_dual_add_nc_u32 v6, v6, v18
	ds_bpermute_b32 v9, v29, v7
	ds_bpermute_b32 v18, v29, v6
	v_cmp_eq_u32_e32 vcc_lo, 0, v6
	s_wait_dscnt 0x1
	v_cndmask_b32_e32 v9, 0, v9, vcc_lo
	v_cmp_gt_u32_e32 vcc_lo, v30, v19
	s_wait_dscnt 0x0
	v_cndmask_b32_e64 v18, v18, 0, vcc_lo
	s_delay_alu instid0(VALU_DEP_1) | instskip(SKIP_1) | instid1(VALU_DEP_2)
	v_add_nc_u32_e32 v6, v6, v18
	v_cndmask_b32_e64 v9, v9, 0, vcc_lo
	v_cmp_eq_u32_e32 vcc_lo, 0, v6
	s_delay_alu instid0(VALU_DEP_2)
	v_add_nc_u32_e32 v7, v7, v9
	ds_bpermute_b32 v18, v31, v6
	ds_bpermute_b32 v9, v31, v7
	s_wait_dscnt 0x0
	v_cndmask_b32_e32 v9, 0, v9, vcc_lo
	v_cmp_gt_u32_e32 vcc_lo, v32, v19
	s_delay_alu instid0(VALU_DEP_2) | instskip(NEXT) | instid1(VALU_DEP_1)
	v_cndmask_b32_e64 v9, v9, 0, vcc_lo
	v_add_nc_u32_e32 v7, v9, v7
	v_cndmask_b32_e64 v9, v18, 0, vcc_lo
	v_cmp_eq_u32_e32 vcc_lo, 0, v4
	s_delay_alu instid0(VALU_DEP_2) | instskip(NEXT) | instid1(VALU_DEP_4)
	v_add3_u32 v6, v6, v4, v9
	v_cndmask_b32_e32 v7, 0, v7, vcc_lo
	s_delay_alu instid0(VALU_DEP_1)
	v_add_nc_u32_e32 v7, v7, v5
.LBB235_72:                             ;   in Loop: Header=BB235_73 Depth=1
	s_and_b32 vcc_lo, exec_lo, s13
	s_cbranch_vccnz .LBB235_78
.LBB235_73:                             ; =>This Loop Header: Depth=1
                                        ;     Child Loop BB235_76 Depth 2
	v_and_b32_e32 v4, 0xff, v8
	s_delay_alu instid0(VALU_DEP_2) | instskip(SKIP_1) | instid1(VALU_DEP_2)
	v_mov_b32_e32 v5, v7
	s_mov_b32 s13, -1
                                        ; implicit-def: $vgpr7
                                        ; implicit-def: $vgpr8
	v_cmp_ne_u16_e32 vcc_lo, 2, v4
	v_mov_b32_e32 v4, v6
                                        ; implicit-def: $vgpr6
	s_cmp_lg_u32 vcc_lo, exec_lo
	s_cbranch_scc1 .LBB235_72
; %bb.74:                               ;   in Loop: Header=BB235_73 Depth=1
	v_lshl_add_u64 v[18:19], v[16:17], 4, s[16:17]
	;;#ASMSTART
	global_load_b128 v[6:9], v[18:19] off scope:SCOPE_DEV	
s_wait_loadcnt 0x0
	;;#ASMEND
	v_and_b32_e32 v9, 0xff, v8
	s_mov_b32 s13, exec_lo
	s_delay_alu instid0(VALU_DEP_1)
	v_cmpx_eq_u16_e32 0, v9
	s_cbranch_execz .LBB235_71
; %bb.75:                               ;   in Loop: Header=BB235_73 Depth=1
	s_mov_b32 s14, 0
.LBB235_76:                             ;   Parent Loop BB235_73 Depth=1
                                        ; =>  This Inner Loop Header: Depth=2
	;;#ASMSTART
	global_load_b128 v[6:9], v[18:19] off scope:SCOPE_DEV	
s_wait_loadcnt 0x0
	;;#ASMEND
	v_and_b32_e32 v9, 0xff, v8
	s_delay_alu instid0(VALU_DEP_1) | instskip(SKIP_1) | instid1(SALU_CYCLE_1)
	v_cmp_ne_u16_e32 vcc_lo, 0, v9
	s_or_b32 s14, vcc_lo, s14
	s_and_not1_b32 exec_lo, exec_lo, s14
	s_cbranch_execnz .LBB235_76
	s_branch .LBB235_70
.LBB235_77:
                                        ; implicit-def: $vgpr16
                                        ; implicit-def: $vgpr20
                                        ; implicit-def: $vgpr22_vgpr23
                                        ; implicit-def: $vgpr28_vgpr29
                                        ; implicit-def: $vgpr36_vgpr37
                                        ; implicit-def: $vgpr30_vgpr31
                                        ; implicit-def: $vgpr44_vgpr45
                                        ; implicit-def: $vgpr48_vgpr49
                                        ; implicit-def: $vgpr46_vgpr47
                                        ; implicit-def: $vgpr42_vgpr43
                                        ; implicit-def: $vgpr38_vgpr39
                                        ; implicit-def: $vgpr32_vgpr33
                                        ; implicit-def: $vgpr34_vgpr35
                                        ; implicit-def: $vgpr40_vgpr41
                                        ; implicit-def: $vgpr24_vgpr25
                                        ; implicit-def: $vgpr26_vgpr27
	s_cbranch_execnz .LBB235_83
	s_branch .LBB235_94
.LBB235_78:
	s_and_saveexec_b32 s13, s12
	s_cbranch_execz .LBB235_80
; %bb.79:
	v_cmp_eq_u32_e32 vcc_lo, 0, v2
	s_mov_b32 s35, 0
	s_add_co_i32 s34, s28, 32
	v_mov_b32_e32 v9, 0
	s_lshl_b64 s[34:35], s[34:35], 4
	v_dual_cndmask_b32 v7, 0, v5 :: v_dual_add_nc_u32 v6, v4, v2
	s_add_nc_u64 s[34:35], s[16:17], s[34:35]
	v_mov_b32_e32 v8, 2
	v_mov_b64_e32 v[16:17], s[34:35]
	s_delay_alu instid0(VALU_DEP_3)
	v_add_nc_u32_e32 v7, v7, v3
	;;#ASMSTART
	global_store_b128 v[16:17], v[6:9] off scope:SCOPE_DEV	
s_wait_storecnt 0x0
	;;#ASMEND
	ds_store_b128 v9, v[2:5] offset:512
.LBB235_80:
	s_or_b32 exec_lo, exec_lo, s13
	v_cmp_eq_u32_e32 vcc_lo, 0, v0
	s_and_b32 exec_lo, exec_lo, vcc_lo
; %bb.81:
	v_mov_b32_e32 v2, 0
	ds_store_b64 v2, v[4:5] offset:584
.LBB235_82:
	s_or_b32 exec_lo, exec_lo, s19
	s_wait_dscnt 0x1
	v_dual_mov_b32 v4, 0 :: v_dual_cndmask_b32 v5, v20, v14, s12
	s_wait_dscnt 0x0
	s_barrier_signal -1
	s_barrier_wait -1
	ds_load_b64 v[2:3], v4 offset:584
	v_cmp_eq_u32_e32 vcc_lo, 0, v5
	v_cndmask_b32_e64 v6, v22, v15, s12
	v_cmp_eq_u32_e64 s12, 0, v68
	s_wait_dscnt 0x0
	s_barrier_signal -1
	s_barrier_wait -1
	ds_load_b128 v[16:19], v4 offset:512
	v_cndmask_b32_e32 v7, 0, v3, vcc_lo
	v_cmp_eq_u32_e32 vcc_lo, 0, v0
	s_delay_alu instid0(VALU_DEP_2) | instskip(SKIP_1) | instid1(VALU_DEP_2)
	v_add_nc_u32_e32 v6, v7, v6
	v_cndmask_b32_e64 v5, v5, 0, vcc_lo
	v_cndmask_b32_e32 v45, v6, v3, vcc_lo
	s_wait_dscnt 0x0
	v_cmp_eq_u32_e32 vcc_lo, 0, v16
	s_delay_alu instid0(VALU_DEP_3) | instskip(NEXT) | instid1(VALU_DEP_1)
	v_add_nc_u32_e32 v44, v2, v5
	v_dual_cndmask_b32 v3, 0, v45, s12 :: v_dual_add_nc_u32 v48, v44, v68
	s_delay_alu instid0(VALU_DEP_1) | instskip(NEXT) | instid1(VALU_DEP_1)
	v_dual_add_nc_u32 v49, v3, v53 :: v_dual_add_nc_u32 v46, v48, v67
	v_cndmask_b32_e64 v3, 0, v49, s11
	s_delay_alu instid0(VALU_DEP_1) | instskip(NEXT) | instid1(VALU_DEP_1)
	v_add_nc_u32_e32 v47, v3, v55
	v_cndmask_b32_e64 v3, 0, v47, s10
	s_delay_alu instid0(VALU_DEP_1) | instskip(NEXT) | instid1(VALU_DEP_1)
	v_add_nc_u32_e32 v43, v3, v72
	;; [unrolled: 3-line block ×4, first 2 shown]
	v_cndmask_b32_e64 v3, 0, v33, s7
	s_delay_alu instid0(VALU_DEP_1) | instskip(SKIP_1) | instid1(VALU_DEP_1)
	v_add_nc_u32_e32 v35, v3, v71
	v_cndmask_b32_e32 v3, 0, v19, vcc_lo
	v_dual_cndmask_b32 v2, 0, v35, s6 :: v_dual_add_nc_u32 v20, v3, v17
	s_delay_alu instid0(VALU_DEP_1) | instskip(NEXT) | instid1(VALU_DEP_1)
	v_add_nc_u32_e32 v41, v2, v75
	v_cndmask_b32_e64 v2, 0, v41, s5
	s_delay_alu instid0(VALU_DEP_1) | instskip(NEXT) | instid1(VALU_DEP_1)
	v_add_nc_u32_e32 v25, v2, v73
	v_dual_add_nc_u32 v42, v46, v66 :: v_dual_cndmask_b32 v2, 0, v25, s4
	s_delay_alu instid0(VALU_DEP_1) | instskip(NEXT) | instid1(VALU_DEP_1)
	v_add_nc_u32_e32 v38, v42, v65
	v_add_nc_u32_e32 v32, v38, v63
	s_delay_alu instid0(VALU_DEP_1) | instskip(NEXT) | instid1(VALU_DEP_1)
	v_dual_add_nc_u32 v27, v2, v69 :: v_dual_add_nc_u32 v34, v32, v64
	v_dual_cndmask_b32 v2, 0, v27, s3 :: v_dual_add_nc_u32 v40, v34, v62
	s_delay_alu instid0(VALU_DEP_1) | instskip(NEXT) | instid1(VALU_DEP_1)
	v_dual_add_nc_u32 v31, v2, v54 :: v_dual_add_nc_u32 v24, v40, v60
	v_dual_cndmask_b32 v2, 0, v31, s2 :: v_dual_add_nc_u32 v26, v24, v58
	s_delay_alu instid0(VALU_DEP_1) | instskip(NEXT) | instid1(VALU_DEP_2)
	v_add_nc_u32_e32 v37, v2, v52
	v_add_nc_u32_e32 v30, v26, v57
	s_delay_alu instid0(VALU_DEP_2) | instskip(NEXT) | instid1(VALU_DEP_2)
	v_cndmask_b32_e64 v2, 0, v37, s1
	v_add_nc_u32_e32 v36, v30, v21
	s_delay_alu instid0(VALU_DEP_1) | instskip(NEXT) | instid1(VALU_DEP_1)
	v_dual_add_nc_u32 v29, v2, v51 :: v_dual_add_nc_u32 v28, v36, v56
	v_cndmask_b32_e64 v2, 0, v29, s0
	s_delay_alu instid0(VALU_DEP_1)
	v_dual_add_nc_u32 v22, v28, v59 :: v_dual_add_nc_u32 v23, v2, v50
	s_branch .LBB235_94
.LBB235_83:
	s_wait_kmcnt 0x0
	s_cmp_eq_u64 s[30:31], 0
	v_mov_b32_e32 v6, v53
	s_cselect_b32 s0, -1, 0
	s_delay_alu instid0(SALU_CYCLE_1) | instskip(NEXT) | instid1(SALU_CYCLE_1)
	s_or_b32 s0, s18, s0
	s_and_b32 vcc_lo, exec_lo, s0
	s_cbranch_vccnz .LBB235_85
; %bb.84:
	v_mov_b32_e32 v2, 0
	global_load_b32 v6, v2, s[30:31]
.LBB235_85:
	v_add3_u32 v3, v80, v63, v64
	v_cmp_eq_u32_e64 s5, 0, v67
	v_cmp_eq_u32_e64 s6, 0, v66
	;; [unrolled: 1-line block ×4, first 2 shown]
	v_add3_u32 v3, v3, v62, v60
	s_wait_xcnt 0x0
	v_cndmask_b32_e64 v2, 0, v53, s5
	v_cmp_eq_u32_e64 s10, 0, v64
	v_cmp_eq_u32_e64 s9, 0, v62
	;; [unrolled: 1-line block ×3, first 2 shown]
	v_add3_u32 v3, v3, v58, v57
	v_dual_add_nc_u32 v2, v2, v55 :: v_dual_bitop2_b32 v5, 15, v77 bitop3:0x40
	v_cmp_eq_u32_e64 s3, 0, v58
	v_cmp_eq_u32_e64 s2, 0, v57
	s_delay_alu instid0(VALU_DEP_4)
	v_add3_u32 v3, v3, v21, v56
	v_cmp_eq_u32_e64 s1, 0, v21
	v_cmp_eq_u32_e32 vcc_lo, 0, v56
	v_cmp_eq_u32_e64 s0, 0, v59
	v_cmp_eq_u32_e64 s11, 0, v61
	v_add3_u32 v3, v3, v59, v61
	v_cndmask_b32_e64 v2, 0, v2, s6
	s_delay_alu instid0(VALU_DEP_2) | instskip(NEXT) | instid1(VALU_DEP_2)
	v_mov_b32_dpp v7, v3 row_shr:1 row_mask:0xf bank_mask:0xf
	v_add_nc_u32_e32 v2, v2, v72
	s_delay_alu instid0(VALU_DEP_1) | instskip(NEXT) | instid1(VALU_DEP_1)
	v_cndmask_b32_e64 v2, 0, v2, s7
	v_add_nc_u32_e32 v2, v2, v74
	s_delay_alu instid0(VALU_DEP_1) | instskip(NEXT) | instid1(VALU_DEP_1)
	v_cndmask_b32_e64 v2, 0, v2, s8
	;; [unrolled: 3-line block ×8, first 2 shown]
	v_add_nc_u32_e32 v2, v2, v52
	s_delay_alu instid0(VALU_DEP_1) | instskip(NEXT) | instid1(VALU_DEP_1)
	v_cndmask_b32_e32 v2, 0, v2, vcc_lo
	v_add_nc_u32_e32 v2, v2, v51
	s_delay_alu instid0(VALU_DEP_1) | instskip(NEXT) | instid1(VALU_DEP_1)
	v_cndmask_b32_e64 v2, 0, v2, s0
	v_add_nc_u32_e32 v2, v2, v50
	s_delay_alu instid0(VALU_DEP_1) | instskip(SKIP_1) | instid1(VALU_DEP_2)
	v_cndmask_b32_e64 v2, 0, v2, s11
	v_cmp_eq_u32_e64 s11, 0, v3
	v_add_nc_u32_e32 v2, v2, v76
	s_delay_alu instid0(VALU_DEP_1) | instskip(NEXT) | instid1(VALU_DEP_1)
	v_mov_b32_dpp v4, v2 row_shr:1 row_mask:0xf bank_mask:0xf
	v_cndmask_b32_e64 v4, 0, v4, s11
	v_cmp_eq_u32_e64 s11, 0, v5
	s_delay_alu instid0(VALU_DEP_1) | instskip(NEXT) | instid1(VALU_DEP_3)
	v_cndmask_b32_e64 v7, v7, 0, s11
	v_cndmask_b32_e64 v4, v4, 0, s11
	v_cmp_lt_u32_e64 s11, 1, v5
	s_delay_alu instid0(VALU_DEP_2) | instskip(NEXT) | instid1(VALU_DEP_1)
	v_dual_add_nc_u32 v3, v7, v3 :: v_dual_add_nc_u32 v2, v4, v2
	v_mov_b32_dpp v4, v3 row_shr:2 row_mask:0xf bank_mask:0xf
	v_cmp_eq_u32_e64 s12, 0, v3
	s_delay_alu instid0(VALU_DEP_3) | instskip(NEXT) | instid1(VALU_DEP_3)
	v_mov_b32_dpp v7, v2 row_shr:2 row_mask:0xf bank_mask:0xf
	v_cndmask_b32_e64 v4, 0, v4, s11
	s_and_b32 s11, s11, s12
	s_delay_alu instid0(VALU_DEP_2) | instid1(SALU_CYCLE_1)
	v_cndmask_b32_e64 v7, 0, v7, s11
	v_cmp_lt_u32_e64 s11, 3, v5
	s_delay_alu instid0(VALU_DEP_3) | instskip(NEXT) | instid1(VALU_DEP_3)
	v_add_nc_u32_e32 v3, v3, v4
	v_add_nc_u32_e32 v2, v7, v2
	s_delay_alu instid0(VALU_DEP_2) | instskip(SKIP_1) | instid1(VALU_DEP_3)
	v_mov_b32_dpp v4, v3 row_shr:4 row_mask:0xf bank_mask:0xf
	v_cmp_eq_u32_e64 s12, 0, v3
	v_mov_b32_dpp v7, v2 row_shr:4 row_mask:0xf bank_mask:0xf
	s_delay_alu instid0(VALU_DEP_3)
	v_cndmask_b32_e64 v4, 0, v4, s11
	s_and_b32 s11, s11, s12
	s_delay_alu instid0(VALU_DEP_2) | instid1(SALU_CYCLE_1)
	v_cndmask_b32_e64 v7, 0, v7, s11
	v_cmp_lt_u32_e64 s11, 7, v5
	s_delay_alu instid0(VALU_DEP_3) | instskip(NEXT) | instid1(VALU_DEP_3)
	v_add_nc_u32_e32 v3, v4, v3
	v_add_nc_u32_e32 v2, v2, v7
	v_bfe_i32 v7, v77, 4, 1
	s_delay_alu instid0(VALU_DEP_3) | instskip(SKIP_1) | instid1(VALU_DEP_4)
	v_mov_b32_dpp v4, v3 row_shr:8 row_mask:0xf bank_mask:0xf
	v_cmp_eq_u32_e64 s12, 0, v3
	v_mov_b32_dpp v5, v2 row_shr:8 row_mask:0xf bank_mask:0xf
	s_delay_alu instid0(VALU_DEP_3) | instskip(SKIP_2) | instid1(VALU_DEP_2)
	v_cndmask_b32_e64 v4, 0, v4, s11
	s_and_b32 s11, s11, s12
	s_mov_b32 s12, exec_lo
	v_cndmask_b32_e64 v5, 0, v5, s11
	s_delay_alu instid0(VALU_DEP_1) | instskip(SKIP_4) | instid1(VALU_DEP_1)
	v_dual_add_nc_u32 v5, v5, v2 :: v_dual_add_nc_u32 v2, v4, v3
	ds_swizzle_b32 v3, v5 offset:swizzle(BROADCAST,32,15)
	ds_swizzle_b32 v4, v2 offset:swizzle(BROADCAST,32,15)
	v_cmp_eq_u32_e64 s11, 0, v2
	s_wait_dscnt 0x0
	v_dual_cndmask_b32 v3, 0, v3, s11 :: v_dual_bitop2_b32 v4, v7, v4 bitop3:0x40
	s_delay_alu instid0(VALU_DEP_1) | instskip(NEXT) | instid1(VALU_DEP_1)
	v_dual_add_nc_u32 v2, v4, v2 :: v_dual_bitop2_b32 v3, v7, v3 bitop3:0x40
	v_dual_add_nc_u32 v3, v3, v5 :: v_dual_lshlrev_b32 v5, 3, v78
	v_cmpx_eq_u32_e64 v0, v79
; %bb.86:
	ds_store_b64 v5, v[2:3] offset:528
; %bb.87:
	s_or_b32 exec_lo, exec_lo, s12
	s_delay_alu instid0(SALU_CYCLE_1)
	s_mov_b32 s13, exec_lo
	s_wait_loadcnt_dscnt 0x0
	s_barrier_signal -1
	s_barrier_wait -1
	v_cmpx_gt_u32_e32 8, v0
	s_cbranch_execz .LBB235_89
; %bb.88:
	v_dual_lshlrev_b32 v4, 3, v0 :: v_dual_bitop2_b32 v14, 7, v77 bitop3:0x40
	ds_load_b64 v[8:9], v4 offset:528
	s_wait_dscnt 0x0
	v_mov_b32_dpp v7, v9 row_shr:1 row_mask:0xf bank_mask:0xf
	v_cmp_eq_u32_e64 s11, 0, v8
	v_mov_b32_dpp v15, v8 row_shr:1 row_mask:0xf bank_mask:0xf
	s_delay_alu instid0(VALU_DEP_2) | instskip(SKIP_1) | instid1(VALU_DEP_1)
	v_cndmask_b32_e64 v7, 0, v7, s11
	v_cmp_eq_u32_e64 s11, 0, v14
	v_cndmask_b32_e64 v15, v15, 0, s11
	s_delay_alu instid0(VALU_DEP_1) | instskip(NEXT) | instid1(VALU_DEP_4)
	v_add_nc_u32_e32 v8, v15, v8
	v_cndmask_b32_e64 v7, v7, 0, s11
	v_cmp_lt_u32_e64 s11, 1, v14
	s_delay_alu instid0(VALU_DEP_3) | instskip(NEXT) | instid1(VALU_DEP_3)
	v_cmp_eq_u32_e64 s12, 0, v8
	v_add_nc_u32_e32 v7, v7, v9
	v_mov_b32_dpp v9, v8 row_shr:2 row_mask:0xf bank_mask:0xf
	s_delay_alu instid0(VALU_DEP_1) | instskip(NEXT) | instid1(VALU_DEP_3)
	v_cndmask_b32_e64 v9, 0, v9, s11
	v_mov_b32_dpp v15, v7 row_shr:2 row_mask:0xf bank_mask:0xf
	s_and_b32 s11, s11, s12
	s_delay_alu instid0(VALU_DEP_1) | instid1(SALU_CYCLE_1)
	v_dual_add_nc_u32 v8, v9, v8 :: v_dual_cndmask_b32 v15, 0, v15, s11
	v_cmp_lt_u32_e64 s11, 3, v14
	s_delay_alu instid0(VALU_DEP_2) | instskip(NEXT) | instid1(VALU_DEP_3)
	v_mov_b32_dpp v9, v8 row_shr:4 row_mask:0xf bank_mask:0xf
	v_add_nc_u32_e32 v7, v15, v7
	v_cmp_eq_u32_e64 s12, 0, v8
	s_delay_alu instid0(VALU_DEP_3) | instskip(NEXT) | instid1(VALU_DEP_3)
	v_cndmask_b32_e64 v9, 0, v9, s11
	v_mov_b32_dpp v14, v7 row_shr:4 row_mask:0xf bank_mask:0xf
	s_and_b32 s11, s11, s12
	s_delay_alu instid0(VALU_DEP_1) | instid1(SALU_CYCLE_1)
	v_dual_add_nc_u32 v8, v9, v8 :: v_dual_cndmask_b32 v14, 0, v14, s11
	s_delay_alu instid0(VALU_DEP_1)
	v_add_nc_u32_e32 v9, v14, v7
	ds_store_b64 v4, v[8:9] offset:528
.LBB235_89:
	s_or_b32 exec_lo, exec_lo, s13
	v_dual_mov_b32 v7, 0 :: v_dual_mov_b32 v4, 0
	v_mov_b32_e32 v8, v6
	s_mov_b32 s12, exec_lo
	s_wait_dscnt 0x0
	s_barrier_signal -1
	s_barrier_wait -1
	v_cmpx_lt_u32_e32 31, v0
	s_cbranch_execz .LBB235_91
; %bb.90:
	ds_load_b64 v[4:5], v5 offset:520
	s_wait_dscnt 0x0
	v_cmp_eq_u32_e64 s11, 0, v4
	s_delay_alu instid0(VALU_DEP_1) | instskip(NEXT) | instid1(VALU_DEP_1)
	v_cndmask_b32_e64 v8, 0, v6, s11
	v_add_nc_u32_e32 v8, v8, v5
.LBB235_91:
	s_or_b32 exec_lo, exec_lo, s12
	v_sub_co_u32 v5, s11, v77, 1
	ds_load_b64 v[16:17], v7 offset:584
	v_cmp_gt_i32_e64 s12, 0, v5
	s_delay_alu instid0(VALU_DEP_1) | instskip(SKIP_1) | instid1(VALU_DEP_1)
	v_cndmask_b32_e64 v5, v5, v77, s12
	v_cmp_eq_u32_e64 s12, 0, v2
	v_dual_cndmask_b32 v9, 0, v8, s12 :: v_dual_add_nc_u32 v2, v4, v2
	s_delay_alu instid0(VALU_DEP_3)
	v_lshlrev_b32_e32 v5, 2, v5
	v_cmp_eq_u32_e64 s12, 0, v68
	ds_bpermute_b32 v2, v5, v2
	s_wait_dscnt 0x0
	v_dual_add_nc_u32 v3, v9, v3 :: v_dual_cndmask_b32 v2, v2, v4, s11
	ds_bpermute_b32 v3, v5, v3
	s_wait_dscnt 0x0
	v_cndmask_b32_e64 v3, v3, v8, s11
	v_cmp_eq_u32_e64 s11, 0, v0
	s_delay_alu instid0(VALU_DEP_1) | instskip(SKIP_1) | instid1(VALU_DEP_1)
	v_cndmask_b32_e64 v45, v3, v6, s11
	v_cndmask_b32_e64 v44, v2, 0, s11
	v_dual_cndmask_b32 v3, 0, v45, s12 :: v_dual_add_nc_u32 v48, v44, v68
	s_delay_alu instid0(VALU_DEP_1) | instskip(NEXT) | instid1(VALU_DEP_1)
	v_dual_add_nc_u32 v49, v3, v53 :: v_dual_add_nc_u32 v46, v48, v67
	v_dual_cndmask_b32 v3, 0, v49, s5 :: v_dual_add_nc_u32 v42, v46, v66
	s_delay_alu instid0(VALU_DEP_1) | instskip(NEXT) | instid1(VALU_DEP_1)
	v_dual_add_nc_u32 v47, v3, v55 :: v_dual_add_nc_u32 v38, v42, v65
	v_cndmask_b32_e64 v3, 0, v47, s6
	s_delay_alu instid0(VALU_DEP_1) | instskip(NEXT) | instid1(VALU_DEP_1)
	v_dual_add_nc_u32 v32, v38, v63 :: v_dual_add_nc_u32 v43, v3, v72
	v_dual_add_nc_u32 v34, v32, v64 :: v_dual_cndmask_b32 v3, 0, v43, s7
	s_delay_alu instid0(VALU_DEP_1) | instskip(NEXT) | instid1(VALU_DEP_1)
	v_add_nc_u32_e32 v40, v34, v62
	v_dual_add_nc_u32 v39, v3, v74 :: v_dual_add_nc_u32 v24, v40, v60
	s_delay_alu instid0(VALU_DEP_1) | instskip(NEXT) | instid1(VALU_DEP_1)
	v_dual_cndmask_b32 v3, 0, v39, s8 :: v_dual_add_nc_u32 v26, v24, v58
	v_dual_add_nc_u32 v33, v3, v70 :: v_dual_add_nc_u32 v30, v26, v57
	s_delay_alu instid0(VALU_DEP_1) | instskip(NEXT) | instid1(VALU_DEP_1)
	v_cndmask_b32_e64 v3, 0, v33, s10
	v_dual_add_nc_u32 v36, v30, v21 :: v_dual_add_nc_u32 v35, v3, v71
	s_delay_alu instid0(VALU_DEP_1) | instskip(NEXT) | instid1(VALU_DEP_1)
	v_dual_add_nc_u32 v28, v36, v56 :: v_dual_cndmask_b32 v2, 0, v35, s9
	v_add_nc_u32_e32 v22, v28, v59
	s_delay_alu instid0(VALU_DEP_2) | instskip(NEXT) | instid1(VALU_DEP_1)
	v_add_nc_u32_e32 v41, v2, v75
	v_cndmask_b32_e64 v2, 0, v41, s4
	s_delay_alu instid0(VALU_DEP_1) | instskip(NEXT) | instid1(VALU_DEP_1)
	v_add_nc_u32_e32 v25, v2, v73
	v_cndmask_b32_e64 v2, 0, v25, s3
	s_delay_alu instid0(VALU_DEP_1) | instskip(NEXT) | instid1(VALU_DEP_1)
	;; [unrolled: 3-line block ×4, first 2 shown]
	v_add_nc_u32_e32 v37, v2, v52
	v_cndmask_b32_e32 v2, 0, v37, vcc_lo
	v_cmp_eq_u32_e32 vcc_lo, 0, v16
	s_delay_alu instid0(VALU_DEP_2) | instskip(NEXT) | instid1(VALU_DEP_1)
	v_dual_cndmask_b32 v3, 0, v6, vcc_lo :: v_dual_add_nc_u32 v29, v2, v51
	v_add_nc_u32_e32 v20, v3, v17
	s_delay_alu instid0(VALU_DEP_2) | instskip(NEXT) | instid1(VALU_DEP_1)
	v_cndmask_b32_e64 v2, 0, v29, s0
	v_add_nc_u32_e32 v23, v2, v50
	s_and_saveexec_b32 s0, s11
	s_cbranch_execz .LBB235_93
; %bb.92:
	s_add_nc_u64 s[2:3], s[16:17], 0x200
	v_dual_mov_b32 v18, 2 :: v_dual_mov_b32 v19, 0
	v_mov_b32_e32 v17, v20
	v_mov_b64_e32 v[2:3], s[2:3]
	;;#ASMSTART
	global_store_b128 v[2:3], v[16:19] off scope:SCOPE_DEV	
s_wait_storecnt 0x0
	;;#ASMEND
.LBB235_93:
	s_or_b32 exec_lo, exec_lo, s0
	v_mov_b32_e32 v18, 0
.LBB235_94:
	s_cmp_eq_u64 s[26:27], 0
	v_mov_b64_e32 v[50:51], 0
	s_cselect_b32 s0, -1, 0
	s_delay_alu instid0(SALU_CYCLE_1)
	s_or_b32 s0, s18, s0
	s_barrier_signal -1
	s_and_b32 vcc_lo, exec_lo, s0
	s_barrier_wait -1
	s_cbranch_vccnz .LBB235_96
; %bb.95:
	v_mov_b32_e32 v2, 0
	global_load_b64 v[50:51], v2, s[26:27]
.LBB235_96:
	v_cmp_eq_u32_e32 vcc_lo, 0, v68
	v_cmp_ne_u32_e64 s13, 0, v68
	v_cmp_ne_u32_e64 s12, 0, v67
	;; [unrolled: 1-line block ×4, first 2 shown]
	s_wait_xcnt 0x0
	v_cndmask_b32_e64 v2, 1, 2, vcc_lo
	v_cmp_eq_u32_e32 vcc_lo, 0, v67
	v_cmp_ne_u32_e64 s9, 0, v63
	v_cmp_ne_u32_e64 s8, 0, v64
	;; [unrolled: 1-line block ×4, first 2 shown]
	v_cndmask_b32_e64 v3, 1, 2, vcc_lo
	v_cmp_eq_u32_e32 vcc_lo, 0, v66
	v_cmp_ne_u32_e64 s5, 0, v58
	v_cmp_ne_u32_e64 s4, 0, v57
	s_delay_alu instid0(VALU_DEP_4)
	v_dual_mov_b32 v19, 0 :: v_dual_bitop2_b32 v2, v3, v2 bitop3:0x40
	v_cndmask_b32_e64 v3, 1, 2, vcc_lo
	v_cmp_eq_u32_e32 vcc_lo, 0, v65
	v_cmp_ne_u32_e64 s3, 0, v21
	v_cmp_ne_u32_e64 s2, 0, v56
	;; [unrolled: 1-line block ×4, first 2 shown]
	v_cndmask_b32_e64 v4, 1, 2, vcc_lo
	v_cmp_eq_u32_e32 vcc_lo, 0, v63
	s_mov_b32 s16, -1
	s_delay_alu instid0(VALU_DEP_2) | instskip(SKIP_4) | instid1(VALU_DEP_2)
	v_bitop3_b16 v2, v2, v4, v3 bitop3:0x80
	v_cndmask_b32_e64 v5, 1, 2, vcc_lo
	v_cmp_eq_u32_e32 vcc_lo, 0, v64
	v_cndmask_b32_e64 v6, 1, 2, vcc_lo
	v_cmp_eq_u32_e32 vcc_lo, 0, v62
	v_bitop3_b16 v4, v2, v6, v5 bitop3:0x80
	v_cndmask_b32_e64 v5, 1, 2, vcc_lo
	v_cmp_eq_u32_e32 vcc_lo, 0, v60
	s_wait_loadcnt 0x0
	s_wait_kmcnt 0x0
	v_add_nc_u64_e32 v[2:3], s[20:21], v[50:51]
	v_cndmask_b32_e64 v6, 1, 2, vcc_lo
	v_cmp_eq_u32_e32 vcc_lo, 0, v58
	s_delay_alu instid0(VALU_DEP_3) | instskip(NEXT) | instid1(VALU_DEP_3)
	v_add_nc_u64_e32 v[52:53], v[2:3], v[18:19]
	v_bitop3_b16 v4, v4, v6, v5 bitop3:0x80
	v_cndmask_b32_e64 v5, 1, 2, vcc_lo
	v_cmp_eq_u32_e32 vcc_lo, 0, v57
	v_cndmask_b32_e64 v6, 1, 2, vcc_lo
	v_cmp_eq_u32_e32 vcc_lo, 0, v21
	s_delay_alu instid0(VALU_DEP_2) | instskip(SKIP_4) | instid1(VALU_DEP_2)
	v_bitop3_b16 v2, v4, v6, v5 bitop3:0x80
	v_cndmask_b32_e64 v3, 1, 2, vcc_lo
	v_cmp_eq_u32_e32 vcc_lo, 0, v56
	v_cndmask_b32_e64 v4, 1, 2, vcc_lo
	v_cmp_eq_u32_e32 vcc_lo, 0, v59
	v_bitop3_b16 v2, v2, v4, v3 bitop3:0x80
	v_cndmask_b32_e64 v3, 1, 2, vcc_lo
	v_cmp_eq_u32_e32 vcc_lo, 0, v61
	v_cndmask_b32_e64 v4, 1, 2, vcc_lo
	v_cmp_gt_u32_e32 vcc_lo, 0x100, v16
	s_delay_alu instid0(VALU_DEP_2) | instskip(NEXT) | instid1(VALU_DEP_1)
	v_bitop3_b16 v2, v2, v4, v3 bitop3:0x80
	v_cmp_gt_i16_e64 s14, 2, v2
	s_cbranch_vccz .LBB235_103
; %bb.97:
	s_and_saveexec_b32 s16, s14
	s_cbranch_execz .LBB235_102
; %bb.98:
	s_mov_b32 s17, 0
	s_mov_b32 s14, exec_lo
	v_cmpx_ne_u16_e32 1, v2
	s_xor_b32 s14, exec_lo, s14
	s_cbranch_execnz .LBB235_145
; %bb.99:
	s_and_not1_saveexec_b32 s14, s14
	s_cbranch_execnz .LBB235_160
.LBB235_100:
	s_or_b32 exec_lo, exec_lo, s14
	s_delay_alu instid0(SALU_CYCLE_1)
	s_and_b32 exec_lo, exec_lo, s17
	s_cbranch_execz .LBB235_102
.LBB235_101:
	v_dual_sub_nc_u32 v3, v22, v18 :: v_dual_lshrrev_b32 v4, 24, v12
	v_readfirstlane_b32 s18, v52
	v_readfirstlane_b32 s19, v53
	global_store_b8 v3, v4, s[18:19]
.LBB235_102:
	s_wait_xcnt 0x0
	s_or_b32 exec_lo, exec_lo, s16
	s_mov_b32 s16, 0
.LBB235_103:
	s_delay_alu instid0(SALU_CYCLE_1)
	s_and_b32 vcc_lo, exec_lo, s16
	s_cbranch_vccz .LBB235_124
; %bb.104:
	s_mov_b32 s14, exec_lo
	v_cmpx_gt_i16_e32 2, v2
	s_cbranch_execz .LBB235_109
; %bb.105:
	s_mov_b32 s17, 0
	s_mov_b32 s16, exec_lo
	v_cmpx_ne_u16_e32 1, v2
	s_xor_b32 s16, exec_lo, s16
	s_cbranch_execnz .LBB235_161
; %bb.106:
	s_and_not1_saveexec_b32 s0, s16
	s_cbranch_execnz .LBB235_176
.LBB235_107:
	s_or_b32 exec_lo, exec_lo, s0
	s_delay_alu instid0(SALU_CYCLE_1)
	s_and_b32 exec_lo, exec_lo, s17
.LBB235_108:
	v_dual_sub_nc_u32 v1, v22, v18 :: v_dual_lshrrev_b32 v2, 24, v12
	ds_store_b8 v1, v2
.LBB235_109:
	s_or_b32 exec_lo, exec_lo, s14
	s_delay_alu instid0(SALU_CYCLE_1)
	s_mov_b32 s0, exec_lo
	s_wait_storecnt_dscnt 0x0
	s_barrier_signal -1
	s_barrier_wait -1
	v_cmpx_lt_u32_e64 v0, v16
	s_cbranch_execz .LBB235_123
; %bb.110:
	v_xad_u32 v2, v0, -1, v16
	v_mov_b32_e32 v1, v0
	s_mov_b32 s4, -1
	s_mov_b32 s2, exec_lo
	s_delay_alu instid0(VALU_DEP_2)
	v_cmp_gt_u32_e64 s1, 0x1f00, v2
	v_cmpx_lt_u32_e32 0x1eff, v2
	s_cbranch_execz .LBB235_120
; %bb.111:
	v_sub_nc_u32_e32 v1, v0, v16
	s_delay_alu instid0(VALU_DEP_1) | instskip(NEXT) | instid1(VALU_DEP_1)
	v_or_b32_e32 v1, 0xff, v1
	v_cmp_ge_u32_e32 vcc_lo, v1, v0
	v_mov_b32_e32 v1, v0
	s_and_saveexec_b32 s3, vcc_lo
	s_cbranch_execz .LBB235_119
; %bb.112:
	v_or_b32_e32 v7, 0x700, v0
	v_or_b32_e32 v6, 0x600, v0
	v_dual_mov_b32 v54, 0 :: v_dual_lshrrev_b32 v17, 8, v2
	v_or_b32_e32 v5, 0x500, v0
	v_or_b32_e32 v4, 0x400, v0
	v_or_b32_e32 v3, 0x300, v0
	v_or_b32_e32 v2, 0x200, v0
	v_or_b32_e32 v1, 0x100, v0
	v_mov_b64_e32 v[14:15], v[6:7]
	v_mov_b64_e32 v[12:13], v[4:5]
	v_add_nc_u32_e32 v69, -7, v17
	v_mov_b64_e32 v[10:11], v[2:3]
	v_mov_b64_e32 v[8:9], v[0:1]
	s_mov_b32 s4, exec_lo
	s_delay_alu instid0(VALU_DEP_3)
	v_cmpx_lt_u32_e32 7, v69
	s_cbranch_execz .LBB235_116
; %bb.113:
	v_dual_mov_b32 v55, 0 :: v_dual_lshrrev_b32 v8, 3, v69
	s_mov_b32 s5, 0
	s_mov_b32 s6, 0
	s_delay_alu instid0(VALU_DEP_1) | instskip(NEXT) | instid1(VALU_DEP_1)
	v_dual_mov_b32 v70, v0 :: v_dual_add_nc_u32 v8, 1, v8
	v_and_b32_e32 v71, 0x3ffffffe, v8
	v_mov_b64_e32 v[14:15], v[6:7]
	v_mov_b64_e32 v[12:13], v[4:5]
	;; [unrolled: 1-line block ×4, first 2 shown]
.LBB235_114:                            ; =>This Inner Loop Header: Depth=1
	s_delay_alu instid0(VALU_DEP_1)
	v_dual_mov_b32 v54, v8 :: v_dual_mov_b32 v79, v55
	v_add_nc_u32_e32 v71, -2, v71
	s_add_co_i32 s6, s6, 16
	s_delay_alu instid0(VALU_DEP_3) | instid1(SALU_CYCLE_1)
	v_dual_mov_b32 v1, s6 :: v_dual_add_nc_u32 v78, 0x800, v9
	s_delay_alu instid0(VALU_DEP_3)
	v_add_nc_u64_e32 v[80:81], v[52:53], v[54:55]
	v_dual_mov_b32 v54, v9 :: v_dual_add_nc_u32 v9, 0x1000, v9
	ds_load_u8 v88, v70
	ds_load_u8 v89, v70 offset:256
	ds_load_u8 v90, v70 offset:512
	;; [unrolled: 1-line block ×7, first 2 shown]
	v_dual_mov_b32 v5, v55 :: v_dual_add_nc_u32 v74, 0x800, v11
	v_add_nc_u64_e32 v[82:83], v[52:53], v[54:55]
	v_mov_b32_e32 v54, v10
	ds_load_u8 v96, v70 offset:2048
	ds_load_u8 v97, v70 offset:2304
	;; [unrolled: 1-line block ×8, first 2 shown]
	v_dual_mov_b32 v77, v55 :: v_dual_add_nc_u32 v2, 0x800, v15
	s_wait_dscnt 0xf
	global_store_b8 v[80:81], v88, off
	s_wait_dscnt 0xe
	global_store_b8 v[82:83], v89, off
	v_add_nc_u64_e32 v[84:85], v[52:53], v[54:55]
	v_dual_mov_b32 v54, v11 :: v_dual_add_nc_u32 v11, 0x1000, v11
	v_dual_mov_b32 v3, v55 :: v_dual_add_nc_u32 v76, 0x800, v10
	;; [unrolled: 1-line block ×3, first 2 shown]
	s_delay_alu instid0(VALU_DEP_3)
	v_add_nc_u64_e32 v[86:87], v[52:53], v[54:55]
	v_mov_b32_e32 v54, v12
	s_wait_dscnt 0xd
	global_store_b8 v[84:85], v90, off
	v_dual_mov_b32 v73, v55 :: v_dual_add_nc_u32 v6, 0x800, v13
	v_dual_mov_b32 v7, v55 :: v_dual_add_nc_u32 v72, 0x800, v12
	s_wait_xcnt 0x2
	v_add_nc_u64_e32 v[80:81], v[52:53], v[54:55]
	v_mov_b32_e32 v54, v13
	s_wait_dscnt 0xc
	global_store_b8 v[86:87], v91, off
	v_cmp_eq_u32_e32 vcc_lo, 0, v71
	v_add_nc_u32_e32 v70, 0x1000, v70
	v_add_nc_u64_e32 v[78:79], v[52:53], v[78:79]
	s_wait_xcnt 0x2
	v_add_nc_u64_e32 v[82:83], v[52:53], v[54:55]
	v_mov_b32_e32 v54, v14
	s_wait_dscnt 0xb
	global_store_b8 v[80:81], v92, off
	v_add_nc_u32_e32 v10, 0x1000, v10
	v_add_nc_u32_e32 v12, 0x1000, v12
	;; [unrolled: 1-line block ×3, first 2 shown]
	s_wait_xcnt 0x0
	v_add_nc_u64_e32 v[80:81], v[52:53], v[54:55]
	v_mov_b32_e32 v54, v15
	s_wait_dscnt 0xa
	global_store_b8 v[82:83], v93, off
	v_add_nc_u32_e32 v14, 0x1000, v14
	v_add_nc_u32_e32 v15, 0x1000, v15
	v_add_nc_u64_e32 v[76:77], v[52:53], v[76:77]
	s_wait_xcnt 0x0
	v_add_nc_u64_e32 v[82:83], v[52:53], v[54:55]
	v_add_nc_u32_e32 v54, 0x800, v8
	s_wait_dscnt 0x9
	global_store_b8 v[80:81], v94, off
	v_add_nc_u32_e32 v8, 0x1000, v8
	v_add_nc_u64_e32 v[74:75], v[52:53], v[74:75]
	v_add_nc_u64_e32 v[72:73], v[52:53], v[72:73]
	s_wait_xcnt 0x0
	v_add_nc_u64_e32 v[80:81], v[52:53], v[54:55]
	s_or_b32 s5, vcc_lo, s5
	v_add_nc_u64_e32 v[6:7], v[52:53], v[6:7]
	v_add_nc_u64_e32 v[4:5], v[52:53], v[4:5]
	;; [unrolled: 1-line block ×3, first 2 shown]
	s_wait_dscnt 0x8
	global_store_b8 v[82:83], v95, off
	s_wait_dscnt 0x7
	global_store_b8 v[80:81], v96, off
	;; [unrolled: 2-line block ×9, first 2 shown]
	s_wait_xcnt 0x0
	s_and_not1_b32 exec_lo, exec_lo, s5
	s_cbranch_execnz .LBB235_114
; %bb.115:
	s_or_b32 exec_lo, exec_lo, s5
	v_lshlrev_b32_e32 v54, 8, v1
.LBB235_116:
	s_or_b32 exec_lo, exec_lo, s4
	v_and_b32_e32 v1, 8, v69
	s_mov_b32 s4, exec_lo
	s_delay_alu instid0(VALU_DEP_1)
	v_cmpx_eq_u32_e32 0, v1
	s_cbranch_execz .LBB235_118
; %bb.117:
	v_dual_mov_b32 v3, 0 :: v_dual_mov_b32 v2, v8
	v_or_b32_e32 v1, v0, v54
	ds_load_u8 v69, v1
	ds_load_u8 v72, v1 offset:256
	ds_load_u8 v73, v1 offset:512
	ds_load_u8 v74, v1 offset:768
	ds_load_u8 v75, v1 offset:1024
	ds_load_u8 v76, v1 offset:1280
	ds_load_u8 v77, v1 offset:1536
	ds_load_u8 v1, v1 offset:1792
	v_add_nc_u64_e32 v[4:5], v[52:53], v[2:3]
	v_mov_b32_e32 v2, v9
	s_delay_alu instid0(VALU_DEP_1) | instskip(SKIP_1) | instid1(VALU_DEP_1)
	v_add_nc_u64_e32 v[6:7], v[52:53], v[2:3]
	v_mov_b32_e32 v2, v10
	v_add_nc_u64_e32 v[8:9], v[52:53], v[2:3]
	v_mov_b32_e32 v2, v11
	s_delay_alu instid0(VALU_DEP_1) | instskip(SKIP_1) | instid1(VALU_DEP_1)
	v_add_nc_u64_e32 v[10:11], v[52:53], v[2:3]
	v_mov_b32_e32 v2, v12
	;; [unrolled: 5-line block ×3, first 2 shown]
	v_add_nc_u64_e32 v[70:71], v[52:53], v[2:3]
	v_mov_b32_e32 v2, v15
	s_delay_alu instid0(VALU_DEP_1)
	v_add_nc_u64_e32 v[2:3], v[52:53], v[2:3]
	s_wait_dscnt 0x7
	global_store_b8 v[4:5], v69, off
	s_wait_dscnt 0x6
	global_store_b8 v[6:7], v72, off
	s_wait_dscnt 0x5
	global_store_b8 v[8:9], v73, off
	s_wait_dscnt 0x4
	global_store_b8 v[10:11], v74, off
	s_wait_dscnt 0x3
	global_store_b8 v[54:55], v75, off
	s_wait_dscnt 0x2
	global_store_b8 v[12:13], v76, off
	s_wait_dscnt 0x1
	global_store_b8 v[70:71], v77, off
	s_wait_dscnt 0x0
	global_store_b8 v[2:3], v1, off
.LBB235_118:
	s_wait_xcnt 0x0
	s_or_b32 exec_lo, exec_lo, s4
	v_add_nc_u32_e32 v1, 1, v17
	s_delay_alu instid0(VALU_DEP_1) | instskip(NEXT) | instid1(VALU_DEP_1)
	v_and_b32_e32 v2, 0x1fffff8, v1
	v_cmp_ne_u32_e32 vcc_lo, v1, v2
	v_lshl_or_b32 v1, v2, 8, v0
	s_or_not1_b32 s4, vcc_lo, exec_lo
.LBB235_119:
	s_or_b32 exec_lo, exec_lo, s3
	s_delay_alu instid0(SALU_CYCLE_1) | instskip(SKIP_1) | instid1(SALU_CYCLE_1)
	s_and_not1_b32 s1, s1, exec_lo
	s_and_b32 s3, s4, exec_lo
	s_or_b32 s1, s1, s3
.LBB235_120:
	s_or_b32 exec_lo, exec_lo, s2
	s_delay_alu instid0(SALU_CYCLE_1)
	s_and_b32 exec_lo, exec_lo, s1
	s_cbranch_execz .LBB235_123
; %bb.121:
	s_mov_b32 s1, 0
.LBB235_122:                            ; =>This Inner Loop Header: Depth=1
	ds_load_u8 v2, v1
	v_readfirstlane_b32 s2, v52
	v_readfirstlane_b32 s3, v53
	s_wait_dscnt 0x0
	global_store_b8 v1, v2, s[2:3]
	s_wait_xcnt 0x0
	v_add_nc_u32_e32 v1, 0x100, v1
	s_delay_alu instid0(VALU_DEP_1) | instskip(SKIP_1) | instid1(SALU_CYCLE_1)
	v_cmp_ge_u32_e32 vcc_lo, v1, v16
	s_or_b32 s1, vcc_lo, s1
	s_and_not1_b32 exec_lo, exec_lo, s1
	s_cbranch_execnz .LBB235_122
.LBB235_123:
	s_or_b32 exec_lo, exec_lo, s0
.LBB235_124:
	s_cmp_lg_u32 s29, 0xe00
	v_cmp_eq_u32_e32 vcc_lo, 0, v0
	s_cselect_b32 s0, -1, 0
	s_lshr_b32 s1, s29, 1
	s_and_b32 s0, s15, s0
	v_cndmask_b32_e64 v6, 0, 1, s33
	v_mad_i32_i24 v3, v0, -14, s29
	v_cndmask_b32_e64 v2, 0, 1, s0
	s_mul_hi_u32 s0, s1, 0x92492493
	s_and_b32 s1, vcc_lo, s33
	s_lshr_b32 s0, s0, 2
	v_cndmask_b32_e64 v4, v68, 0, s1
	v_cmp_eq_u32_e32 vcc_lo, s0, v0
	v_cmp_ne_u32_e64 s0, 0, v3
	v_sub_nc_u32_e32 v1, v16, v6
	s_mov_b32 s16, -1
	s_wait_storecnt 0x0
	s_and_b32 vcc_lo, s15, vcc_lo
	s_barrier_signal -1
	v_dual_add_nc_u32 v1, v1, v2 :: v_dual_cndmask_b32 v2, 1, v4, s0
	v_cmp_ne_u32_e64 s0, 1, v3
	s_barrier_wait -1
	s_delay_alu instid0(VALU_DEP_1) | instskip(SKIP_1) | instid1(VALU_DEP_2)
	v_dual_cndmask_b32 v54, v4, v2, vcc_lo :: v_dual_cndmask_b32 v5, 1, v67, s0
	v_cmp_ne_u32_e64 s0, 2, v3
	v_cmp_ne_u32_e64 s13, 0, v54
	s_delay_alu instid0(VALU_DEP_2) | instskip(SKIP_1) | instid1(VALU_DEP_1)
	v_cndmask_b32_e64 v7, 1, v66, s0
	v_cmp_ne_u32_e64 s0, 3, v3
	v_cndmask_b32_e64 v8, 1, v65, s0
	v_cmp_ne_u32_e64 s0, 4, v3
	s_delay_alu instid0(VALU_DEP_4) | instskip(SKIP_1) | instid1(VALU_DEP_3)
	v_dual_cndmask_b32 v55, v67, v5, vcc_lo :: v_dual_cndmask_b32 v7, v66, v7, vcc_lo
	v_lshlrev_b64_e32 v[4:5], 3, v[18:19]
	v_cndmask_b32_e64 v9, 1, v63, s0
	v_cmp_ne_u32_e64 s0, 5, v3
	s_delay_alu instid0(VALU_DEP_4) | instskip(SKIP_1) | instid1(VALU_DEP_3)
	v_cmp_ne_u32_e64 s11, 0, v7
	v_cmp_ne_u32_e64 s12, 0, v55
	v_cndmask_b32_e64 v10, 1, v64, s0
	v_cmp_ne_u32_e64 s0, 6, v3
	v_dual_cndmask_b32 v8, v65, v8 :: v_dual_cndmask_b32 v9, v63, v9
	s_delay_alu instid0(VALU_DEP_3) | instskip(NEXT) | instid1(VALU_DEP_3)
	v_cndmask_b32_e32 v10, v64, v10, vcc_lo
	v_cndmask_b32_e64 v11, 1, v62, s0
	v_cmp_ne_u32_e64 s0, 7, v3
	s_delay_alu instid0(VALU_DEP_4) | instskip(SKIP_2) | instid1(VALU_DEP_4)
	v_cmp_ne_u32_e64 s10, 0, v8
	v_cmp_ne_u32_e64 s9, 0, v9
	;; [unrolled: 1-line block ×3, first 2 shown]
	v_cndmask_b32_e64 v12, 1, v60, s0
	v_cmp_ne_u32_e64 s0, 8, v3
	s_delay_alu instid0(VALU_DEP_1) | instskip(SKIP_1) | instid1(VALU_DEP_2)
	v_dual_cndmask_b32 v11, v62, v11, vcc_lo :: v_dual_cndmask_b32 v13, 1, v58, s0
	v_cmp_ne_u32_e64 s0, 9, v3
	v_cmp_ne_u32_e64 s7, 0, v11
	s_delay_alu instid0(VALU_DEP_2) | instskip(SKIP_2) | instid1(VALU_DEP_2)
	v_cndmask_b32_e64 v14, 1, v57, s0
	v_cmp_ne_u32_e64 s0, 10, v3
	v_dual_cndmask_b32 v12, v60, v12 :: v_dual_cndmask_b32 v13, v58, v13
	v_dual_cndmask_b32 v14, v57, v14, vcc_lo :: v_dual_cndmask_b32 v15, 1, v21, s0
	v_cmp_ne_u32_e64 s0, 13, v3
	s_delay_alu instid0(VALU_DEP_3) | instskip(NEXT) | instid1(VALU_DEP_4)
	v_cmp_ne_u32_e64 s6, 0, v12
	v_cmp_ne_u32_e64 s5, 0, v13
	s_delay_alu instid0(VALU_DEP_4) | instskip(NEXT) | instid1(VALU_DEP_4)
	v_cmp_ne_u32_e64 s4, 0, v14
	v_cndmask_b32_e64 v17, 1, v61, s0
	v_cmp_ne_u32_e64 s0, 12, v3
	s_delay_alu instid0(VALU_DEP_1) | instskip(SKIP_2) | instid1(VALU_DEP_3)
	v_cndmask_b32_e64 v52, 1, v59, s0
	v_cmp_ne_u32_e64 s0, 11, v3
	v_lshlrev_b64_e32 v[2:3], 3, v[50:51]
	v_dual_cndmask_b32 v15, v21, v15 :: v_dual_cndmask_b32 v52, v59, v52
	s_delay_alu instid0(VALU_DEP_3) | instskip(SKIP_1) | instid1(VALU_DEP_4)
	v_dual_cndmask_b32 v53, 1, v56, s0 :: v_dual_cndmask_b32 v17, v61, v17, vcc_lo
	v_cmp_eq_u32_e64 s0, 0, v54
	v_add_nc_u64_e32 v[2:3], s[22:23], v[2:3]
	s_delay_alu instid0(VALU_DEP_4) | instskip(NEXT) | instid1(VALU_DEP_4)
	v_cmp_ne_u32_e64 s3, 0, v15
	v_cndmask_b32_e32 v53, v56, v53, vcc_lo
	v_cmp_eq_u32_e32 vcc_lo, 0, v13
	v_cndmask_b32_e64 v59, 1, 2, s0
	v_cmp_eq_u32_e64 s0, 0, v55
	v_cmp_ne_u32_e64 s1, 0, v52
	v_add_nc_u64_e32 v[2:3], v[2:3], v[4:5]
	v_dual_mov_b32 v5, 0 :: v_dual_lshlrev_b32 v4, 3, v6
	s_delay_alu instid0(VALU_DEP_4)
	v_cndmask_b32_e64 v61, 1, 2, s0
	v_cmp_eq_u32_e64 s0, 0, v7
	v_add_nc_u32_e32 v6, v18, v6
	v_cmp_ne_u32_e64 s2, 0, v53
	v_add_nc_u64_e32 v[4:5], v[2:3], v[4:5]
	v_and_b32_e32 v59, v61, v59
	v_cndmask_b32_e64 v61, 1, 2, s0
	v_cmp_eq_u32_e64 s0, 0, v8
	s_delay_alu instid0(VALU_DEP_4) | instskip(NEXT) | instid1(VALU_DEP_2)
	v_add_nc_u64_e32 v[4:5], -8, v[4:5]
	v_cndmask_b32_e64 v64, 1, 2, s0
	v_cmp_eq_u32_e64 s0, 0, v9
	s_delay_alu instid0(VALU_DEP_2) | instskip(NEXT) | instid1(VALU_DEP_2)
	v_bitop3_b16 v59, v59, v64, v61 bitop3:0x80
	v_cndmask_b32_e64 v61, 1, 2, s0
	v_cmp_eq_u32_e64 s0, 0, v10
	s_delay_alu instid0(VALU_DEP_1) | instskip(SKIP_1) | instid1(VALU_DEP_2)
	v_cndmask_b32_e64 v63, 1, 2, s0
	v_cmp_eq_u32_e64 s0, 0, v11
	v_bitop3_b16 v56, v59, v63, v61 bitop3:0x80
	s_delay_alu instid0(VALU_DEP_2) | instskip(SKIP_1) | instid1(VALU_DEP_1)
	v_cndmask_b32_e64 v59, 1, 2, s0
	v_cmp_eq_u32_e64 s0, 0, v12
	v_cndmask_b32_e64 v60, 1, 2, s0
	v_cmp_ne_u32_e64 s0, 0, v17
	s_delay_alu instid0(VALU_DEP_2) | instskip(SKIP_4) | instid1(VALU_DEP_2)
	v_bitop3_b16 v21, v56, v60, v59 bitop3:0x80
	v_cndmask_b32_e64 v56, 1, 2, vcc_lo
	v_cmp_eq_u32_e32 vcc_lo, 0, v14
	v_cndmask_b32_e64 v57, 1, 2, vcc_lo
	v_cmp_eq_u32_e32 vcc_lo, 0, v15
	v_bitop3_b16 v7, v21, v57, v56 bitop3:0x80
	v_cndmask_b32_e64 v21, 1, 2, vcc_lo
	v_cmp_eq_u32_e32 vcc_lo, 0, v53
	v_cndmask_b32_e64 v54, 1, 2, vcc_lo
	v_cmp_eq_u32_e32 vcc_lo, 0, v52
	s_delay_alu instid0(VALU_DEP_2) | instskip(SKIP_4) | instid1(VALU_DEP_2)
	v_bitop3_b16 v7, v7, v54, v21 bitop3:0x80
	v_cndmask_b32_e64 v8, 1, 2, vcc_lo
	v_cmp_eq_u32_e32 vcc_lo, 0, v17
	v_cndmask_b32_e64 v9, 1, 2, vcc_lo
	v_cmp_gt_u32_e32 vcc_lo, 0x100, v1
	v_bitop3_b16 v7, v7, v9, v8 bitop3:0x80
	s_delay_alu instid0(VALU_DEP_1)
	v_cmp_gt_i16_e64 s14, 2, v7
	s_cbranch_vccnz .LBB235_128
; %bb.125:
	s_and_b32 vcc_lo, exec_lo, s16
	s_cbranch_vccnz .LBB235_134
.LBB235_126:
	v_cmp_eq_u32_e32 vcc_lo, 0xff, v0
	s_and_b32 s0, vcc_lo, s15
	s_delay_alu instid0(SALU_CYCLE_1)
	s_and_saveexec_b32 s1, s0
	s_cbranch_execnz .LBB235_143
.LBB235_127:
	s_sendmsg sendmsg(MSG_DEALLOC_VGPRS)
	s_endpgm
.LBB235_128:
	s_and_saveexec_b32 s16, s14
	s_cbranch_execz .LBB235_133
; %bb.129:
	s_mov_b32 s17, 0
	s_mov_b32 s14, exec_lo
	v_cmpx_ne_u16_e32 1, v7
	s_xor_b32 s14, exec_lo, s14
	s_cbranch_execnz .LBB235_177
; %bb.130:
	s_and_not1_saveexec_b32 s14, s14
	s_cbranch_execnz .LBB235_192
.LBB235_131:
	s_or_b32 exec_lo, exec_lo, s14
	s_delay_alu instid0(SALU_CYCLE_1)
	s_and_b32 exec_lo, exec_lo, s17
	s_cbranch_execz .LBB235_133
.LBB235_132:
	v_dual_mov_b32 v9, 0 :: v_dual_mov_b32 v8, v23
	v_sub_nc_u32_e32 v10, v22, v6
	v_readfirstlane_b32 s18, v4
	v_readfirstlane_b32 s19, v5
	global_store_b64 v10, v[8:9], s[18:19] scale_offset
.LBB235_133:
	s_wait_xcnt 0x0
	s_or_b32 exec_lo, exec_lo, s16
	s_branch .LBB235_126
.LBB235_134:
	s_mov_b32 s14, exec_lo
	v_cmpx_gt_i16_e32 2, v7
	s_cbranch_execz .LBB235_139
; %bb.135:
	s_mov_b32 s17, 0
	s_mov_b32 s16, exec_lo
	v_cmpx_ne_u16_e32 1, v7
	s_xor_b32 s16, exec_lo, s16
	s_cbranch_execnz .LBB235_193
; %bb.136:
	s_and_not1_saveexec_b32 s0, s16
	s_cbranch_execnz .LBB235_208
.LBB235_137:
	s_or_b32 exec_lo, exec_lo, s0
	s_delay_alu instid0(SALU_CYCLE_1)
	s_and_b32 exec_lo, exec_lo, s17
.LBB235_138:
	v_sub_nc_u32_e32 v6, v22, v6
	s_delay_alu instid0(VALU_DEP_1)
	v_lshlrev_b32_e32 v6, 2, v6
	ds_store_b32 v6, v23
.LBB235_139:
	s_or_b32 exec_lo, exec_lo, s14
	s_delay_alu instid0(SALU_CYCLE_1)
	s_mov_b32 s0, exec_lo
	s_wait_storecnt_dscnt 0x0
	s_barrier_signal -1
	s_barrier_wait -1
	v_cmpx_lt_u32_e64 v0, v1
	s_cbranch_execz .LBB235_142
; %bb.140:
	v_dual_mov_b32 v7, 0 :: v_dual_lshlrev_b32 v8, 2, v0
	v_mov_b32_e32 v9, v0
	s_mov_b32 s1, 0
.LBB235_141:                            ; =>This Inner Loop Header: Depth=1
	ds_load_b32 v6, v8
	v_readfirstlane_b32 s2, v4
	v_readfirstlane_b32 s3, v5
	v_add_nc_u32_e32 v8, 0x400, v8
	s_wait_dscnt 0x0
	global_store_b64 v9, v[6:7], s[2:3] scale_offset
	s_wait_xcnt 0x0
	v_add_nc_u32_e32 v9, 0x100, v9
	s_delay_alu instid0(VALU_DEP_1) | instskip(SKIP_1) | instid1(SALU_CYCLE_1)
	v_cmp_ge_u32_e32 vcc_lo, v9, v1
	s_or_b32 s1, vcc_lo, s1
	s_and_not1_b32 exec_lo, exec_lo, s1
	s_cbranch_execnz .LBB235_141
.LBB235_142:
	s_or_b32 exec_lo, exec_lo, s0
	v_cmp_eq_u32_e32 vcc_lo, 0xff, v0
	s_and_b32 s0, vcc_lo, s15
	s_delay_alu instid0(SALU_CYCLE_1)
	s_and_saveexec_b32 s1, s0
	s_cbranch_execz .LBB235_127
.LBB235_143:
	v_mov_b32_e32 v17, 0
	s_cmp_lg_u32 s29, 0xe00
	s_delay_alu instid0(VALU_DEP_1) | instskip(NEXT) | instid1(VALU_DEP_1)
	v_add_nc_u64_e32 v[0:1], v[16:17], v[18:19]
	v_add_nc_u64_e32 v[0:1], v[0:1], v[50:51]
	global_store_b64 v17, v[0:1], s[24:25]
	s_cbranch_scc1 .LBB235_127
; %bb.144:
	s_wait_xcnt 0x0
	v_lshlrev_b64_e32 v[0:1], 3, v[16:17]
	v_mov_b32_e32 v21, v17
	s_delay_alu instid0(VALU_DEP_2)
	v_add_nc_u64_e32 v[0:1], v[2:3], v[0:1]
	global_store_b64 v[0:1], v[20:21], off offset:-8
	s_sendmsg sendmsg(MSG_DEALLOC_VGPRS)
	s_endpgm
.LBB235_145:
	s_and_saveexec_b32 s17, s13
	s_cbranch_execnz .LBB235_209
; %bb.146:
	s_or_b32 exec_lo, exec_lo, s17
	s_and_saveexec_b32 s17, s12
	s_cbranch_execnz .LBB235_210
.LBB235_147:
	s_or_b32 exec_lo, exec_lo, s17
	s_and_saveexec_b32 s17, s11
	s_cbranch_execnz .LBB235_211
.LBB235_148:
	s_or_b32 exec_lo, exec_lo, s17
	s_and_saveexec_b32 s17, s10
	s_cbranch_execnz .LBB235_212
.LBB235_149:
	s_or_b32 exec_lo, exec_lo, s17
	s_and_saveexec_b32 s17, s9
	s_cbranch_execnz .LBB235_213
.LBB235_150:
	s_or_b32 exec_lo, exec_lo, s17
	s_and_saveexec_b32 s17, s8
	s_cbranch_execnz .LBB235_214
.LBB235_151:
	s_or_b32 exec_lo, exec_lo, s17
	s_and_saveexec_b32 s17, s7
	s_cbranch_execnz .LBB235_215
.LBB235_152:
	s_or_b32 exec_lo, exec_lo, s17
	s_and_saveexec_b32 s17, s6
	s_cbranch_execnz .LBB235_216
.LBB235_153:
	s_or_b32 exec_lo, exec_lo, s17
	s_and_saveexec_b32 s17, s5
	s_cbranch_execnz .LBB235_217
.LBB235_154:
	s_or_b32 exec_lo, exec_lo, s17
	s_and_saveexec_b32 s17, s4
	s_cbranch_execnz .LBB235_218
.LBB235_155:
	s_or_b32 exec_lo, exec_lo, s17
	s_and_saveexec_b32 s17, s3
	s_cbranch_execnz .LBB235_219
.LBB235_156:
	s_or_b32 exec_lo, exec_lo, s17
	s_and_saveexec_b32 s17, s2
	s_cbranch_execnz .LBB235_220
.LBB235_157:
	s_or_b32 exec_lo, exec_lo, s17
	s_and_saveexec_b32 s17, s1
	s_cbranch_execz .LBB235_159
.LBB235_158:
	v_sub_nc_u32_e32 v3, v28, v18
	v_readfirstlane_b32 s18, v52
	v_readfirstlane_b32 s19, v53
	global_store_d16_hi_b8 v3, v12, s[18:19]
.LBB235_159:
	s_wait_xcnt 0x0
	s_or_b32 exec_lo, exec_lo, s17
	s_delay_alu instid0(SALU_CYCLE_1)
	s_and_b32 s17, s0, exec_lo
	s_and_not1_saveexec_b32 s14, s14
	s_cbranch_execz .LBB235_100
.LBB235_160:
	v_dual_sub_nc_u32 v3, v44, v18 :: v_dual_sub_nc_u32 v5, v46, v18
	v_readfirstlane_b32 s18, v52
	v_readfirstlane_b32 s19, v53
	v_sub_nc_u32_e32 v4, v48, v18
	s_clause 0x2
	global_store_b8 v3, v1, s[18:19]
	global_store_b8 v4, v13, s[18:19]
	;; [unrolled: 1-line block ×3, first 2 shown]
	s_wait_xcnt 0x2
	v_sub_nc_u32_e32 v3, v42, v18
	s_wait_xcnt 0x1
	v_dual_lshrrev_b32 v4, 8, v10 :: v_dual_lshrrev_b32 v7, 24, v10
	s_wait_xcnt 0x0
	v_dual_sub_nc_u32 v5, v38, v18 :: v_dual_sub_nc_u32 v6, v32, v18
	v_dual_sub_nc_u32 v8, v34, v18 :: v_dual_sub_nc_u32 v9, v40, v18
	v_lshrrev_b32_e32 v14, 8, v11
	s_clause 0x4
	global_store_b8 v3, v4, s[18:19]
	global_store_d16_hi_b8 v5, v10, s[18:19]
	global_store_b8 v6, v7, s[18:19]
	global_store_b8 v8, v11, s[18:19]
	;; [unrolled: 1-line block ×3, first 2 shown]
	s_wait_xcnt 0x4
	v_dual_sub_nc_u32 v3, v24, v18 :: v_dual_sub_nc_u32 v4, v26, v18
	s_wait_xcnt 0x1
	v_dual_lshrrev_b32 v5, 24, v11 :: v_dual_lshrrev_b32 v8, 8, v12
	v_dual_sub_nc_u32 v6, v30, v18 :: v_dual_sub_nc_u32 v7, v36, v18
	global_store_d16_hi_b8 v3, v11, s[18:19]
	s_wait_xcnt 0x0
	v_sub_nc_u32_e32 v3, v28, v18
	s_or_b32 s17, s17, exec_lo
	s_clause 0x3
	global_store_b8 v4, v5, s[18:19]
	global_store_b8 v6, v12, s[18:19]
	;; [unrolled: 1-line block ×3, first 2 shown]
	global_store_d16_hi_b8 v3, v12, s[18:19]
	s_wait_xcnt 0x0
	s_or_b32 exec_lo, exec_lo, s14
	s_delay_alu instid0(SALU_CYCLE_1)
	s_and_b32 exec_lo, exec_lo, s17
	s_cbranch_execnz .LBB235_101
	s_branch .LBB235_102
.LBB235_161:
	s_and_saveexec_b32 s17, s13
	s_cbranch_execnz .LBB235_221
; %bb.162:
	s_or_b32 exec_lo, exec_lo, s17
	s_and_saveexec_b32 s13, s12
	s_cbranch_execnz .LBB235_222
.LBB235_163:
	s_or_b32 exec_lo, exec_lo, s13
	s_and_saveexec_b32 s12, s11
	s_cbranch_execnz .LBB235_223
.LBB235_164:
	s_or_b32 exec_lo, exec_lo, s12
	s_and_saveexec_b32 s11, s10
	s_cbranch_execnz .LBB235_224
.LBB235_165:
	s_or_b32 exec_lo, exec_lo, s11
	s_and_saveexec_b32 s10, s9
	s_cbranch_execnz .LBB235_225
.LBB235_166:
	s_or_b32 exec_lo, exec_lo, s10
	s_and_saveexec_b32 s9, s8
	s_cbranch_execnz .LBB235_226
.LBB235_167:
	s_or_b32 exec_lo, exec_lo, s9
	s_and_saveexec_b32 s8, s7
	s_cbranch_execnz .LBB235_227
.LBB235_168:
	s_or_b32 exec_lo, exec_lo, s8
	s_and_saveexec_b32 s7, s6
	s_cbranch_execnz .LBB235_228
.LBB235_169:
	s_or_b32 exec_lo, exec_lo, s7
	s_and_saveexec_b32 s6, s5
	s_cbranch_execnz .LBB235_229
.LBB235_170:
	s_or_b32 exec_lo, exec_lo, s6
	s_and_saveexec_b32 s5, s4
	s_cbranch_execnz .LBB235_230
.LBB235_171:
	s_or_b32 exec_lo, exec_lo, s5
	s_and_saveexec_b32 s4, s3
	s_cbranch_execnz .LBB235_231
.LBB235_172:
	s_or_b32 exec_lo, exec_lo, s4
	s_and_saveexec_b32 s3, s2
	s_cbranch_execnz .LBB235_232
.LBB235_173:
	s_or_b32 exec_lo, exec_lo, s3
	s_and_saveexec_b32 s2, s1
.LBB235_174:
	v_sub_nc_u32_e32 v1, v28, v18
	ds_store_b8_d16_hi v1, v12
.LBB235_175:
	s_or_b32 exec_lo, exec_lo, s2
	s_delay_alu instid0(SALU_CYCLE_1)
	s_and_b32 s17, s0, exec_lo
                                        ; implicit-def: $vgpr1
                                        ; implicit-def: $vgpr13
	s_and_not1_saveexec_b32 s0, s16
	s_cbranch_execz .LBB235_107
.LBB235_176:
	v_dual_sub_nc_u32 v2, v44, v18 :: v_dual_sub_nc_u32 v4, v46, v18
	v_dual_sub_nc_u32 v3, v48, v18 :: v_dual_sub_nc_u32 v6, v34, v18
	v_sub_nc_u32_e32 v7, v40, v18
	ds_store_b8 v2, v1
	ds_store_b8 v3, v13
	;; [unrolled: 1-line block ×3, first 2 shown]
	v_sub_nc_u32_e32 v1, v42, v18
	v_dual_lshrrev_b32 v2, 8, v10 :: v_dual_lshrrev_b32 v5, 24, v10
	v_dual_sub_nc_u32 v3, v38, v18 :: v_dual_sub_nc_u32 v4, v32, v18
	v_lshrrev_b32_e32 v8, 8, v11
	ds_store_b8 v1, v2
	ds_store_b8_d16_hi v3, v10
	ds_store_b8 v4, v5
	ds_store_b8 v6, v11
	;; [unrolled: 1-line block ×3, first 2 shown]
	v_dual_sub_nc_u32 v1, v24, v18 :: v_dual_sub_nc_u32 v2, v26, v18
	v_dual_lshrrev_b32 v3, 24, v11 :: v_dual_lshrrev_b32 v6, 8, v12
	v_dual_sub_nc_u32 v4, v30, v18 :: v_dual_sub_nc_u32 v5, v36, v18
	ds_store_b8_d16_hi v1, v11
	v_sub_nc_u32_e32 v1, v28, v18
	s_or_b32 s17, s17, exec_lo
	ds_store_b8 v2, v3
	ds_store_b8 v4, v12
	;; [unrolled: 1-line block ×3, first 2 shown]
	ds_store_b8_d16_hi v1, v12
	s_or_b32 exec_lo, exec_lo, s0
	s_delay_alu instid0(SALU_CYCLE_1)
	s_and_b32 exec_lo, exec_lo, s17
	s_cbranch_execnz .LBB235_108
	s_branch .LBB235_109
.LBB235_177:
	s_and_saveexec_b32 s17, s13
	s_cbranch_execnz .LBB235_233
; %bb.178:
	s_or_b32 exec_lo, exec_lo, s17
	s_and_saveexec_b32 s17, s12
	s_cbranch_execnz .LBB235_234
.LBB235_179:
	s_or_b32 exec_lo, exec_lo, s17
	s_and_saveexec_b32 s17, s11
	s_cbranch_execnz .LBB235_235
.LBB235_180:
	s_or_b32 exec_lo, exec_lo, s17
	s_and_saveexec_b32 s17, s10
	s_cbranch_execnz .LBB235_236
.LBB235_181:
	s_or_b32 exec_lo, exec_lo, s17
	s_and_saveexec_b32 s17, s9
	s_cbranch_execnz .LBB235_237
.LBB235_182:
	s_or_b32 exec_lo, exec_lo, s17
	s_and_saveexec_b32 s17, s8
	s_cbranch_execnz .LBB235_238
.LBB235_183:
	s_or_b32 exec_lo, exec_lo, s17
	s_and_saveexec_b32 s17, s7
	s_cbranch_execnz .LBB235_239
.LBB235_184:
	s_or_b32 exec_lo, exec_lo, s17
	s_and_saveexec_b32 s17, s6
	s_cbranch_execnz .LBB235_240
.LBB235_185:
	s_or_b32 exec_lo, exec_lo, s17
	s_and_saveexec_b32 s17, s5
	s_cbranch_execnz .LBB235_241
.LBB235_186:
	s_or_b32 exec_lo, exec_lo, s17
	s_and_saveexec_b32 s17, s4
	s_cbranch_execnz .LBB235_242
.LBB235_187:
	s_or_b32 exec_lo, exec_lo, s17
	s_and_saveexec_b32 s17, s3
	s_cbranch_execnz .LBB235_243
.LBB235_188:
	s_or_b32 exec_lo, exec_lo, s17
	s_and_saveexec_b32 s17, s2
	s_cbranch_execnz .LBB235_244
.LBB235_189:
	s_or_b32 exec_lo, exec_lo, s17
	s_and_saveexec_b32 s17, s1
	s_cbranch_execz .LBB235_191
.LBB235_190:
	v_dual_mov_b32 v9, 0 :: v_dual_sub_nc_u32 v10, v28, v6
	v_mov_b32_e32 v8, v29
	v_readfirstlane_b32 s18, v4
	v_readfirstlane_b32 s19, v5
	global_store_b64 v10, v[8:9], s[18:19] scale_offset
.LBB235_191:
	s_wait_xcnt 0x0
	s_or_b32 exec_lo, exec_lo, s17
	s_delay_alu instid0(SALU_CYCLE_1)
	s_and_b32 s17, s0, exec_lo
	s_and_not1_saveexec_b32 s14, s14
	s_cbranch_execz .LBB235_131
.LBB235_192:
	v_dual_mov_b32 v9, 0 :: v_dual_mov_b32 v8, v45
	v_sub_nc_u32_e32 v10, v44, v6
	v_readfirstlane_b32 s18, v4
	v_readfirstlane_b32 s19, v5
	v_sub_nc_u32_e32 v11, v46, v6
	s_or_b32 s17, s17, exec_lo
	global_store_b64 v10, v[8:9], s[18:19] scale_offset
	s_wait_xcnt 0x0
	v_dual_sub_nc_u32 v10, v48, v6 :: v_dual_mov_b32 v8, v49
	global_store_b64 v10, v[8:9], s[18:19] scale_offset
	s_wait_xcnt 0x0
	v_dual_mov_b32 v8, v47 :: v_dual_sub_nc_u32 v10, v42, v6
	global_store_b64 v11, v[8:9], s[18:19] scale_offset
	s_wait_xcnt 0x0
	v_dual_mov_b32 v8, v43 :: v_dual_sub_nc_u32 v11, v38, v6
	;; [unrolled: 3-line block ×9, first 2 shown]
	global_store_b64 v11, v[8:9], s[18:19] scale_offset
	s_wait_xcnt 0x0
	v_mov_b32_e32 v8, v37
	global_store_b64 v10, v[8:9], s[18:19] scale_offset
	s_wait_xcnt 0x0
	v_dual_mov_b32 v8, v29 :: v_dual_sub_nc_u32 v10, v28, v6
	global_store_b64 v10, v[8:9], s[18:19] scale_offset
	s_wait_xcnt 0x0
	s_or_b32 exec_lo, exec_lo, s14
	s_delay_alu instid0(SALU_CYCLE_1)
	s_and_b32 exec_lo, exec_lo, s17
	s_cbranch_execnz .LBB235_132
	s_branch .LBB235_133
.LBB235_193:
	s_and_saveexec_b32 s17, s13
	s_cbranch_execnz .LBB235_245
; %bb.194:
	s_or_b32 exec_lo, exec_lo, s17
	s_and_saveexec_b32 s13, s12
	s_cbranch_execnz .LBB235_246
.LBB235_195:
	s_or_b32 exec_lo, exec_lo, s13
	s_and_saveexec_b32 s12, s11
	s_cbranch_execnz .LBB235_247
.LBB235_196:
	s_or_b32 exec_lo, exec_lo, s12
	s_and_saveexec_b32 s11, s10
	s_cbranch_execnz .LBB235_248
.LBB235_197:
	s_or_b32 exec_lo, exec_lo, s11
	s_and_saveexec_b32 s10, s9
	s_cbranch_execnz .LBB235_249
.LBB235_198:
	s_or_b32 exec_lo, exec_lo, s10
	s_and_saveexec_b32 s9, s8
	s_cbranch_execnz .LBB235_250
.LBB235_199:
	s_or_b32 exec_lo, exec_lo, s9
	s_and_saveexec_b32 s8, s7
	s_cbranch_execnz .LBB235_251
.LBB235_200:
	s_or_b32 exec_lo, exec_lo, s8
	s_and_saveexec_b32 s7, s6
	s_cbranch_execnz .LBB235_252
.LBB235_201:
	s_or_b32 exec_lo, exec_lo, s7
	s_and_saveexec_b32 s6, s5
	s_cbranch_execnz .LBB235_253
.LBB235_202:
	s_or_b32 exec_lo, exec_lo, s6
	s_and_saveexec_b32 s5, s4
	s_cbranch_execnz .LBB235_254
.LBB235_203:
	s_or_b32 exec_lo, exec_lo, s5
	s_and_saveexec_b32 s4, s3
	s_cbranch_execnz .LBB235_255
.LBB235_204:
	s_or_b32 exec_lo, exec_lo, s4
	s_and_saveexec_b32 s3, s2
	s_cbranch_execnz .LBB235_256
.LBB235_205:
	s_or_b32 exec_lo, exec_lo, s3
	s_and_saveexec_b32 s2, s1
.LBB235_206:
	v_sub_nc_u32_e32 v7, v28, v6
	s_delay_alu instid0(VALU_DEP_1)
	v_lshlrev_b32_e32 v7, 2, v7
	ds_store_b32 v7, v29
.LBB235_207:
	s_or_b32 exec_lo, exec_lo, s2
	s_delay_alu instid0(SALU_CYCLE_1)
	s_and_b32 s17, s0, exec_lo
                                        ; implicit-def: $vgpr28_vgpr29
                                        ; implicit-def: $vgpr36_vgpr37
                                        ; implicit-def: $vgpr30_vgpr31
                                        ; implicit-def: $vgpr44_vgpr45
                                        ; implicit-def: $vgpr48_vgpr49
                                        ; implicit-def: $vgpr46_vgpr47
                                        ; implicit-def: $vgpr42_vgpr43
                                        ; implicit-def: $vgpr38_vgpr39
                                        ; implicit-def: $vgpr32_vgpr33
                                        ; implicit-def: $vgpr34_vgpr35
                                        ; implicit-def: $vgpr40_vgpr41
                                        ; implicit-def: $vgpr24_vgpr25
                                        ; implicit-def: $vgpr26_vgpr27
	s_and_not1_saveexec_b32 s0, s16
	s_cbranch_execz .LBB235_137
.LBB235_208:
	v_dual_sub_nc_u32 v7, v44, v6 :: v_dual_sub_nc_u32 v9, v46, v6
	v_dual_sub_nc_u32 v8, v48, v6 :: v_dual_sub_nc_u32 v10, v42, v6
	s_delay_alu instid0(VALU_DEP_2) | instskip(NEXT) | instid1(VALU_DEP_2)
	v_dual_sub_nc_u32 v11, v38, v6 :: v_dual_lshlrev_b32 v7, 2, v7
	v_dual_lshlrev_b32 v9, 2, v9 :: v_dual_lshlrev_b32 v8, 2, v8
	s_or_b32 s17, s17, exec_lo
	ds_store_b32 v7, v45
	ds_store_b32 v8, v49
	;; [unrolled: 1-line block ×3, first 2 shown]
	v_sub_nc_u32_e32 v7, v32, v6
	v_lshlrev_b32_e32 v9, 2, v10
	v_dual_sub_nc_u32 v10, v40, v6 :: v_dual_sub_nc_u32 v8, v34, v6
	v_lshlrev_b32_e32 v11, 2, v11
	s_delay_alu instid0(VALU_DEP_4)
	v_lshlrev_b32_e32 v7, 2, v7
	ds_store_b32 v9, v43
	v_dual_lshlrev_b32 v9, 2, v10 :: v_dual_lshlrev_b32 v8, 2, v8
	ds_store_b32 v11, v39
	ds_store_b32 v7, v33
	;; [unrolled: 1-line block ×3, first 2 shown]
	v_dual_sub_nc_u32 v7, v24, v6 :: v_dual_sub_nc_u32 v8, v26, v6
	ds_store_b32 v9, v41
	v_dual_sub_nc_u32 v9, v30, v6 :: v_dual_sub_nc_u32 v10, v36, v6
	v_dual_lshlrev_b32 v7, 2, v7 :: v_dual_sub_nc_u32 v11, v28, v6
	s_delay_alu instid0(VALU_DEP_2) | instskip(NEXT) | instid1(VALU_DEP_3)
	v_dual_lshlrev_b32 v8, 2, v8 :: v_dual_lshlrev_b32 v9, 2, v9
	v_lshlrev_b32_e32 v10, 2, v10
	ds_store_b32 v7, v25
	v_lshlrev_b32_e32 v7, 2, v11
	ds_store_b32 v8, v27
	ds_store_b32 v9, v31
	;; [unrolled: 1-line block ×4, first 2 shown]
	s_or_b32 exec_lo, exec_lo, s0
	s_delay_alu instid0(SALU_CYCLE_1)
	s_and_b32 exec_lo, exec_lo, s17
	s_cbranch_execnz .LBB235_138
	s_branch .LBB235_139
.LBB235_209:
	v_sub_nc_u32_e32 v3, v44, v18
	v_readfirstlane_b32 s18, v52
	v_readfirstlane_b32 s19, v53
	global_store_b8 v3, v1, s[18:19]
	s_wait_xcnt 0x0
	s_or_b32 exec_lo, exec_lo, s17
	s_and_saveexec_b32 s17, s12
	s_cbranch_execz .LBB235_147
.LBB235_210:
	v_sub_nc_u32_e32 v3, v48, v18
	v_readfirstlane_b32 s18, v52
	v_readfirstlane_b32 s19, v53
	global_store_b8 v3, v13, s[18:19]
	s_wait_xcnt 0x0
	s_or_b32 exec_lo, exec_lo, s17
	s_and_saveexec_b32 s17, s11
	s_cbranch_execz .LBB235_148
.LBB235_211:
	v_sub_nc_u32_e32 v3, v46, v18
	v_readfirstlane_b32 s18, v52
	v_readfirstlane_b32 s19, v53
	global_store_b8 v3, v10, s[18:19]
	s_wait_xcnt 0x0
	s_or_b32 exec_lo, exec_lo, s17
	s_and_saveexec_b32 s17, s10
	s_cbranch_execz .LBB235_149
.LBB235_212:
	v_sub_nc_u32_e32 v3, v42, v18
	v_lshrrev_b32_e32 v4, 8, v10
	v_readfirstlane_b32 s18, v52
	v_readfirstlane_b32 s19, v53
	global_store_b8 v3, v4, s[18:19]
	s_wait_xcnt 0x0
	s_or_b32 exec_lo, exec_lo, s17
	s_and_saveexec_b32 s17, s9
	s_cbranch_execz .LBB235_150
.LBB235_213:
	v_sub_nc_u32_e32 v3, v38, v18
	v_readfirstlane_b32 s18, v52
	v_readfirstlane_b32 s19, v53
	global_store_d16_hi_b8 v3, v10, s[18:19]
	s_wait_xcnt 0x0
	s_or_b32 exec_lo, exec_lo, s17
	s_and_saveexec_b32 s17, s8
	s_cbranch_execz .LBB235_151
.LBB235_214:
	v_sub_nc_u32_e32 v3, v32, v18
	v_lshrrev_b32_e32 v4, 24, v10
	v_readfirstlane_b32 s18, v52
	v_readfirstlane_b32 s19, v53
	global_store_b8 v3, v4, s[18:19]
	s_wait_xcnt 0x0
	s_or_b32 exec_lo, exec_lo, s17
	s_and_saveexec_b32 s17, s7
	s_cbranch_execz .LBB235_152
.LBB235_215:
	v_sub_nc_u32_e32 v3, v34, v18
	v_readfirstlane_b32 s18, v52
	v_readfirstlane_b32 s19, v53
	global_store_b8 v3, v11, s[18:19]
	s_wait_xcnt 0x0
	s_or_b32 exec_lo, exec_lo, s17
	s_and_saveexec_b32 s17, s6
	s_cbranch_execz .LBB235_153
.LBB235_216:
	v_dual_sub_nc_u32 v3, v40, v18 :: v_dual_lshrrev_b32 v4, 8, v11
	v_readfirstlane_b32 s18, v52
	v_readfirstlane_b32 s19, v53
	global_store_b8 v3, v4, s[18:19]
	s_wait_xcnt 0x0
	s_or_b32 exec_lo, exec_lo, s17
	s_and_saveexec_b32 s17, s5
	s_cbranch_execz .LBB235_154
.LBB235_217:
	v_sub_nc_u32_e32 v3, v24, v18
	v_readfirstlane_b32 s18, v52
	v_readfirstlane_b32 s19, v53
	global_store_d16_hi_b8 v3, v11, s[18:19]
	s_wait_xcnt 0x0
	s_or_b32 exec_lo, exec_lo, s17
	s_and_saveexec_b32 s17, s4
	s_cbranch_execz .LBB235_155
.LBB235_218:
	v_dual_sub_nc_u32 v3, v26, v18 :: v_dual_lshrrev_b32 v4, 24, v11
	v_readfirstlane_b32 s18, v52
	v_readfirstlane_b32 s19, v53
	global_store_b8 v3, v4, s[18:19]
	s_wait_xcnt 0x0
	s_or_b32 exec_lo, exec_lo, s17
	s_and_saveexec_b32 s17, s3
	s_cbranch_execz .LBB235_156
.LBB235_219:
	v_sub_nc_u32_e32 v3, v30, v18
	v_readfirstlane_b32 s18, v52
	v_readfirstlane_b32 s19, v53
	global_store_b8 v3, v12, s[18:19]
	s_wait_xcnt 0x0
	s_or_b32 exec_lo, exec_lo, s17
	s_and_saveexec_b32 s17, s2
	s_cbranch_execz .LBB235_157
.LBB235_220:
	v_dual_sub_nc_u32 v3, v36, v18 :: v_dual_lshrrev_b32 v4, 8, v12
	v_readfirstlane_b32 s18, v52
	v_readfirstlane_b32 s19, v53
	global_store_b8 v3, v4, s[18:19]
	s_wait_xcnt 0x0
	s_or_b32 exec_lo, exec_lo, s17
	s_and_saveexec_b32 s17, s1
	s_cbranch_execnz .LBB235_158
	s_branch .LBB235_159
.LBB235_221:
	v_sub_nc_u32_e32 v2, v44, v18
	ds_store_b8 v2, v1
	s_or_b32 exec_lo, exec_lo, s17
	s_and_saveexec_b32 s13, s12
	s_cbranch_execz .LBB235_163
.LBB235_222:
	v_sub_nc_u32_e32 v1, v48, v18
	ds_store_b8 v1, v13
	s_or_b32 exec_lo, exec_lo, s13
	s_and_saveexec_b32 s12, s11
	s_cbranch_execz .LBB235_164
.LBB235_223:
	v_sub_nc_u32_e32 v1, v46, v18
	ds_store_b8 v1, v10
	s_or_b32 exec_lo, exec_lo, s12
	s_and_saveexec_b32 s11, s10
	s_cbranch_execz .LBB235_165
.LBB235_224:
	v_sub_nc_u32_e32 v1, v42, v18
	v_lshrrev_b32_e32 v2, 8, v10
	ds_store_b8 v1, v2
	s_or_b32 exec_lo, exec_lo, s11
	s_and_saveexec_b32 s10, s9
	s_cbranch_execz .LBB235_166
.LBB235_225:
	v_sub_nc_u32_e32 v1, v38, v18
	ds_store_b8_d16_hi v1, v10
	s_or_b32 exec_lo, exec_lo, s10
	s_and_saveexec_b32 s9, s8
	s_cbranch_execz .LBB235_167
.LBB235_226:
	v_sub_nc_u32_e32 v1, v32, v18
	v_lshrrev_b32_e32 v2, 24, v10
	ds_store_b8 v1, v2
	s_or_b32 exec_lo, exec_lo, s9
	s_and_saveexec_b32 s8, s7
	s_cbranch_execz .LBB235_168
.LBB235_227:
	v_sub_nc_u32_e32 v1, v34, v18
	ds_store_b8 v1, v11
	s_or_b32 exec_lo, exec_lo, s8
	s_and_saveexec_b32 s7, s6
	s_cbranch_execz .LBB235_169
.LBB235_228:
	v_dual_sub_nc_u32 v1, v40, v18 :: v_dual_lshrrev_b32 v2, 8, v11
	ds_store_b8 v1, v2
	s_or_b32 exec_lo, exec_lo, s7
	s_and_saveexec_b32 s6, s5
	s_cbranch_execz .LBB235_170
.LBB235_229:
	v_sub_nc_u32_e32 v1, v24, v18
	ds_store_b8_d16_hi v1, v11
	s_or_b32 exec_lo, exec_lo, s6
	s_and_saveexec_b32 s5, s4
	s_cbranch_execz .LBB235_171
.LBB235_230:
	v_dual_sub_nc_u32 v1, v26, v18 :: v_dual_lshrrev_b32 v2, 24, v11
	ds_store_b8 v1, v2
	s_or_b32 exec_lo, exec_lo, s5
	s_and_saveexec_b32 s4, s3
	s_cbranch_execz .LBB235_172
.LBB235_231:
	v_sub_nc_u32_e32 v1, v30, v18
	ds_store_b8 v1, v12
	s_or_b32 exec_lo, exec_lo, s4
	s_and_saveexec_b32 s3, s2
	s_cbranch_execz .LBB235_173
.LBB235_232:
	v_dual_sub_nc_u32 v1, v36, v18 :: v_dual_lshrrev_b32 v2, 8, v12
	ds_store_b8 v1, v2
	s_or_b32 exec_lo, exec_lo, s3
	s_and_saveexec_b32 s2, s1
	s_cbranch_execnz .LBB235_174
	s_branch .LBB235_175
.LBB235_233:
	v_dual_mov_b32 v9, 0 :: v_dual_sub_nc_u32 v10, v44, v6
	v_mov_b32_e32 v8, v45
	v_readfirstlane_b32 s18, v4
	v_readfirstlane_b32 s19, v5
	global_store_b64 v10, v[8:9], s[18:19] scale_offset
	s_wait_xcnt 0x0
	s_or_b32 exec_lo, exec_lo, s17
	s_and_saveexec_b32 s17, s12
	s_cbranch_execz .LBB235_179
.LBB235_234:
	v_dual_mov_b32 v9, 0 :: v_dual_sub_nc_u32 v10, v48, v6
	v_mov_b32_e32 v8, v49
	v_readfirstlane_b32 s18, v4
	v_readfirstlane_b32 s19, v5
	global_store_b64 v10, v[8:9], s[18:19] scale_offset
	s_wait_xcnt 0x0
	s_or_b32 exec_lo, exec_lo, s17
	s_and_saveexec_b32 s17, s11
	s_cbranch_execz .LBB235_180
.LBB235_235:
	v_dual_mov_b32 v9, 0 :: v_dual_sub_nc_u32 v10, v46, v6
	v_mov_b32_e32 v8, v47
	v_readfirstlane_b32 s18, v4
	v_readfirstlane_b32 s19, v5
	global_store_b64 v10, v[8:9], s[18:19] scale_offset
	s_wait_xcnt 0x0
	s_or_b32 exec_lo, exec_lo, s17
	s_and_saveexec_b32 s17, s10
	s_cbranch_execz .LBB235_181
.LBB235_236:
	v_dual_mov_b32 v9, 0 :: v_dual_sub_nc_u32 v10, v42, v6
	v_mov_b32_e32 v8, v43
	v_readfirstlane_b32 s18, v4
	v_readfirstlane_b32 s19, v5
	global_store_b64 v10, v[8:9], s[18:19] scale_offset
	s_wait_xcnt 0x0
	s_or_b32 exec_lo, exec_lo, s17
	s_and_saveexec_b32 s17, s9
	s_cbranch_execz .LBB235_182
.LBB235_237:
	v_dual_mov_b32 v9, 0 :: v_dual_sub_nc_u32 v10, v38, v6
	v_mov_b32_e32 v8, v39
	v_readfirstlane_b32 s18, v4
	v_readfirstlane_b32 s19, v5
	global_store_b64 v10, v[8:9], s[18:19] scale_offset
	s_wait_xcnt 0x0
	s_or_b32 exec_lo, exec_lo, s17
	s_and_saveexec_b32 s17, s8
	s_cbranch_execz .LBB235_183
.LBB235_238:
	v_dual_mov_b32 v9, 0 :: v_dual_sub_nc_u32 v10, v32, v6
	v_mov_b32_e32 v8, v33
	v_readfirstlane_b32 s18, v4
	v_readfirstlane_b32 s19, v5
	global_store_b64 v10, v[8:9], s[18:19] scale_offset
	s_wait_xcnt 0x0
	s_or_b32 exec_lo, exec_lo, s17
	s_and_saveexec_b32 s17, s7
	s_cbranch_execz .LBB235_184
.LBB235_239:
	v_dual_mov_b32 v9, 0 :: v_dual_sub_nc_u32 v10, v34, v6
	v_mov_b32_e32 v8, v35
	v_readfirstlane_b32 s18, v4
	v_readfirstlane_b32 s19, v5
	global_store_b64 v10, v[8:9], s[18:19] scale_offset
	s_wait_xcnt 0x0
	s_or_b32 exec_lo, exec_lo, s17
	s_and_saveexec_b32 s17, s6
	s_cbranch_execz .LBB235_185
.LBB235_240:
	v_dual_mov_b32 v9, 0 :: v_dual_sub_nc_u32 v10, v40, v6
	v_mov_b32_e32 v8, v41
	v_readfirstlane_b32 s18, v4
	v_readfirstlane_b32 s19, v5
	global_store_b64 v10, v[8:9], s[18:19] scale_offset
	s_wait_xcnt 0x0
	s_or_b32 exec_lo, exec_lo, s17
	s_and_saveexec_b32 s17, s5
	s_cbranch_execz .LBB235_186
.LBB235_241:
	v_dual_mov_b32 v9, 0 :: v_dual_sub_nc_u32 v10, v24, v6
	v_mov_b32_e32 v8, v25
	v_readfirstlane_b32 s18, v4
	v_readfirstlane_b32 s19, v5
	global_store_b64 v10, v[8:9], s[18:19] scale_offset
	s_wait_xcnt 0x0
	s_or_b32 exec_lo, exec_lo, s17
	s_and_saveexec_b32 s17, s4
	s_cbranch_execz .LBB235_187
.LBB235_242:
	v_dual_mov_b32 v9, 0 :: v_dual_sub_nc_u32 v10, v26, v6
	v_mov_b32_e32 v8, v27
	v_readfirstlane_b32 s18, v4
	v_readfirstlane_b32 s19, v5
	global_store_b64 v10, v[8:9], s[18:19] scale_offset
	s_wait_xcnt 0x0
	s_or_b32 exec_lo, exec_lo, s17
	s_and_saveexec_b32 s17, s3
	s_cbranch_execz .LBB235_188
.LBB235_243:
	v_dual_mov_b32 v9, 0 :: v_dual_sub_nc_u32 v10, v30, v6
	v_mov_b32_e32 v8, v31
	v_readfirstlane_b32 s18, v4
	v_readfirstlane_b32 s19, v5
	global_store_b64 v10, v[8:9], s[18:19] scale_offset
	s_wait_xcnt 0x0
	s_or_b32 exec_lo, exec_lo, s17
	s_and_saveexec_b32 s17, s2
	s_cbranch_execz .LBB235_189
.LBB235_244:
	v_dual_mov_b32 v9, 0 :: v_dual_sub_nc_u32 v10, v36, v6
	v_mov_b32_e32 v8, v37
	v_readfirstlane_b32 s18, v4
	v_readfirstlane_b32 s19, v5
	global_store_b64 v10, v[8:9], s[18:19] scale_offset
	s_wait_xcnt 0x0
	s_or_b32 exec_lo, exec_lo, s17
	s_and_saveexec_b32 s17, s1
	s_cbranch_execnz .LBB235_190
	s_branch .LBB235_191
.LBB235_245:
	v_sub_nc_u32_e32 v7, v44, v6
	s_delay_alu instid0(VALU_DEP_1)
	v_lshlrev_b32_e32 v7, 2, v7
	ds_store_b32 v7, v45
	s_or_b32 exec_lo, exec_lo, s17
	s_and_saveexec_b32 s13, s12
	s_cbranch_execz .LBB235_195
.LBB235_246:
	v_sub_nc_u32_e32 v7, v48, v6
	s_delay_alu instid0(VALU_DEP_1)
	v_lshlrev_b32_e32 v7, 2, v7
	ds_store_b32 v7, v49
	s_or_b32 exec_lo, exec_lo, s13
	s_and_saveexec_b32 s12, s11
	s_cbranch_execz .LBB235_196
.LBB235_247:
	v_sub_nc_u32_e32 v7, v46, v6
	s_delay_alu instid0(VALU_DEP_1)
	v_lshlrev_b32_e32 v7, 2, v7
	ds_store_b32 v7, v47
	s_or_b32 exec_lo, exec_lo, s12
	s_and_saveexec_b32 s11, s10
	s_cbranch_execz .LBB235_197
.LBB235_248:
	v_sub_nc_u32_e32 v7, v42, v6
	s_delay_alu instid0(VALU_DEP_1)
	v_lshlrev_b32_e32 v7, 2, v7
	ds_store_b32 v7, v43
	s_or_b32 exec_lo, exec_lo, s11
	s_and_saveexec_b32 s10, s9
	s_cbranch_execz .LBB235_198
.LBB235_249:
	v_sub_nc_u32_e32 v7, v38, v6
	s_delay_alu instid0(VALU_DEP_1)
	v_lshlrev_b32_e32 v7, 2, v7
	ds_store_b32 v7, v39
	s_or_b32 exec_lo, exec_lo, s10
	s_and_saveexec_b32 s9, s8
	s_cbranch_execz .LBB235_199
.LBB235_250:
	v_sub_nc_u32_e32 v7, v32, v6
	s_delay_alu instid0(VALU_DEP_1)
	v_lshlrev_b32_e32 v7, 2, v7
	ds_store_b32 v7, v33
	s_or_b32 exec_lo, exec_lo, s9
	s_and_saveexec_b32 s8, s7
	s_cbranch_execz .LBB235_200
.LBB235_251:
	v_sub_nc_u32_e32 v7, v34, v6
	s_delay_alu instid0(VALU_DEP_1)
	v_lshlrev_b32_e32 v7, 2, v7
	ds_store_b32 v7, v35
	s_or_b32 exec_lo, exec_lo, s8
	s_and_saveexec_b32 s7, s6
	s_cbranch_execz .LBB235_201
.LBB235_252:
	v_sub_nc_u32_e32 v7, v40, v6
	s_delay_alu instid0(VALU_DEP_1)
	v_lshlrev_b32_e32 v7, 2, v7
	ds_store_b32 v7, v41
	s_or_b32 exec_lo, exec_lo, s7
	s_and_saveexec_b32 s6, s5
	s_cbranch_execz .LBB235_202
.LBB235_253:
	v_sub_nc_u32_e32 v7, v24, v6
	s_delay_alu instid0(VALU_DEP_1)
	v_lshlrev_b32_e32 v7, 2, v7
	ds_store_b32 v7, v25
	s_or_b32 exec_lo, exec_lo, s6
	s_and_saveexec_b32 s5, s4
	s_cbranch_execz .LBB235_203
.LBB235_254:
	v_sub_nc_u32_e32 v7, v26, v6
	s_delay_alu instid0(VALU_DEP_1)
	v_lshlrev_b32_e32 v7, 2, v7
	ds_store_b32 v7, v27
	s_or_b32 exec_lo, exec_lo, s5
	s_and_saveexec_b32 s4, s3
	s_cbranch_execz .LBB235_204
.LBB235_255:
	v_sub_nc_u32_e32 v7, v30, v6
	s_delay_alu instid0(VALU_DEP_1)
	v_lshlrev_b32_e32 v7, 2, v7
	ds_store_b32 v7, v31
	s_or_b32 exec_lo, exec_lo, s4
	s_and_saveexec_b32 s3, s2
	s_cbranch_execz .LBB235_205
.LBB235_256:
	v_sub_nc_u32_e32 v7, v36, v6
	s_delay_alu instid0(VALU_DEP_1)
	v_lshlrev_b32_e32 v7, 2, v7
	ds_store_b32 v7, v37
	s_or_b32 exec_lo, exec_lo, s3
	s_and_saveexec_b32 s2, s1
	s_cbranch_execnz .LBB235_206
	s_branch .LBB235_207
	.section	.rodata,"a",@progbits
	.p2align	6, 0x0
	.amdhsa_kernel _ZN7rocprim17ROCPRIM_400000_NS6detail17trampoline_kernelINS0_14default_configENS1_33run_length_encode_config_selectorIajNS0_4plusIjEEEEZZNS1_33reduce_by_key_impl_wrapped_configILNS1_25lookback_scan_determinismE0ES3_S7_PKaNS0_17constant_iteratorIjlEEPaPlSF_S6_NS0_8equal_toIaEEEE10hipError_tPvRmT2_T3_mT4_T5_T6_T7_T8_P12ihipStream_tbENKUlT_T0_E_clISt17integral_constantIbLb0EESZ_EEDaSU_SV_EUlSU_E_NS1_11comp_targetILNS1_3genE0ELNS1_11target_archE4294967295ELNS1_3gpuE0ELNS1_3repE0EEENS1_30default_config_static_selectorELNS0_4arch9wavefront6targetE0EEEvT1_
		.amdhsa_group_segment_fixed_size 14336
		.amdhsa_private_segment_fixed_size 0
		.amdhsa_kernarg_size 128
		.amdhsa_user_sgpr_count 2
		.amdhsa_user_sgpr_dispatch_ptr 0
		.amdhsa_user_sgpr_queue_ptr 0
		.amdhsa_user_sgpr_kernarg_segment_ptr 1
		.amdhsa_user_sgpr_dispatch_id 0
		.amdhsa_user_sgpr_kernarg_preload_length 0
		.amdhsa_user_sgpr_kernarg_preload_offset 0
		.amdhsa_user_sgpr_private_segment_size 0
		.amdhsa_wavefront_size32 1
		.amdhsa_uses_dynamic_stack 0
		.amdhsa_enable_private_segment 0
		.amdhsa_system_sgpr_workgroup_id_x 1
		.amdhsa_system_sgpr_workgroup_id_y 0
		.amdhsa_system_sgpr_workgroup_id_z 0
		.amdhsa_system_sgpr_workgroup_info 0
		.amdhsa_system_vgpr_workitem_id 0
		.amdhsa_next_free_vgpr 104
		.amdhsa_next_free_sgpr 38
		.amdhsa_named_barrier_count 0
		.amdhsa_reserve_vcc 1
		.amdhsa_float_round_mode_32 0
		.amdhsa_float_round_mode_16_64 0
		.amdhsa_float_denorm_mode_32 3
		.amdhsa_float_denorm_mode_16_64 3
		.amdhsa_fp16_overflow 0
		.amdhsa_memory_ordered 1
		.amdhsa_forward_progress 1
		.amdhsa_inst_pref_size 123
		.amdhsa_round_robin_scheduling 0
		.amdhsa_exception_fp_ieee_invalid_op 0
		.amdhsa_exception_fp_denorm_src 0
		.amdhsa_exception_fp_ieee_div_zero 0
		.amdhsa_exception_fp_ieee_overflow 0
		.amdhsa_exception_fp_ieee_underflow 0
		.amdhsa_exception_fp_ieee_inexact 0
		.amdhsa_exception_int_div_zero 0
	.end_amdhsa_kernel
	.section	.text._ZN7rocprim17ROCPRIM_400000_NS6detail17trampoline_kernelINS0_14default_configENS1_33run_length_encode_config_selectorIajNS0_4plusIjEEEEZZNS1_33reduce_by_key_impl_wrapped_configILNS1_25lookback_scan_determinismE0ES3_S7_PKaNS0_17constant_iteratorIjlEEPaPlSF_S6_NS0_8equal_toIaEEEE10hipError_tPvRmT2_T3_mT4_T5_T6_T7_T8_P12ihipStream_tbENKUlT_T0_E_clISt17integral_constantIbLb0EESZ_EEDaSU_SV_EUlSU_E_NS1_11comp_targetILNS1_3genE0ELNS1_11target_archE4294967295ELNS1_3gpuE0ELNS1_3repE0EEENS1_30default_config_static_selectorELNS0_4arch9wavefront6targetE0EEEvT1_,"axG",@progbits,_ZN7rocprim17ROCPRIM_400000_NS6detail17trampoline_kernelINS0_14default_configENS1_33run_length_encode_config_selectorIajNS0_4plusIjEEEEZZNS1_33reduce_by_key_impl_wrapped_configILNS1_25lookback_scan_determinismE0ES3_S7_PKaNS0_17constant_iteratorIjlEEPaPlSF_S6_NS0_8equal_toIaEEEE10hipError_tPvRmT2_T3_mT4_T5_T6_T7_T8_P12ihipStream_tbENKUlT_T0_E_clISt17integral_constantIbLb0EESZ_EEDaSU_SV_EUlSU_E_NS1_11comp_targetILNS1_3genE0ELNS1_11target_archE4294967295ELNS1_3gpuE0ELNS1_3repE0EEENS1_30default_config_static_selectorELNS0_4arch9wavefront6targetE0EEEvT1_,comdat
.Lfunc_end235:
	.size	_ZN7rocprim17ROCPRIM_400000_NS6detail17trampoline_kernelINS0_14default_configENS1_33run_length_encode_config_selectorIajNS0_4plusIjEEEEZZNS1_33reduce_by_key_impl_wrapped_configILNS1_25lookback_scan_determinismE0ES3_S7_PKaNS0_17constant_iteratorIjlEEPaPlSF_S6_NS0_8equal_toIaEEEE10hipError_tPvRmT2_T3_mT4_T5_T6_T7_T8_P12ihipStream_tbENKUlT_T0_E_clISt17integral_constantIbLb0EESZ_EEDaSU_SV_EUlSU_E_NS1_11comp_targetILNS1_3genE0ELNS1_11target_archE4294967295ELNS1_3gpuE0ELNS1_3repE0EEENS1_30default_config_static_selectorELNS0_4arch9wavefront6targetE0EEEvT1_, .Lfunc_end235-_ZN7rocprim17ROCPRIM_400000_NS6detail17trampoline_kernelINS0_14default_configENS1_33run_length_encode_config_selectorIajNS0_4plusIjEEEEZZNS1_33reduce_by_key_impl_wrapped_configILNS1_25lookback_scan_determinismE0ES3_S7_PKaNS0_17constant_iteratorIjlEEPaPlSF_S6_NS0_8equal_toIaEEEE10hipError_tPvRmT2_T3_mT4_T5_T6_T7_T8_P12ihipStream_tbENKUlT_T0_E_clISt17integral_constantIbLb0EESZ_EEDaSU_SV_EUlSU_E_NS1_11comp_targetILNS1_3genE0ELNS1_11target_archE4294967295ELNS1_3gpuE0ELNS1_3repE0EEENS1_30default_config_static_selectorELNS0_4arch9wavefront6targetE0EEEvT1_
                                        ; -- End function
	.set _ZN7rocprim17ROCPRIM_400000_NS6detail17trampoline_kernelINS0_14default_configENS1_33run_length_encode_config_selectorIajNS0_4plusIjEEEEZZNS1_33reduce_by_key_impl_wrapped_configILNS1_25lookback_scan_determinismE0ES3_S7_PKaNS0_17constant_iteratorIjlEEPaPlSF_S6_NS0_8equal_toIaEEEE10hipError_tPvRmT2_T3_mT4_T5_T6_T7_T8_P12ihipStream_tbENKUlT_T0_E_clISt17integral_constantIbLb0EESZ_EEDaSU_SV_EUlSU_E_NS1_11comp_targetILNS1_3genE0ELNS1_11target_archE4294967295ELNS1_3gpuE0ELNS1_3repE0EEENS1_30default_config_static_selectorELNS0_4arch9wavefront6targetE0EEEvT1_.num_vgpr, 104
	.set _ZN7rocprim17ROCPRIM_400000_NS6detail17trampoline_kernelINS0_14default_configENS1_33run_length_encode_config_selectorIajNS0_4plusIjEEEEZZNS1_33reduce_by_key_impl_wrapped_configILNS1_25lookback_scan_determinismE0ES3_S7_PKaNS0_17constant_iteratorIjlEEPaPlSF_S6_NS0_8equal_toIaEEEE10hipError_tPvRmT2_T3_mT4_T5_T6_T7_T8_P12ihipStream_tbENKUlT_T0_E_clISt17integral_constantIbLb0EESZ_EEDaSU_SV_EUlSU_E_NS1_11comp_targetILNS1_3genE0ELNS1_11target_archE4294967295ELNS1_3gpuE0ELNS1_3repE0EEENS1_30default_config_static_selectorELNS0_4arch9wavefront6targetE0EEEvT1_.num_agpr, 0
	.set _ZN7rocprim17ROCPRIM_400000_NS6detail17trampoline_kernelINS0_14default_configENS1_33run_length_encode_config_selectorIajNS0_4plusIjEEEEZZNS1_33reduce_by_key_impl_wrapped_configILNS1_25lookback_scan_determinismE0ES3_S7_PKaNS0_17constant_iteratorIjlEEPaPlSF_S6_NS0_8equal_toIaEEEE10hipError_tPvRmT2_T3_mT4_T5_T6_T7_T8_P12ihipStream_tbENKUlT_T0_E_clISt17integral_constantIbLb0EESZ_EEDaSU_SV_EUlSU_E_NS1_11comp_targetILNS1_3genE0ELNS1_11target_archE4294967295ELNS1_3gpuE0ELNS1_3repE0EEENS1_30default_config_static_selectorELNS0_4arch9wavefront6targetE0EEEvT1_.numbered_sgpr, 38
	.set _ZN7rocprim17ROCPRIM_400000_NS6detail17trampoline_kernelINS0_14default_configENS1_33run_length_encode_config_selectorIajNS0_4plusIjEEEEZZNS1_33reduce_by_key_impl_wrapped_configILNS1_25lookback_scan_determinismE0ES3_S7_PKaNS0_17constant_iteratorIjlEEPaPlSF_S6_NS0_8equal_toIaEEEE10hipError_tPvRmT2_T3_mT4_T5_T6_T7_T8_P12ihipStream_tbENKUlT_T0_E_clISt17integral_constantIbLb0EESZ_EEDaSU_SV_EUlSU_E_NS1_11comp_targetILNS1_3genE0ELNS1_11target_archE4294967295ELNS1_3gpuE0ELNS1_3repE0EEENS1_30default_config_static_selectorELNS0_4arch9wavefront6targetE0EEEvT1_.num_named_barrier, 0
	.set _ZN7rocprim17ROCPRIM_400000_NS6detail17trampoline_kernelINS0_14default_configENS1_33run_length_encode_config_selectorIajNS0_4plusIjEEEEZZNS1_33reduce_by_key_impl_wrapped_configILNS1_25lookback_scan_determinismE0ES3_S7_PKaNS0_17constant_iteratorIjlEEPaPlSF_S6_NS0_8equal_toIaEEEE10hipError_tPvRmT2_T3_mT4_T5_T6_T7_T8_P12ihipStream_tbENKUlT_T0_E_clISt17integral_constantIbLb0EESZ_EEDaSU_SV_EUlSU_E_NS1_11comp_targetILNS1_3genE0ELNS1_11target_archE4294967295ELNS1_3gpuE0ELNS1_3repE0EEENS1_30default_config_static_selectorELNS0_4arch9wavefront6targetE0EEEvT1_.private_seg_size, 0
	.set _ZN7rocprim17ROCPRIM_400000_NS6detail17trampoline_kernelINS0_14default_configENS1_33run_length_encode_config_selectorIajNS0_4plusIjEEEEZZNS1_33reduce_by_key_impl_wrapped_configILNS1_25lookback_scan_determinismE0ES3_S7_PKaNS0_17constant_iteratorIjlEEPaPlSF_S6_NS0_8equal_toIaEEEE10hipError_tPvRmT2_T3_mT4_T5_T6_T7_T8_P12ihipStream_tbENKUlT_T0_E_clISt17integral_constantIbLb0EESZ_EEDaSU_SV_EUlSU_E_NS1_11comp_targetILNS1_3genE0ELNS1_11target_archE4294967295ELNS1_3gpuE0ELNS1_3repE0EEENS1_30default_config_static_selectorELNS0_4arch9wavefront6targetE0EEEvT1_.uses_vcc, 1
	.set _ZN7rocprim17ROCPRIM_400000_NS6detail17trampoline_kernelINS0_14default_configENS1_33run_length_encode_config_selectorIajNS0_4plusIjEEEEZZNS1_33reduce_by_key_impl_wrapped_configILNS1_25lookback_scan_determinismE0ES3_S7_PKaNS0_17constant_iteratorIjlEEPaPlSF_S6_NS0_8equal_toIaEEEE10hipError_tPvRmT2_T3_mT4_T5_T6_T7_T8_P12ihipStream_tbENKUlT_T0_E_clISt17integral_constantIbLb0EESZ_EEDaSU_SV_EUlSU_E_NS1_11comp_targetILNS1_3genE0ELNS1_11target_archE4294967295ELNS1_3gpuE0ELNS1_3repE0EEENS1_30default_config_static_selectorELNS0_4arch9wavefront6targetE0EEEvT1_.uses_flat_scratch, 0
	.set _ZN7rocprim17ROCPRIM_400000_NS6detail17trampoline_kernelINS0_14default_configENS1_33run_length_encode_config_selectorIajNS0_4plusIjEEEEZZNS1_33reduce_by_key_impl_wrapped_configILNS1_25lookback_scan_determinismE0ES3_S7_PKaNS0_17constant_iteratorIjlEEPaPlSF_S6_NS0_8equal_toIaEEEE10hipError_tPvRmT2_T3_mT4_T5_T6_T7_T8_P12ihipStream_tbENKUlT_T0_E_clISt17integral_constantIbLb0EESZ_EEDaSU_SV_EUlSU_E_NS1_11comp_targetILNS1_3genE0ELNS1_11target_archE4294967295ELNS1_3gpuE0ELNS1_3repE0EEENS1_30default_config_static_selectorELNS0_4arch9wavefront6targetE0EEEvT1_.has_dyn_sized_stack, 0
	.set _ZN7rocprim17ROCPRIM_400000_NS6detail17trampoline_kernelINS0_14default_configENS1_33run_length_encode_config_selectorIajNS0_4plusIjEEEEZZNS1_33reduce_by_key_impl_wrapped_configILNS1_25lookback_scan_determinismE0ES3_S7_PKaNS0_17constant_iteratorIjlEEPaPlSF_S6_NS0_8equal_toIaEEEE10hipError_tPvRmT2_T3_mT4_T5_T6_T7_T8_P12ihipStream_tbENKUlT_T0_E_clISt17integral_constantIbLb0EESZ_EEDaSU_SV_EUlSU_E_NS1_11comp_targetILNS1_3genE0ELNS1_11target_archE4294967295ELNS1_3gpuE0ELNS1_3repE0EEENS1_30default_config_static_selectorELNS0_4arch9wavefront6targetE0EEEvT1_.has_recursion, 0
	.set _ZN7rocprim17ROCPRIM_400000_NS6detail17trampoline_kernelINS0_14default_configENS1_33run_length_encode_config_selectorIajNS0_4plusIjEEEEZZNS1_33reduce_by_key_impl_wrapped_configILNS1_25lookback_scan_determinismE0ES3_S7_PKaNS0_17constant_iteratorIjlEEPaPlSF_S6_NS0_8equal_toIaEEEE10hipError_tPvRmT2_T3_mT4_T5_T6_T7_T8_P12ihipStream_tbENKUlT_T0_E_clISt17integral_constantIbLb0EESZ_EEDaSU_SV_EUlSU_E_NS1_11comp_targetILNS1_3genE0ELNS1_11target_archE4294967295ELNS1_3gpuE0ELNS1_3repE0EEENS1_30default_config_static_selectorELNS0_4arch9wavefront6targetE0EEEvT1_.has_indirect_call, 0
	.section	.AMDGPU.csdata,"",@progbits
; Kernel info:
; codeLenInByte = 15736
; TotalNumSgprs: 40
; NumVgprs: 104
; ScratchSize: 0
; MemoryBound: 0
; FloatMode: 240
; IeeeMode: 1
; LDSByteSize: 14336 bytes/workgroup (compile time only)
; SGPRBlocks: 0
; VGPRBlocks: 6
; NumSGPRsForWavesPerEU: 40
; NumVGPRsForWavesPerEU: 104
; NamedBarCnt: 0
; Occupancy: 9
; WaveLimiterHint : 1
; COMPUTE_PGM_RSRC2:SCRATCH_EN: 0
; COMPUTE_PGM_RSRC2:USER_SGPR: 2
; COMPUTE_PGM_RSRC2:TRAP_HANDLER: 0
; COMPUTE_PGM_RSRC2:TGID_X_EN: 1
; COMPUTE_PGM_RSRC2:TGID_Y_EN: 0
; COMPUTE_PGM_RSRC2:TGID_Z_EN: 0
; COMPUTE_PGM_RSRC2:TIDIG_COMP_CNT: 0
	.section	.text._ZN7rocprim17ROCPRIM_400000_NS6detail17trampoline_kernelINS0_14default_configENS1_33run_length_encode_config_selectorIajNS0_4plusIjEEEEZZNS1_33reduce_by_key_impl_wrapped_configILNS1_25lookback_scan_determinismE0ES3_S7_PKaNS0_17constant_iteratorIjlEEPaPlSF_S6_NS0_8equal_toIaEEEE10hipError_tPvRmT2_T3_mT4_T5_T6_T7_T8_P12ihipStream_tbENKUlT_T0_E_clISt17integral_constantIbLb0EESZ_EEDaSU_SV_EUlSU_E_NS1_11comp_targetILNS1_3genE5ELNS1_11target_archE942ELNS1_3gpuE9ELNS1_3repE0EEENS1_30default_config_static_selectorELNS0_4arch9wavefront6targetE0EEEvT1_,"axG",@progbits,_ZN7rocprim17ROCPRIM_400000_NS6detail17trampoline_kernelINS0_14default_configENS1_33run_length_encode_config_selectorIajNS0_4plusIjEEEEZZNS1_33reduce_by_key_impl_wrapped_configILNS1_25lookback_scan_determinismE0ES3_S7_PKaNS0_17constant_iteratorIjlEEPaPlSF_S6_NS0_8equal_toIaEEEE10hipError_tPvRmT2_T3_mT4_T5_T6_T7_T8_P12ihipStream_tbENKUlT_T0_E_clISt17integral_constantIbLb0EESZ_EEDaSU_SV_EUlSU_E_NS1_11comp_targetILNS1_3genE5ELNS1_11target_archE942ELNS1_3gpuE9ELNS1_3repE0EEENS1_30default_config_static_selectorELNS0_4arch9wavefront6targetE0EEEvT1_,comdat
	.protected	_ZN7rocprim17ROCPRIM_400000_NS6detail17trampoline_kernelINS0_14default_configENS1_33run_length_encode_config_selectorIajNS0_4plusIjEEEEZZNS1_33reduce_by_key_impl_wrapped_configILNS1_25lookback_scan_determinismE0ES3_S7_PKaNS0_17constant_iteratorIjlEEPaPlSF_S6_NS0_8equal_toIaEEEE10hipError_tPvRmT2_T3_mT4_T5_T6_T7_T8_P12ihipStream_tbENKUlT_T0_E_clISt17integral_constantIbLb0EESZ_EEDaSU_SV_EUlSU_E_NS1_11comp_targetILNS1_3genE5ELNS1_11target_archE942ELNS1_3gpuE9ELNS1_3repE0EEENS1_30default_config_static_selectorELNS0_4arch9wavefront6targetE0EEEvT1_ ; -- Begin function _ZN7rocprim17ROCPRIM_400000_NS6detail17trampoline_kernelINS0_14default_configENS1_33run_length_encode_config_selectorIajNS0_4plusIjEEEEZZNS1_33reduce_by_key_impl_wrapped_configILNS1_25lookback_scan_determinismE0ES3_S7_PKaNS0_17constant_iteratorIjlEEPaPlSF_S6_NS0_8equal_toIaEEEE10hipError_tPvRmT2_T3_mT4_T5_T6_T7_T8_P12ihipStream_tbENKUlT_T0_E_clISt17integral_constantIbLb0EESZ_EEDaSU_SV_EUlSU_E_NS1_11comp_targetILNS1_3genE5ELNS1_11target_archE942ELNS1_3gpuE9ELNS1_3repE0EEENS1_30default_config_static_selectorELNS0_4arch9wavefront6targetE0EEEvT1_
	.globl	_ZN7rocprim17ROCPRIM_400000_NS6detail17trampoline_kernelINS0_14default_configENS1_33run_length_encode_config_selectorIajNS0_4plusIjEEEEZZNS1_33reduce_by_key_impl_wrapped_configILNS1_25lookback_scan_determinismE0ES3_S7_PKaNS0_17constant_iteratorIjlEEPaPlSF_S6_NS0_8equal_toIaEEEE10hipError_tPvRmT2_T3_mT4_T5_T6_T7_T8_P12ihipStream_tbENKUlT_T0_E_clISt17integral_constantIbLb0EESZ_EEDaSU_SV_EUlSU_E_NS1_11comp_targetILNS1_3genE5ELNS1_11target_archE942ELNS1_3gpuE9ELNS1_3repE0EEENS1_30default_config_static_selectorELNS0_4arch9wavefront6targetE0EEEvT1_
	.p2align	8
	.type	_ZN7rocprim17ROCPRIM_400000_NS6detail17trampoline_kernelINS0_14default_configENS1_33run_length_encode_config_selectorIajNS0_4plusIjEEEEZZNS1_33reduce_by_key_impl_wrapped_configILNS1_25lookback_scan_determinismE0ES3_S7_PKaNS0_17constant_iteratorIjlEEPaPlSF_S6_NS0_8equal_toIaEEEE10hipError_tPvRmT2_T3_mT4_T5_T6_T7_T8_P12ihipStream_tbENKUlT_T0_E_clISt17integral_constantIbLb0EESZ_EEDaSU_SV_EUlSU_E_NS1_11comp_targetILNS1_3genE5ELNS1_11target_archE942ELNS1_3gpuE9ELNS1_3repE0EEENS1_30default_config_static_selectorELNS0_4arch9wavefront6targetE0EEEvT1_,@function
_ZN7rocprim17ROCPRIM_400000_NS6detail17trampoline_kernelINS0_14default_configENS1_33run_length_encode_config_selectorIajNS0_4plusIjEEEEZZNS1_33reduce_by_key_impl_wrapped_configILNS1_25lookback_scan_determinismE0ES3_S7_PKaNS0_17constant_iteratorIjlEEPaPlSF_S6_NS0_8equal_toIaEEEE10hipError_tPvRmT2_T3_mT4_T5_T6_T7_T8_P12ihipStream_tbENKUlT_T0_E_clISt17integral_constantIbLb0EESZ_EEDaSU_SV_EUlSU_E_NS1_11comp_targetILNS1_3genE5ELNS1_11target_archE942ELNS1_3gpuE9ELNS1_3repE0EEENS1_30default_config_static_selectorELNS0_4arch9wavefront6targetE0EEEvT1_: ; @_ZN7rocprim17ROCPRIM_400000_NS6detail17trampoline_kernelINS0_14default_configENS1_33run_length_encode_config_selectorIajNS0_4plusIjEEEEZZNS1_33reduce_by_key_impl_wrapped_configILNS1_25lookback_scan_determinismE0ES3_S7_PKaNS0_17constant_iteratorIjlEEPaPlSF_S6_NS0_8equal_toIaEEEE10hipError_tPvRmT2_T3_mT4_T5_T6_T7_T8_P12ihipStream_tbENKUlT_T0_E_clISt17integral_constantIbLb0EESZ_EEDaSU_SV_EUlSU_E_NS1_11comp_targetILNS1_3genE5ELNS1_11target_archE942ELNS1_3gpuE9ELNS1_3repE0EEENS1_30default_config_static_selectorELNS0_4arch9wavefront6targetE0EEEvT1_
; %bb.0:
	.section	.rodata,"a",@progbits
	.p2align	6, 0x0
	.amdhsa_kernel _ZN7rocprim17ROCPRIM_400000_NS6detail17trampoline_kernelINS0_14default_configENS1_33run_length_encode_config_selectorIajNS0_4plusIjEEEEZZNS1_33reduce_by_key_impl_wrapped_configILNS1_25lookback_scan_determinismE0ES3_S7_PKaNS0_17constant_iteratorIjlEEPaPlSF_S6_NS0_8equal_toIaEEEE10hipError_tPvRmT2_T3_mT4_T5_T6_T7_T8_P12ihipStream_tbENKUlT_T0_E_clISt17integral_constantIbLb0EESZ_EEDaSU_SV_EUlSU_E_NS1_11comp_targetILNS1_3genE5ELNS1_11target_archE942ELNS1_3gpuE9ELNS1_3repE0EEENS1_30default_config_static_selectorELNS0_4arch9wavefront6targetE0EEEvT1_
		.amdhsa_group_segment_fixed_size 0
		.amdhsa_private_segment_fixed_size 0
		.amdhsa_kernarg_size 128
		.amdhsa_user_sgpr_count 2
		.amdhsa_user_sgpr_dispatch_ptr 0
		.amdhsa_user_sgpr_queue_ptr 0
		.amdhsa_user_sgpr_kernarg_segment_ptr 1
		.amdhsa_user_sgpr_dispatch_id 0
		.amdhsa_user_sgpr_kernarg_preload_length 0
		.amdhsa_user_sgpr_kernarg_preload_offset 0
		.amdhsa_user_sgpr_private_segment_size 0
		.amdhsa_wavefront_size32 1
		.amdhsa_uses_dynamic_stack 0
		.amdhsa_enable_private_segment 0
		.amdhsa_system_sgpr_workgroup_id_x 1
		.amdhsa_system_sgpr_workgroup_id_y 0
		.amdhsa_system_sgpr_workgroup_id_z 0
		.amdhsa_system_sgpr_workgroup_info 0
		.amdhsa_system_vgpr_workitem_id 0
		.amdhsa_next_free_vgpr 1
		.amdhsa_next_free_sgpr 1
		.amdhsa_named_barrier_count 0
		.amdhsa_reserve_vcc 0
		.amdhsa_float_round_mode_32 0
		.amdhsa_float_round_mode_16_64 0
		.amdhsa_float_denorm_mode_32 3
		.amdhsa_float_denorm_mode_16_64 3
		.amdhsa_fp16_overflow 0
		.amdhsa_memory_ordered 1
		.amdhsa_forward_progress 1
		.amdhsa_inst_pref_size 0
		.amdhsa_round_robin_scheduling 0
		.amdhsa_exception_fp_ieee_invalid_op 0
		.amdhsa_exception_fp_denorm_src 0
		.amdhsa_exception_fp_ieee_div_zero 0
		.amdhsa_exception_fp_ieee_overflow 0
		.amdhsa_exception_fp_ieee_underflow 0
		.amdhsa_exception_fp_ieee_inexact 0
		.amdhsa_exception_int_div_zero 0
	.end_amdhsa_kernel
	.section	.text._ZN7rocprim17ROCPRIM_400000_NS6detail17trampoline_kernelINS0_14default_configENS1_33run_length_encode_config_selectorIajNS0_4plusIjEEEEZZNS1_33reduce_by_key_impl_wrapped_configILNS1_25lookback_scan_determinismE0ES3_S7_PKaNS0_17constant_iteratorIjlEEPaPlSF_S6_NS0_8equal_toIaEEEE10hipError_tPvRmT2_T3_mT4_T5_T6_T7_T8_P12ihipStream_tbENKUlT_T0_E_clISt17integral_constantIbLb0EESZ_EEDaSU_SV_EUlSU_E_NS1_11comp_targetILNS1_3genE5ELNS1_11target_archE942ELNS1_3gpuE9ELNS1_3repE0EEENS1_30default_config_static_selectorELNS0_4arch9wavefront6targetE0EEEvT1_,"axG",@progbits,_ZN7rocprim17ROCPRIM_400000_NS6detail17trampoline_kernelINS0_14default_configENS1_33run_length_encode_config_selectorIajNS0_4plusIjEEEEZZNS1_33reduce_by_key_impl_wrapped_configILNS1_25lookback_scan_determinismE0ES3_S7_PKaNS0_17constant_iteratorIjlEEPaPlSF_S6_NS0_8equal_toIaEEEE10hipError_tPvRmT2_T3_mT4_T5_T6_T7_T8_P12ihipStream_tbENKUlT_T0_E_clISt17integral_constantIbLb0EESZ_EEDaSU_SV_EUlSU_E_NS1_11comp_targetILNS1_3genE5ELNS1_11target_archE942ELNS1_3gpuE9ELNS1_3repE0EEENS1_30default_config_static_selectorELNS0_4arch9wavefront6targetE0EEEvT1_,comdat
.Lfunc_end236:
	.size	_ZN7rocprim17ROCPRIM_400000_NS6detail17trampoline_kernelINS0_14default_configENS1_33run_length_encode_config_selectorIajNS0_4plusIjEEEEZZNS1_33reduce_by_key_impl_wrapped_configILNS1_25lookback_scan_determinismE0ES3_S7_PKaNS0_17constant_iteratorIjlEEPaPlSF_S6_NS0_8equal_toIaEEEE10hipError_tPvRmT2_T3_mT4_T5_T6_T7_T8_P12ihipStream_tbENKUlT_T0_E_clISt17integral_constantIbLb0EESZ_EEDaSU_SV_EUlSU_E_NS1_11comp_targetILNS1_3genE5ELNS1_11target_archE942ELNS1_3gpuE9ELNS1_3repE0EEENS1_30default_config_static_selectorELNS0_4arch9wavefront6targetE0EEEvT1_, .Lfunc_end236-_ZN7rocprim17ROCPRIM_400000_NS6detail17trampoline_kernelINS0_14default_configENS1_33run_length_encode_config_selectorIajNS0_4plusIjEEEEZZNS1_33reduce_by_key_impl_wrapped_configILNS1_25lookback_scan_determinismE0ES3_S7_PKaNS0_17constant_iteratorIjlEEPaPlSF_S6_NS0_8equal_toIaEEEE10hipError_tPvRmT2_T3_mT4_T5_T6_T7_T8_P12ihipStream_tbENKUlT_T0_E_clISt17integral_constantIbLb0EESZ_EEDaSU_SV_EUlSU_E_NS1_11comp_targetILNS1_3genE5ELNS1_11target_archE942ELNS1_3gpuE9ELNS1_3repE0EEENS1_30default_config_static_selectorELNS0_4arch9wavefront6targetE0EEEvT1_
                                        ; -- End function
	.set _ZN7rocprim17ROCPRIM_400000_NS6detail17trampoline_kernelINS0_14default_configENS1_33run_length_encode_config_selectorIajNS0_4plusIjEEEEZZNS1_33reduce_by_key_impl_wrapped_configILNS1_25lookback_scan_determinismE0ES3_S7_PKaNS0_17constant_iteratorIjlEEPaPlSF_S6_NS0_8equal_toIaEEEE10hipError_tPvRmT2_T3_mT4_T5_T6_T7_T8_P12ihipStream_tbENKUlT_T0_E_clISt17integral_constantIbLb0EESZ_EEDaSU_SV_EUlSU_E_NS1_11comp_targetILNS1_3genE5ELNS1_11target_archE942ELNS1_3gpuE9ELNS1_3repE0EEENS1_30default_config_static_selectorELNS0_4arch9wavefront6targetE0EEEvT1_.num_vgpr, 0
	.set _ZN7rocprim17ROCPRIM_400000_NS6detail17trampoline_kernelINS0_14default_configENS1_33run_length_encode_config_selectorIajNS0_4plusIjEEEEZZNS1_33reduce_by_key_impl_wrapped_configILNS1_25lookback_scan_determinismE0ES3_S7_PKaNS0_17constant_iteratorIjlEEPaPlSF_S6_NS0_8equal_toIaEEEE10hipError_tPvRmT2_T3_mT4_T5_T6_T7_T8_P12ihipStream_tbENKUlT_T0_E_clISt17integral_constantIbLb0EESZ_EEDaSU_SV_EUlSU_E_NS1_11comp_targetILNS1_3genE5ELNS1_11target_archE942ELNS1_3gpuE9ELNS1_3repE0EEENS1_30default_config_static_selectorELNS0_4arch9wavefront6targetE0EEEvT1_.num_agpr, 0
	.set _ZN7rocprim17ROCPRIM_400000_NS6detail17trampoline_kernelINS0_14default_configENS1_33run_length_encode_config_selectorIajNS0_4plusIjEEEEZZNS1_33reduce_by_key_impl_wrapped_configILNS1_25lookback_scan_determinismE0ES3_S7_PKaNS0_17constant_iteratorIjlEEPaPlSF_S6_NS0_8equal_toIaEEEE10hipError_tPvRmT2_T3_mT4_T5_T6_T7_T8_P12ihipStream_tbENKUlT_T0_E_clISt17integral_constantIbLb0EESZ_EEDaSU_SV_EUlSU_E_NS1_11comp_targetILNS1_3genE5ELNS1_11target_archE942ELNS1_3gpuE9ELNS1_3repE0EEENS1_30default_config_static_selectorELNS0_4arch9wavefront6targetE0EEEvT1_.numbered_sgpr, 0
	.set _ZN7rocprim17ROCPRIM_400000_NS6detail17trampoline_kernelINS0_14default_configENS1_33run_length_encode_config_selectorIajNS0_4plusIjEEEEZZNS1_33reduce_by_key_impl_wrapped_configILNS1_25lookback_scan_determinismE0ES3_S7_PKaNS0_17constant_iteratorIjlEEPaPlSF_S6_NS0_8equal_toIaEEEE10hipError_tPvRmT2_T3_mT4_T5_T6_T7_T8_P12ihipStream_tbENKUlT_T0_E_clISt17integral_constantIbLb0EESZ_EEDaSU_SV_EUlSU_E_NS1_11comp_targetILNS1_3genE5ELNS1_11target_archE942ELNS1_3gpuE9ELNS1_3repE0EEENS1_30default_config_static_selectorELNS0_4arch9wavefront6targetE0EEEvT1_.num_named_barrier, 0
	.set _ZN7rocprim17ROCPRIM_400000_NS6detail17trampoline_kernelINS0_14default_configENS1_33run_length_encode_config_selectorIajNS0_4plusIjEEEEZZNS1_33reduce_by_key_impl_wrapped_configILNS1_25lookback_scan_determinismE0ES3_S7_PKaNS0_17constant_iteratorIjlEEPaPlSF_S6_NS0_8equal_toIaEEEE10hipError_tPvRmT2_T3_mT4_T5_T6_T7_T8_P12ihipStream_tbENKUlT_T0_E_clISt17integral_constantIbLb0EESZ_EEDaSU_SV_EUlSU_E_NS1_11comp_targetILNS1_3genE5ELNS1_11target_archE942ELNS1_3gpuE9ELNS1_3repE0EEENS1_30default_config_static_selectorELNS0_4arch9wavefront6targetE0EEEvT1_.private_seg_size, 0
	.set _ZN7rocprim17ROCPRIM_400000_NS6detail17trampoline_kernelINS0_14default_configENS1_33run_length_encode_config_selectorIajNS0_4plusIjEEEEZZNS1_33reduce_by_key_impl_wrapped_configILNS1_25lookback_scan_determinismE0ES3_S7_PKaNS0_17constant_iteratorIjlEEPaPlSF_S6_NS0_8equal_toIaEEEE10hipError_tPvRmT2_T3_mT4_T5_T6_T7_T8_P12ihipStream_tbENKUlT_T0_E_clISt17integral_constantIbLb0EESZ_EEDaSU_SV_EUlSU_E_NS1_11comp_targetILNS1_3genE5ELNS1_11target_archE942ELNS1_3gpuE9ELNS1_3repE0EEENS1_30default_config_static_selectorELNS0_4arch9wavefront6targetE0EEEvT1_.uses_vcc, 0
	.set _ZN7rocprim17ROCPRIM_400000_NS6detail17trampoline_kernelINS0_14default_configENS1_33run_length_encode_config_selectorIajNS0_4plusIjEEEEZZNS1_33reduce_by_key_impl_wrapped_configILNS1_25lookback_scan_determinismE0ES3_S7_PKaNS0_17constant_iteratorIjlEEPaPlSF_S6_NS0_8equal_toIaEEEE10hipError_tPvRmT2_T3_mT4_T5_T6_T7_T8_P12ihipStream_tbENKUlT_T0_E_clISt17integral_constantIbLb0EESZ_EEDaSU_SV_EUlSU_E_NS1_11comp_targetILNS1_3genE5ELNS1_11target_archE942ELNS1_3gpuE9ELNS1_3repE0EEENS1_30default_config_static_selectorELNS0_4arch9wavefront6targetE0EEEvT1_.uses_flat_scratch, 0
	.set _ZN7rocprim17ROCPRIM_400000_NS6detail17trampoline_kernelINS0_14default_configENS1_33run_length_encode_config_selectorIajNS0_4plusIjEEEEZZNS1_33reduce_by_key_impl_wrapped_configILNS1_25lookback_scan_determinismE0ES3_S7_PKaNS0_17constant_iteratorIjlEEPaPlSF_S6_NS0_8equal_toIaEEEE10hipError_tPvRmT2_T3_mT4_T5_T6_T7_T8_P12ihipStream_tbENKUlT_T0_E_clISt17integral_constantIbLb0EESZ_EEDaSU_SV_EUlSU_E_NS1_11comp_targetILNS1_3genE5ELNS1_11target_archE942ELNS1_3gpuE9ELNS1_3repE0EEENS1_30default_config_static_selectorELNS0_4arch9wavefront6targetE0EEEvT1_.has_dyn_sized_stack, 0
	.set _ZN7rocprim17ROCPRIM_400000_NS6detail17trampoline_kernelINS0_14default_configENS1_33run_length_encode_config_selectorIajNS0_4plusIjEEEEZZNS1_33reduce_by_key_impl_wrapped_configILNS1_25lookback_scan_determinismE0ES3_S7_PKaNS0_17constant_iteratorIjlEEPaPlSF_S6_NS0_8equal_toIaEEEE10hipError_tPvRmT2_T3_mT4_T5_T6_T7_T8_P12ihipStream_tbENKUlT_T0_E_clISt17integral_constantIbLb0EESZ_EEDaSU_SV_EUlSU_E_NS1_11comp_targetILNS1_3genE5ELNS1_11target_archE942ELNS1_3gpuE9ELNS1_3repE0EEENS1_30default_config_static_selectorELNS0_4arch9wavefront6targetE0EEEvT1_.has_recursion, 0
	.set _ZN7rocprim17ROCPRIM_400000_NS6detail17trampoline_kernelINS0_14default_configENS1_33run_length_encode_config_selectorIajNS0_4plusIjEEEEZZNS1_33reduce_by_key_impl_wrapped_configILNS1_25lookback_scan_determinismE0ES3_S7_PKaNS0_17constant_iteratorIjlEEPaPlSF_S6_NS0_8equal_toIaEEEE10hipError_tPvRmT2_T3_mT4_T5_T6_T7_T8_P12ihipStream_tbENKUlT_T0_E_clISt17integral_constantIbLb0EESZ_EEDaSU_SV_EUlSU_E_NS1_11comp_targetILNS1_3genE5ELNS1_11target_archE942ELNS1_3gpuE9ELNS1_3repE0EEENS1_30default_config_static_selectorELNS0_4arch9wavefront6targetE0EEEvT1_.has_indirect_call, 0
	.section	.AMDGPU.csdata,"",@progbits
; Kernel info:
; codeLenInByte = 0
; TotalNumSgprs: 0
; NumVgprs: 0
; ScratchSize: 0
; MemoryBound: 0
; FloatMode: 240
; IeeeMode: 1
; LDSByteSize: 0 bytes/workgroup (compile time only)
; SGPRBlocks: 0
; VGPRBlocks: 0
; NumSGPRsForWavesPerEU: 1
; NumVGPRsForWavesPerEU: 1
; NamedBarCnt: 0
; Occupancy: 16
; WaveLimiterHint : 0
; COMPUTE_PGM_RSRC2:SCRATCH_EN: 0
; COMPUTE_PGM_RSRC2:USER_SGPR: 2
; COMPUTE_PGM_RSRC2:TRAP_HANDLER: 0
; COMPUTE_PGM_RSRC2:TGID_X_EN: 1
; COMPUTE_PGM_RSRC2:TGID_Y_EN: 0
; COMPUTE_PGM_RSRC2:TGID_Z_EN: 0
; COMPUTE_PGM_RSRC2:TIDIG_COMP_CNT: 0
	.section	.text._ZN7rocprim17ROCPRIM_400000_NS6detail17trampoline_kernelINS0_14default_configENS1_33run_length_encode_config_selectorIajNS0_4plusIjEEEEZZNS1_33reduce_by_key_impl_wrapped_configILNS1_25lookback_scan_determinismE0ES3_S7_PKaNS0_17constant_iteratorIjlEEPaPlSF_S6_NS0_8equal_toIaEEEE10hipError_tPvRmT2_T3_mT4_T5_T6_T7_T8_P12ihipStream_tbENKUlT_T0_E_clISt17integral_constantIbLb0EESZ_EEDaSU_SV_EUlSU_E_NS1_11comp_targetILNS1_3genE4ELNS1_11target_archE910ELNS1_3gpuE8ELNS1_3repE0EEENS1_30default_config_static_selectorELNS0_4arch9wavefront6targetE0EEEvT1_,"axG",@progbits,_ZN7rocprim17ROCPRIM_400000_NS6detail17trampoline_kernelINS0_14default_configENS1_33run_length_encode_config_selectorIajNS0_4plusIjEEEEZZNS1_33reduce_by_key_impl_wrapped_configILNS1_25lookback_scan_determinismE0ES3_S7_PKaNS0_17constant_iteratorIjlEEPaPlSF_S6_NS0_8equal_toIaEEEE10hipError_tPvRmT2_T3_mT4_T5_T6_T7_T8_P12ihipStream_tbENKUlT_T0_E_clISt17integral_constantIbLb0EESZ_EEDaSU_SV_EUlSU_E_NS1_11comp_targetILNS1_3genE4ELNS1_11target_archE910ELNS1_3gpuE8ELNS1_3repE0EEENS1_30default_config_static_selectorELNS0_4arch9wavefront6targetE0EEEvT1_,comdat
	.protected	_ZN7rocprim17ROCPRIM_400000_NS6detail17trampoline_kernelINS0_14default_configENS1_33run_length_encode_config_selectorIajNS0_4plusIjEEEEZZNS1_33reduce_by_key_impl_wrapped_configILNS1_25lookback_scan_determinismE0ES3_S7_PKaNS0_17constant_iteratorIjlEEPaPlSF_S6_NS0_8equal_toIaEEEE10hipError_tPvRmT2_T3_mT4_T5_T6_T7_T8_P12ihipStream_tbENKUlT_T0_E_clISt17integral_constantIbLb0EESZ_EEDaSU_SV_EUlSU_E_NS1_11comp_targetILNS1_3genE4ELNS1_11target_archE910ELNS1_3gpuE8ELNS1_3repE0EEENS1_30default_config_static_selectorELNS0_4arch9wavefront6targetE0EEEvT1_ ; -- Begin function _ZN7rocprim17ROCPRIM_400000_NS6detail17trampoline_kernelINS0_14default_configENS1_33run_length_encode_config_selectorIajNS0_4plusIjEEEEZZNS1_33reduce_by_key_impl_wrapped_configILNS1_25lookback_scan_determinismE0ES3_S7_PKaNS0_17constant_iteratorIjlEEPaPlSF_S6_NS0_8equal_toIaEEEE10hipError_tPvRmT2_T3_mT4_T5_T6_T7_T8_P12ihipStream_tbENKUlT_T0_E_clISt17integral_constantIbLb0EESZ_EEDaSU_SV_EUlSU_E_NS1_11comp_targetILNS1_3genE4ELNS1_11target_archE910ELNS1_3gpuE8ELNS1_3repE0EEENS1_30default_config_static_selectorELNS0_4arch9wavefront6targetE0EEEvT1_
	.globl	_ZN7rocprim17ROCPRIM_400000_NS6detail17trampoline_kernelINS0_14default_configENS1_33run_length_encode_config_selectorIajNS0_4plusIjEEEEZZNS1_33reduce_by_key_impl_wrapped_configILNS1_25lookback_scan_determinismE0ES3_S7_PKaNS0_17constant_iteratorIjlEEPaPlSF_S6_NS0_8equal_toIaEEEE10hipError_tPvRmT2_T3_mT4_T5_T6_T7_T8_P12ihipStream_tbENKUlT_T0_E_clISt17integral_constantIbLb0EESZ_EEDaSU_SV_EUlSU_E_NS1_11comp_targetILNS1_3genE4ELNS1_11target_archE910ELNS1_3gpuE8ELNS1_3repE0EEENS1_30default_config_static_selectorELNS0_4arch9wavefront6targetE0EEEvT1_
	.p2align	8
	.type	_ZN7rocprim17ROCPRIM_400000_NS6detail17trampoline_kernelINS0_14default_configENS1_33run_length_encode_config_selectorIajNS0_4plusIjEEEEZZNS1_33reduce_by_key_impl_wrapped_configILNS1_25lookback_scan_determinismE0ES3_S7_PKaNS0_17constant_iteratorIjlEEPaPlSF_S6_NS0_8equal_toIaEEEE10hipError_tPvRmT2_T3_mT4_T5_T6_T7_T8_P12ihipStream_tbENKUlT_T0_E_clISt17integral_constantIbLb0EESZ_EEDaSU_SV_EUlSU_E_NS1_11comp_targetILNS1_3genE4ELNS1_11target_archE910ELNS1_3gpuE8ELNS1_3repE0EEENS1_30default_config_static_selectorELNS0_4arch9wavefront6targetE0EEEvT1_,@function
_ZN7rocprim17ROCPRIM_400000_NS6detail17trampoline_kernelINS0_14default_configENS1_33run_length_encode_config_selectorIajNS0_4plusIjEEEEZZNS1_33reduce_by_key_impl_wrapped_configILNS1_25lookback_scan_determinismE0ES3_S7_PKaNS0_17constant_iteratorIjlEEPaPlSF_S6_NS0_8equal_toIaEEEE10hipError_tPvRmT2_T3_mT4_T5_T6_T7_T8_P12ihipStream_tbENKUlT_T0_E_clISt17integral_constantIbLb0EESZ_EEDaSU_SV_EUlSU_E_NS1_11comp_targetILNS1_3genE4ELNS1_11target_archE910ELNS1_3gpuE8ELNS1_3repE0EEENS1_30default_config_static_selectorELNS0_4arch9wavefront6targetE0EEEvT1_: ; @_ZN7rocprim17ROCPRIM_400000_NS6detail17trampoline_kernelINS0_14default_configENS1_33run_length_encode_config_selectorIajNS0_4plusIjEEEEZZNS1_33reduce_by_key_impl_wrapped_configILNS1_25lookback_scan_determinismE0ES3_S7_PKaNS0_17constant_iteratorIjlEEPaPlSF_S6_NS0_8equal_toIaEEEE10hipError_tPvRmT2_T3_mT4_T5_T6_T7_T8_P12ihipStream_tbENKUlT_T0_E_clISt17integral_constantIbLb0EESZ_EEDaSU_SV_EUlSU_E_NS1_11comp_targetILNS1_3genE4ELNS1_11target_archE910ELNS1_3gpuE8ELNS1_3repE0EEENS1_30default_config_static_selectorELNS0_4arch9wavefront6targetE0EEEvT1_
; %bb.0:
	.section	.rodata,"a",@progbits
	.p2align	6, 0x0
	.amdhsa_kernel _ZN7rocprim17ROCPRIM_400000_NS6detail17trampoline_kernelINS0_14default_configENS1_33run_length_encode_config_selectorIajNS0_4plusIjEEEEZZNS1_33reduce_by_key_impl_wrapped_configILNS1_25lookback_scan_determinismE0ES3_S7_PKaNS0_17constant_iteratorIjlEEPaPlSF_S6_NS0_8equal_toIaEEEE10hipError_tPvRmT2_T3_mT4_T5_T6_T7_T8_P12ihipStream_tbENKUlT_T0_E_clISt17integral_constantIbLb0EESZ_EEDaSU_SV_EUlSU_E_NS1_11comp_targetILNS1_3genE4ELNS1_11target_archE910ELNS1_3gpuE8ELNS1_3repE0EEENS1_30default_config_static_selectorELNS0_4arch9wavefront6targetE0EEEvT1_
		.amdhsa_group_segment_fixed_size 0
		.amdhsa_private_segment_fixed_size 0
		.amdhsa_kernarg_size 128
		.amdhsa_user_sgpr_count 2
		.amdhsa_user_sgpr_dispatch_ptr 0
		.amdhsa_user_sgpr_queue_ptr 0
		.amdhsa_user_sgpr_kernarg_segment_ptr 1
		.amdhsa_user_sgpr_dispatch_id 0
		.amdhsa_user_sgpr_kernarg_preload_length 0
		.amdhsa_user_sgpr_kernarg_preload_offset 0
		.amdhsa_user_sgpr_private_segment_size 0
		.amdhsa_wavefront_size32 1
		.amdhsa_uses_dynamic_stack 0
		.amdhsa_enable_private_segment 0
		.amdhsa_system_sgpr_workgroup_id_x 1
		.amdhsa_system_sgpr_workgroup_id_y 0
		.amdhsa_system_sgpr_workgroup_id_z 0
		.amdhsa_system_sgpr_workgroup_info 0
		.amdhsa_system_vgpr_workitem_id 0
		.amdhsa_next_free_vgpr 1
		.amdhsa_next_free_sgpr 1
		.amdhsa_named_barrier_count 0
		.amdhsa_reserve_vcc 0
		.amdhsa_float_round_mode_32 0
		.amdhsa_float_round_mode_16_64 0
		.amdhsa_float_denorm_mode_32 3
		.amdhsa_float_denorm_mode_16_64 3
		.amdhsa_fp16_overflow 0
		.amdhsa_memory_ordered 1
		.amdhsa_forward_progress 1
		.amdhsa_inst_pref_size 0
		.amdhsa_round_robin_scheduling 0
		.amdhsa_exception_fp_ieee_invalid_op 0
		.amdhsa_exception_fp_denorm_src 0
		.amdhsa_exception_fp_ieee_div_zero 0
		.amdhsa_exception_fp_ieee_overflow 0
		.amdhsa_exception_fp_ieee_underflow 0
		.amdhsa_exception_fp_ieee_inexact 0
		.amdhsa_exception_int_div_zero 0
	.end_amdhsa_kernel
	.section	.text._ZN7rocprim17ROCPRIM_400000_NS6detail17trampoline_kernelINS0_14default_configENS1_33run_length_encode_config_selectorIajNS0_4plusIjEEEEZZNS1_33reduce_by_key_impl_wrapped_configILNS1_25lookback_scan_determinismE0ES3_S7_PKaNS0_17constant_iteratorIjlEEPaPlSF_S6_NS0_8equal_toIaEEEE10hipError_tPvRmT2_T3_mT4_T5_T6_T7_T8_P12ihipStream_tbENKUlT_T0_E_clISt17integral_constantIbLb0EESZ_EEDaSU_SV_EUlSU_E_NS1_11comp_targetILNS1_3genE4ELNS1_11target_archE910ELNS1_3gpuE8ELNS1_3repE0EEENS1_30default_config_static_selectorELNS0_4arch9wavefront6targetE0EEEvT1_,"axG",@progbits,_ZN7rocprim17ROCPRIM_400000_NS6detail17trampoline_kernelINS0_14default_configENS1_33run_length_encode_config_selectorIajNS0_4plusIjEEEEZZNS1_33reduce_by_key_impl_wrapped_configILNS1_25lookback_scan_determinismE0ES3_S7_PKaNS0_17constant_iteratorIjlEEPaPlSF_S6_NS0_8equal_toIaEEEE10hipError_tPvRmT2_T3_mT4_T5_T6_T7_T8_P12ihipStream_tbENKUlT_T0_E_clISt17integral_constantIbLb0EESZ_EEDaSU_SV_EUlSU_E_NS1_11comp_targetILNS1_3genE4ELNS1_11target_archE910ELNS1_3gpuE8ELNS1_3repE0EEENS1_30default_config_static_selectorELNS0_4arch9wavefront6targetE0EEEvT1_,comdat
.Lfunc_end237:
	.size	_ZN7rocprim17ROCPRIM_400000_NS6detail17trampoline_kernelINS0_14default_configENS1_33run_length_encode_config_selectorIajNS0_4plusIjEEEEZZNS1_33reduce_by_key_impl_wrapped_configILNS1_25lookback_scan_determinismE0ES3_S7_PKaNS0_17constant_iteratorIjlEEPaPlSF_S6_NS0_8equal_toIaEEEE10hipError_tPvRmT2_T3_mT4_T5_T6_T7_T8_P12ihipStream_tbENKUlT_T0_E_clISt17integral_constantIbLb0EESZ_EEDaSU_SV_EUlSU_E_NS1_11comp_targetILNS1_3genE4ELNS1_11target_archE910ELNS1_3gpuE8ELNS1_3repE0EEENS1_30default_config_static_selectorELNS0_4arch9wavefront6targetE0EEEvT1_, .Lfunc_end237-_ZN7rocprim17ROCPRIM_400000_NS6detail17trampoline_kernelINS0_14default_configENS1_33run_length_encode_config_selectorIajNS0_4plusIjEEEEZZNS1_33reduce_by_key_impl_wrapped_configILNS1_25lookback_scan_determinismE0ES3_S7_PKaNS0_17constant_iteratorIjlEEPaPlSF_S6_NS0_8equal_toIaEEEE10hipError_tPvRmT2_T3_mT4_T5_T6_T7_T8_P12ihipStream_tbENKUlT_T0_E_clISt17integral_constantIbLb0EESZ_EEDaSU_SV_EUlSU_E_NS1_11comp_targetILNS1_3genE4ELNS1_11target_archE910ELNS1_3gpuE8ELNS1_3repE0EEENS1_30default_config_static_selectorELNS0_4arch9wavefront6targetE0EEEvT1_
                                        ; -- End function
	.set _ZN7rocprim17ROCPRIM_400000_NS6detail17trampoline_kernelINS0_14default_configENS1_33run_length_encode_config_selectorIajNS0_4plusIjEEEEZZNS1_33reduce_by_key_impl_wrapped_configILNS1_25lookback_scan_determinismE0ES3_S7_PKaNS0_17constant_iteratorIjlEEPaPlSF_S6_NS0_8equal_toIaEEEE10hipError_tPvRmT2_T3_mT4_T5_T6_T7_T8_P12ihipStream_tbENKUlT_T0_E_clISt17integral_constantIbLb0EESZ_EEDaSU_SV_EUlSU_E_NS1_11comp_targetILNS1_3genE4ELNS1_11target_archE910ELNS1_3gpuE8ELNS1_3repE0EEENS1_30default_config_static_selectorELNS0_4arch9wavefront6targetE0EEEvT1_.num_vgpr, 0
	.set _ZN7rocprim17ROCPRIM_400000_NS6detail17trampoline_kernelINS0_14default_configENS1_33run_length_encode_config_selectorIajNS0_4plusIjEEEEZZNS1_33reduce_by_key_impl_wrapped_configILNS1_25lookback_scan_determinismE0ES3_S7_PKaNS0_17constant_iteratorIjlEEPaPlSF_S6_NS0_8equal_toIaEEEE10hipError_tPvRmT2_T3_mT4_T5_T6_T7_T8_P12ihipStream_tbENKUlT_T0_E_clISt17integral_constantIbLb0EESZ_EEDaSU_SV_EUlSU_E_NS1_11comp_targetILNS1_3genE4ELNS1_11target_archE910ELNS1_3gpuE8ELNS1_3repE0EEENS1_30default_config_static_selectorELNS0_4arch9wavefront6targetE0EEEvT1_.num_agpr, 0
	.set _ZN7rocprim17ROCPRIM_400000_NS6detail17trampoline_kernelINS0_14default_configENS1_33run_length_encode_config_selectorIajNS0_4plusIjEEEEZZNS1_33reduce_by_key_impl_wrapped_configILNS1_25lookback_scan_determinismE0ES3_S7_PKaNS0_17constant_iteratorIjlEEPaPlSF_S6_NS0_8equal_toIaEEEE10hipError_tPvRmT2_T3_mT4_T5_T6_T7_T8_P12ihipStream_tbENKUlT_T0_E_clISt17integral_constantIbLb0EESZ_EEDaSU_SV_EUlSU_E_NS1_11comp_targetILNS1_3genE4ELNS1_11target_archE910ELNS1_3gpuE8ELNS1_3repE0EEENS1_30default_config_static_selectorELNS0_4arch9wavefront6targetE0EEEvT1_.numbered_sgpr, 0
	.set _ZN7rocprim17ROCPRIM_400000_NS6detail17trampoline_kernelINS0_14default_configENS1_33run_length_encode_config_selectorIajNS0_4plusIjEEEEZZNS1_33reduce_by_key_impl_wrapped_configILNS1_25lookback_scan_determinismE0ES3_S7_PKaNS0_17constant_iteratorIjlEEPaPlSF_S6_NS0_8equal_toIaEEEE10hipError_tPvRmT2_T3_mT4_T5_T6_T7_T8_P12ihipStream_tbENKUlT_T0_E_clISt17integral_constantIbLb0EESZ_EEDaSU_SV_EUlSU_E_NS1_11comp_targetILNS1_3genE4ELNS1_11target_archE910ELNS1_3gpuE8ELNS1_3repE0EEENS1_30default_config_static_selectorELNS0_4arch9wavefront6targetE0EEEvT1_.num_named_barrier, 0
	.set _ZN7rocprim17ROCPRIM_400000_NS6detail17trampoline_kernelINS0_14default_configENS1_33run_length_encode_config_selectorIajNS0_4plusIjEEEEZZNS1_33reduce_by_key_impl_wrapped_configILNS1_25lookback_scan_determinismE0ES3_S7_PKaNS0_17constant_iteratorIjlEEPaPlSF_S6_NS0_8equal_toIaEEEE10hipError_tPvRmT2_T3_mT4_T5_T6_T7_T8_P12ihipStream_tbENKUlT_T0_E_clISt17integral_constantIbLb0EESZ_EEDaSU_SV_EUlSU_E_NS1_11comp_targetILNS1_3genE4ELNS1_11target_archE910ELNS1_3gpuE8ELNS1_3repE0EEENS1_30default_config_static_selectorELNS0_4arch9wavefront6targetE0EEEvT1_.private_seg_size, 0
	.set _ZN7rocprim17ROCPRIM_400000_NS6detail17trampoline_kernelINS0_14default_configENS1_33run_length_encode_config_selectorIajNS0_4plusIjEEEEZZNS1_33reduce_by_key_impl_wrapped_configILNS1_25lookback_scan_determinismE0ES3_S7_PKaNS0_17constant_iteratorIjlEEPaPlSF_S6_NS0_8equal_toIaEEEE10hipError_tPvRmT2_T3_mT4_T5_T6_T7_T8_P12ihipStream_tbENKUlT_T0_E_clISt17integral_constantIbLb0EESZ_EEDaSU_SV_EUlSU_E_NS1_11comp_targetILNS1_3genE4ELNS1_11target_archE910ELNS1_3gpuE8ELNS1_3repE0EEENS1_30default_config_static_selectorELNS0_4arch9wavefront6targetE0EEEvT1_.uses_vcc, 0
	.set _ZN7rocprim17ROCPRIM_400000_NS6detail17trampoline_kernelINS0_14default_configENS1_33run_length_encode_config_selectorIajNS0_4plusIjEEEEZZNS1_33reduce_by_key_impl_wrapped_configILNS1_25lookback_scan_determinismE0ES3_S7_PKaNS0_17constant_iteratorIjlEEPaPlSF_S6_NS0_8equal_toIaEEEE10hipError_tPvRmT2_T3_mT4_T5_T6_T7_T8_P12ihipStream_tbENKUlT_T0_E_clISt17integral_constantIbLb0EESZ_EEDaSU_SV_EUlSU_E_NS1_11comp_targetILNS1_3genE4ELNS1_11target_archE910ELNS1_3gpuE8ELNS1_3repE0EEENS1_30default_config_static_selectorELNS0_4arch9wavefront6targetE0EEEvT1_.uses_flat_scratch, 0
	.set _ZN7rocprim17ROCPRIM_400000_NS6detail17trampoline_kernelINS0_14default_configENS1_33run_length_encode_config_selectorIajNS0_4plusIjEEEEZZNS1_33reduce_by_key_impl_wrapped_configILNS1_25lookback_scan_determinismE0ES3_S7_PKaNS0_17constant_iteratorIjlEEPaPlSF_S6_NS0_8equal_toIaEEEE10hipError_tPvRmT2_T3_mT4_T5_T6_T7_T8_P12ihipStream_tbENKUlT_T0_E_clISt17integral_constantIbLb0EESZ_EEDaSU_SV_EUlSU_E_NS1_11comp_targetILNS1_3genE4ELNS1_11target_archE910ELNS1_3gpuE8ELNS1_3repE0EEENS1_30default_config_static_selectorELNS0_4arch9wavefront6targetE0EEEvT1_.has_dyn_sized_stack, 0
	.set _ZN7rocprim17ROCPRIM_400000_NS6detail17trampoline_kernelINS0_14default_configENS1_33run_length_encode_config_selectorIajNS0_4plusIjEEEEZZNS1_33reduce_by_key_impl_wrapped_configILNS1_25lookback_scan_determinismE0ES3_S7_PKaNS0_17constant_iteratorIjlEEPaPlSF_S6_NS0_8equal_toIaEEEE10hipError_tPvRmT2_T3_mT4_T5_T6_T7_T8_P12ihipStream_tbENKUlT_T0_E_clISt17integral_constantIbLb0EESZ_EEDaSU_SV_EUlSU_E_NS1_11comp_targetILNS1_3genE4ELNS1_11target_archE910ELNS1_3gpuE8ELNS1_3repE0EEENS1_30default_config_static_selectorELNS0_4arch9wavefront6targetE0EEEvT1_.has_recursion, 0
	.set _ZN7rocprim17ROCPRIM_400000_NS6detail17trampoline_kernelINS0_14default_configENS1_33run_length_encode_config_selectorIajNS0_4plusIjEEEEZZNS1_33reduce_by_key_impl_wrapped_configILNS1_25lookback_scan_determinismE0ES3_S7_PKaNS0_17constant_iteratorIjlEEPaPlSF_S6_NS0_8equal_toIaEEEE10hipError_tPvRmT2_T3_mT4_T5_T6_T7_T8_P12ihipStream_tbENKUlT_T0_E_clISt17integral_constantIbLb0EESZ_EEDaSU_SV_EUlSU_E_NS1_11comp_targetILNS1_3genE4ELNS1_11target_archE910ELNS1_3gpuE8ELNS1_3repE0EEENS1_30default_config_static_selectorELNS0_4arch9wavefront6targetE0EEEvT1_.has_indirect_call, 0
	.section	.AMDGPU.csdata,"",@progbits
; Kernel info:
; codeLenInByte = 0
; TotalNumSgprs: 0
; NumVgprs: 0
; ScratchSize: 0
; MemoryBound: 0
; FloatMode: 240
; IeeeMode: 1
; LDSByteSize: 0 bytes/workgroup (compile time only)
; SGPRBlocks: 0
; VGPRBlocks: 0
; NumSGPRsForWavesPerEU: 1
; NumVGPRsForWavesPerEU: 1
; NamedBarCnt: 0
; Occupancy: 16
; WaveLimiterHint : 0
; COMPUTE_PGM_RSRC2:SCRATCH_EN: 0
; COMPUTE_PGM_RSRC2:USER_SGPR: 2
; COMPUTE_PGM_RSRC2:TRAP_HANDLER: 0
; COMPUTE_PGM_RSRC2:TGID_X_EN: 1
; COMPUTE_PGM_RSRC2:TGID_Y_EN: 0
; COMPUTE_PGM_RSRC2:TGID_Z_EN: 0
; COMPUTE_PGM_RSRC2:TIDIG_COMP_CNT: 0
	.section	.text._ZN7rocprim17ROCPRIM_400000_NS6detail17trampoline_kernelINS0_14default_configENS1_33run_length_encode_config_selectorIajNS0_4plusIjEEEEZZNS1_33reduce_by_key_impl_wrapped_configILNS1_25lookback_scan_determinismE0ES3_S7_PKaNS0_17constant_iteratorIjlEEPaPlSF_S6_NS0_8equal_toIaEEEE10hipError_tPvRmT2_T3_mT4_T5_T6_T7_T8_P12ihipStream_tbENKUlT_T0_E_clISt17integral_constantIbLb0EESZ_EEDaSU_SV_EUlSU_E_NS1_11comp_targetILNS1_3genE3ELNS1_11target_archE908ELNS1_3gpuE7ELNS1_3repE0EEENS1_30default_config_static_selectorELNS0_4arch9wavefront6targetE0EEEvT1_,"axG",@progbits,_ZN7rocprim17ROCPRIM_400000_NS6detail17trampoline_kernelINS0_14default_configENS1_33run_length_encode_config_selectorIajNS0_4plusIjEEEEZZNS1_33reduce_by_key_impl_wrapped_configILNS1_25lookback_scan_determinismE0ES3_S7_PKaNS0_17constant_iteratorIjlEEPaPlSF_S6_NS0_8equal_toIaEEEE10hipError_tPvRmT2_T3_mT4_T5_T6_T7_T8_P12ihipStream_tbENKUlT_T0_E_clISt17integral_constantIbLb0EESZ_EEDaSU_SV_EUlSU_E_NS1_11comp_targetILNS1_3genE3ELNS1_11target_archE908ELNS1_3gpuE7ELNS1_3repE0EEENS1_30default_config_static_selectorELNS0_4arch9wavefront6targetE0EEEvT1_,comdat
	.protected	_ZN7rocprim17ROCPRIM_400000_NS6detail17trampoline_kernelINS0_14default_configENS1_33run_length_encode_config_selectorIajNS0_4plusIjEEEEZZNS1_33reduce_by_key_impl_wrapped_configILNS1_25lookback_scan_determinismE0ES3_S7_PKaNS0_17constant_iteratorIjlEEPaPlSF_S6_NS0_8equal_toIaEEEE10hipError_tPvRmT2_T3_mT4_T5_T6_T7_T8_P12ihipStream_tbENKUlT_T0_E_clISt17integral_constantIbLb0EESZ_EEDaSU_SV_EUlSU_E_NS1_11comp_targetILNS1_3genE3ELNS1_11target_archE908ELNS1_3gpuE7ELNS1_3repE0EEENS1_30default_config_static_selectorELNS0_4arch9wavefront6targetE0EEEvT1_ ; -- Begin function _ZN7rocprim17ROCPRIM_400000_NS6detail17trampoline_kernelINS0_14default_configENS1_33run_length_encode_config_selectorIajNS0_4plusIjEEEEZZNS1_33reduce_by_key_impl_wrapped_configILNS1_25lookback_scan_determinismE0ES3_S7_PKaNS0_17constant_iteratorIjlEEPaPlSF_S6_NS0_8equal_toIaEEEE10hipError_tPvRmT2_T3_mT4_T5_T6_T7_T8_P12ihipStream_tbENKUlT_T0_E_clISt17integral_constantIbLb0EESZ_EEDaSU_SV_EUlSU_E_NS1_11comp_targetILNS1_3genE3ELNS1_11target_archE908ELNS1_3gpuE7ELNS1_3repE0EEENS1_30default_config_static_selectorELNS0_4arch9wavefront6targetE0EEEvT1_
	.globl	_ZN7rocprim17ROCPRIM_400000_NS6detail17trampoline_kernelINS0_14default_configENS1_33run_length_encode_config_selectorIajNS0_4plusIjEEEEZZNS1_33reduce_by_key_impl_wrapped_configILNS1_25lookback_scan_determinismE0ES3_S7_PKaNS0_17constant_iteratorIjlEEPaPlSF_S6_NS0_8equal_toIaEEEE10hipError_tPvRmT2_T3_mT4_T5_T6_T7_T8_P12ihipStream_tbENKUlT_T0_E_clISt17integral_constantIbLb0EESZ_EEDaSU_SV_EUlSU_E_NS1_11comp_targetILNS1_3genE3ELNS1_11target_archE908ELNS1_3gpuE7ELNS1_3repE0EEENS1_30default_config_static_selectorELNS0_4arch9wavefront6targetE0EEEvT1_
	.p2align	8
	.type	_ZN7rocprim17ROCPRIM_400000_NS6detail17trampoline_kernelINS0_14default_configENS1_33run_length_encode_config_selectorIajNS0_4plusIjEEEEZZNS1_33reduce_by_key_impl_wrapped_configILNS1_25lookback_scan_determinismE0ES3_S7_PKaNS0_17constant_iteratorIjlEEPaPlSF_S6_NS0_8equal_toIaEEEE10hipError_tPvRmT2_T3_mT4_T5_T6_T7_T8_P12ihipStream_tbENKUlT_T0_E_clISt17integral_constantIbLb0EESZ_EEDaSU_SV_EUlSU_E_NS1_11comp_targetILNS1_3genE3ELNS1_11target_archE908ELNS1_3gpuE7ELNS1_3repE0EEENS1_30default_config_static_selectorELNS0_4arch9wavefront6targetE0EEEvT1_,@function
_ZN7rocprim17ROCPRIM_400000_NS6detail17trampoline_kernelINS0_14default_configENS1_33run_length_encode_config_selectorIajNS0_4plusIjEEEEZZNS1_33reduce_by_key_impl_wrapped_configILNS1_25lookback_scan_determinismE0ES3_S7_PKaNS0_17constant_iteratorIjlEEPaPlSF_S6_NS0_8equal_toIaEEEE10hipError_tPvRmT2_T3_mT4_T5_T6_T7_T8_P12ihipStream_tbENKUlT_T0_E_clISt17integral_constantIbLb0EESZ_EEDaSU_SV_EUlSU_E_NS1_11comp_targetILNS1_3genE3ELNS1_11target_archE908ELNS1_3gpuE7ELNS1_3repE0EEENS1_30default_config_static_selectorELNS0_4arch9wavefront6targetE0EEEvT1_: ; @_ZN7rocprim17ROCPRIM_400000_NS6detail17trampoline_kernelINS0_14default_configENS1_33run_length_encode_config_selectorIajNS0_4plusIjEEEEZZNS1_33reduce_by_key_impl_wrapped_configILNS1_25lookback_scan_determinismE0ES3_S7_PKaNS0_17constant_iteratorIjlEEPaPlSF_S6_NS0_8equal_toIaEEEE10hipError_tPvRmT2_T3_mT4_T5_T6_T7_T8_P12ihipStream_tbENKUlT_T0_E_clISt17integral_constantIbLb0EESZ_EEDaSU_SV_EUlSU_E_NS1_11comp_targetILNS1_3genE3ELNS1_11target_archE908ELNS1_3gpuE7ELNS1_3repE0EEENS1_30default_config_static_selectorELNS0_4arch9wavefront6targetE0EEEvT1_
; %bb.0:
	.section	.rodata,"a",@progbits
	.p2align	6, 0x0
	.amdhsa_kernel _ZN7rocprim17ROCPRIM_400000_NS6detail17trampoline_kernelINS0_14default_configENS1_33run_length_encode_config_selectorIajNS0_4plusIjEEEEZZNS1_33reduce_by_key_impl_wrapped_configILNS1_25lookback_scan_determinismE0ES3_S7_PKaNS0_17constant_iteratorIjlEEPaPlSF_S6_NS0_8equal_toIaEEEE10hipError_tPvRmT2_T3_mT4_T5_T6_T7_T8_P12ihipStream_tbENKUlT_T0_E_clISt17integral_constantIbLb0EESZ_EEDaSU_SV_EUlSU_E_NS1_11comp_targetILNS1_3genE3ELNS1_11target_archE908ELNS1_3gpuE7ELNS1_3repE0EEENS1_30default_config_static_selectorELNS0_4arch9wavefront6targetE0EEEvT1_
		.amdhsa_group_segment_fixed_size 0
		.amdhsa_private_segment_fixed_size 0
		.amdhsa_kernarg_size 128
		.amdhsa_user_sgpr_count 2
		.amdhsa_user_sgpr_dispatch_ptr 0
		.amdhsa_user_sgpr_queue_ptr 0
		.amdhsa_user_sgpr_kernarg_segment_ptr 1
		.amdhsa_user_sgpr_dispatch_id 0
		.amdhsa_user_sgpr_kernarg_preload_length 0
		.amdhsa_user_sgpr_kernarg_preload_offset 0
		.amdhsa_user_sgpr_private_segment_size 0
		.amdhsa_wavefront_size32 1
		.amdhsa_uses_dynamic_stack 0
		.amdhsa_enable_private_segment 0
		.amdhsa_system_sgpr_workgroup_id_x 1
		.amdhsa_system_sgpr_workgroup_id_y 0
		.amdhsa_system_sgpr_workgroup_id_z 0
		.amdhsa_system_sgpr_workgroup_info 0
		.amdhsa_system_vgpr_workitem_id 0
		.amdhsa_next_free_vgpr 1
		.amdhsa_next_free_sgpr 1
		.amdhsa_named_barrier_count 0
		.amdhsa_reserve_vcc 0
		.amdhsa_float_round_mode_32 0
		.amdhsa_float_round_mode_16_64 0
		.amdhsa_float_denorm_mode_32 3
		.amdhsa_float_denorm_mode_16_64 3
		.amdhsa_fp16_overflow 0
		.amdhsa_memory_ordered 1
		.amdhsa_forward_progress 1
		.amdhsa_inst_pref_size 0
		.amdhsa_round_robin_scheduling 0
		.amdhsa_exception_fp_ieee_invalid_op 0
		.amdhsa_exception_fp_denorm_src 0
		.amdhsa_exception_fp_ieee_div_zero 0
		.amdhsa_exception_fp_ieee_overflow 0
		.amdhsa_exception_fp_ieee_underflow 0
		.amdhsa_exception_fp_ieee_inexact 0
		.amdhsa_exception_int_div_zero 0
	.end_amdhsa_kernel
	.section	.text._ZN7rocprim17ROCPRIM_400000_NS6detail17trampoline_kernelINS0_14default_configENS1_33run_length_encode_config_selectorIajNS0_4plusIjEEEEZZNS1_33reduce_by_key_impl_wrapped_configILNS1_25lookback_scan_determinismE0ES3_S7_PKaNS0_17constant_iteratorIjlEEPaPlSF_S6_NS0_8equal_toIaEEEE10hipError_tPvRmT2_T3_mT4_T5_T6_T7_T8_P12ihipStream_tbENKUlT_T0_E_clISt17integral_constantIbLb0EESZ_EEDaSU_SV_EUlSU_E_NS1_11comp_targetILNS1_3genE3ELNS1_11target_archE908ELNS1_3gpuE7ELNS1_3repE0EEENS1_30default_config_static_selectorELNS0_4arch9wavefront6targetE0EEEvT1_,"axG",@progbits,_ZN7rocprim17ROCPRIM_400000_NS6detail17trampoline_kernelINS0_14default_configENS1_33run_length_encode_config_selectorIajNS0_4plusIjEEEEZZNS1_33reduce_by_key_impl_wrapped_configILNS1_25lookback_scan_determinismE0ES3_S7_PKaNS0_17constant_iteratorIjlEEPaPlSF_S6_NS0_8equal_toIaEEEE10hipError_tPvRmT2_T3_mT4_T5_T6_T7_T8_P12ihipStream_tbENKUlT_T0_E_clISt17integral_constantIbLb0EESZ_EEDaSU_SV_EUlSU_E_NS1_11comp_targetILNS1_3genE3ELNS1_11target_archE908ELNS1_3gpuE7ELNS1_3repE0EEENS1_30default_config_static_selectorELNS0_4arch9wavefront6targetE0EEEvT1_,comdat
.Lfunc_end238:
	.size	_ZN7rocprim17ROCPRIM_400000_NS6detail17trampoline_kernelINS0_14default_configENS1_33run_length_encode_config_selectorIajNS0_4plusIjEEEEZZNS1_33reduce_by_key_impl_wrapped_configILNS1_25lookback_scan_determinismE0ES3_S7_PKaNS0_17constant_iteratorIjlEEPaPlSF_S6_NS0_8equal_toIaEEEE10hipError_tPvRmT2_T3_mT4_T5_T6_T7_T8_P12ihipStream_tbENKUlT_T0_E_clISt17integral_constantIbLb0EESZ_EEDaSU_SV_EUlSU_E_NS1_11comp_targetILNS1_3genE3ELNS1_11target_archE908ELNS1_3gpuE7ELNS1_3repE0EEENS1_30default_config_static_selectorELNS0_4arch9wavefront6targetE0EEEvT1_, .Lfunc_end238-_ZN7rocprim17ROCPRIM_400000_NS6detail17trampoline_kernelINS0_14default_configENS1_33run_length_encode_config_selectorIajNS0_4plusIjEEEEZZNS1_33reduce_by_key_impl_wrapped_configILNS1_25lookback_scan_determinismE0ES3_S7_PKaNS0_17constant_iteratorIjlEEPaPlSF_S6_NS0_8equal_toIaEEEE10hipError_tPvRmT2_T3_mT4_T5_T6_T7_T8_P12ihipStream_tbENKUlT_T0_E_clISt17integral_constantIbLb0EESZ_EEDaSU_SV_EUlSU_E_NS1_11comp_targetILNS1_3genE3ELNS1_11target_archE908ELNS1_3gpuE7ELNS1_3repE0EEENS1_30default_config_static_selectorELNS0_4arch9wavefront6targetE0EEEvT1_
                                        ; -- End function
	.set _ZN7rocprim17ROCPRIM_400000_NS6detail17trampoline_kernelINS0_14default_configENS1_33run_length_encode_config_selectorIajNS0_4plusIjEEEEZZNS1_33reduce_by_key_impl_wrapped_configILNS1_25lookback_scan_determinismE0ES3_S7_PKaNS0_17constant_iteratorIjlEEPaPlSF_S6_NS0_8equal_toIaEEEE10hipError_tPvRmT2_T3_mT4_T5_T6_T7_T8_P12ihipStream_tbENKUlT_T0_E_clISt17integral_constantIbLb0EESZ_EEDaSU_SV_EUlSU_E_NS1_11comp_targetILNS1_3genE3ELNS1_11target_archE908ELNS1_3gpuE7ELNS1_3repE0EEENS1_30default_config_static_selectorELNS0_4arch9wavefront6targetE0EEEvT1_.num_vgpr, 0
	.set _ZN7rocprim17ROCPRIM_400000_NS6detail17trampoline_kernelINS0_14default_configENS1_33run_length_encode_config_selectorIajNS0_4plusIjEEEEZZNS1_33reduce_by_key_impl_wrapped_configILNS1_25lookback_scan_determinismE0ES3_S7_PKaNS0_17constant_iteratorIjlEEPaPlSF_S6_NS0_8equal_toIaEEEE10hipError_tPvRmT2_T3_mT4_T5_T6_T7_T8_P12ihipStream_tbENKUlT_T0_E_clISt17integral_constantIbLb0EESZ_EEDaSU_SV_EUlSU_E_NS1_11comp_targetILNS1_3genE3ELNS1_11target_archE908ELNS1_3gpuE7ELNS1_3repE0EEENS1_30default_config_static_selectorELNS0_4arch9wavefront6targetE0EEEvT1_.num_agpr, 0
	.set _ZN7rocprim17ROCPRIM_400000_NS6detail17trampoline_kernelINS0_14default_configENS1_33run_length_encode_config_selectorIajNS0_4plusIjEEEEZZNS1_33reduce_by_key_impl_wrapped_configILNS1_25lookback_scan_determinismE0ES3_S7_PKaNS0_17constant_iteratorIjlEEPaPlSF_S6_NS0_8equal_toIaEEEE10hipError_tPvRmT2_T3_mT4_T5_T6_T7_T8_P12ihipStream_tbENKUlT_T0_E_clISt17integral_constantIbLb0EESZ_EEDaSU_SV_EUlSU_E_NS1_11comp_targetILNS1_3genE3ELNS1_11target_archE908ELNS1_3gpuE7ELNS1_3repE0EEENS1_30default_config_static_selectorELNS0_4arch9wavefront6targetE0EEEvT1_.numbered_sgpr, 0
	.set _ZN7rocprim17ROCPRIM_400000_NS6detail17trampoline_kernelINS0_14default_configENS1_33run_length_encode_config_selectorIajNS0_4plusIjEEEEZZNS1_33reduce_by_key_impl_wrapped_configILNS1_25lookback_scan_determinismE0ES3_S7_PKaNS0_17constant_iteratorIjlEEPaPlSF_S6_NS0_8equal_toIaEEEE10hipError_tPvRmT2_T3_mT4_T5_T6_T7_T8_P12ihipStream_tbENKUlT_T0_E_clISt17integral_constantIbLb0EESZ_EEDaSU_SV_EUlSU_E_NS1_11comp_targetILNS1_3genE3ELNS1_11target_archE908ELNS1_3gpuE7ELNS1_3repE0EEENS1_30default_config_static_selectorELNS0_4arch9wavefront6targetE0EEEvT1_.num_named_barrier, 0
	.set _ZN7rocprim17ROCPRIM_400000_NS6detail17trampoline_kernelINS0_14default_configENS1_33run_length_encode_config_selectorIajNS0_4plusIjEEEEZZNS1_33reduce_by_key_impl_wrapped_configILNS1_25lookback_scan_determinismE0ES3_S7_PKaNS0_17constant_iteratorIjlEEPaPlSF_S6_NS0_8equal_toIaEEEE10hipError_tPvRmT2_T3_mT4_T5_T6_T7_T8_P12ihipStream_tbENKUlT_T0_E_clISt17integral_constantIbLb0EESZ_EEDaSU_SV_EUlSU_E_NS1_11comp_targetILNS1_3genE3ELNS1_11target_archE908ELNS1_3gpuE7ELNS1_3repE0EEENS1_30default_config_static_selectorELNS0_4arch9wavefront6targetE0EEEvT1_.private_seg_size, 0
	.set _ZN7rocprim17ROCPRIM_400000_NS6detail17trampoline_kernelINS0_14default_configENS1_33run_length_encode_config_selectorIajNS0_4plusIjEEEEZZNS1_33reduce_by_key_impl_wrapped_configILNS1_25lookback_scan_determinismE0ES3_S7_PKaNS0_17constant_iteratorIjlEEPaPlSF_S6_NS0_8equal_toIaEEEE10hipError_tPvRmT2_T3_mT4_T5_T6_T7_T8_P12ihipStream_tbENKUlT_T0_E_clISt17integral_constantIbLb0EESZ_EEDaSU_SV_EUlSU_E_NS1_11comp_targetILNS1_3genE3ELNS1_11target_archE908ELNS1_3gpuE7ELNS1_3repE0EEENS1_30default_config_static_selectorELNS0_4arch9wavefront6targetE0EEEvT1_.uses_vcc, 0
	.set _ZN7rocprim17ROCPRIM_400000_NS6detail17trampoline_kernelINS0_14default_configENS1_33run_length_encode_config_selectorIajNS0_4plusIjEEEEZZNS1_33reduce_by_key_impl_wrapped_configILNS1_25lookback_scan_determinismE0ES3_S7_PKaNS0_17constant_iteratorIjlEEPaPlSF_S6_NS0_8equal_toIaEEEE10hipError_tPvRmT2_T3_mT4_T5_T6_T7_T8_P12ihipStream_tbENKUlT_T0_E_clISt17integral_constantIbLb0EESZ_EEDaSU_SV_EUlSU_E_NS1_11comp_targetILNS1_3genE3ELNS1_11target_archE908ELNS1_3gpuE7ELNS1_3repE0EEENS1_30default_config_static_selectorELNS0_4arch9wavefront6targetE0EEEvT1_.uses_flat_scratch, 0
	.set _ZN7rocprim17ROCPRIM_400000_NS6detail17trampoline_kernelINS0_14default_configENS1_33run_length_encode_config_selectorIajNS0_4plusIjEEEEZZNS1_33reduce_by_key_impl_wrapped_configILNS1_25lookback_scan_determinismE0ES3_S7_PKaNS0_17constant_iteratorIjlEEPaPlSF_S6_NS0_8equal_toIaEEEE10hipError_tPvRmT2_T3_mT4_T5_T6_T7_T8_P12ihipStream_tbENKUlT_T0_E_clISt17integral_constantIbLb0EESZ_EEDaSU_SV_EUlSU_E_NS1_11comp_targetILNS1_3genE3ELNS1_11target_archE908ELNS1_3gpuE7ELNS1_3repE0EEENS1_30default_config_static_selectorELNS0_4arch9wavefront6targetE0EEEvT1_.has_dyn_sized_stack, 0
	.set _ZN7rocprim17ROCPRIM_400000_NS6detail17trampoline_kernelINS0_14default_configENS1_33run_length_encode_config_selectorIajNS0_4plusIjEEEEZZNS1_33reduce_by_key_impl_wrapped_configILNS1_25lookback_scan_determinismE0ES3_S7_PKaNS0_17constant_iteratorIjlEEPaPlSF_S6_NS0_8equal_toIaEEEE10hipError_tPvRmT2_T3_mT4_T5_T6_T7_T8_P12ihipStream_tbENKUlT_T0_E_clISt17integral_constantIbLb0EESZ_EEDaSU_SV_EUlSU_E_NS1_11comp_targetILNS1_3genE3ELNS1_11target_archE908ELNS1_3gpuE7ELNS1_3repE0EEENS1_30default_config_static_selectorELNS0_4arch9wavefront6targetE0EEEvT1_.has_recursion, 0
	.set _ZN7rocprim17ROCPRIM_400000_NS6detail17trampoline_kernelINS0_14default_configENS1_33run_length_encode_config_selectorIajNS0_4plusIjEEEEZZNS1_33reduce_by_key_impl_wrapped_configILNS1_25lookback_scan_determinismE0ES3_S7_PKaNS0_17constant_iteratorIjlEEPaPlSF_S6_NS0_8equal_toIaEEEE10hipError_tPvRmT2_T3_mT4_T5_T6_T7_T8_P12ihipStream_tbENKUlT_T0_E_clISt17integral_constantIbLb0EESZ_EEDaSU_SV_EUlSU_E_NS1_11comp_targetILNS1_3genE3ELNS1_11target_archE908ELNS1_3gpuE7ELNS1_3repE0EEENS1_30default_config_static_selectorELNS0_4arch9wavefront6targetE0EEEvT1_.has_indirect_call, 0
	.section	.AMDGPU.csdata,"",@progbits
; Kernel info:
; codeLenInByte = 0
; TotalNumSgprs: 0
; NumVgprs: 0
; ScratchSize: 0
; MemoryBound: 0
; FloatMode: 240
; IeeeMode: 1
; LDSByteSize: 0 bytes/workgroup (compile time only)
; SGPRBlocks: 0
; VGPRBlocks: 0
; NumSGPRsForWavesPerEU: 1
; NumVGPRsForWavesPerEU: 1
; NamedBarCnt: 0
; Occupancy: 16
; WaveLimiterHint : 0
; COMPUTE_PGM_RSRC2:SCRATCH_EN: 0
; COMPUTE_PGM_RSRC2:USER_SGPR: 2
; COMPUTE_PGM_RSRC2:TRAP_HANDLER: 0
; COMPUTE_PGM_RSRC2:TGID_X_EN: 1
; COMPUTE_PGM_RSRC2:TGID_Y_EN: 0
; COMPUTE_PGM_RSRC2:TGID_Z_EN: 0
; COMPUTE_PGM_RSRC2:TIDIG_COMP_CNT: 0
	.section	.text._ZN7rocprim17ROCPRIM_400000_NS6detail17trampoline_kernelINS0_14default_configENS1_33run_length_encode_config_selectorIajNS0_4plusIjEEEEZZNS1_33reduce_by_key_impl_wrapped_configILNS1_25lookback_scan_determinismE0ES3_S7_PKaNS0_17constant_iteratorIjlEEPaPlSF_S6_NS0_8equal_toIaEEEE10hipError_tPvRmT2_T3_mT4_T5_T6_T7_T8_P12ihipStream_tbENKUlT_T0_E_clISt17integral_constantIbLb0EESZ_EEDaSU_SV_EUlSU_E_NS1_11comp_targetILNS1_3genE2ELNS1_11target_archE906ELNS1_3gpuE6ELNS1_3repE0EEENS1_30default_config_static_selectorELNS0_4arch9wavefront6targetE0EEEvT1_,"axG",@progbits,_ZN7rocprim17ROCPRIM_400000_NS6detail17trampoline_kernelINS0_14default_configENS1_33run_length_encode_config_selectorIajNS0_4plusIjEEEEZZNS1_33reduce_by_key_impl_wrapped_configILNS1_25lookback_scan_determinismE0ES3_S7_PKaNS0_17constant_iteratorIjlEEPaPlSF_S6_NS0_8equal_toIaEEEE10hipError_tPvRmT2_T3_mT4_T5_T6_T7_T8_P12ihipStream_tbENKUlT_T0_E_clISt17integral_constantIbLb0EESZ_EEDaSU_SV_EUlSU_E_NS1_11comp_targetILNS1_3genE2ELNS1_11target_archE906ELNS1_3gpuE6ELNS1_3repE0EEENS1_30default_config_static_selectorELNS0_4arch9wavefront6targetE0EEEvT1_,comdat
	.protected	_ZN7rocprim17ROCPRIM_400000_NS6detail17trampoline_kernelINS0_14default_configENS1_33run_length_encode_config_selectorIajNS0_4plusIjEEEEZZNS1_33reduce_by_key_impl_wrapped_configILNS1_25lookback_scan_determinismE0ES3_S7_PKaNS0_17constant_iteratorIjlEEPaPlSF_S6_NS0_8equal_toIaEEEE10hipError_tPvRmT2_T3_mT4_T5_T6_T7_T8_P12ihipStream_tbENKUlT_T0_E_clISt17integral_constantIbLb0EESZ_EEDaSU_SV_EUlSU_E_NS1_11comp_targetILNS1_3genE2ELNS1_11target_archE906ELNS1_3gpuE6ELNS1_3repE0EEENS1_30default_config_static_selectorELNS0_4arch9wavefront6targetE0EEEvT1_ ; -- Begin function _ZN7rocprim17ROCPRIM_400000_NS6detail17trampoline_kernelINS0_14default_configENS1_33run_length_encode_config_selectorIajNS0_4plusIjEEEEZZNS1_33reduce_by_key_impl_wrapped_configILNS1_25lookback_scan_determinismE0ES3_S7_PKaNS0_17constant_iteratorIjlEEPaPlSF_S6_NS0_8equal_toIaEEEE10hipError_tPvRmT2_T3_mT4_T5_T6_T7_T8_P12ihipStream_tbENKUlT_T0_E_clISt17integral_constantIbLb0EESZ_EEDaSU_SV_EUlSU_E_NS1_11comp_targetILNS1_3genE2ELNS1_11target_archE906ELNS1_3gpuE6ELNS1_3repE0EEENS1_30default_config_static_selectorELNS0_4arch9wavefront6targetE0EEEvT1_
	.globl	_ZN7rocprim17ROCPRIM_400000_NS6detail17trampoline_kernelINS0_14default_configENS1_33run_length_encode_config_selectorIajNS0_4plusIjEEEEZZNS1_33reduce_by_key_impl_wrapped_configILNS1_25lookback_scan_determinismE0ES3_S7_PKaNS0_17constant_iteratorIjlEEPaPlSF_S6_NS0_8equal_toIaEEEE10hipError_tPvRmT2_T3_mT4_T5_T6_T7_T8_P12ihipStream_tbENKUlT_T0_E_clISt17integral_constantIbLb0EESZ_EEDaSU_SV_EUlSU_E_NS1_11comp_targetILNS1_3genE2ELNS1_11target_archE906ELNS1_3gpuE6ELNS1_3repE0EEENS1_30default_config_static_selectorELNS0_4arch9wavefront6targetE0EEEvT1_
	.p2align	8
	.type	_ZN7rocprim17ROCPRIM_400000_NS6detail17trampoline_kernelINS0_14default_configENS1_33run_length_encode_config_selectorIajNS0_4plusIjEEEEZZNS1_33reduce_by_key_impl_wrapped_configILNS1_25lookback_scan_determinismE0ES3_S7_PKaNS0_17constant_iteratorIjlEEPaPlSF_S6_NS0_8equal_toIaEEEE10hipError_tPvRmT2_T3_mT4_T5_T6_T7_T8_P12ihipStream_tbENKUlT_T0_E_clISt17integral_constantIbLb0EESZ_EEDaSU_SV_EUlSU_E_NS1_11comp_targetILNS1_3genE2ELNS1_11target_archE906ELNS1_3gpuE6ELNS1_3repE0EEENS1_30default_config_static_selectorELNS0_4arch9wavefront6targetE0EEEvT1_,@function
_ZN7rocprim17ROCPRIM_400000_NS6detail17trampoline_kernelINS0_14default_configENS1_33run_length_encode_config_selectorIajNS0_4plusIjEEEEZZNS1_33reduce_by_key_impl_wrapped_configILNS1_25lookback_scan_determinismE0ES3_S7_PKaNS0_17constant_iteratorIjlEEPaPlSF_S6_NS0_8equal_toIaEEEE10hipError_tPvRmT2_T3_mT4_T5_T6_T7_T8_P12ihipStream_tbENKUlT_T0_E_clISt17integral_constantIbLb0EESZ_EEDaSU_SV_EUlSU_E_NS1_11comp_targetILNS1_3genE2ELNS1_11target_archE906ELNS1_3gpuE6ELNS1_3repE0EEENS1_30default_config_static_selectorELNS0_4arch9wavefront6targetE0EEEvT1_: ; @_ZN7rocprim17ROCPRIM_400000_NS6detail17trampoline_kernelINS0_14default_configENS1_33run_length_encode_config_selectorIajNS0_4plusIjEEEEZZNS1_33reduce_by_key_impl_wrapped_configILNS1_25lookback_scan_determinismE0ES3_S7_PKaNS0_17constant_iteratorIjlEEPaPlSF_S6_NS0_8equal_toIaEEEE10hipError_tPvRmT2_T3_mT4_T5_T6_T7_T8_P12ihipStream_tbENKUlT_T0_E_clISt17integral_constantIbLb0EESZ_EEDaSU_SV_EUlSU_E_NS1_11comp_targetILNS1_3genE2ELNS1_11target_archE906ELNS1_3gpuE6ELNS1_3repE0EEENS1_30default_config_static_selectorELNS0_4arch9wavefront6targetE0EEEvT1_
; %bb.0:
	.section	.rodata,"a",@progbits
	.p2align	6, 0x0
	.amdhsa_kernel _ZN7rocprim17ROCPRIM_400000_NS6detail17trampoline_kernelINS0_14default_configENS1_33run_length_encode_config_selectorIajNS0_4plusIjEEEEZZNS1_33reduce_by_key_impl_wrapped_configILNS1_25lookback_scan_determinismE0ES3_S7_PKaNS0_17constant_iteratorIjlEEPaPlSF_S6_NS0_8equal_toIaEEEE10hipError_tPvRmT2_T3_mT4_T5_T6_T7_T8_P12ihipStream_tbENKUlT_T0_E_clISt17integral_constantIbLb0EESZ_EEDaSU_SV_EUlSU_E_NS1_11comp_targetILNS1_3genE2ELNS1_11target_archE906ELNS1_3gpuE6ELNS1_3repE0EEENS1_30default_config_static_selectorELNS0_4arch9wavefront6targetE0EEEvT1_
		.amdhsa_group_segment_fixed_size 0
		.amdhsa_private_segment_fixed_size 0
		.amdhsa_kernarg_size 128
		.amdhsa_user_sgpr_count 2
		.amdhsa_user_sgpr_dispatch_ptr 0
		.amdhsa_user_sgpr_queue_ptr 0
		.amdhsa_user_sgpr_kernarg_segment_ptr 1
		.amdhsa_user_sgpr_dispatch_id 0
		.amdhsa_user_sgpr_kernarg_preload_length 0
		.amdhsa_user_sgpr_kernarg_preload_offset 0
		.amdhsa_user_sgpr_private_segment_size 0
		.amdhsa_wavefront_size32 1
		.amdhsa_uses_dynamic_stack 0
		.amdhsa_enable_private_segment 0
		.amdhsa_system_sgpr_workgroup_id_x 1
		.amdhsa_system_sgpr_workgroup_id_y 0
		.amdhsa_system_sgpr_workgroup_id_z 0
		.amdhsa_system_sgpr_workgroup_info 0
		.amdhsa_system_vgpr_workitem_id 0
		.amdhsa_next_free_vgpr 1
		.amdhsa_next_free_sgpr 1
		.amdhsa_named_barrier_count 0
		.amdhsa_reserve_vcc 0
		.amdhsa_float_round_mode_32 0
		.amdhsa_float_round_mode_16_64 0
		.amdhsa_float_denorm_mode_32 3
		.amdhsa_float_denorm_mode_16_64 3
		.amdhsa_fp16_overflow 0
		.amdhsa_memory_ordered 1
		.amdhsa_forward_progress 1
		.amdhsa_inst_pref_size 0
		.amdhsa_round_robin_scheduling 0
		.amdhsa_exception_fp_ieee_invalid_op 0
		.amdhsa_exception_fp_denorm_src 0
		.amdhsa_exception_fp_ieee_div_zero 0
		.amdhsa_exception_fp_ieee_overflow 0
		.amdhsa_exception_fp_ieee_underflow 0
		.amdhsa_exception_fp_ieee_inexact 0
		.amdhsa_exception_int_div_zero 0
	.end_amdhsa_kernel
	.section	.text._ZN7rocprim17ROCPRIM_400000_NS6detail17trampoline_kernelINS0_14default_configENS1_33run_length_encode_config_selectorIajNS0_4plusIjEEEEZZNS1_33reduce_by_key_impl_wrapped_configILNS1_25lookback_scan_determinismE0ES3_S7_PKaNS0_17constant_iteratorIjlEEPaPlSF_S6_NS0_8equal_toIaEEEE10hipError_tPvRmT2_T3_mT4_T5_T6_T7_T8_P12ihipStream_tbENKUlT_T0_E_clISt17integral_constantIbLb0EESZ_EEDaSU_SV_EUlSU_E_NS1_11comp_targetILNS1_3genE2ELNS1_11target_archE906ELNS1_3gpuE6ELNS1_3repE0EEENS1_30default_config_static_selectorELNS0_4arch9wavefront6targetE0EEEvT1_,"axG",@progbits,_ZN7rocprim17ROCPRIM_400000_NS6detail17trampoline_kernelINS0_14default_configENS1_33run_length_encode_config_selectorIajNS0_4plusIjEEEEZZNS1_33reduce_by_key_impl_wrapped_configILNS1_25lookback_scan_determinismE0ES3_S7_PKaNS0_17constant_iteratorIjlEEPaPlSF_S6_NS0_8equal_toIaEEEE10hipError_tPvRmT2_T3_mT4_T5_T6_T7_T8_P12ihipStream_tbENKUlT_T0_E_clISt17integral_constantIbLb0EESZ_EEDaSU_SV_EUlSU_E_NS1_11comp_targetILNS1_3genE2ELNS1_11target_archE906ELNS1_3gpuE6ELNS1_3repE0EEENS1_30default_config_static_selectorELNS0_4arch9wavefront6targetE0EEEvT1_,comdat
.Lfunc_end239:
	.size	_ZN7rocprim17ROCPRIM_400000_NS6detail17trampoline_kernelINS0_14default_configENS1_33run_length_encode_config_selectorIajNS0_4plusIjEEEEZZNS1_33reduce_by_key_impl_wrapped_configILNS1_25lookback_scan_determinismE0ES3_S7_PKaNS0_17constant_iteratorIjlEEPaPlSF_S6_NS0_8equal_toIaEEEE10hipError_tPvRmT2_T3_mT4_T5_T6_T7_T8_P12ihipStream_tbENKUlT_T0_E_clISt17integral_constantIbLb0EESZ_EEDaSU_SV_EUlSU_E_NS1_11comp_targetILNS1_3genE2ELNS1_11target_archE906ELNS1_3gpuE6ELNS1_3repE0EEENS1_30default_config_static_selectorELNS0_4arch9wavefront6targetE0EEEvT1_, .Lfunc_end239-_ZN7rocprim17ROCPRIM_400000_NS6detail17trampoline_kernelINS0_14default_configENS1_33run_length_encode_config_selectorIajNS0_4plusIjEEEEZZNS1_33reduce_by_key_impl_wrapped_configILNS1_25lookback_scan_determinismE0ES3_S7_PKaNS0_17constant_iteratorIjlEEPaPlSF_S6_NS0_8equal_toIaEEEE10hipError_tPvRmT2_T3_mT4_T5_T6_T7_T8_P12ihipStream_tbENKUlT_T0_E_clISt17integral_constantIbLb0EESZ_EEDaSU_SV_EUlSU_E_NS1_11comp_targetILNS1_3genE2ELNS1_11target_archE906ELNS1_3gpuE6ELNS1_3repE0EEENS1_30default_config_static_selectorELNS0_4arch9wavefront6targetE0EEEvT1_
                                        ; -- End function
	.set _ZN7rocprim17ROCPRIM_400000_NS6detail17trampoline_kernelINS0_14default_configENS1_33run_length_encode_config_selectorIajNS0_4plusIjEEEEZZNS1_33reduce_by_key_impl_wrapped_configILNS1_25lookback_scan_determinismE0ES3_S7_PKaNS0_17constant_iteratorIjlEEPaPlSF_S6_NS0_8equal_toIaEEEE10hipError_tPvRmT2_T3_mT4_T5_T6_T7_T8_P12ihipStream_tbENKUlT_T0_E_clISt17integral_constantIbLb0EESZ_EEDaSU_SV_EUlSU_E_NS1_11comp_targetILNS1_3genE2ELNS1_11target_archE906ELNS1_3gpuE6ELNS1_3repE0EEENS1_30default_config_static_selectorELNS0_4arch9wavefront6targetE0EEEvT1_.num_vgpr, 0
	.set _ZN7rocprim17ROCPRIM_400000_NS6detail17trampoline_kernelINS0_14default_configENS1_33run_length_encode_config_selectorIajNS0_4plusIjEEEEZZNS1_33reduce_by_key_impl_wrapped_configILNS1_25lookback_scan_determinismE0ES3_S7_PKaNS0_17constant_iteratorIjlEEPaPlSF_S6_NS0_8equal_toIaEEEE10hipError_tPvRmT2_T3_mT4_T5_T6_T7_T8_P12ihipStream_tbENKUlT_T0_E_clISt17integral_constantIbLb0EESZ_EEDaSU_SV_EUlSU_E_NS1_11comp_targetILNS1_3genE2ELNS1_11target_archE906ELNS1_3gpuE6ELNS1_3repE0EEENS1_30default_config_static_selectorELNS0_4arch9wavefront6targetE0EEEvT1_.num_agpr, 0
	.set _ZN7rocprim17ROCPRIM_400000_NS6detail17trampoline_kernelINS0_14default_configENS1_33run_length_encode_config_selectorIajNS0_4plusIjEEEEZZNS1_33reduce_by_key_impl_wrapped_configILNS1_25lookback_scan_determinismE0ES3_S7_PKaNS0_17constant_iteratorIjlEEPaPlSF_S6_NS0_8equal_toIaEEEE10hipError_tPvRmT2_T3_mT4_T5_T6_T7_T8_P12ihipStream_tbENKUlT_T0_E_clISt17integral_constantIbLb0EESZ_EEDaSU_SV_EUlSU_E_NS1_11comp_targetILNS1_3genE2ELNS1_11target_archE906ELNS1_3gpuE6ELNS1_3repE0EEENS1_30default_config_static_selectorELNS0_4arch9wavefront6targetE0EEEvT1_.numbered_sgpr, 0
	.set _ZN7rocprim17ROCPRIM_400000_NS6detail17trampoline_kernelINS0_14default_configENS1_33run_length_encode_config_selectorIajNS0_4plusIjEEEEZZNS1_33reduce_by_key_impl_wrapped_configILNS1_25lookback_scan_determinismE0ES3_S7_PKaNS0_17constant_iteratorIjlEEPaPlSF_S6_NS0_8equal_toIaEEEE10hipError_tPvRmT2_T3_mT4_T5_T6_T7_T8_P12ihipStream_tbENKUlT_T0_E_clISt17integral_constantIbLb0EESZ_EEDaSU_SV_EUlSU_E_NS1_11comp_targetILNS1_3genE2ELNS1_11target_archE906ELNS1_3gpuE6ELNS1_3repE0EEENS1_30default_config_static_selectorELNS0_4arch9wavefront6targetE0EEEvT1_.num_named_barrier, 0
	.set _ZN7rocprim17ROCPRIM_400000_NS6detail17trampoline_kernelINS0_14default_configENS1_33run_length_encode_config_selectorIajNS0_4plusIjEEEEZZNS1_33reduce_by_key_impl_wrapped_configILNS1_25lookback_scan_determinismE0ES3_S7_PKaNS0_17constant_iteratorIjlEEPaPlSF_S6_NS0_8equal_toIaEEEE10hipError_tPvRmT2_T3_mT4_T5_T6_T7_T8_P12ihipStream_tbENKUlT_T0_E_clISt17integral_constantIbLb0EESZ_EEDaSU_SV_EUlSU_E_NS1_11comp_targetILNS1_3genE2ELNS1_11target_archE906ELNS1_3gpuE6ELNS1_3repE0EEENS1_30default_config_static_selectorELNS0_4arch9wavefront6targetE0EEEvT1_.private_seg_size, 0
	.set _ZN7rocprim17ROCPRIM_400000_NS6detail17trampoline_kernelINS0_14default_configENS1_33run_length_encode_config_selectorIajNS0_4plusIjEEEEZZNS1_33reduce_by_key_impl_wrapped_configILNS1_25lookback_scan_determinismE0ES3_S7_PKaNS0_17constant_iteratorIjlEEPaPlSF_S6_NS0_8equal_toIaEEEE10hipError_tPvRmT2_T3_mT4_T5_T6_T7_T8_P12ihipStream_tbENKUlT_T0_E_clISt17integral_constantIbLb0EESZ_EEDaSU_SV_EUlSU_E_NS1_11comp_targetILNS1_3genE2ELNS1_11target_archE906ELNS1_3gpuE6ELNS1_3repE0EEENS1_30default_config_static_selectorELNS0_4arch9wavefront6targetE0EEEvT1_.uses_vcc, 0
	.set _ZN7rocprim17ROCPRIM_400000_NS6detail17trampoline_kernelINS0_14default_configENS1_33run_length_encode_config_selectorIajNS0_4plusIjEEEEZZNS1_33reduce_by_key_impl_wrapped_configILNS1_25lookback_scan_determinismE0ES3_S7_PKaNS0_17constant_iteratorIjlEEPaPlSF_S6_NS0_8equal_toIaEEEE10hipError_tPvRmT2_T3_mT4_T5_T6_T7_T8_P12ihipStream_tbENKUlT_T0_E_clISt17integral_constantIbLb0EESZ_EEDaSU_SV_EUlSU_E_NS1_11comp_targetILNS1_3genE2ELNS1_11target_archE906ELNS1_3gpuE6ELNS1_3repE0EEENS1_30default_config_static_selectorELNS0_4arch9wavefront6targetE0EEEvT1_.uses_flat_scratch, 0
	.set _ZN7rocprim17ROCPRIM_400000_NS6detail17trampoline_kernelINS0_14default_configENS1_33run_length_encode_config_selectorIajNS0_4plusIjEEEEZZNS1_33reduce_by_key_impl_wrapped_configILNS1_25lookback_scan_determinismE0ES3_S7_PKaNS0_17constant_iteratorIjlEEPaPlSF_S6_NS0_8equal_toIaEEEE10hipError_tPvRmT2_T3_mT4_T5_T6_T7_T8_P12ihipStream_tbENKUlT_T0_E_clISt17integral_constantIbLb0EESZ_EEDaSU_SV_EUlSU_E_NS1_11comp_targetILNS1_3genE2ELNS1_11target_archE906ELNS1_3gpuE6ELNS1_3repE0EEENS1_30default_config_static_selectorELNS0_4arch9wavefront6targetE0EEEvT1_.has_dyn_sized_stack, 0
	.set _ZN7rocprim17ROCPRIM_400000_NS6detail17trampoline_kernelINS0_14default_configENS1_33run_length_encode_config_selectorIajNS0_4plusIjEEEEZZNS1_33reduce_by_key_impl_wrapped_configILNS1_25lookback_scan_determinismE0ES3_S7_PKaNS0_17constant_iteratorIjlEEPaPlSF_S6_NS0_8equal_toIaEEEE10hipError_tPvRmT2_T3_mT4_T5_T6_T7_T8_P12ihipStream_tbENKUlT_T0_E_clISt17integral_constantIbLb0EESZ_EEDaSU_SV_EUlSU_E_NS1_11comp_targetILNS1_3genE2ELNS1_11target_archE906ELNS1_3gpuE6ELNS1_3repE0EEENS1_30default_config_static_selectorELNS0_4arch9wavefront6targetE0EEEvT1_.has_recursion, 0
	.set _ZN7rocprim17ROCPRIM_400000_NS6detail17trampoline_kernelINS0_14default_configENS1_33run_length_encode_config_selectorIajNS0_4plusIjEEEEZZNS1_33reduce_by_key_impl_wrapped_configILNS1_25lookback_scan_determinismE0ES3_S7_PKaNS0_17constant_iteratorIjlEEPaPlSF_S6_NS0_8equal_toIaEEEE10hipError_tPvRmT2_T3_mT4_T5_T6_T7_T8_P12ihipStream_tbENKUlT_T0_E_clISt17integral_constantIbLb0EESZ_EEDaSU_SV_EUlSU_E_NS1_11comp_targetILNS1_3genE2ELNS1_11target_archE906ELNS1_3gpuE6ELNS1_3repE0EEENS1_30default_config_static_selectorELNS0_4arch9wavefront6targetE0EEEvT1_.has_indirect_call, 0
	.section	.AMDGPU.csdata,"",@progbits
; Kernel info:
; codeLenInByte = 0
; TotalNumSgprs: 0
; NumVgprs: 0
; ScratchSize: 0
; MemoryBound: 0
; FloatMode: 240
; IeeeMode: 1
; LDSByteSize: 0 bytes/workgroup (compile time only)
; SGPRBlocks: 0
; VGPRBlocks: 0
; NumSGPRsForWavesPerEU: 1
; NumVGPRsForWavesPerEU: 1
; NamedBarCnt: 0
; Occupancy: 16
; WaveLimiterHint : 0
; COMPUTE_PGM_RSRC2:SCRATCH_EN: 0
; COMPUTE_PGM_RSRC2:USER_SGPR: 2
; COMPUTE_PGM_RSRC2:TRAP_HANDLER: 0
; COMPUTE_PGM_RSRC2:TGID_X_EN: 1
; COMPUTE_PGM_RSRC2:TGID_Y_EN: 0
; COMPUTE_PGM_RSRC2:TGID_Z_EN: 0
; COMPUTE_PGM_RSRC2:TIDIG_COMP_CNT: 0
	.section	.text._ZN7rocprim17ROCPRIM_400000_NS6detail17trampoline_kernelINS0_14default_configENS1_33run_length_encode_config_selectorIajNS0_4plusIjEEEEZZNS1_33reduce_by_key_impl_wrapped_configILNS1_25lookback_scan_determinismE0ES3_S7_PKaNS0_17constant_iteratorIjlEEPaPlSF_S6_NS0_8equal_toIaEEEE10hipError_tPvRmT2_T3_mT4_T5_T6_T7_T8_P12ihipStream_tbENKUlT_T0_E_clISt17integral_constantIbLb0EESZ_EEDaSU_SV_EUlSU_E_NS1_11comp_targetILNS1_3genE10ELNS1_11target_archE1201ELNS1_3gpuE5ELNS1_3repE0EEENS1_30default_config_static_selectorELNS0_4arch9wavefront6targetE0EEEvT1_,"axG",@progbits,_ZN7rocprim17ROCPRIM_400000_NS6detail17trampoline_kernelINS0_14default_configENS1_33run_length_encode_config_selectorIajNS0_4plusIjEEEEZZNS1_33reduce_by_key_impl_wrapped_configILNS1_25lookback_scan_determinismE0ES3_S7_PKaNS0_17constant_iteratorIjlEEPaPlSF_S6_NS0_8equal_toIaEEEE10hipError_tPvRmT2_T3_mT4_T5_T6_T7_T8_P12ihipStream_tbENKUlT_T0_E_clISt17integral_constantIbLb0EESZ_EEDaSU_SV_EUlSU_E_NS1_11comp_targetILNS1_3genE10ELNS1_11target_archE1201ELNS1_3gpuE5ELNS1_3repE0EEENS1_30default_config_static_selectorELNS0_4arch9wavefront6targetE0EEEvT1_,comdat
	.protected	_ZN7rocprim17ROCPRIM_400000_NS6detail17trampoline_kernelINS0_14default_configENS1_33run_length_encode_config_selectorIajNS0_4plusIjEEEEZZNS1_33reduce_by_key_impl_wrapped_configILNS1_25lookback_scan_determinismE0ES3_S7_PKaNS0_17constant_iteratorIjlEEPaPlSF_S6_NS0_8equal_toIaEEEE10hipError_tPvRmT2_T3_mT4_T5_T6_T7_T8_P12ihipStream_tbENKUlT_T0_E_clISt17integral_constantIbLb0EESZ_EEDaSU_SV_EUlSU_E_NS1_11comp_targetILNS1_3genE10ELNS1_11target_archE1201ELNS1_3gpuE5ELNS1_3repE0EEENS1_30default_config_static_selectorELNS0_4arch9wavefront6targetE0EEEvT1_ ; -- Begin function _ZN7rocprim17ROCPRIM_400000_NS6detail17trampoline_kernelINS0_14default_configENS1_33run_length_encode_config_selectorIajNS0_4plusIjEEEEZZNS1_33reduce_by_key_impl_wrapped_configILNS1_25lookback_scan_determinismE0ES3_S7_PKaNS0_17constant_iteratorIjlEEPaPlSF_S6_NS0_8equal_toIaEEEE10hipError_tPvRmT2_T3_mT4_T5_T6_T7_T8_P12ihipStream_tbENKUlT_T0_E_clISt17integral_constantIbLb0EESZ_EEDaSU_SV_EUlSU_E_NS1_11comp_targetILNS1_3genE10ELNS1_11target_archE1201ELNS1_3gpuE5ELNS1_3repE0EEENS1_30default_config_static_selectorELNS0_4arch9wavefront6targetE0EEEvT1_
	.globl	_ZN7rocprim17ROCPRIM_400000_NS6detail17trampoline_kernelINS0_14default_configENS1_33run_length_encode_config_selectorIajNS0_4plusIjEEEEZZNS1_33reduce_by_key_impl_wrapped_configILNS1_25lookback_scan_determinismE0ES3_S7_PKaNS0_17constant_iteratorIjlEEPaPlSF_S6_NS0_8equal_toIaEEEE10hipError_tPvRmT2_T3_mT4_T5_T6_T7_T8_P12ihipStream_tbENKUlT_T0_E_clISt17integral_constantIbLb0EESZ_EEDaSU_SV_EUlSU_E_NS1_11comp_targetILNS1_3genE10ELNS1_11target_archE1201ELNS1_3gpuE5ELNS1_3repE0EEENS1_30default_config_static_selectorELNS0_4arch9wavefront6targetE0EEEvT1_
	.p2align	8
	.type	_ZN7rocprim17ROCPRIM_400000_NS6detail17trampoline_kernelINS0_14default_configENS1_33run_length_encode_config_selectorIajNS0_4plusIjEEEEZZNS1_33reduce_by_key_impl_wrapped_configILNS1_25lookback_scan_determinismE0ES3_S7_PKaNS0_17constant_iteratorIjlEEPaPlSF_S6_NS0_8equal_toIaEEEE10hipError_tPvRmT2_T3_mT4_T5_T6_T7_T8_P12ihipStream_tbENKUlT_T0_E_clISt17integral_constantIbLb0EESZ_EEDaSU_SV_EUlSU_E_NS1_11comp_targetILNS1_3genE10ELNS1_11target_archE1201ELNS1_3gpuE5ELNS1_3repE0EEENS1_30default_config_static_selectorELNS0_4arch9wavefront6targetE0EEEvT1_,@function
_ZN7rocprim17ROCPRIM_400000_NS6detail17trampoline_kernelINS0_14default_configENS1_33run_length_encode_config_selectorIajNS0_4plusIjEEEEZZNS1_33reduce_by_key_impl_wrapped_configILNS1_25lookback_scan_determinismE0ES3_S7_PKaNS0_17constant_iteratorIjlEEPaPlSF_S6_NS0_8equal_toIaEEEE10hipError_tPvRmT2_T3_mT4_T5_T6_T7_T8_P12ihipStream_tbENKUlT_T0_E_clISt17integral_constantIbLb0EESZ_EEDaSU_SV_EUlSU_E_NS1_11comp_targetILNS1_3genE10ELNS1_11target_archE1201ELNS1_3gpuE5ELNS1_3repE0EEENS1_30default_config_static_selectorELNS0_4arch9wavefront6targetE0EEEvT1_: ; @_ZN7rocprim17ROCPRIM_400000_NS6detail17trampoline_kernelINS0_14default_configENS1_33run_length_encode_config_selectorIajNS0_4plusIjEEEEZZNS1_33reduce_by_key_impl_wrapped_configILNS1_25lookback_scan_determinismE0ES3_S7_PKaNS0_17constant_iteratorIjlEEPaPlSF_S6_NS0_8equal_toIaEEEE10hipError_tPvRmT2_T3_mT4_T5_T6_T7_T8_P12ihipStream_tbENKUlT_T0_E_clISt17integral_constantIbLb0EESZ_EEDaSU_SV_EUlSU_E_NS1_11comp_targetILNS1_3genE10ELNS1_11target_archE1201ELNS1_3gpuE5ELNS1_3repE0EEENS1_30default_config_static_selectorELNS0_4arch9wavefront6targetE0EEEvT1_
; %bb.0:
	.section	.rodata,"a",@progbits
	.p2align	6, 0x0
	.amdhsa_kernel _ZN7rocprim17ROCPRIM_400000_NS6detail17trampoline_kernelINS0_14default_configENS1_33run_length_encode_config_selectorIajNS0_4plusIjEEEEZZNS1_33reduce_by_key_impl_wrapped_configILNS1_25lookback_scan_determinismE0ES3_S7_PKaNS0_17constant_iteratorIjlEEPaPlSF_S6_NS0_8equal_toIaEEEE10hipError_tPvRmT2_T3_mT4_T5_T6_T7_T8_P12ihipStream_tbENKUlT_T0_E_clISt17integral_constantIbLb0EESZ_EEDaSU_SV_EUlSU_E_NS1_11comp_targetILNS1_3genE10ELNS1_11target_archE1201ELNS1_3gpuE5ELNS1_3repE0EEENS1_30default_config_static_selectorELNS0_4arch9wavefront6targetE0EEEvT1_
		.amdhsa_group_segment_fixed_size 0
		.amdhsa_private_segment_fixed_size 0
		.amdhsa_kernarg_size 128
		.amdhsa_user_sgpr_count 2
		.amdhsa_user_sgpr_dispatch_ptr 0
		.amdhsa_user_sgpr_queue_ptr 0
		.amdhsa_user_sgpr_kernarg_segment_ptr 1
		.amdhsa_user_sgpr_dispatch_id 0
		.amdhsa_user_sgpr_kernarg_preload_length 0
		.amdhsa_user_sgpr_kernarg_preload_offset 0
		.amdhsa_user_sgpr_private_segment_size 0
		.amdhsa_wavefront_size32 1
		.amdhsa_uses_dynamic_stack 0
		.amdhsa_enable_private_segment 0
		.amdhsa_system_sgpr_workgroup_id_x 1
		.amdhsa_system_sgpr_workgroup_id_y 0
		.amdhsa_system_sgpr_workgroup_id_z 0
		.amdhsa_system_sgpr_workgroup_info 0
		.amdhsa_system_vgpr_workitem_id 0
		.amdhsa_next_free_vgpr 1
		.amdhsa_next_free_sgpr 1
		.amdhsa_named_barrier_count 0
		.amdhsa_reserve_vcc 0
		.amdhsa_float_round_mode_32 0
		.amdhsa_float_round_mode_16_64 0
		.amdhsa_float_denorm_mode_32 3
		.amdhsa_float_denorm_mode_16_64 3
		.amdhsa_fp16_overflow 0
		.amdhsa_memory_ordered 1
		.amdhsa_forward_progress 1
		.amdhsa_inst_pref_size 0
		.amdhsa_round_robin_scheduling 0
		.amdhsa_exception_fp_ieee_invalid_op 0
		.amdhsa_exception_fp_denorm_src 0
		.amdhsa_exception_fp_ieee_div_zero 0
		.amdhsa_exception_fp_ieee_overflow 0
		.amdhsa_exception_fp_ieee_underflow 0
		.amdhsa_exception_fp_ieee_inexact 0
		.amdhsa_exception_int_div_zero 0
	.end_amdhsa_kernel
	.section	.text._ZN7rocprim17ROCPRIM_400000_NS6detail17trampoline_kernelINS0_14default_configENS1_33run_length_encode_config_selectorIajNS0_4plusIjEEEEZZNS1_33reduce_by_key_impl_wrapped_configILNS1_25lookback_scan_determinismE0ES3_S7_PKaNS0_17constant_iteratorIjlEEPaPlSF_S6_NS0_8equal_toIaEEEE10hipError_tPvRmT2_T3_mT4_T5_T6_T7_T8_P12ihipStream_tbENKUlT_T0_E_clISt17integral_constantIbLb0EESZ_EEDaSU_SV_EUlSU_E_NS1_11comp_targetILNS1_3genE10ELNS1_11target_archE1201ELNS1_3gpuE5ELNS1_3repE0EEENS1_30default_config_static_selectorELNS0_4arch9wavefront6targetE0EEEvT1_,"axG",@progbits,_ZN7rocprim17ROCPRIM_400000_NS6detail17trampoline_kernelINS0_14default_configENS1_33run_length_encode_config_selectorIajNS0_4plusIjEEEEZZNS1_33reduce_by_key_impl_wrapped_configILNS1_25lookback_scan_determinismE0ES3_S7_PKaNS0_17constant_iteratorIjlEEPaPlSF_S6_NS0_8equal_toIaEEEE10hipError_tPvRmT2_T3_mT4_T5_T6_T7_T8_P12ihipStream_tbENKUlT_T0_E_clISt17integral_constantIbLb0EESZ_EEDaSU_SV_EUlSU_E_NS1_11comp_targetILNS1_3genE10ELNS1_11target_archE1201ELNS1_3gpuE5ELNS1_3repE0EEENS1_30default_config_static_selectorELNS0_4arch9wavefront6targetE0EEEvT1_,comdat
.Lfunc_end240:
	.size	_ZN7rocprim17ROCPRIM_400000_NS6detail17trampoline_kernelINS0_14default_configENS1_33run_length_encode_config_selectorIajNS0_4plusIjEEEEZZNS1_33reduce_by_key_impl_wrapped_configILNS1_25lookback_scan_determinismE0ES3_S7_PKaNS0_17constant_iteratorIjlEEPaPlSF_S6_NS0_8equal_toIaEEEE10hipError_tPvRmT2_T3_mT4_T5_T6_T7_T8_P12ihipStream_tbENKUlT_T0_E_clISt17integral_constantIbLb0EESZ_EEDaSU_SV_EUlSU_E_NS1_11comp_targetILNS1_3genE10ELNS1_11target_archE1201ELNS1_3gpuE5ELNS1_3repE0EEENS1_30default_config_static_selectorELNS0_4arch9wavefront6targetE0EEEvT1_, .Lfunc_end240-_ZN7rocprim17ROCPRIM_400000_NS6detail17trampoline_kernelINS0_14default_configENS1_33run_length_encode_config_selectorIajNS0_4plusIjEEEEZZNS1_33reduce_by_key_impl_wrapped_configILNS1_25lookback_scan_determinismE0ES3_S7_PKaNS0_17constant_iteratorIjlEEPaPlSF_S6_NS0_8equal_toIaEEEE10hipError_tPvRmT2_T3_mT4_T5_T6_T7_T8_P12ihipStream_tbENKUlT_T0_E_clISt17integral_constantIbLb0EESZ_EEDaSU_SV_EUlSU_E_NS1_11comp_targetILNS1_3genE10ELNS1_11target_archE1201ELNS1_3gpuE5ELNS1_3repE0EEENS1_30default_config_static_selectorELNS0_4arch9wavefront6targetE0EEEvT1_
                                        ; -- End function
	.set _ZN7rocprim17ROCPRIM_400000_NS6detail17trampoline_kernelINS0_14default_configENS1_33run_length_encode_config_selectorIajNS0_4plusIjEEEEZZNS1_33reduce_by_key_impl_wrapped_configILNS1_25lookback_scan_determinismE0ES3_S7_PKaNS0_17constant_iteratorIjlEEPaPlSF_S6_NS0_8equal_toIaEEEE10hipError_tPvRmT2_T3_mT4_T5_T6_T7_T8_P12ihipStream_tbENKUlT_T0_E_clISt17integral_constantIbLb0EESZ_EEDaSU_SV_EUlSU_E_NS1_11comp_targetILNS1_3genE10ELNS1_11target_archE1201ELNS1_3gpuE5ELNS1_3repE0EEENS1_30default_config_static_selectorELNS0_4arch9wavefront6targetE0EEEvT1_.num_vgpr, 0
	.set _ZN7rocprim17ROCPRIM_400000_NS6detail17trampoline_kernelINS0_14default_configENS1_33run_length_encode_config_selectorIajNS0_4plusIjEEEEZZNS1_33reduce_by_key_impl_wrapped_configILNS1_25lookback_scan_determinismE0ES3_S7_PKaNS0_17constant_iteratorIjlEEPaPlSF_S6_NS0_8equal_toIaEEEE10hipError_tPvRmT2_T3_mT4_T5_T6_T7_T8_P12ihipStream_tbENKUlT_T0_E_clISt17integral_constantIbLb0EESZ_EEDaSU_SV_EUlSU_E_NS1_11comp_targetILNS1_3genE10ELNS1_11target_archE1201ELNS1_3gpuE5ELNS1_3repE0EEENS1_30default_config_static_selectorELNS0_4arch9wavefront6targetE0EEEvT1_.num_agpr, 0
	.set _ZN7rocprim17ROCPRIM_400000_NS6detail17trampoline_kernelINS0_14default_configENS1_33run_length_encode_config_selectorIajNS0_4plusIjEEEEZZNS1_33reduce_by_key_impl_wrapped_configILNS1_25lookback_scan_determinismE0ES3_S7_PKaNS0_17constant_iteratorIjlEEPaPlSF_S6_NS0_8equal_toIaEEEE10hipError_tPvRmT2_T3_mT4_T5_T6_T7_T8_P12ihipStream_tbENKUlT_T0_E_clISt17integral_constantIbLb0EESZ_EEDaSU_SV_EUlSU_E_NS1_11comp_targetILNS1_3genE10ELNS1_11target_archE1201ELNS1_3gpuE5ELNS1_3repE0EEENS1_30default_config_static_selectorELNS0_4arch9wavefront6targetE0EEEvT1_.numbered_sgpr, 0
	.set _ZN7rocprim17ROCPRIM_400000_NS6detail17trampoline_kernelINS0_14default_configENS1_33run_length_encode_config_selectorIajNS0_4plusIjEEEEZZNS1_33reduce_by_key_impl_wrapped_configILNS1_25lookback_scan_determinismE0ES3_S7_PKaNS0_17constant_iteratorIjlEEPaPlSF_S6_NS0_8equal_toIaEEEE10hipError_tPvRmT2_T3_mT4_T5_T6_T7_T8_P12ihipStream_tbENKUlT_T0_E_clISt17integral_constantIbLb0EESZ_EEDaSU_SV_EUlSU_E_NS1_11comp_targetILNS1_3genE10ELNS1_11target_archE1201ELNS1_3gpuE5ELNS1_3repE0EEENS1_30default_config_static_selectorELNS0_4arch9wavefront6targetE0EEEvT1_.num_named_barrier, 0
	.set _ZN7rocprim17ROCPRIM_400000_NS6detail17trampoline_kernelINS0_14default_configENS1_33run_length_encode_config_selectorIajNS0_4plusIjEEEEZZNS1_33reduce_by_key_impl_wrapped_configILNS1_25lookback_scan_determinismE0ES3_S7_PKaNS0_17constant_iteratorIjlEEPaPlSF_S6_NS0_8equal_toIaEEEE10hipError_tPvRmT2_T3_mT4_T5_T6_T7_T8_P12ihipStream_tbENKUlT_T0_E_clISt17integral_constantIbLb0EESZ_EEDaSU_SV_EUlSU_E_NS1_11comp_targetILNS1_3genE10ELNS1_11target_archE1201ELNS1_3gpuE5ELNS1_3repE0EEENS1_30default_config_static_selectorELNS0_4arch9wavefront6targetE0EEEvT1_.private_seg_size, 0
	.set _ZN7rocprim17ROCPRIM_400000_NS6detail17trampoline_kernelINS0_14default_configENS1_33run_length_encode_config_selectorIajNS0_4plusIjEEEEZZNS1_33reduce_by_key_impl_wrapped_configILNS1_25lookback_scan_determinismE0ES3_S7_PKaNS0_17constant_iteratorIjlEEPaPlSF_S6_NS0_8equal_toIaEEEE10hipError_tPvRmT2_T3_mT4_T5_T6_T7_T8_P12ihipStream_tbENKUlT_T0_E_clISt17integral_constantIbLb0EESZ_EEDaSU_SV_EUlSU_E_NS1_11comp_targetILNS1_3genE10ELNS1_11target_archE1201ELNS1_3gpuE5ELNS1_3repE0EEENS1_30default_config_static_selectorELNS0_4arch9wavefront6targetE0EEEvT1_.uses_vcc, 0
	.set _ZN7rocprim17ROCPRIM_400000_NS6detail17trampoline_kernelINS0_14default_configENS1_33run_length_encode_config_selectorIajNS0_4plusIjEEEEZZNS1_33reduce_by_key_impl_wrapped_configILNS1_25lookback_scan_determinismE0ES3_S7_PKaNS0_17constant_iteratorIjlEEPaPlSF_S6_NS0_8equal_toIaEEEE10hipError_tPvRmT2_T3_mT4_T5_T6_T7_T8_P12ihipStream_tbENKUlT_T0_E_clISt17integral_constantIbLb0EESZ_EEDaSU_SV_EUlSU_E_NS1_11comp_targetILNS1_3genE10ELNS1_11target_archE1201ELNS1_3gpuE5ELNS1_3repE0EEENS1_30default_config_static_selectorELNS0_4arch9wavefront6targetE0EEEvT1_.uses_flat_scratch, 0
	.set _ZN7rocprim17ROCPRIM_400000_NS6detail17trampoline_kernelINS0_14default_configENS1_33run_length_encode_config_selectorIajNS0_4plusIjEEEEZZNS1_33reduce_by_key_impl_wrapped_configILNS1_25lookback_scan_determinismE0ES3_S7_PKaNS0_17constant_iteratorIjlEEPaPlSF_S6_NS0_8equal_toIaEEEE10hipError_tPvRmT2_T3_mT4_T5_T6_T7_T8_P12ihipStream_tbENKUlT_T0_E_clISt17integral_constantIbLb0EESZ_EEDaSU_SV_EUlSU_E_NS1_11comp_targetILNS1_3genE10ELNS1_11target_archE1201ELNS1_3gpuE5ELNS1_3repE0EEENS1_30default_config_static_selectorELNS0_4arch9wavefront6targetE0EEEvT1_.has_dyn_sized_stack, 0
	.set _ZN7rocprim17ROCPRIM_400000_NS6detail17trampoline_kernelINS0_14default_configENS1_33run_length_encode_config_selectorIajNS0_4plusIjEEEEZZNS1_33reduce_by_key_impl_wrapped_configILNS1_25lookback_scan_determinismE0ES3_S7_PKaNS0_17constant_iteratorIjlEEPaPlSF_S6_NS0_8equal_toIaEEEE10hipError_tPvRmT2_T3_mT4_T5_T6_T7_T8_P12ihipStream_tbENKUlT_T0_E_clISt17integral_constantIbLb0EESZ_EEDaSU_SV_EUlSU_E_NS1_11comp_targetILNS1_3genE10ELNS1_11target_archE1201ELNS1_3gpuE5ELNS1_3repE0EEENS1_30default_config_static_selectorELNS0_4arch9wavefront6targetE0EEEvT1_.has_recursion, 0
	.set _ZN7rocprim17ROCPRIM_400000_NS6detail17trampoline_kernelINS0_14default_configENS1_33run_length_encode_config_selectorIajNS0_4plusIjEEEEZZNS1_33reduce_by_key_impl_wrapped_configILNS1_25lookback_scan_determinismE0ES3_S7_PKaNS0_17constant_iteratorIjlEEPaPlSF_S6_NS0_8equal_toIaEEEE10hipError_tPvRmT2_T3_mT4_T5_T6_T7_T8_P12ihipStream_tbENKUlT_T0_E_clISt17integral_constantIbLb0EESZ_EEDaSU_SV_EUlSU_E_NS1_11comp_targetILNS1_3genE10ELNS1_11target_archE1201ELNS1_3gpuE5ELNS1_3repE0EEENS1_30default_config_static_selectorELNS0_4arch9wavefront6targetE0EEEvT1_.has_indirect_call, 0
	.section	.AMDGPU.csdata,"",@progbits
; Kernel info:
; codeLenInByte = 0
; TotalNumSgprs: 0
; NumVgprs: 0
; ScratchSize: 0
; MemoryBound: 0
; FloatMode: 240
; IeeeMode: 1
; LDSByteSize: 0 bytes/workgroup (compile time only)
; SGPRBlocks: 0
; VGPRBlocks: 0
; NumSGPRsForWavesPerEU: 1
; NumVGPRsForWavesPerEU: 1
; NamedBarCnt: 0
; Occupancy: 16
; WaveLimiterHint : 0
; COMPUTE_PGM_RSRC2:SCRATCH_EN: 0
; COMPUTE_PGM_RSRC2:USER_SGPR: 2
; COMPUTE_PGM_RSRC2:TRAP_HANDLER: 0
; COMPUTE_PGM_RSRC2:TGID_X_EN: 1
; COMPUTE_PGM_RSRC2:TGID_Y_EN: 0
; COMPUTE_PGM_RSRC2:TGID_Z_EN: 0
; COMPUTE_PGM_RSRC2:TIDIG_COMP_CNT: 0
	.section	.text._ZN7rocprim17ROCPRIM_400000_NS6detail17trampoline_kernelINS0_14default_configENS1_33run_length_encode_config_selectorIajNS0_4plusIjEEEEZZNS1_33reduce_by_key_impl_wrapped_configILNS1_25lookback_scan_determinismE0ES3_S7_PKaNS0_17constant_iteratorIjlEEPaPlSF_S6_NS0_8equal_toIaEEEE10hipError_tPvRmT2_T3_mT4_T5_T6_T7_T8_P12ihipStream_tbENKUlT_T0_E_clISt17integral_constantIbLb0EESZ_EEDaSU_SV_EUlSU_E_NS1_11comp_targetILNS1_3genE10ELNS1_11target_archE1200ELNS1_3gpuE4ELNS1_3repE0EEENS1_30default_config_static_selectorELNS0_4arch9wavefront6targetE0EEEvT1_,"axG",@progbits,_ZN7rocprim17ROCPRIM_400000_NS6detail17trampoline_kernelINS0_14default_configENS1_33run_length_encode_config_selectorIajNS0_4plusIjEEEEZZNS1_33reduce_by_key_impl_wrapped_configILNS1_25lookback_scan_determinismE0ES3_S7_PKaNS0_17constant_iteratorIjlEEPaPlSF_S6_NS0_8equal_toIaEEEE10hipError_tPvRmT2_T3_mT4_T5_T6_T7_T8_P12ihipStream_tbENKUlT_T0_E_clISt17integral_constantIbLb0EESZ_EEDaSU_SV_EUlSU_E_NS1_11comp_targetILNS1_3genE10ELNS1_11target_archE1200ELNS1_3gpuE4ELNS1_3repE0EEENS1_30default_config_static_selectorELNS0_4arch9wavefront6targetE0EEEvT1_,comdat
	.protected	_ZN7rocprim17ROCPRIM_400000_NS6detail17trampoline_kernelINS0_14default_configENS1_33run_length_encode_config_selectorIajNS0_4plusIjEEEEZZNS1_33reduce_by_key_impl_wrapped_configILNS1_25lookback_scan_determinismE0ES3_S7_PKaNS0_17constant_iteratorIjlEEPaPlSF_S6_NS0_8equal_toIaEEEE10hipError_tPvRmT2_T3_mT4_T5_T6_T7_T8_P12ihipStream_tbENKUlT_T0_E_clISt17integral_constantIbLb0EESZ_EEDaSU_SV_EUlSU_E_NS1_11comp_targetILNS1_3genE10ELNS1_11target_archE1200ELNS1_3gpuE4ELNS1_3repE0EEENS1_30default_config_static_selectorELNS0_4arch9wavefront6targetE0EEEvT1_ ; -- Begin function _ZN7rocprim17ROCPRIM_400000_NS6detail17trampoline_kernelINS0_14default_configENS1_33run_length_encode_config_selectorIajNS0_4plusIjEEEEZZNS1_33reduce_by_key_impl_wrapped_configILNS1_25lookback_scan_determinismE0ES3_S7_PKaNS0_17constant_iteratorIjlEEPaPlSF_S6_NS0_8equal_toIaEEEE10hipError_tPvRmT2_T3_mT4_T5_T6_T7_T8_P12ihipStream_tbENKUlT_T0_E_clISt17integral_constantIbLb0EESZ_EEDaSU_SV_EUlSU_E_NS1_11comp_targetILNS1_3genE10ELNS1_11target_archE1200ELNS1_3gpuE4ELNS1_3repE0EEENS1_30default_config_static_selectorELNS0_4arch9wavefront6targetE0EEEvT1_
	.globl	_ZN7rocprim17ROCPRIM_400000_NS6detail17trampoline_kernelINS0_14default_configENS1_33run_length_encode_config_selectorIajNS0_4plusIjEEEEZZNS1_33reduce_by_key_impl_wrapped_configILNS1_25lookback_scan_determinismE0ES3_S7_PKaNS0_17constant_iteratorIjlEEPaPlSF_S6_NS0_8equal_toIaEEEE10hipError_tPvRmT2_T3_mT4_T5_T6_T7_T8_P12ihipStream_tbENKUlT_T0_E_clISt17integral_constantIbLb0EESZ_EEDaSU_SV_EUlSU_E_NS1_11comp_targetILNS1_3genE10ELNS1_11target_archE1200ELNS1_3gpuE4ELNS1_3repE0EEENS1_30default_config_static_selectorELNS0_4arch9wavefront6targetE0EEEvT1_
	.p2align	8
	.type	_ZN7rocprim17ROCPRIM_400000_NS6detail17trampoline_kernelINS0_14default_configENS1_33run_length_encode_config_selectorIajNS0_4plusIjEEEEZZNS1_33reduce_by_key_impl_wrapped_configILNS1_25lookback_scan_determinismE0ES3_S7_PKaNS0_17constant_iteratorIjlEEPaPlSF_S6_NS0_8equal_toIaEEEE10hipError_tPvRmT2_T3_mT4_T5_T6_T7_T8_P12ihipStream_tbENKUlT_T0_E_clISt17integral_constantIbLb0EESZ_EEDaSU_SV_EUlSU_E_NS1_11comp_targetILNS1_3genE10ELNS1_11target_archE1200ELNS1_3gpuE4ELNS1_3repE0EEENS1_30default_config_static_selectorELNS0_4arch9wavefront6targetE0EEEvT1_,@function
_ZN7rocprim17ROCPRIM_400000_NS6detail17trampoline_kernelINS0_14default_configENS1_33run_length_encode_config_selectorIajNS0_4plusIjEEEEZZNS1_33reduce_by_key_impl_wrapped_configILNS1_25lookback_scan_determinismE0ES3_S7_PKaNS0_17constant_iteratorIjlEEPaPlSF_S6_NS0_8equal_toIaEEEE10hipError_tPvRmT2_T3_mT4_T5_T6_T7_T8_P12ihipStream_tbENKUlT_T0_E_clISt17integral_constantIbLb0EESZ_EEDaSU_SV_EUlSU_E_NS1_11comp_targetILNS1_3genE10ELNS1_11target_archE1200ELNS1_3gpuE4ELNS1_3repE0EEENS1_30default_config_static_selectorELNS0_4arch9wavefront6targetE0EEEvT1_: ; @_ZN7rocprim17ROCPRIM_400000_NS6detail17trampoline_kernelINS0_14default_configENS1_33run_length_encode_config_selectorIajNS0_4plusIjEEEEZZNS1_33reduce_by_key_impl_wrapped_configILNS1_25lookback_scan_determinismE0ES3_S7_PKaNS0_17constant_iteratorIjlEEPaPlSF_S6_NS0_8equal_toIaEEEE10hipError_tPvRmT2_T3_mT4_T5_T6_T7_T8_P12ihipStream_tbENKUlT_T0_E_clISt17integral_constantIbLb0EESZ_EEDaSU_SV_EUlSU_E_NS1_11comp_targetILNS1_3genE10ELNS1_11target_archE1200ELNS1_3gpuE4ELNS1_3repE0EEENS1_30default_config_static_selectorELNS0_4arch9wavefront6targetE0EEEvT1_
; %bb.0:
	.section	.rodata,"a",@progbits
	.p2align	6, 0x0
	.amdhsa_kernel _ZN7rocprim17ROCPRIM_400000_NS6detail17trampoline_kernelINS0_14default_configENS1_33run_length_encode_config_selectorIajNS0_4plusIjEEEEZZNS1_33reduce_by_key_impl_wrapped_configILNS1_25lookback_scan_determinismE0ES3_S7_PKaNS0_17constant_iteratorIjlEEPaPlSF_S6_NS0_8equal_toIaEEEE10hipError_tPvRmT2_T3_mT4_T5_T6_T7_T8_P12ihipStream_tbENKUlT_T0_E_clISt17integral_constantIbLb0EESZ_EEDaSU_SV_EUlSU_E_NS1_11comp_targetILNS1_3genE10ELNS1_11target_archE1200ELNS1_3gpuE4ELNS1_3repE0EEENS1_30default_config_static_selectorELNS0_4arch9wavefront6targetE0EEEvT1_
		.amdhsa_group_segment_fixed_size 0
		.amdhsa_private_segment_fixed_size 0
		.amdhsa_kernarg_size 128
		.amdhsa_user_sgpr_count 2
		.amdhsa_user_sgpr_dispatch_ptr 0
		.amdhsa_user_sgpr_queue_ptr 0
		.amdhsa_user_sgpr_kernarg_segment_ptr 1
		.amdhsa_user_sgpr_dispatch_id 0
		.amdhsa_user_sgpr_kernarg_preload_length 0
		.amdhsa_user_sgpr_kernarg_preload_offset 0
		.amdhsa_user_sgpr_private_segment_size 0
		.amdhsa_wavefront_size32 1
		.amdhsa_uses_dynamic_stack 0
		.amdhsa_enable_private_segment 0
		.amdhsa_system_sgpr_workgroup_id_x 1
		.amdhsa_system_sgpr_workgroup_id_y 0
		.amdhsa_system_sgpr_workgroup_id_z 0
		.amdhsa_system_sgpr_workgroup_info 0
		.amdhsa_system_vgpr_workitem_id 0
		.amdhsa_next_free_vgpr 1
		.amdhsa_next_free_sgpr 1
		.amdhsa_named_barrier_count 0
		.amdhsa_reserve_vcc 0
		.amdhsa_float_round_mode_32 0
		.amdhsa_float_round_mode_16_64 0
		.amdhsa_float_denorm_mode_32 3
		.amdhsa_float_denorm_mode_16_64 3
		.amdhsa_fp16_overflow 0
		.amdhsa_memory_ordered 1
		.amdhsa_forward_progress 1
		.amdhsa_inst_pref_size 0
		.amdhsa_round_robin_scheduling 0
		.amdhsa_exception_fp_ieee_invalid_op 0
		.amdhsa_exception_fp_denorm_src 0
		.amdhsa_exception_fp_ieee_div_zero 0
		.amdhsa_exception_fp_ieee_overflow 0
		.amdhsa_exception_fp_ieee_underflow 0
		.amdhsa_exception_fp_ieee_inexact 0
		.amdhsa_exception_int_div_zero 0
	.end_amdhsa_kernel
	.section	.text._ZN7rocprim17ROCPRIM_400000_NS6detail17trampoline_kernelINS0_14default_configENS1_33run_length_encode_config_selectorIajNS0_4plusIjEEEEZZNS1_33reduce_by_key_impl_wrapped_configILNS1_25lookback_scan_determinismE0ES3_S7_PKaNS0_17constant_iteratorIjlEEPaPlSF_S6_NS0_8equal_toIaEEEE10hipError_tPvRmT2_T3_mT4_T5_T6_T7_T8_P12ihipStream_tbENKUlT_T0_E_clISt17integral_constantIbLb0EESZ_EEDaSU_SV_EUlSU_E_NS1_11comp_targetILNS1_3genE10ELNS1_11target_archE1200ELNS1_3gpuE4ELNS1_3repE0EEENS1_30default_config_static_selectorELNS0_4arch9wavefront6targetE0EEEvT1_,"axG",@progbits,_ZN7rocprim17ROCPRIM_400000_NS6detail17trampoline_kernelINS0_14default_configENS1_33run_length_encode_config_selectorIajNS0_4plusIjEEEEZZNS1_33reduce_by_key_impl_wrapped_configILNS1_25lookback_scan_determinismE0ES3_S7_PKaNS0_17constant_iteratorIjlEEPaPlSF_S6_NS0_8equal_toIaEEEE10hipError_tPvRmT2_T3_mT4_T5_T6_T7_T8_P12ihipStream_tbENKUlT_T0_E_clISt17integral_constantIbLb0EESZ_EEDaSU_SV_EUlSU_E_NS1_11comp_targetILNS1_3genE10ELNS1_11target_archE1200ELNS1_3gpuE4ELNS1_3repE0EEENS1_30default_config_static_selectorELNS0_4arch9wavefront6targetE0EEEvT1_,comdat
.Lfunc_end241:
	.size	_ZN7rocprim17ROCPRIM_400000_NS6detail17trampoline_kernelINS0_14default_configENS1_33run_length_encode_config_selectorIajNS0_4plusIjEEEEZZNS1_33reduce_by_key_impl_wrapped_configILNS1_25lookback_scan_determinismE0ES3_S7_PKaNS0_17constant_iteratorIjlEEPaPlSF_S6_NS0_8equal_toIaEEEE10hipError_tPvRmT2_T3_mT4_T5_T6_T7_T8_P12ihipStream_tbENKUlT_T0_E_clISt17integral_constantIbLb0EESZ_EEDaSU_SV_EUlSU_E_NS1_11comp_targetILNS1_3genE10ELNS1_11target_archE1200ELNS1_3gpuE4ELNS1_3repE0EEENS1_30default_config_static_selectorELNS0_4arch9wavefront6targetE0EEEvT1_, .Lfunc_end241-_ZN7rocprim17ROCPRIM_400000_NS6detail17trampoline_kernelINS0_14default_configENS1_33run_length_encode_config_selectorIajNS0_4plusIjEEEEZZNS1_33reduce_by_key_impl_wrapped_configILNS1_25lookback_scan_determinismE0ES3_S7_PKaNS0_17constant_iteratorIjlEEPaPlSF_S6_NS0_8equal_toIaEEEE10hipError_tPvRmT2_T3_mT4_T5_T6_T7_T8_P12ihipStream_tbENKUlT_T0_E_clISt17integral_constantIbLb0EESZ_EEDaSU_SV_EUlSU_E_NS1_11comp_targetILNS1_3genE10ELNS1_11target_archE1200ELNS1_3gpuE4ELNS1_3repE0EEENS1_30default_config_static_selectorELNS0_4arch9wavefront6targetE0EEEvT1_
                                        ; -- End function
	.set _ZN7rocprim17ROCPRIM_400000_NS6detail17trampoline_kernelINS0_14default_configENS1_33run_length_encode_config_selectorIajNS0_4plusIjEEEEZZNS1_33reduce_by_key_impl_wrapped_configILNS1_25lookback_scan_determinismE0ES3_S7_PKaNS0_17constant_iteratorIjlEEPaPlSF_S6_NS0_8equal_toIaEEEE10hipError_tPvRmT2_T3_mT4_T5_T6_T7_T8_P12ihipStream_tbENKUlT_T0_E_clISt17integral_constantIbLb0EESZ_EEDaSU_SV_EUlSU_E_NS1_11comp_targetILNS1_3genE10ELNS1_11target_archE1200ELNS1_3gpuE4ELNS1_3repE0EEENS1_30default_config_static_selectorELNS0_4arch9wavefront6targetE0EEEvT1_.num_vgpr, 0
	.set _ZN7rocprim17ROCPRIM_400000_NS6detail17trampoline_kernelINS0_14default_configENS1_33run_length_encode_config_selectorIajNS0_4plusIjEEEEZZNS1_33reduce_by_key_impl_wrapped_configILNS1_25lookback_scan_determinismE0ES3_S7_PKaNS0_17constant_iteratorIjlEEPaPlSF_S6_NS0_8equal_toIaEEEE10hipError_tPvRmT2_T3_mT4_T5_T6_T7_T8_P12ihipStream_tbENKUlT_T0_E_clISt17integral_constantIbLb0EESZ_EEDaSU_SV_EUlSU_E_NS1_11comp_targetILNS1_3genE10ELNS1_11target_archE1200ELNS1_3gpuE4ELNS1_3repE0EEENS1_30default_config_static_selectorELNS0_4arch9wavefront6targetE0EEEvT1_.num_agpr, 0
	.set _ZN7rocprim17ROCPRIM_400000_NS6detail17trampoline_kernelINS0_14default_configENS1_33run_length_encode_config_selectorIajNS0_4plusIjEEEEZZNS1_33reduce_by_key_impl_wrapped_configILNS1_25lookback_scan_determinismE0ES3_S7_PKaNS0_17constant_iteratorIjlEEPaPlSF_S6_NS0_8equal_toIaEEEE10hipError_tPvRmT2_T3_mT4_T5_T6_T7_T8_P12ihipStream_tbENKUlT_T0_E_clISt17integral_constantIbLb0EESZ_EEDaSU_SV_EUlSU_E_NS1_11comp_targetILNS1_3genE10ELNS1_11target_archE1200ELNS1_3gpuE4ELNS1_3repE0EEENS1_30default_config_static_selectorELNS0_4arch9wavefront6targetE0EEEvT1_.numbered_sgpr, 0
	.set _ZN7rocprim17ROCPRIM_400000_NS6detail17trampoline_kernelINS0_14default_configENS1_33run_length_encode_config_selectorIajNS0_4plusIjEEEEZZNS1_33reduce_by_key_impl_wrapped_configILNS1_25lookback_scan_determinismE0ES3_S7_PKaNS0_17constant_iteratorIjlEEPaPlSF_S6_NS0_8equal_toIaEEEE10hipError_tPvRmT2_T3_mT4_T5_T6_T7_T8_P12ihipStream_tbENKUlT_T0_E_clISt17integral_constantIbLb0EESZ_EEDaSU_SV_EUlSU_E_NS1_11comp_targetILNS1_3genE10ELNS1_11target_archE1200ELNS1_3gpuE4ELNS1_3repE0EEENS1_30default_config_static_selectorELNS0_4arch9wavefront6targetE0EEEvT1_.num_named_barrier, 0
	.set _ZN7rocprim17ROCPRIM_400000_NS6detail17trampoline_kernelINS0_14default_configENS1_33run_length_encode_config_selectorIajNS0_4plusIjEEEEZZNS1_33reduce_by_key_impl_wrapped_configILNS1_25lookback_scan_determinismE0ES3_S7_PKaNS0_17constant_iteratorIjlEEPaPlSF_S6_NS0_8equal_toIaEEEE10hipError_tPvRmT2_T3_mT4_T5_T6_T7_T8_P12ihipStream_tbENKUlT_T0_E_clISt17integral_constantIbLb0EESZ_EEDaSU_SV_EUlSU_E_NS1_11comp_targetILNS1_3genE10ELNS1_11target_archE1200ELNS1_3gpuE4ELNS1_3repE0EEENS1_30default_config_static_selectorELNS0_4arch9wavefront6targetE0EEEvT1_.private_seg_size, 0
	.set _ZN7rocprim17ROCPRIM_400000_NS6detail17trampoline_kernelINS0_14default_configENS1_33run_length_encode_config_selectorIajNS0_4plusIjEEEEZZNS1_33reduce_by_key_impl_wrapped_configILNS1_25lookback_scan_determinismE0ES3_S7_PKaNS0_17constant_iteratorIjlEEPaPlSF_S6_NS0_8equal_toIaEEEE10hipError_tPvRmT2_T3_mT4_T5_T6_T7_T8_P12ihipStream_tbENKUlT_T0_E_clISt17integral_constantIbLb0EESZ_EEDaSU_SV_EUlSU_E_NS1_11comp_targetILNS1_3genE10ELNS1_11target_archE1200ELNS1_3gpuE4ELNS1_3repE0EEENS1_30default_config_static_selectorELNS0_4arch9wavefront6targetE0EEEvT1_.uses_vcc, 0
	.set _ZN7rocprim17ROCPRIM_400000_NS6detail17trampoline_kernelINS0_14default_configENS1_33run_length_encode_config_selectorIajNS0_4plusIjEEEEZZNS1_33reduce_by_key_impl_wrapped_configILNS1_25lookback_scan_determinismE0ES3_S7_PKaNS0_17constant_iteratorIjlEEPaPlSF_S6_NS0_8equal_toIaEEEE10hipError_tPvRmT2_T3_mT4_T5_T6_T7_T8_P12ihipStream_tbENKUlT_T0_E_clISt17integral_constantIbLb0EESZ_EEDaSU_SV_EUlSU_E_NS1_11comp_targetILNS1_3genE10ELNS1_11target_archE1200ELNS1_3gpuE4ELNS1_3repE0EEENS1_30default_config_static_selectorELNS0_4arch9wavefront6targetE0EEEvT1_.uses_flat_scratch, 0
	.set _ZN7rocprim17ROCPRIM_400000_NS6detail17trampoline_kernelINS0_14default_configENS1_33run_length_encode_config_selectorIajNS0_4plusIjEEEEZZNS1_33reduce_by_key_impl_wrapped_configILNS1_25lookback_scan_determinismE0ES3_S7_PKaNS0_17constant_iteratorIjlEEPaPlSF_S6_NS0_8equal_toIaEEEE10hipError_tPvRmT2_T3_mT4_T5_T6_T7_T8_P12ihipStream_tbENKUlT_T0_E_clISt17integral_constantIbLb0EESZ_EEDaSU_SV_EUlSU_E_NS1_11comp_targetILNS1_3genE10ELNS1_11target_archE1200ELNS1_3gpuE4ELNS1_3repE0EEENS1_30default_config_static_selectorELNS0_4arch9wavefront6targetE0EEEvT1_.has_dyn_sized_stack, 0
	.set _ZN7rocprim17ROCPRIM_400000_NS6detail17trampoline_kernelINS0_14default_configENS1_33run_length_encode_config_selectorIajNS0_4plusIjEEEEZZNS1_33reduce_by_key_impl_wrapped_configILNS1_25lookback_scan_determinismE0ES3_S7_PKaNS0_17constant_iteratorIjlEEPaPlSF_S6_NS0_8equal_toIaEEEE10hipError_tPvRmT2_T3_mT4_T5_T6_T7_T8_P12ihipStream_tbENKUlT_T0_E_clISt17integral_constantIbLb0EESZ_EEDaSU_SV_EUlSU_E_NS1_11comp_targetILNS1_3genE10ELNS1_11target_archE1200ELNS1_3gpuE4ELNS1_3repE0EEENS1_30default_config_static_selectorELNS0_4arch9wavefront6targetE0EEEvT1_.has_recursion, 0
	.set _ZN7rocprim17ROCPRIM_400000_NS6detail17trampoline_kernelINS0_14default_configENS1_33run_length_encode_config_selectorIajNS0_4plusIjEEEEZZNS1_33reduce_by_key_impl_wrapped_configILNS1_25lookback_scan_determinismE0ES3_S7_PKaNS0_17constant_iteratorIjlEEPaPlSF_S6_NS0_8equal_toIaEEEE10hipError_tPvRmT2_T3_mT4_T5_T6_T7_T8_P12ihipStream_tbENKUlT_T0_E_clISt17integral_constantIbLb0EESZ_EEDaSU_SV_EUlSU_E_NS1_11comp_targetILNS1_3genE10ELNS1_11target_archE1200ELNS1_3gpuE4ELNS1_3repE0EEENS1_30default_config_static_selectorELNS0_4arch9wavefront6targetE0EEEvT1_.has_indirect_call, 0
	.section	.AMDGPU.csdata,"",@progbits
; Kernel info:
; codeLenInByte = 0
; TotalNumSgprs: 0
; NumVgprs: 0
; ScratchSize: 0
; MemoryBound: 0
; FloatMode: 240
; IeeeMode: 1
; LDSByteSize: 0 bytes/workgroup (compile time only)
; SGPRBlocks: 0
; VGPRBlocks: 0
; NumSGPRsForWavesPerEU: 1
; NumVGPRsForWavesPerEU: 1
; NamedBarCnt: 0
; Occupancy: 16
; WaveLimiterHint : 0
; COMPUTE_PGM_RSRC2:SCRATCH_EN: 0
; COMPUTE_PGM_RSRC2:USER_SGPR: 2
; COMPUTE_PGM_RSRC2:TRAP_HANDLER: 0
; COMPUTE_PGM_RSRC2:TGID_X_EN: 1
; COMPUTE_PGM_RSRC2:TGID_Y_EN: 0
; COMPUTE_PGM_RSRC2:TGID_Z_EN: 0
; COMPUTE_PGM_RSRC2:TIDIG_COMP_CNT: 0
	.section	.text._ZN7rocprim17ROCPRIM_400000_NS6detail17trampoline_kernelINS0_14default_configENS1_33run_length_encode_config_selectorIajNS0_4plusIjEEEEZZNS1_33reduce_by_key_impl_wrapped_configILNS1_25lookback_scan_determinismE0ES3_S7_PKaNS0_17constant_iteratorIjlEEPaPlSF_S6_NS0_8equal_toIaEEEE10hipError_tPvRmT2_T3_mT4_T5_T6_T7_T8_P12ihipStream_tbENKUlT_T0_E_clISt17integral_constantIbLb0EESZ_EEDaSU_SV_EUlSU_E_NS1_11comp_targetILNS1_3genE9ELNS1_11target_archE1100ELNS1_3gpuE3ELNS1_3repE0EEENS1_30default_config_static_selectorELNS0_4arch9wavefront6targetE0EEEvT1_,"axG",@progbits,_ZN7rocprim17ROCPRIM_400000_NS6detail17trampoline_kernelINS0_14default_configENS1_33run_length_encode_config_selectorIajNS0_4plusIjEEEEZZNS1_33reduce_by_key_impl_wrapped_configILNS1_25lookback_scan_determinismE0ES3_S7_PKaNS0_17constant_iteratorIjlEEPaPlSF_S6_NS0_8equal_toIaEEEE10hipError_tPvRmT2_T3_mT4_T5_T6_T7_T8_P12ihipStream_tbENKUlT_T0_E_clISt17integral_constantIbLb0EESZ_EEDaSU_SV_EUlSU_E_NS1_11comp_targetILNS1_3genE9ELNS1_11target_archE1100ELNS1_3gpuE3ELNS1_3repE0EEENS1_30default_config_static_selectorELNS0_4arch9wavefront6targetE0EEEvT1_,comdat
	.protected	_ZN7rocprim17ROCPRIM_400000_NS6detail17trampoline_kernelINS0_14default_configENS1_33run_length_encode_config_selectorIajNS0_4plusIjEEEEZZNS1_33reduce_by_key_impl_wrapped_configILNS1_25lookback_scan_determinismE0ES3_S7_PKaNS0_17constant_iteratorIjlEEPaPlSF_S6_NS0_8equal_toIaEEEE10hipError_tPvRmT2_T3_mT4_T5_T6_T7_T8_P12ihipStream_tbENKUlT_T0_E_clISt17integral_constantIbLb0EESZ_EEDaSU_SV_EUlSU_E_NS1_11comp_targetILNS1_3genE9ELNS1_11target_archE1100ELNS1_3gpuE3ELNS1_3repE0EEENS1_30default_config_static_selectorELNS0_4arch9wavefront6targetE0EEEvT1_ ; -- Begin function _ZN7rocprim17ROCPRIM_400000_NS6detail17trampoline_kernelINS0_14default_configENS1_33run_length_encode_config_selectorIajNS0_4plusIjEEEEZZNS1_33reduce_by_key_impl_wrapped_configILNS1_25lookback_scan_determinismE0ES3_S7_PKaNS0_17constant_iteratorIjlEEPaPlSF_S6_NS0_8equal_toIaEEEE10hipError_tPvRmT2_T3_mT4_T5_T6_T7_T8_P12ihipStream_tbENKUlT_T0_E_clISt17integral_constantIbLb0EESZ_EEDaSU_SV_EUlSU_E_NS1_11comp_targetILNS1_3genE9ELNS1_11target_archE1100ELNS1_3gpuE3ELNS1_3repE0EEENS1_30default_config_static_selectorELNS0_4arch9wavefront6targetE0EEEvT1_
	.globl	_ZN7rocprim17ROCPRIM_400000_NS6detail17trampoline_kernelINS0_14default_configENS1_33run_length_encode_config_selectorIajNS0_4plusIjEEEEZZNS1_33reduce_by_key_impl_wrapped_configILNS1_25lookback_scan_determinismE0ES3_S7_PKaNS0_17constant_iteratorIjlEEPaPlSF_S6_NS0_8equal_toIaEEEE10hipError_tPvRmT2_T3_mT4_T5_T6_T7_T8_P12ihipStream_tbENKUlT_T0_E_clISt17integral_constantIbLb0EESZ_EEDaSU_SV_EUlSU_E_NS1_11comp_targetILNS1_3genE9ELNS1_11target_archE1100ELNS1_3gpuE3ELNS1_3repE0EEENS1_30default_config_static_selectorELNS0_4arch9wavefront6targetE0EEEvT1_
	.p2align	8
	.type	_ZN7rocprim17ROCPRIM_400000_NS6detail17trampoline_kernelINS0_14default_configENS1_33run_length_encode_config_selectorIajNS0_4plusIjEEEEZZNS1_33reduce_by_key_impl_wrapped_configILNS1_25lookback_scan_determinismE0ES3_S7_PKaNS0_17constant_iteratorIjlEEPaPlSF_S6_NS0_8equal_toIaEEEE10hipError_tPvRmT2_T3_mT4_T5_T6_T7_T8_P12ihipStream_tbENKUlT_T0_E_clISt17integral_constantIbLb0EESZ_EEDaSU_SV_EUlSU_E_NS1_11comp_targetILNS1_3genE9ELNS1_11target_archE1100ELNS1_3gpuE3ELNS1_3repE0EEENS1_30default_config_static_selectorELNS0_4arch9wavefront6targetE0EEEvT1_,@function
_ZN7rocprim17ROCPRIM_400000_NS6detail17trampoline_kernelINS0_14default_configENS1_33run_length_encode_config_selectorIajNS0_4plusIjEEEEZZNS1_33reduce_by_key_impl_wrapped_configILNS1_25lookback_scan_determinismE0ES3_S7_PKaNS0_17constant_iteratorIjlEEPaPlSF_S6_NS0_8equal_toIaEEEE10hipError_tPvRmT2_T3_mT4_T5_T6_T7_T8_P12ihipStream_tbENKUlT_T0_E_clISt17integral_constantIbLb0EESZ_EEDaSU_SV_EUlSU_E_NS1_11comp_targetILNS1_3genE9ELNS1_11target_archE1100ELNS1_3gpuE3ELNS1_3repE0EEENS1_30default_config_static_selectorELNS0_4arch9wavefront6targetE0EEEvT1_: ; @_ZN7rocprim17ROCPRIM_400000_NS6detail17trampoline_kernelINS0_14default_configENS1_33run_length_encode_config_selectorIajNS0_4plusIjEEEEZZNS1_33reduce_by_key_impl_wrapped_configILNS1_25lookback_scan_determinismE0ES3_S7_PKaNS0_17constant_iteratorIjlEEPaPlSF_S6_NS0_8equal_toIaEEEE10hipError_tPvRmT2_T3_mT4_T5_T6_T7_T8_P12ihipStream_tbENKUlT_T0_E_clISt17integral_constantIbLb0EESZ_EEDaSU_SV_EUlSU_E_NS1_11comp_targetILNS1_3genE9ELNS1_11target_archE1100ELNS1_3gpuE3ELNS1_3repE0EEENS1_30default_config_static_selectorELNS0_4arch9wavefront6targetE0EEEvT1_
; %bb.0:
	.section	.rodata,"a",@progbits
	.p2align	6, 0x0
	.amdhsa_kernel _ZN7rocprim17ROCPRIM_400000_NS6detail17trampoline_kernelINS0_14default_configENS1_33run_length_encode_config_selectorIajNS0_4plusIjEEEEZZNS1_33reduce_by_key_impl_wrapped_configILNS1_25lookback_scan_determinismE0ES3_S7_PKaNS0_17constant_iteratorIjlEEPaPlSF_S6_NS0_8equal_toIaEEEE10hipError_tPvRmT2_T3_mT4_T5_T6_T7_T8_P12ihipStream_tbENKUlT_T0_E_clISt17integral_constantIbLb0EESZ_EEDaSU_SV_EUlSU_E_NS1_11comp_targetILNS1_3genE9ELNS1_11target_archE1100ELNS1_3gpuE3ELNS1_3repE0EEENS1_30default_config_static_selectorELNS0_4arch9wavefront6targetE0EEEvT1_
		.amdhsa_group_segment_fixed_size 0
		.amdhsa_private_segment_fixed_size 0
		.amdhsa_kernarg_size 128
		.amdhsa_user_sgpr_count 2
		.amdhsa_user_sgpr_dispatch_ptr 0
		.amdhsa_user_sgpr_queue_ptr 0
		.amdhsa_user_sgpr_kernarg_segment_ptr 1
		.amdhsa_user_sgpr_dispatch_id 0
		.amdhsa_user_sgpr_kernarg_preload_length 0
		.amdhsa_user_sgpr_kernarg_preload_offset 0
		.amdhsa_user_sgpr_private_segment_size 0
		.amdhsa_wavefront_size32 1
		.amdhsa_uses_dynamic_stack 0
		.amdhsa_enable_private_segment 0
		.amdhsa_system_sgpr_workgroup_id_x 1
		.amdhsa_system_sgpr_workgroup_id_y 0
		.amdhsa_system_sgpr_workgroup_id_z 0
		.amdhsa_system_sgpr_workgroup_info 0
		.amdhsa_system_vgpr_workitem_id 0
		.amdhsa_next_free_vgpr 1
		.amdhsa_next_free_sgpr 1
		.amdhsa_named_barrier_count 0
		.amdhsa_reserve_vcc 0
		.amdhsa_float_round_mode_32 0
		.amdhsa_float_round_mode_16_64 0
		.amdhsa_float_denorm_mode_32 3
		.amdhsa_float_denorm_mode_16_64 3
		.amdhsa_fp16_overflow 0
		.amdhsa_memory_ordered 1
		.amdhsa_forward_progress 1
		.amdhsa_inst_pref_size 0
		.amdhsa_round_robin_scheduling 0
		.amdhsa_exception_fp_ieee_invalid_op 0
		.amdhsa_exception_fp_denorm_src 0
		.amdhsa_exception_fp_ieee_div_zero 0
		.amdhsa_exception_fp_ieee_overflow 0
		.amdhsa_exception_fp_ieee_underflow 0
		.amdhsa_exception_fp_ieee_inexact 0
		.amdhsa_exception_int_div_zero 0
	.end_amdhsa_kernel
	.section	.text._ZN7rocprim17ROCPRIM_400000_NS6detail17trampoline_kernelINS0_14default_configENS1_33run_length_encode_config_selectorIajNS0_4plusIjEEEEZZNS1_33reduce_by_key_impl_wrapped_configILNS1_25lookback_scan_determinismE0ES3_S7_PKaNS0_17constant_iteratorIjlEEPaPlSF_S6_NS0_8equal_toIaEEEE10hipError_tPvRmT2_T3_mT4_T5_T6_T7_T8_P12ihipStream_tbENKUlT_T0_E_clISt17integral_constantIbLb0EESZ_EEDaSU_SV_EUlSU_E_NS1_11comp_targetILNS1_3genE9ELNS1_11target_archE1100ELNS1_3gpuE3ELNS1_3repE0EEENS1_30default_config_static_selectorELNS0_4arch9wavefront6targetE0EEEvT1_,"axG",@progbits,_ZN7rocprim17ROCPRIM_400000_NS6detail17trampoline_kernelINS0_14default_configENS1_33run_length_encode_config_selectorIajNS0_4plusIjEEEEZZNS1_33reduce_by_key_impl_wrapped_configILNS1_25lookback_scan_determinismE0ES3_S7_PKaNS0_17constant_iteratorIjlEEPaPlSF_S6_NS0_8equal_toIaEEEE10hipError_tPvRmT2_T3_mT4_T5_T6_T7_T8_P12ihipStream_tbENKUlT_T0_E_clISt17integral_constantIbLb0EESZ_EEDaSU_SV_EUlSU_E_NS1_11comp_targetILNS1_3genE9ELNS1_11target_archE1100ELNS1_3gpuE3ELNS1_3repE0EEENS1_30default_config_static_selectorELNS0_4arch9wavefront6targetE0EEEvT1_,comdat
.Lfunc_end242:
	.size	_ZN7rocprim17ROCPRIM_400000_NS6detail17trampoline_kernelINS0_14default_configENS1_33run_length_encode_config_selectorIajNS0_4plusIjEEEEZZNS1_33reduce_by_key_impl_wrapped_configILNS1_25lookback_scan_determinismE0ES3_S7_PKaNS0_17constant_iteratorIjlEEPaPlSF_S6_NS0_8equal_toIaEEEE10hipError_tPvRmT2_T3_mT4_T5_T6_T7_T8_P12ihipStream_tbENKUlT_T0_E_clISt17integral_constantIbLb0EESZ_EEDaSU_SV_EUlSU_E_NS1_11comp_targetILNS1_3genE9ELNS1_11target_archE1100ELNS1_3gpuE3ELNS1_3repE0EEENS1_30default_config_static_selectorELNS0_4arch9wavefront6targetE0EEEvT1_, .Lfunc_end242-_ZN7rocprim17ROCPRIM_400000_NS6detail17trampoline_kernelINS0_14default_configENS1_33run_length_encode_config_selectorIajNS0_4plusIjEEEEZZNS1_33reduce_by_key_impl_wrapped_configILNS1_25lookback_scan_determinismE0ES3_S7_PKaNS0_17constant_iteratorIjlEEPaPlSF_S6_NS0_8equal_toIaEEEE10hipError_tPvRmT2_T3_mT4_T5_T6_T7_T8_P12ihipStream_tbENKUlT_T0_E_clISt17integral_constantIbLb0EESZ_EEDaSU_SV_EUlSU_E_NS1_11comp_targetILNS1_3genE9ELNS1_11target_archE1100ELNS1_3gpuE3ELNS1_3repE0EEENS1_30default_config_static_selectorELNS0_4arch9wavefront6targetE0EEEvT1_
                                        ; -- End function
	.set _ZN7rocprim17ROCPRIM_400000_NS6detail17trampoline_kernelINS0_14default_configENS1_33run_length_encode_config_selectorIajNS0_4plusIjEEEEZZNS1_33reduce_by_key_impl_wrapped_configILNS1_25lookback_scan_determinismE0ES3_S7_PKaNS0_17constant_iteratorIjlEEPaPlSF_S6_NS0_8equal_toIaEEEE10hipError_tPvRmT2_T3_mT4_T5_T6_T7_T8_P12ihipStream_tbENKUlT_T0_E_clISt17integral_constantIbLb0EESZ_EEDaSU_SV_EUlSU_E_NS1_11comp_targetILNS1_3genE9ELNS1_11target_archE1100ELNS1_3gpuE3ELNS1_3repE0EEENS1_30default_config_static_selectorELNS0_4arch9wavefront6targetE0EEEvT1_.num_vgpr, 0
	.set _ZN7rocprim17ROCPRIM_400000_NS6detail17trampoline_kernelINS0_14default_configENS1_33run_length_encode_config_selectorIajNS0_4plusIjEEEEZZNS1_33reduce_by_key_impl_wrapped_configILNS1_25lookback_scan_determinismE0ES3_S7_PKaNS0_17constant_iteratorIjlEEPaPlSF_S6_NS0_8equal_toIaEEEE10hipError_tPvRmT2_T3_mT4_T5_T6_T7_T8_P12ihipStream_tbENKUlT_T0_E_clISt17integral_constantIbLb0EESZ_EEDaSU_SV_EUlSU_E_NS1_11comp_targetILNS1_3genE9ELNS1_11target_archE1100ELNS1_3gpuE3ELNS1_3repE0EEENS1_30default_config_static_selectorELNS0_4arch9wavefront6targetE0EEEvT1_.num_agpr, 0
	.set _ZN7rocprim17ROCPRIM_400000_NS6detail17trampoline_kernelINS0_14default_configENS1_33run_length_encode_config_selectorIajNS0_4plusIjEEEEZZNS1_33reduce_by_key_impl_wrapped_configILNS1_25lookback_scan_determinismE0ES3_S7_PKaNS0_17constant_iteratorIjlEEPaPlSF_S6_NS0_8equal_toIaEEEE10hipError_tPvRmT2_T3_mT4_T5_T6_T7_T8_P12ihipStream_tbENKUlT_T0_E_clISt17integral_constantIbLb0EESZ_EEDaSU_SV_EUlSU_E_NS1_11comp_targetILNS1_3genE9ELNS1_11target_archE1100ELNS1_3gpuE3ELNS1_3repE0EEENS1_30default_config_static_selectorELNS0_4arch9wavefront6targetE0EEEvT1_.numbered_sgpr, 0
	.set _ZN7rocprim17ROCPRIM_400000_NS6detail17trampoline_kernelINS0_14default_configENS1_33run_length_encode_config_selectorIajNS0_4plusIjEEEEZZNS1_33reduce_by_key_impl_wrapped_configILNS1_25lookback_scan_determinismE0ES3_S7_PKaNS0_17constant_iteratorIjlEEPaPlSF_S6_NS0_8equal_toIaEEEE10hipError_tPvRmT2_T3_mT4_T5_T6_T7_T8_P12ihipStream_tbENKUlT_T0_E_clISt17integral_constantIbLb0EESZ_EEDaSU_SV_EUlSU_E_NS1_11comp_targetILNS1_3genE9ELNS1_11target_archE1100ELNS1_3gpuE3ELNS1_3repE0EEENS1_30default_config_static_selectorELNS0_4arch9wavefront6targetE0EEEvT1_.num_named_barrier, 0
	.set _ZN7rocprim17ROCPRIM_400000_NS6detail17trampoline_kernelINS0_14default_configENS1_33run_length_encode_config_selectorIajNS0_4plusIjEEEEZZNS1_33reduce_by_key_impl_wrapped_configILNS1_25lookback_scan_determinismE0ES3_S7_PKaNS0_17constant_iteratorIjlEEPaPlSF_S6_NS0_8equal_toIaEEEE10hipError_tPvRmT2_T3_mT4_T5_T6_T7_T8_P12ihipStream_tbENKUlT_T0_E_clISt17integral_constantIbLb0EESZ_EEDaSU_SV_EUlSU_E_NS1_11comp_targetILNS1_3genE9ELNS1_11target_archE1100ELNS1_3gpuE3ELNS1_3repE0EEENS1_30default_config_static_selectorELNS0_4arch9wavefront6targetE0EEEvT1_.private_seg_size, 0
	.set _ZN7rocprim17ROCPRIM_400000_NS6detail17trampoline_kernelINS0_14default_configENS1_33run_length_encode_config_selectorIajNS0_4plusIjEEEEZZNS1_33reduce_by_key_impl_wrapped_configILNS1_25lookback_scan_determinismE0ES3_S7_PKaNS0_17constant_iteratorIjlEEPaPlSF_S6_NS0_8equal_toIaEEEE10hipError_tPvRmT2_T3_mT4_T5_T6_T7_T8_P12ihipStream_tbENKUlT_T0_E_clISt17integral_constantIbLb0EESZ_EEDaSU_SV_EUlSU_E_NS1_11comp_targetILNS1_3genE9ELNS1_11target_archE1100ELNS1_3gpuE3ELNS1_3repE0EEENS1_30default_config_static_selectorELNS0_4arch9wavefront6targetE0EEEvT1_.uses_vcc, 0
	.set _ZN7rocprim17ROCPRIM_400000_NS6detail17trampoline_kernelINS0_14default_configENS1_33run_length_encode_config_selectorIajNS0_4plusIjEEEEZZNS1_33reduce_by_key_impl_wrapped_configILNS1_25lookback_scan_determinismE0ES3_S7_PKaNS0_17constant_iteratorIjlEEPaPlSF_S6_NS0_8equal_toIaEEEE10hipError_tPvRmT2_T3_mT4_T5_T6_T7_T8_P12ihipStream_tbENKUlT_T0_E_clISt17integral_constantIbLb0EESZ_EEDaSU_SV_EUlSU_E_NS1_11comp_targetILNS1_3genE9ELNS1_11target_archE1100ELNS1_3gpuE3ELNS1_3repE0EEENS1_30default_config_static_selectorELNS0_4arch9wavefront6targetE0EEEvT1_.uses_flat_scratch, 0
	.set _ZN7rocprim17ROCPRIM_400000_NS6detail17trampoline_kernelINS0_14default_configENS1_33run_length_encode_config_selectorIajNS0_4plusIjEEEEZZNS1_33reduce_by_key_impl_wrapped_configILNS1_25lookback_scan_determinismE0ES3_S7_PKaNS0_17constant_iteratorIjlEEPaPlSF_S6_NS0_8equal_toIaEEEE10hipError_tPvRmT2_T3_mT4_T5_T6_T7_T8_P12ihipStream_tbENKUlT_T0_E_clISt17integral_constantIbLb0EESZ_EEDaSU_SV_EUlSU_E_NS1_11comp_targetILNS1_3genE9ELNS1_11target_archE1100ELNS1_3gpuE3ELNS1_3repE0EEENS1_30default_config_static_selectorELNS0_4arch9wavefront6targetE0EEEvT1_.has_dyn_sized_stack, 0
	.set _ZN7rocprim17ROCPRIM_400000_NS6detail17trampoline_kernelINS0_14default_configENS1_33run_length_encode_config_selectorIajNS0_4plusIjEEEEZZNS1_33reduce_by_key_impl_wrapped_configILNS1_25lookback_scan_determinismE0ES3_S7_PKaNS0_17constant_iteratorIjlEEPaPlSF_S6_NS0_8equal_toIaEEEE10hipError_tPvRmT2_T3_mT4_T5_T6_T7_T8_P12ihipStream_tbENKUlT_T0_E_clISt17integral_constantIbLb0EESZ_EEDaSU_SV_EUlSU_E_NS1_11comp_targetILNS1_3genE9ELNS1_11target_archE1100ELNS1_3gpuE3ELNS1_3repE0EEENS1_30default_config_static_selectorELNS0_4arch9wavefront6targetE0EEEvT1_.has_recursion, 0
	.set _ZN7rocprim17ROCPRIM_400000_NS6detail17trampoline_kernelINS0_14default_configENS1_33run_length_encode_config_selectorIajNS0_4plusIjEEEEZZNS1_33reduce_by_key_impl_wrapped_configILNS1_25lookback_scan_determinismE0ES3_S7_PKaNS0_17constant_iteratorIjlEEPaPlSF_S6_NS0_8equal_toIaEEEE10hipError_tPvRmT2_T3_mT4_T5_T6_T7_T8_P12ihipStream_tbENKUlT_T0_E_clISt17integral_constantIbLb0EESZ_EEDaSU_SV_EUlSU_E_NS1_11comp_targetILNS1_3genE9ELNS1_11target_archE1100ELNS1_3gpuE3ELNS1_3repE0EEENS1_30default_config_static_selectorELNS0_4arch9wavefront6targetE0EEEvT1_.has_indirect_call, 0
	.section	.AMDGPU.csdata,"",@progbits
; Kernel info:
; codeLenInByte = 0
; TotalNumSgprs: 0
; NumVgprs: 0
; ScratchSize: 0
; MemoryBound: 0
; FloatMode: 240
; IeeeMode: 1
; LDSByteSize: 0 bytes/workgroup (compile time only)
; SGPRBlocks: 0
; VGPRBlocks: 0
; NumSGPRsForWavesPerEU: 1
; NumVGPRsForWavesPerEU: 1
; NamedBarCnt: 0
; Occupancy: 16
; WaveLimiterHint : 0
; COMPUTE_PGM_RSRC2:SCRATCH_EN: 0
; COMPUTE_PGM_RSRC2:USER_SGPR: 2
; COMPUTE_PGM_RSRC2:TRAP_HANDLER: 0
; COMPUTE_PGM_RSRC2:TGID_X_EN: 1
; COMPUTE_PGM_RSRC2:TGID_Y_EN: 0
; COMPUTE_PGM_RSRC2:TGID_Z_EN: 0
; COMPUTE_PGM_RSRC2:TIDIG_COMP_CNT: 0
	.section	.text._ZN7rocprim17ROCPRIM_400000_NS6detail17trampoline_kernelINS0_14default_configENS1_33run_length_encode_config_selectorIajNS0_4plusIjEEEEZZNS1_33reduce_by_key_impl_wrapped_configILNS1_25lookback_scan_determinismE0ES3_S7_PKaNS0_17constant_iteratorIjlEEPaPlSF_S6_NS0_8equal_toIaEEEE10hipError_tPvRmT2_T3_mT4_T5_T6_T7_T8_P12ihipStream_tbENKUlT_T0_E_clISt17integral_constantIbLb0EESZ_EEDaSU_SV_EUlSU_E_NS1_11comp_targetILNS1_3genE8ELNS1_11target_archE1030ELNS1_3gpuE2ELNS1_3repE0EEENS1_30default_config_static_selectorELNS0_4arch9wavefront6targetE0EEEvT1_,"axG",@progbits,_ZN7rocprim17ROCPRIM_400000_NS6detail17trampoline_kernelINS0_14default_configENS1_33run_length_encode_config_selectorIajNS0_4plusIjEEEEZZNS1_33reduce_by_key_impl_wrapped_configILNS1_25lookback_scan_determinismE0ES3_S7_PKaNS0_17constant_iteratorIjlEEPaPlSF_S6_NS0_8equal_toIaEEEE10hipError_tPvRmT2_T3_mT4_T5_T6_T7_T8_P12ihipStream_tbENKUlT_T0_E_clISt17integral_constantIbLb0EESZ_EEDaSU_SV_EUlSU_E_NS1_11comp_targetILNS1_3genE8ELNS1_11target_archE1030ELNS1_3gpuE2ELNS1_3repE0EEENS1_30default_config_static_selectorELNS0_4arch9wavefront6targetE0EEEvT1_,comdat
	.protected	_ZN7rocprim17ROCPRIM_400000_NS6detail17trampoline_kernelINS0_14default_configENS1_33run_length_encode_config_selectorIajNS0_4plusIjEEEEZZNS1_33reduce_by_key_impl_wrapped_configILNS1_25lookback_scan_determinismE0ES3_S7_PKaNS0_17constant_iteratorIjlEEPaPlSF_S6_NS0_8equal_toIaEEEE10hipError_tPvRmT2_T3_mT4_T5_T6_T7_T8_P12ihipStream_tbENKUlT_T0_E_clISt17integral_constantIbLb0EESZ_EEDaSU_SV_EUlSU_E_NS1_11comp_targetILNS1_3genE8ELNS1_11target_archE1030ELNS1_3gpuE2ELNS1_3repE0EEENS1_30default_config_static_selectorELNS0_4arch9wavefront6targetE0EEEvT1_ ; -- Begin function _ZN7rocprim17ROCPRIM_400000_NS6detail17trampoline_kernelINS0_14default_configENS1_33run_length_encode_config_selectorIajNS0_4plusIjEEEEZZNS1_33reduce_by_key_impl_wrapped_configILNS1_25lookback_scan_determinismE0ES3_S7_PKaNS0_17constant_iteratorIjlEEPaPlSF_S6_NS0_8equal_toIaEEEE10hipError_tPvRmT2_T3_mT4_T5_T6_T7_T8_P12ihipStream_tbENKUlT_T0_E_clISt17integral_constantIbLb0EESZ_EEDaSU_SV_EUlSU_E_NS1_11comp_targetILNS1_3genE8ELNS1_11target_archE1030ELNS1_3gpuE2ELNS1_3repE0EEENS1_30default_config_static_selectorELNS0_4arch9wavefront6targetE0EEEvT1_
	.globl	_ZN7rocprim17ROCPRIM_400000_NS6detail17trampoline_kernelINS0_14default_configENS1_33run_length_encode_config_selectorIajNS0_4plusIjEEEEZZNS1_33reduce_by_key_impl_wrapped_configILNS1_25lookback_scan_determinismE0ES3_S7_PKaNS0_17constant_iteratorIjlEEPaPlSF_S6_NS0_8equal_toIaEEEE10hipError_tPvRmT2_T3_mT4_T5_T6_T7_T8_P12ihipStream_tbENKUlT_T0_E_clISt17integral_constantIbLb0EESZ_EEDaSU_SV_EUlSU_E_NS1_11comp_targetILNS1_3genE8ELNS1_11target_archE1030ELNS1_3gpuE2ELNS1_3repE0EEENS1_30default_config_static_selectorELNS0_4arch9wavefront6targetE0EEEvT1_
	.p2align	8
	.type	_ZN7rocprim17ROCPRIM_400000_NS6detail17trampoline_kernelINS0_14default_configENS1_33run_length_encode_config_selectorIajNS0_4plusIjEEEEZZNS1_33reduce_by_key_impl_wrapped_configILNS1_25lookback_scan_determinismE0ES3_S7_PKaNS0_17constant_iteratorIjlEEPaPlSF_S6_NS0_8equal_toIaEEEE10hipError_tPvRmT2_T3_mT4_T5_T6_T7_T8_P12ihipStream_tbENKUlT_T0_E_clISt17integral_constantIbLb0EESZ_EEDaSU_SV_EUlSU_E_NS1_11comp_targetILNS1_3genE8ELNS1_11target_archE1030ELNS1_3gpuE2ELNS1_3repE0EEENS1_30default_config_static_selectorELNS0_4arch9wavefront6targetE0EEEvT1_,@function
_ZN7rocprim17ROCPRIM_400000_NS6detail17trampoline_kernelINS0_14default_configENS1_33run_length_encode_config_selectorIajNS0_4plusIjEEEEZZNS1_33reduce_by_key_impl_wrapped_configILNS1_25lookback_scan_determinismE0ES3_S7_PKaNS0_17constant_iteratorIjlEEPaPlSF_S6_NS0_8equal_toIaEEEE10hipError_tPvRmT2_T3_mT4_T5_T6_T7_T8_P12ihipStream_tbENKUlT_T0_E_clISt17integral_constantIbLb0EESZ_EEDaSU_SV_EUlSU_E_NS1_11comp_targetILNS1_3genE8ELNS1_11target_archE1030ELNS1_3gpuE2ELNS1_3repE0EEENS1_30default_config_static_selectorELNS0_4arch9wavefront6targetE0EEEvT1_: ; @_ZN7rocprim17ROCPRIM_400000_NS6detail17trampoline_kernelINS0_14default_configENS1_33run_length_encode_config_selectorIajNS0_4plusIjEEEEZZNS1_33reduce_by_key_impl_wrapped_configILNS1_25lookback_scan_determinismE0ES3_S7_PKaNS0_17constant_iteratorIjlEEPaPlSF_S6_NS0_8equal_toIaEEEE10hipError_tPvRmT2_T3_mT4_T5_T6_T7_T8_P12ihipStream_tbENKUlT_T0_E_clISt17integral_constantIbLb0EESZ_EEDaSU_SV_EUlSU_E_NS1_11comp_targetILNS1_3genE8ELNS1_11target_archE1030ELNS1_3gpuE2ELNS1_3repE0EEENS1_30default_config_static_selectorELNS0_4arch9wavefront6targetE0EEEvT1_
; %bb.0:
	.section	.rodata,"a",@progbits
	.p2align	6, 0x0
	.amdhsa_kernel _ZN7rocprim17ROCPRIM_400000_NS6detail17trampoline_kernelINS0_14default_configENS1_33run_length_encode_config_selectorIajNS0_4plusIjEEEEZZNS1_33reduce_by_key_impl_wrapped_configILNS1_25lookback_scan_determinismE0ES3_S7_PKaNS0_17constant_iteratorIjlEEPaPlSF_S6_NS0_8equal_toIaEEEE10hipError_tPvRmT2_T3_mT4_T5_T6_T7_T8_P12ihipStream_tbENKUlT_T0_E_clISt17integral_constantIbLb0EESZ_EEDaSU_SV_EUlSU_E_NS1_11comp_targetILNS1_3genE8ELNS1_11target_archE1030ELNS1_3gpuE2ELNS1_3repE0EEENS1_30default_config_static_selectorELNS0_4arch9wavefront6targetE0EEEvT1_
		.amdhsa_group_segment_fixed_size 0
		.amdhsa_private_segment_fixed_size 0
		.amdhsa_kernarg_size 128
		.amdhsa_user_sgpr_count 2
		.amdhsa_user_sgpr_dispatch_ptr 0
		.amdhsa_user_sgpr_queue_ptr 0
		.amdhsa_user_sgpr_kernarg_segment_ptr 1
		.amdhsa_user_sgpr_dispatch_id 0
		.amdhsa_user_sgpr_kernarg_preload_length 0
		.amdhsa_user_sgpr_kernarg_preload_offset 0
		.amdhsa_user_sgpr_private_segment_size 0
		.amdhsa_wavefront_size32 1
		.amdhsa_uses_dynamic_stack 0
		.amdhsa_enable_private_segment 0
		.amdhsa_system_sgpr_workgroup_id_x 1
		.amdhsa_system_sgpr_workgroup_id_y 0
		.amdhsa_system_sgpr_workgroup_id_z 0
		.amdhsa_system_sgpr_workgroup_info 0
		.amdhsa_system_vgpr_workitem_id 0
		.amdhsa_next_free_vgpr 1
		.amdhsa_next_free_sgpr 1
		.amdhsa_named_barrier_count 0
		.amdhsa_reserve_vcc 0
		.amdhsa_float_round_mode_32 0
		.amdhsa_float_round_mode_16_64 0
		.amdhsa_float_denorm_mode_32 3
		.amdhsa_float_denorm_mode_16_64 3
		.amdhsa_fp16_overflow 0
		.amdhsa_memory_ordered 1
		.amdhsa_forward_progress 1
		.amdhsa_inst_pref_size 0
		.amdhsa_round_robin_scheduling 0
		.amdhsa_exception_fp_ieee_invalid_op 0
		.amdhsa_exception_fp_denorm_src 0
		.amdhsa_exception_fp_ieee_div_zero 0
		.amdhsa_exception_fp_ieee_overflow 0
		.amdhsa_exception_fp_ieee_underflow 0
		.amdhsa_exception_fp_ieee_inexact 0
		.amdhsa_exception_int_div_zero 0
	.end_amdhsa_kernel
	.section	.text._ZN7rocprim17ROCPRIM_400000_NS6detail17trampoline_kernelINS0_14default_configENS1_33run_length_encode_config_selectorIajNS0_4plusIjEEEEZZNS1_33reduce_by_key_impl_wrapped_configILNS1_25lookback_scan_determinismE0ES3_S7_PKaNS0_17constant_iteratorIjlEEPaPlSF_S6_NS0_8equal_toIaEEEE10hipError_tPvRmT2_T3_mT4_T5_T6_T7_T8_P12ihipStream_tbENKUlT_T0_E_clISt17integral_constantIbLb0EESZ_EEDaSU_SV_EUlSU_E_NS1_11comp_targetILNS1_3genE8ELNS1_11target_archE1030ELNS1_3gpuE2ELNS1_3repE0EEENS1_30default_config_static_selectorELNS0_4arch9wavefront6targetE0EEEvT1_,"axG",@progbits,_ZN7rocprim17ROCPRIM_400000_NS6detail17trampoline_kernelINS0_14default_configENS1_33run_length_encode_config_selectorIajNS0_4plusIjEEEEZZNS1_33reduce_by_key_impl_wrapped_configILNS1_25lookback_scan_determinismE0ES3_S7_PKaNS0_17constant_iteratorIjlEEPaPlSF_S6_NS0_8equal_toIaEEEE10hipError_tPvRmT2_T3_mT4_T5_T6_T7_T8_P12ihipStream_tbENKUlT_T0_E_clISt17integral_constantIbLb0EESZ_EEDaSU_SV_EUlSU_E_NS1_11comp_targetILNS1_3genE8ELNS1_11target_archE1030ELNS1_3gpuE2ELNS1_3repE0EEENS1_30default_config_static_selectorELNS0_4arch9wavefront6targetE0EEEvT1_,comdat
.Lfunc_end243:
	.size	_ZN7rocprim17ROCPRIM_400000_NS6detail17trampoline_kernelINS0_14default_configENS1_33run_length_encode_config_selectorIajNS0_4plusIjEEEEZZNS1_33reduce_by_key_impl_wrapped_configILNS1_25lookback_scan_determinismE0ES3_S7_PKaNS0_17constant_iteratorIjlEEPaPlSF_S6_NS0_8equal_toIaEEEE10hipError_tPvRmT2_T3_mT4_T5_T6_T7_T8_P12ihipStream_tbENKUlT_T0_E_clISt17integral_constantIbLb0EESZ_EEDaSU_SV_EUlSU_E_NS1_11comp_targetILNS1_3genE8ELNS1_11target_archE1030ELNS1_3gpuE2ELNS1_3repE0EEENS1_30default_config_static_selectorELNS0_4arch9wavefront6targetE0EEEvT1_, .Lfunc_end243-_ZN7rocprim17ROCPRIM_400000_NS6detail17trampoline_kernelINS0_14default_configENS1_33run_length_encode_config_selectorIajNS0_4plusIjEEEEZZNS1_33reduce_by_key_impl_wrapped_configILNS1_25lookback_scan_determinismE0ES3_S7_PKaNS0_17constant_iteratorIjlEEPaPlSF_S6_NS0_8equal_toIaEEEE10hipError_tPvRmT2_T3_mT4_T5_T6_T7_T8_P12ihipStream_tbENKUlT_T0_E_clISt17integral_constantIbLb0EESZ_EEDaSU_SV_EUlSU_E_NS1_11comp_targetILNS1_3genE8ELNS1_11target_archE1030ELNS1_3gpuE2ELNS1_3repE0EEENS1_30default_config_static_selectorELNS0_4arch9wavefront6targetE0EEEvT1_
                                        ; -- End function
	.set _ZN7rocprim17ROCPRIM_400000_NS6detail17trampoline_kernelINS0_14default_configENS1_33run_length_encode_config_selectorIajNS0_4plusIjEEEEZZNS1_33reduce_by_key_impl_wrapped_configILNS1_25lookback_scan_determinismE0ES3_S7_PKaNS0_17constant_iteratorIjlEEPaPlSF_S6_NS0_8equal_toIaEEEE10hipError_tPvRmT2_T3_mT4_T5_T6_T7_T8_P12ihipStream_tbENKUlT_T0_E_clISt17integral_constantIbLb0EESZ_EEDaSU_SV_EUlSU_E_NS1_11comp_targetILNS1_3genE8ELNS1_11target_archE1030ELNS1_3gpuE2ELNS1_3repE0EEENS1_30default_config_static_selectorELNS0_4arch9wavefront6targetE0EEEvT1_.num_vgpr, 0
	.set _ZN7rocprim17ROCPRIM_400000_NS6detail17trampoline_kernelINS0_14default_configENS1_33run_length_encode_config_selectorIajNS0_4plusIjEEEEZZNS1_33reduce_by_key_impl_wrapped_configILNS1_25lookback_scan_determinismE0ES3_S7_PKaNS0_17constant_iteratorIjlEEPaPlSF_S6_NS0_8equal_toIaEEEE10hipError_tPvRmT2_T3_mT4_T5_T6_T7_T8_P12ihipStream_tbENKUlT_T0_E_clISt17integral_constantIbLb0EESZ_EEDaSU_SV_EUlSU_E_NS1_11comp_targetILNS1_3genE8ELNS1_11target_archE1030ELNS1_3gpuE2ELNS1_3repE0EEENS1_30default_config_static_selectorELNS0_4arch9wavefront6targetE0EEEvT1_.num_agpr, 0
	.set _ZN7rocprim17ROCPRIM_400000_NS6detail17trampoline_kernelINS0_14default_configENS1_33run_length_encode_config_selectorIajNS0_4plusIjEEEEZZNS1_33reduce_by_key_impl_wrapped_configILNS1_25lookback_scan_determinismE0ES3_S7_PKaNS0_17constant_iteratorIjlEEPaPlSF_S6_NS0_8equal_toIaEEEE10hipError_tPvRmT2_T3_mT4_T5_T6_T7_T8_P12ihipStream_tbENKUlT_T0_E_clISt17integral_constantIbLb0EESZ_EEDaSU_SV_EUlSU_E_NS1_11comp_targetILNS1_3genE8ELNS1_11target_archE1030ELNS1_3gpuE2ELNS1_3repE0EEENS1_30default_config_static_selectorELNS0_4arch9wavefront6targetE0EEEvT1_.numbered_sgpr, 0
	.set _ZN7rocprim17ROCPRIM_400000_NS6detail17trampoline_kernelINS0_14default_configENS1_33run_length_encode_config_selectorIajNS0_4plusIjEEEEZZNS1_33reduce_by_key_impl_wrapped_configILNS1_25lookback_scan_determinismE0ES3_S7_PKaNS0_17constant_iteratorIjlEEPaPlSF_S6_NS0_8equal_toIaEEEE10hipError_tPvRmT2_T3_mT4_T5_T6_T7_T8_P12ihipStream_tbENKUlT_T0_E_clISt17integral_constantIbLb0EESZ_EEDaSU_SV_EUlSU_E_NS1_11comp_targetILNS1_3genE8ELNS1_11target_archE1030ELNS1_3gpuE2ELNS1_3repE0EEENS1_30default_config_static_selectorELNS0_4arch9wavefront6targetE0EEEvT1_.num_named_barrier, 0
	.set _ZN7rocprim17ROCPRIM_400000_NS6detail17trampoline_kernelINS0_14default_configENS1_33run_length_encode_config_selectorIajNS0_4plusIjEEEEZZNS1_33reduce_by_key_impl_wrapped_configILNS1_25lookback_scan_determinismE0ES3_S7_PKaNS0_17constant_iteratorIjlEEPaPlSF_S6_NS0_8equal_toIaEEEE10hipError_tPvRmT2_T3_mT4_T5_T6_T7_T8_P12ihipStream_tbENKUlT_T0_E_clISt17integral_constantIbLb0EESZ_EEDaSU_SV_EUlSU_E_NS1_11comp_targetILNS1_3genE8ELNS1_11target_archE1030ELNS1_3gpuE2ELNS1_3repE0EEENS1_30default_config_static_selectorELNS0_4arch9wavefront6targetE0EEEvT1_.private_seg_size, 0
	.set _ZN7rocprim17ROCPRIM_400000_NS6detail17trampoline_kernelINS0_14default_configENS1_33run_length_encode_config_selectorIajNS0_4plusIjEEEEZZNS1_33reduce_by_key_impl_wrapped_configILNS1_25lookback_scan_determinismE0ES3_S7_PKaNS0_17constant_iteratorIjlEEPaPlSF_S6_NS0_8equal_toIaEEEE10hipError_tPvRmT2_T3_mT4_T5_T6_T7_T8_P12ihipStream_tbENKUlT_T0_E_clISt17integral_constantIbLb0EESZ_EEDaSU_SV_EUlSU_E_NS1_11comp_targetILNS1_3genE8ELNS1_11target_archE1030ELNS1_3gpuE2ELNS1_3repE0EEENS1_30default_config_static_selectorELNS0_4arch9wavefront6targetE0EEEvT1_.uses_vcc, 0
	.set _ZN7rocprim17ROCPRIM_400000_NS6detail17trampoline_kernelINS0_14default_configENS1_33run_length_encode_config_selectorIajNS0_4plusIjEEEEZZNS1_33reduce_by_key_impl_wrapped_configILNS1_25lookback_scan_determinismE0ES3_S7_PKaNS0_17constant_iteratorIjlEEPaPlSF_S6_NS0_8equal_toIaEEEE10hipError_tPvRmT2_T3_mT4_T5_T6_T7_T8_P12ihipStream_tbENKUlT_T0_E_clISt17integral_constantIbLb0EESZ_EEDaSU_SV_EUlSU_E_NS1_11comp_targetILNS1_3genE8ELNS1_11target_archE1030ELNS1_3gpuE2ELNS1_3repE0EEENS1_30default_config_static_selectorELNS0_4arch9wavefront6targetE0EEEvT1_.uses_flat_scratch, 0
	.set _ZN7rocprim17ROCPRIM_400000_NS6detail17trampoline_kernelINS0_14default_configENS1_33run_length_encode_config_selectorIajNS0_4plusIjEEEEZZNS1_33reduce_by_key_impl_wrapped_configILNS1_25lookback_scan_determinismE0ES3_S7_PKaNS0_17constant_iteratorIjlEEPaPlSF_S6_NS0_8equal_toIaEEEE10hipError_tPvRmT2_T3_mT4_T5_T6_T7_T8_P12ihipStream_tbENKUlT_T0_E_clISt17integral_constantIbLb0EESZ_EEDaSU_SV_EUlSU_E_NS1_11comp_targetILNS1_3genE8ELNS1_11target_archE1030ELNS1_3gpuE2ELNS1_3repE0EEENS1_30default_config_static_selectorELNS0_4arch9wavefront6targetE0EEEvT1_.has_dyn_sized_stack, 0
	.set _ZN7rocprim17ROCPRIM_400000_NS6detail17trampoline_kernelINS0_14default_configENS1_33run_length_encode_config_selectorIajNS0_4plusIjEEEEZZNS1_33reduce_by_key_impl_wrapped_configILNS1_25lookback_scan_determinismE0ES3_S7_PKaNS0_17constant_iteratorIjlEEPaPlSF_S6_NS0_8equal_toIaEEEE10hipError_tPvRmT2_T3_mT4_T5_T6_T7_T8_P12ihipStream_tbENKUlT_T0_E_clISt17integral_constantIbLb0EESZ_EEDaSU_SV_EUlSU_E_NS1_11comp_targetILNS1_3genE8ELNS1_11target_archE1030ELNS1_3gpuE2ELNS1_3repE0EEENS1_30default_config_static_selectorELNS0_4arch9wavefront6targetE0EEEvT1_.has_recursion, 0
	.set _ZN7rocprim17ROCPRIM_400000_NS6detail17trampoline_kernelINS0_14default_configENS1_33run_length_encode_config_selectorIajNS0_4plusIjEEEEZZNS1_33reduce_by_key_impl_wrapped_configILNS1_25lookback_scan_determinismE0ES3_S7_PKaNS0_17constant_iteratorIjlEEPaPlSF_S6_NS0_8equal_toIaEEEE10hipError_tPvRmT2_T3_mT4_T5_T6_T7_T8_P12ihipStream_tbENKUlT_T0_E_clISt17integral_constantIbLb0EESZ_EEDaSU_SV_EUlSU_E_NS1_11comp_targetILNS1_3genE8ELNS1_11target_archE1030ELNS1_3gpuE2ELNS1_3repE0EEENS1_30default_config_static_selectorELNS0_4arch9wavefront6targetE0EEEvT1_.has_indirect_call, 0
	.section	.AMDGPU.csdata,"",@progbits
; Kernel info:
; codeLenInByte = 0
; TotalNumSgprs: 0
; NumVgprs: 0
; ScratchSize: 0
; MemoryBound: 0
; FloatMode: 240
; IeeeMode: 1
; LDSByteSize: 0 bytes/workgroup (compile time only)
; SGPRBlocks: 0
; VGPRBlocks: 0
; NumSGPRsForWavesPerEU: 1
; NumVGPRsForWavesPerEU: 1
; NamedBarCnt: 0
; Occupancy: 16
; WaveLimiterHint : 0
; COMPUTE_PGM_RSRC2:SCRATCH_EN: 0
; COMPUTE_PGM_RSRC2:USER_SGPR: 2
; COMPUTE_PGM_RSRC2:TRAP_HANDLER: 0
; COMPUTE_PGM_RSRC2:TGID_X_EN: 1
; COMPUTE_PGM_RSRC2:TGID_Y_EN: 0
; COMPUTE_PGM_RSRC2:TGID_Z_EN: 0
; COMPUTE_PGM_RSRC2:TIDIG_COMP_CNT: 0
	.section	.text._ZN7rocprim17ROCPRIM_400000_NS6detail17trampoline_kernelINS0_14default_configENS1_33run_length_encode_config_selectorIajNS0_4plusIjEEEEZZNS1_33reduce_by_key_impl_wrapped_configILNS1_25lookback_scan_determinismE0ES3_S7_PKaNS0_17constant_iteratorIjlEEPaPlSF_S6_NS0_8equal_toIaEEEE10hipError_tPvRmT2_T3_mT4_T5_T6_T7_T8_P12ihipStream_tbENKUlT_T0_E_clISt17integral_constantIbLb1EESZ_EEDaSU_SV_EUlSU_E_NS1_11comp_targetILNS1_3genE0ELNS1_11target_archE4294967295ELNS1_3gpuE0ELNS1_3repE0EEENS1_30default_config_static_selectorELNS0_4arch9wavefront6targetE0EEEvT1_,"axG",@progbits,_ZN7rocprim17ROCPRIM_400000_NS6detail17trampoline_kernelINS0_14default_configENS1_33run_length_encode_config_selectorIajNS0_4plusIjEEEEZZNS1_33reduce_by_key_impl_wrapped_configILNS1_25lookback_scan_determinismE0ES3_S7_PKaNS0_17constant_iteratorIjlEEPaPlSF_S6_NS0_8equal_toIaEEEE10hipError_tPvRmT2_T3_mT4_T5_T6_T7_T8_P12ihipStream_tbENKUlT_T0_E_clISt17integral_constantIbLb1EESZ_EEDaSU_SV_EUlSU_E_NS1_11comp_targetILNS1_3genE0ELNS1_11target_archE4294967295ELNS1_3gpuE0ELNS1_3repE0EEENS1_30default_config_static_selectorELNS0_4arch9wavefront6targetE0EEEvT1_,comdat
	.protected	_ZN7rocprim17ROCPRIM_400000_NS6detail17trampoline_kernelINS0_14default_configENS1_33run_length_encode_config_selectorIajNS0_4plusIjEEEEZZNS1_33reduce_by_key_impl_wrapped_configILNS1_25lookback_scan_determinismE0ES3_S7_PKaNS0_17constant_iteratorIjlEEPaPlSF_S6_NS0_8equal_toIaEEEE10hipError_tPvRmT2_T3_mT4_T5_T6_T7_T8_P12ihipStream_tbENKUlT_T0_E_clISt17integral_constantIbLb1EESZ_EEDaSU_SV_EUlSU_E_NS1_11comp_targetILNS1_3genE0ELNS1_11target_archE4294967295ELNS1_3gpuE0ELNS1_3repE0EEENS1_30default_config_static_selectorELNS0_4arch9wavefront6targetE0EEEvT1_ ; -- Begin function _ZN7rocprim17ROCPRIM_400000_NS6detail17trampoline_kernelINS0_14default_configENS1_33run_length_encode_config_selectorIajNS0_4plusIjEEEEZZNS1_33reduce_by_key_impl_wrapped_configILNS1_25lookback_scan_determinismE0ES3_S7_PKaNS0_17constant_iteratorIjlEEPaPlSF_S6_NS0_8equal_toIaEEEE10hipError_tPvRmT2_T3_mT4_T5_T6_T7_T8_P12ihipStream_tbENKUlT_T0_E_clISt17integral_constantIbLb1EESZ_EEDaSU_SV_EUlSU_E_NS1_11comp_targetILNS1_3genE0ELNS1_11target_archE4294967295ELNS1_3gpuE0ELNS1_3repE0EEENS1_30default_config_static_selectorELNS0_4arch9wavefront6targetE0EEEvT1_
	.globl	_ZN7rocprim17ROCPRIM_400000_NS6detail17trampoline_kernelINS0_14default_configENS1_33run_length_encode_config_selectorIajNS0_4plusIjEEEEZZNS1_33reduce_by_key_impl_wrapped_configILNS1_25lookback_scan_determinismE0ES3_S7_PKaNS0_17constant_iteratorIjlEEPaPlSF_S6_NS0_8equal_toIaEEEE10hipError_tPvRmT2_T3_mT4_T5_T6_T7_T8_P12ihipStream_tbENKUlT_T0_E_clISt17integral_constantIbLb1EESZ_EEDaSU_SV_EUlSU_E_NS1_11comp_targetILNS1_3genE0ELNS1_11target_archE4294967295ELNS1_3gpuE0ELNS1_3repE0EEENS1_30default_config_static_selectorELNS0_4arch9wavefront6targetE0EEEvT1_
	.p2align	8
	.type	_ZN7rocprim17ROCPRIM_400000_NS6detail17trampoline_kernelINS0_14default_configENS1_33run_length_encode_config_selectorIajNS0_4plusIjEEEEZZNS1_33reduce_by_key_impl_wrapped_configILNS1_25lookback_scan_determinismE0ES3_S7_PKaNS0_17constant_iteratorIjlEEPaPlSF_S6_NS0_8equal_toIaEEEE10hipError_tPvRmT2_T3_mT4_T5_T6_T7_T8_P12ihipStream_tbENKUlT_T0_E_clISt17integral_constantIbLb1EESZ_EEDaSU_SV_EUlSU_E_NS1_11comp_targetILNS1_3genE0ELNS1_11target_archE4294967295ELNS1_3gpuE0ELNS1_3repE0EEENS1_30default_config_static_selectorELNS0_4arch9wavefront6targetE0EEEvT1_,@function
_ZN7rocprim17ROCPRIM_400000_NS6detail17trampoline_kernelINS0_14default_configENS1_33run_length_encode_config_selectorIajNS0_4plusIjEEEEZZNS1_33reduce_by_key_impl_wrapped_configILNS1_25lookback_scan_determinismE0ES3_S7_PKaNS0_17constant_iteratorIjlEEPaPlSF_S6_NS0_8equal_toIaEEEE10hipError_tPvRmT2_T3_mT4_T5_T6_T7_T8_P12ihipStream_tbENKUlT_T0_E_clISt17integral_constantIbLb1EESZ_EEDaSU_SV_EUlSU_E_NS1_11comp_targetILNS1_3genE0ELNS1_11target_archE4294967295ELNS1_3gpuE0ELNS1_3repE0EEENS1_30default_config_static_selectorELNS0_4arch9wavefront6targetE0EEEvT1_: ; @_ZN7rocprim17ROCPRIM_400000_NS6detail17trampoline_kernelINS0_14default_configENS1_33run_length_encode_config_selectorIajNS0_4plusIjEEEEZZNS1_33reduce_by_key_impl_wrapped_configILNS1_25lookback_scan_determinismE0ES3_S7_PKaNS0_17constant_iteratorIjlEEPaPlSF_S6_NS0_8equal_toIaEEEE10hipError_tPvRmT2_T3_mT4_T5_T6_T7_T8_P12ihipStream_tbENKUlT_T0_E_clISt17integral_constantIbLb1EESZ_EEDaSU_SV_EUlSU_E_NS1_11comp_targetILNS1_3genE0ELNS1_11target_archE4294967295ELNS1_3gpuE0ELNS1_3repE0EEENS1_30default_config_static_selectorELNS0_4arch9wavefront6targetE0EEEvT1_
; %bb.0:
	s_endpgm
	.section	.rodata,"a",@progbits
	.p2align	6, 0x0
	.amdhsa_kernel _ZN7rocprim17ROCPRIM_400000_NS6detail17trampoline_kernelINS0_14default_configENS1_33run_length_encode_config_selectorIajNS0_4plusIjEEEEZZNS1_33reduce_by_key_impl_wrapped_configILNS1_25lookback_scan_determinismE0ES3_S7_PKaNS0_17constant_iteratorIjlEEPaPlSF_S6_NS0_8equal_toIaEEEE10hipError_tPvRmT2_T3_mT4_T5_T6_T7_T8_P12ihipStream_tbENKUlT_T0_E_clISt17integral_constantIbLb1EESZ_EEDaSU_SV_EUlSU_E_NS1_11comp_targetILNS1_3genE0ELNS1_11target_archE4294967295ELNS1_3gpuE0ELNS1_3repE0EEENS1_30default_config_static_selectorELNS0_4arch9wavefront6targetE0EEEvT1_
		.amdhsa_group_segment_fixed_size 0
		.amdhsa_private_segment_fixed_size 0
		.amdhsa_kernarg_size 128
		.amdhsa_user_sgpr_count 2
		.amdhsa_user_sgpr_dispatch_ptr 0
		.amdhsa_user_sgpr_queue_ptr 0
		.amdhsa_user_sgpr_kernarg_segment_ptr 1
		.amdhsa_user_sgpr_dispatch_id 0
		.amdhsa_user_sgpr_kernarg_preload_length 0
		.amdhsa_user_sgpr_kernarg_preload_offset 0
		.amdhsa_user_sgpr_private_segment_size 0
		.amdhsa_wavefront_size32 1
		.amdhsa_uses_dynamic_stack 0
		.amdhsa_enable_private_segment 0
		.amdhsa_system_sgpr_workgroup_id_x 1
		.amdhsa_system_sgpr_workgroup_id_y 0
		.amdhsa_system_sgpr_workgroup_id_z 0
		.amdhsa_system_sgpr_workgroup_info 0
		.amdhsa_system_vgpr_workitem_id 0
		.amdhsa_next_free_vgpr 1
		.amdhsa_next_free_sgpr 1
		.amdhsa_named_barrier_count 0
		.amdhsa_reserve_vcc 0
		.amdhsa_float_round_mode_32 0
		.amdhsa_float_round_mode_16_64 0
		.amdhsa_float_denorm_mode_32 3
		.amdhsa_float_denorm_mode_16_64 3
		.amdhsa_fp16_overflow 0
		.amdhsa_memory_ordered 1
		.amdhsa_forward_progress 1
		.amdhsa_inst_pref_size 1
		.amdhsa_round_robin_scheduling 0
		.amdhsa_exception_fp_ieee_invalid_op 0
		.amdhsa_exception_fp_denorm_src 0
		.amdhsa_exception_fp_ieee_div_zero 0
		.amdhsa_exception_fp_ieee_overflow 0
		.amdhsa_exception_fp_ieee_underflow 0
		.amdhsa_exception_fp_ieee_inexact 0
		.amdhsa_exception_int_div_zero 0
	.end_amdhsa_kernel
	.section	.text._ZN7rocprim17ROCPRIM_400000_NS6detail17trampoline_kernelINS0_14default_configENS1_33run_length_encode_config_selectorIajNS0_4plusIjEEEEZZNS1_33reduce_by_key_impl_wrapped_configILNS1_25lookback_scan_determinismE0ES3_S7_PKaNS0_17constant_iteratorIjlEEPaPlSF_S6_NS0_8equal_toIaEEEE10hipError_tPvRmT2_T3_mT4_T5_T6_T7_T8_P12ihipStream_tbENKUlT_T0_E_clISt17integral_constantIbLb1EESZ_EEDaSU_SV_EUlSU_E_NS1_11comp_targetILNS1_3genE0ELNS1_11target_archE4294967295ELNS1_3gpuE0ELNS1_3repE0EEENS1_30default_config_static_selectorELNS0_4arch9wavefront6targetE0EEEvT1_,"axG",@progbits,_ZN7rocprim17ROCPRIM_400000_NS6detail17trampoline_kernelINS0_14default_configENS1_33run_length_encode_config_selectorIajNS0_4plusIjEEEEZZNS1_33reduce_by_key_impl_wrapped_configILNS1_25lookback_scan_determinismE0ES3_S7_PKaNS0_17constant_iteratorIjlEEPaPlSF_S6_NS0_8equal_toIaEEEE10hipError_tPvRmT2_T3_mT4_T5_T6_T7_T8_P12ihipStream_tbENKUlT_T0_E_clISt17integral_constantIbLb1EESZ_EEDaSU_SV_EUlSU_E_NS1_11comp_targetILNS1_3genE0ELNS1_11target_archE4294967295ELNS1_3gpuE0ELNS1_3repE0EEENS1_30default_config_static_selectorELNS0_4arch9wavefront6targetE0EEEvT1_,comdat
.Lfunc_end244:
	.size	_ZN7rocprim17ROCPRIM_400000_NS6detail17trampoline_kernelINS0_14default_configENS1_33run_length_encode_config_selectorIajNS0_4plusIjEEEEZZNS1_33reduce_by_key_impl_wrapped_configILNS1_25lookback_scan_determinismE0ES3_S7_PKaNS0_17constant_iteratorIjlEEPaPlSF_S6_NS0_8equal_toIaEEEE10hipError_tPvRmT2_T3_mT4_T5_T6_T7_T8_P12ihipStream_tbENKUlT_T0_E_clISt17integral_constantIbLb1EESZ_EEDaSU_SV_EUlSU_E_NS1_11comp_targetILNS1_3genE0ELNS1_11target_archE4294967295ELNS1_3gpuE0ELNS1_3repE0EEENS1_30default_config_static_selectorELNS0_4arch9wavefront6targetE0EEEvT1_, .Lfunc_end244-_ZN7rocprim17ROCPRIM_400000_NS6detail17trampoline_kernelINS0_14default_configENS1_33run_length_encode_config_selectorIajNS0_4plusIjEEEEZZNS1_33reduce_by_key_impl_wrapped_configILNS1_25lookback_scan_determinismE0ES3_S7_PKaNS0_17constant_iteratorIjlEEPaPlSF_S6_NS0_8equal_toIaEEEE10hipError_tPvRmT2_T3_mT4_T5_T6_T7_T8_P12ihipStream_tbENKUlT_T0_E_clISt17integral_constantIbLb1EESZ_EEDaSU_SV_EUlSU_E_NS1_11comp_targetILNS1_3genE0ELNS1_11target_archE4294967295ELNS1_3gpuE0ELNS1_3repE0EEENS1_30default_config_static_selectorELNS0_4arch9wavefront6targetE0EEEvT1_
                                        ; -- End function
	.set _ZN7rocprim17ROCPRIM_400000_NS6detail17trampoline_kernelINS0_14default_configENS1_33run_length_encode_config_selectorIajNS0_4plusIjEEEEZZNS1_33reduce_by_key_impl_wrapped_configILNS1_25lookback_scan_determinismE0ES3_S7_PKaNS0_17constant_iteratorIjlEEPaPlSF_S6_NS0_8equal_toIaEEEE10hipError_tPvRmT2_T3_mT4_T5_T6_T7_T8_P12ihipStream_tbENKUlT_T0_E_clISt17integral_constantIbLb1EESZ_EEDaSU_SV_EUlSU_E_NS1_11comp_targetILNS1_3genE0ELNS1_11target_archE4294967295ELNS1_3gpuE0ELNS1_3repE0EEENS1_30default_config_static_selectorELNS0_4arch9wavefront6targetE0EEEvT1_.num_vgpr, 0
	.set _ZN7rocprim17ROCPRIM_400000_NS6detail17trampoline_kernelINS0_14default_configENS1_33run_length_encode_config_selectorIajNS0_4plusIjEEEEZZNS1_33reduce_by_key_impl_wrapped_configILNS1_25lookback_scan_determinismE0ES3_S7_PKaNS0_17constant_iteratorIjlEEPaPlSF_S6_NS0_8equal_toIaEEEE10hipError_tPvRmT2_T3_mT4_T5_T6_T7_T8_P12ihipStream_tbENKUlT_T0_E_clISt17integral_constantIbLb1EESZ_EEDaSU_SV_EUlSU_E_NS1_11comp_targetILNS1_3genE0ELNS1_11target_archE4294967295ELNS1_3gpuE0ELNS1_3repE0EEENS1_30default_config_static_selectorELNS0_4arch9wavefront6targetE0EEEvT1_.num_agpr, 0
	.set _ZN7rocprim17ROCPRIM_400000_NS6detail17trampoline_kernelINS0_14default_configENS1_33run_length_encode_config_selectorIajNS0_4plusIjEEEEZZNS1_33reduce_by_key_impl_wrapped_configILNS1_25lookback_scan_determinismE0ES3_S7_PKaNS0_17constant_iteratorIjlEEPaPlSF_S6_NS0_8equal_toIaEEEE10hipError_tPvRmT2_T3_mT4_T5_T6_T7_T8_P12ihipStream_tbENKUlT_T0_E_clISt17integral_constantIbLb1EESZ_EEDaSU_SV_EUlSU_E_NS1_11comp_targetILNS1_3genE0ELNS1_11target_archE4294967295ELNS1_3gpuE0ELNS1_3repE0EEENS1_30default_config_static_selectorELNS0_4arch9wavefront6targetE0EEEvT1_.numbered_sgpr, 0
	.set _ZN7rocprim17ROCPRIM_400000_NS6detail17trampoline_kernelINS0_14default_configENS1_33run_length_encode_config_selectorIajNS0_4plusIjEEEEZZNS1_33reduce_by_key_impl_wrapped_configILNS1_25lookback_scan_determinismE0ES3_S7_PKaNS0_17constant_iteratorIjlEEPaPlSF_S6_NS0_8equal_toIaEEEE10hipError_tPvRmT2_T3_mT4_T5_T6_T7_T8_P12ihipStream_tbENKUlT_T0_E_clISt17integral_constantIbLb1EESZ_EEDaSU_SV_EUlSU_E_NS1_11comp_targetILNS1_3genE0ELNS1_11target_archE4294967295ELNS1_3gpuE0ELNS1_3repE0EEENS1_30default_config_static_selectorELNS0_4arch9wavefront6targetE0EEEvT1_.num_named_barrier, 0
	.set _ZN7rocprim17ROCPRIM_400000_NS6detail17trampoline_kernelINS0_14default_configENS1_33run_length_encode_config_selectorIajNS0_4plusIjEEEEZZNS1_33reduce_by_key_impl_wrapped_configILNS1_25lookback_scan_determinismE0ES3_S7_PKaNS0_17constant_iteratorIjlEEPaPlSF_S6_NS0_8equal_toIaEEEE10hipError_tPvRmT2_T3_mT4_T5_T6_T7_T8_P12ihipStream_tbENKUlT_T0_E_clISt17integral_constantIbLb1EESZ_EEDaSU_SV_EUlSU_E_NS1_11comp_targetILNS1_3genE0ELNS1_11target_archE4294967295ELNS1_3gpuE0ELNS1_3repE0EEENS1_30default_config_static_selectorELNS0_4arch9wavefront6targetE0EEEvT1_.private_seg_size, 0
	.set _ZN7rocprim17ROCPRIM_400000_NS6detail17trampoline_kernelINS0_14default_configENS1_33run_length_encode_config_selectorIajNS0_4plusIjEEEEZZNS1_33reduce_by_key_impl_wrapped_configILNS1_25lookback_scan_determinismE0ES3_S7_PKaNS0_17constant_iteratorIjlEEPaPlSF_S6_NS0_8equal_toIaEEEE10hipError_tPvRmT2_T3_mT4_T5_T6_T7_T8_P12ihipStream_tbENKUlT_T0_E_clISt17integral_constantIbLb1EESZ_EEDaSU_SV_EUlSU_E_NS1_11comp_targetILNS1_3genE0ELNS1_11target_archE4294967295ELNS1_3gpuE0ELNS1_3repE0EEENS1_30default_config_static_selectorELNS0_4arch9wavefront6targetE0EEEvT1_.uses_vcc, 0
	.set _ZN7rocprim17ROCPRIM_400000_NS6detail17trampoline_kernelINS0_14default_configENS1_33run_length_encode_config_selectorIajNS0_4plusIjEEEEZZNS1_33reduce_by_key_impl_wrapped_configILNS1_25lookback_scan_determinismE0ES3_S7_PKaNS0_17constant_iteratorIjlEEPaPlSF_S6_NS0_8equal_toIaEEEE10hipError_tPvRmT2_T3_mT4_T5_T6_T7_T8_P12ihipStream_tbENKUlT_T0_E_clISt17integral_constantIbLb1EESZ_EEDaSU_SV_EUlSU_E_NS1_11comp_targetILNS1_3genE0ELNS1_11target_archE4294967295ELNS1_3gpuE0ELNS1_3repE0EEENS1_30default_config_static_selectorELNS0_4arch9wavefront6targetE0EEEvT1_.uses_flat_scratch, 0
	.set _ZN7rocprim17ROCPRIM_400000_NS6detail17trampoline_kernelINS0_14default_configENS1_33run_length_encode_config_selectorIajNS0_4plusIjEEEEZZNS1_33reduce_by_key_impl_wrapped_configILNS1_25lookback_scan_determinismE0ES3_S7_PKaNS0_17constant_iteratorIjlEEPaPlSF_S6_NS0_8equal_toIaEEEE10hipError_tPvRmT2_T3_mT4_T5_T6_T7_T8_P12ihipStream_tbENKUlT_T0_E_clISt17integral_constantIbLb1EESZ_EEDaSU_SV_EUlSU_E_NS1_11comp_targetILNS1_3genE0ELNS1_11target_archE4294967295ELNS1_3gpuE0ELNS1_3repE0EEENS1_30default_config_static_selectorELNS0_4arch9wavefront6targetE0EEEvT1_.has_dyn_sized_stack, 0
	.set _ZN7rocprim17ROCPRIM_400000_NS6detail17trampoline_kernelINS0_14default_configENS1_33run_length_encode_config_selectorIajNS0_4plusIjEEEEZZNS1_33reduce_by_key_impl_wrapped_configILNS1_25lookback_scan_determinismE0ES3_S7_PKaNS0_17constant_iteratorIjlEEPaPlSF_S6_NS0_8equal_toIaEEEE10hipError_tPvRmT2_T3_mT4_T5_T6_T7_T8_P12ihipStream_tbENKUlT_T0_E_clISt17integral_constantIbLb1EESZ_EEDaSU_SV_EUlSU_E_NS1_11comp_targetILNS1_3genE0ELNS1_11target_archE4294967295ELNS1_3gpuE0ELNS1_3repE0EEENS1_30default_config_static_selectorELNS0_4arch9wavefront6targetE0EEEvT1_.has_recursion, 0
	.set _ZN7rocprim17ROCPRIM_400000_NS6detail17trampoline_kernelINS0_14default_configENS1_33run_length_encode_config_selectorIajNS0_4plusIjEEEEZZNS1_33reduce_by_key_impl_wrapped_configILNS1_25lookback_scan_determinismE0ES3_S7_PKaNS0_17constant_iteratorIjlEEPaPlSF_S6_NS0_8equal_toIaEEEE10hipError_tPvRmT2_T3_mT4_T5_T6_T7_T8_P12ihipStream_tbENKUlT_T0_E_clISt17integral_constantIbLb1EESZ_EEDaSU_SV_EUlSU_E_NS1_11comp_targetILNS1_3genE0ELNS1_11target_archE4294967295ELNS1_3gpuE0ELNS1_3repE0EEENS1_30default_config_static_selectorELNS0_4arch9wavefront6targetE0EEEvT1_.has_indirect_call, 0
	.section	.AMDGPU.csdata,"",@progbits
; Kernel info:
; codeLenInByte = 4
; TotalNumSgprs: 0
; NumVgprs: 0
; ScratchSize: 0
; MemoryBound: 0
; FloatMode: 240
; IeeeMode: 1
; LDSByteSize: 0 bytes/workgroup (compile time only)
; SGPRBlocks: 0
; VGPRBlocks: 0
; NumSGPRsForWavesPerEU: 1
; NumVGPRsForWavesPerEU: 1
; NamedBarCnt: 0
; Occupancy: 16
; WaveLimiterHint : 0
; COMPUTE_PGM_RSRC2:SCRATCH_EN: 0
; COMPUTE_PGM_RSRC2:USER_SGPR: 2
; COMPUTE_PGM_RSRC2:TRAP_HANDLER: 0
; COMPUTE_PGM_RSRC2:TGID_X_EN: 1
; COMPUTE_PGM_RSRC2:TGID_Y_EN: 0
; COMPUTE_PGM_RSRC2:TGID_Z_EN: 0
; COMPUTE_PGM_RSRC2:TIDIG_COMP_CNT: 0
	.section	.text._ZN7rocprim17ROCPRIM_400000_NS6detail17trampoline_kernelINS0_14default_configENS1_33run_length_encode_config_selectorIajNS0_4plusIjEEEEZZNS1_33reduce_by_key_impl_wrapped_configILNS1_25lookback_scan_determinismE0ES3_S7_PKaNS0_17constant_iteratorIjlEEPaPlSF_S6_NS0_8equal_toIaEEEE10hipError_tPvRmT2_T3_mT4_T5_T6_T7_T8_P12ihipStream_tbENKUlT_T0_E_clISt17integral_constantIbLb1EESZ_EEDaSU_SV_EUlSU_E_NS1_11comp_targetILNS1_3genE5ELNS1_11target_archE942ELNS1_3gpuE9ELNS1_3repE0EEENS1_30default_config_static_selectorELNS0_4arch9wavefront6targetE0EEEvT1_,"axG",@progbits,_ZN7rocprim17ROCPRIM_400000_NS6detail17trampoline_kernelINS0_14default_configENS1_33run_length_encode_config_selectorIajNS0_4plusIjEEEEZZNS1_33reduce_by_key_impl_wrapped_configILNS1_25lookback_scan_determinismE0ES3_S7_PKaNS0_17constant_iteratorIjlEEPaPlSF_S6_NS0_8equal_toIaEEEE10hipError_tPvRmT2_T3_mT4_T5_T6_T7_T8_P12ihipStream_tbENKUlT_T0_E_clISt17integral_constantIbLb1EESZ_EEDaSU_SV_EUlSU_E_NS1_11comp_targetILNS1_3genE5ELNS1_11target_archE942ELNS1_3gpuE9ELNS1_3repE0EEENS1_30default_config_static_selectorELNS0_4arch9wavefront6targetE0EEEvT1_,comdat
	.protected	_ZN7rocprim17ROCPRIM_400000_NS6detail17trampoline_kernelINS0_14default_configENS1_33run_length_encode_config_selectorIajNS0_4plusIjEEEEZZNS1_33reduce_by_key_impl_wrapped_configILNS1_25lookback_scan_determinismE0ES3_S7_PKaNS0_17constant_iteratorIjlEEPaPlSF_S6_NS0_8equal_toIaEEEE10hipError_tPvRmT2_T3_mT4_T5_T6_T7_T8_P12ihipStream_tbENKUlT_T0_E_clISt17integral_constantIbLb1EESZ_EEDaSU_SV_EUlSU_E_NS1_11comp_targetILNS1_3genE5ELNS1_11target_archE942ELNS1_3gpuE9ELNS1_3repE0EEENS1_30default_config_static_selectorELNS0_4arch9wavefront6targetE0EEEvT1_ ; -- Begin function _ZN7rocprim17ROCPRIM_400000_NS6detail17trampoline_kernelINS0_14default_configENS1_33run_length_encode_config_selectorIajNS0_4plusIjEEEEZZNS1_33reduce_by_key_impl_wrapped_configILNS1_25lookback_scan_determinismE0ES3_S7_PKaNS0_17constant_iteratorIjlEEPaPlSF_S6_NS0_8equal_toIaEEEE10hipError_tPvRmT2_T3_mT4_T5_T6_T7_T8_P12ihipStream_tbENKUlT_T0_E_clISt17integral_constantIbLb1EESZ_EEDaSU_SV_EUlSU_E_NS1_11comp_targetILNS1_3genE5ELNS1_11target_archE942ELNS1_3gpuE9ELNS1_3repE0EEENS1_30default_config_static_selectorELNS0_4arch9wavefront6targetE0EEEvT1_
	.globl	_ZN7rocprim17ROCPRIM_400000_NS6detail17trampoline_kernelINS0_14default_configENS1_33run_length_encode_config_selectorIajNS0_4plusIjEEEEZZNS1_33reduce_by_key_impl_wrapped_configILNS1_25lookback_scan_determinismE0ES3_S7_PKaNS0_17constant_iteratorIjlEEPaPlSF_S6_NS0_8equal_toIaEEEE10hipError_tPvRmT2_T3_mT4_T5_T6_T7_T8_P12ihipStream_tbENKUlT_T0_E_clISt17integral_constantIbLb1EESZ_EEDaSU_SV_EUlSU_E_NS1_11comp_targetILNS1_3genE5ELNS1_11target_archE942ELNS1_3gpuE9ELNS1_3repE0EEENS1_30default_config_static_selectorELNS0_4arch9wavefront6targetE0EEEvT1_
	.p2align	8
	.type	_ZN7rocprim17ROCPRIM_400000_NS6detail17trampoline_kernelINS0_14default_configENS1_33run_length_encode_config_selectorIajNS0_4plusIjEEEEZZNS1_33reduce_by_key_impl_wrapped_configILNS1_25lookback_scan_determinismE0ES3_S7_PKaNS0_17constant_iteratorIjlEEPaPlSF_S6_NS0_8equal_toIaEEEE10hipError_tPvRmT2_T3_mT4_T5_T6_T7_T8_P12ihipStream_tbENKUlT_T0_E_clISt17integral_constantIbLb1EESZ_EEDaSU_SV_EUlSU_E_NS1_11comp_targetILNS1_3genE5ELNS1_11target_archE942ELNS1_3gpuE9ELNS1_3repE0EEENS1_30default_config_static_selectorELNS0_4arch9wavefront6targetE0EEEvT1_,@function
_ZN7rocprim17ROCPRIM_400000_NS6detail17trampoline_kernelINS0_14default_configENS1_33run_length_encode_config_selectorIajNS0_4plusIjEEEEZZNS1_33reduce_by_key_impl_wrapped_configILNS1_25lookback_scan_determinismE0ES3_S7_PKaNS0_17constant_iteratorIjlEEPaPlSF_S6_NS0_8equal_toIaEEEE10hipError_tPvRmT2_T3_mT4_T5_T6_T7_T8_P12ihipStream_tbENKUlT_T0_E_clISt17integral_constantIbLb1EESZ_EEDaSU_SV_EUlSU_E_NS1_11comp_targetILNS1_3genE5ELNS1_11target_archE942ELNS1_3gpuE9ELNS1_3repE0EEENS1_30default_config_static_selectorELNS0_4arch9wavefront6targetE0EEEvT1_: ; @_ZN7rocprim17ROCPRIM_400000_NS6detail17trampoline_kernelINS0_14default_configENS1_33run_length_encode_config_selectorIajNS0_4plusIjEEEEZZNS1_33reduce_by_key_impl_wrapped_configILNS1_25lookback_scan_determinismE0ES3_S7_PKaNS0_17constant_iteratorIjlEEPaPlSF_S6_NS0_8equal_toIaEEEE10hipError_tPvRmT2_T3_mT4_T5_T6_T7_T8_P12ihipStream_tbENKUlT_T0_E_clISt17integral_constantIbLb1EESZ_EEDaSU_SV_EUlSU_E_NS1_11comp_targetILNS1_3genE5ELNS1_11target_archE942ELNS1_3gpuE9ELNS1_3repE0EEENS1_30default_config_static_selectorELNS0_4arch9wavefront6targetE0EEEvT1_
; %bb.0:
	.section	.rodata,"a",@progbits
	.p2align	6, 0x0
	.amdhsa_kernel _ZN7rocprim17ROCPRIM_400000_NS6detail17trampoline_kernelINS0_14default_configENS1_33run_length_encode_config_selectorIajNS0_4plusIjEEEEZZNS1_33reduce_by_key_impl_wrapped_configILNS1_25lookback_scan_determinismE0ES3_S7_PKaNS0_17constant_iteratorIjlEEPaPlSF_S6_NS0_8equal_toIaEEEE10hipError_tPvRmT2_T3_mT4_T5_T6_T7_T8_P12ihipStream_tbENKUlT_T0_E_clISt17integral_constantIbLb1EESZ_EEDaSU_SV_EUlSU_E_NS1_11comp_targetILNS1_3genE5ELNS1_11target_archE942ELNS1_3gpuE9ELNS1_3repE0EEENS1_30default_config_static_selectorELNS0_4arch9wavefront6targetE0EEEvT1_
		.amdhsa_group_segment_fixed_size 0
		.amdhsa_private_segment_fixed_size 0
		.amdhsa_kernarg_size 128
		.amdhsa_user_sgpr_count 2
		.amdhsa_user_sgpr_dispatch_ptr 0
		.amdhsa_user_sgpr_queue_ptr 0
		.amdhsa_user_sgpr_kernarg_segment_ptr 1
		.amdhsa_user_sgpr_dispatch_id 0
		.amdhsa_user_sgpr_kernarg_preload_length 0
		.amdhsa_user_sgpr_kernarg_preload_offset 0
		.amdhsa_user_sgpr_private_segment_size 0
		.amdhsa_wavefront_size32 1
		.amdhsa_uses_dynamic_stack 0
		.amdhsa_enable_private_segment 0
		.amdhsa_system_sgpr_workgroup_id_x 1
		.amdhsa_system_sgpr_workgroup_id_y 0
		.amdhsa_system_sgpr_workgroup_id_z 0
		.amdhsa_system_sgpr_workgroup_info 0
		.amdhsa_system_vgpr_workitem_id 0
		.amdhsa_next_free_vgpr 1
		.amdhsa_next_free_sgpr 1
		.amdhsa_named_barrier_count 0
		.amdhsa_reserve_vcc 0
		.amdhsa_float_round_mode_32 0
		.amdhsa_float_round_mode_16_64 0
		.amdhsa_float_denorm_mode_32 3
		.amdhsa_float_denorm_mode_16_64 3
		.amdhsa_fp16_overflow 0
		.amdhsa_memory_ordered 1
		.amdhsa_forward_progress 1
		.amdhsa_inst_pref_size 0
		.amdhsa_round_robin_scheduling 0
		.amdhsa_exception_fp_ieee_invalid_op 0
		.amdhsa_exception_fp_denorm_src 0
		.amdhsa_exception_fp_ieee_div_zero 0
		.amdhsa_exception_fp_ieee_overflow 0
		.amdhsa_exception_fp_ieee_underflow 0
		.amdhsa_exception_fp_ieee_inexact 0
		.amdhsa_exception_int_div_zero 0
	.end_amdhsa_kernel
	.section	.text._ZN7rocprim17ROCPRIM_400000_NS6detail17trampoline_kernelINS0_14default_configENS1_33run_length_encode_config_selectorIajNS0_4plusIjEEEEZZNS1_33reduce_by_key_impl_wrapped_configILNS1_25lookback_scan_determinismE0ES3_S7_PKaNS0_17constant_iteratorIjlEEPaPlSF_S6_NS0_8equal_toIaEEEE10hipError_tPvRmT2_T3_mT4_T5_T6_T7_T8_P12ihipStream_tbENKUlT_T0_E_clISt17integral_constantIbLb1EESZ_EEDaSU_SV_EUlSU_E_NS1_11comp_targetILNS1_3genE5ELNS1_11target_archE942ELNS1_3gpuE9ELNS1_3repE0EEENS1_30default_config_static_selectorELNS0_4arch9wavefront6targetE0EEEvT1_,"axG",@progbits,_ZN7rocprim17ROCPRIM_400000_NS6detail17trampoline_kernelINS0_14default_configENS1_33run_length_encode_config_selectorIajNS0_4plusIjEEEEZZNS1_33reduce_by_key_impl_wrapped_configILNS1_25lookback_scan_determinismE0ES3_S7_PKaNS0_17constant_iteratorIjlEEPaPlSF_S6_NS0_8equal_toIaEEEE10hipError_tPvRmT2_T3_mT4_T5_T6_T7_T8_P12ihipStream_tbENKUlT_T0_E_clISt17integral_constantIbLb1EESZ_EEDaSU_SV_EUlSU_E_NS1_11comp_targetILNS1_3genE5ELNS1_11target_archE942ELNS1_3gpuE9ELNS1_3repE0EEENS1_30default_config_static_selectorELNS0_4arch9wavefront6targetE0EEEvT1_,comdat
.Lfunc_end245:
	.size	_ZN7rocprim17ROCPRIM_400000_NS6detail17trampoline_kernelINS0_14default_configENS1_33run_length_encode_config_selectorIajNS0_4plusIjEEEEZZNS1_33reduce_by_key_impl_wrapped_configILNS1_25lookback_scan_determinismE0ES3_S7_PKaNS0_17constant_iteratorIjlEEPaPlSF_S6_NS0_8equal_toIaEEEE10hipError_tPvRmT2_T3_mT4_T5_T6_T7_T8_P12ihipStream_tbENKUlT_T0_E_clISt17integral_constantIbLb1EESZ_EEDaSU_SV_EUlSU_E_NS1_11comp_targetILNS1_3genE5ELNS1_11target_archE942ELNS1_3gpuE9ELNS1_3repE0EEENS1_30default_config_static_selectorELNS0_4arch9wavefront6targetE0EEEvT1_, .Lfunc_end245-_ZN7rocprim17ROCPRIM_400000_NS6detail17trampoline_kernelINS0_14default_configENS1_33run_length_encode_config_selectorIajNS0_4plusIjEEEEZZNS1_33reduce_by_key_impl_wrapped_configILNS1_25lookback_scan_determinismE0ES3_S7_PKaNS0_17constant_iteratorIjlEEPaPlSF_S6_NS0_8equal_toIaEEEE10hipError_tPvRmT2_T3_mT4_T5_T6_T7_T8_P12ihipStream_tbENKUlT_T0_E_clISt17integral_constantIbLb1EESZ_EEDaSU_SV_EUlSU_E_NS1_11comp_targetILNS1_3genE5ELNS1_11target_archE942ELNS1_3gpuE9ELNS1_3repE0EEENS1_30default_config_static_selectorELNS0_4arch9wavefront6targetE0EEEvT1_
                                        ; -- End function
	.set _ZN7rocprim17ROCPRIM_400000_NS6detail17trampoline_kernelINS0_14default_configENS1_33run_length_encode_config_selectorIajNS0_4plusIjEEEEZZNS1_33reduce_by_key_impl_wrapped_configILNS1_25lookback_scan_determinismE0ES3_S7_PKaNS0_17constant_iteratorIjlEEPaPlSF_S6_NS0_8equal_toIaEEEE10hipError_tPvRmT2_T3_mT4_T5_T6_T7_T8_P12ihipStream_tbENKUlT_T0_E_clISt17integral_constantIbLb1EESZ_EEDaSU_SV_EUlSU_E_NS1_11comp_targetILNS1_3genE5ELNS1_11target_archE942ELNS1_3gpuE9ELNS1_3repE0EEENS1_30default_config_static_selectorELNS0_4arch9wavefront6targetE0EEEvT1_.num_vgpr, 0
	.set _ZN7rocprim17ROCPRIM_400000_NS6detail17trampoline_kernelINS0_14default_configENS1_33run_length_encode_config_selectorIajNS0_4plusIjEEEEZZNS1_33reduce_by_key_impl_wrapped_configILNS1_25lookback_scan_determinismE0ES3_S7_PKaNS0_17constant_iteratorIjlEEPaPlSF_S6_NS0_8equal_toIaEEEE10hipError_tPvRmT2_T3_mT4_T5_T6_T7_T8_P12ihipStream_tbENKUlT_T0_E_clISt17integral_constantIbLb1EESZ_EEDaSU_SV_EUlSU_E_NS1_11comp_targetILNS1_3genE5ELNS1_11target_archE942ELNS1_3gpuE9ELNS1_3repE0EEENS1_30default_config_static_selectorELNS0_4arch9wavefront6targetE0EEEvT1_.num_agpr, 0
	.set _ZN7rocprim17ROCPRIM_400000_NS6detail17trampoline_kernelINS0_14default_configENS1_33run_length_encode_config_selectorIajNS0_4plusIjEEEEZZNS1_33reduce_by_key_impl_wrapped_configILNS1_25lookback_scan_determinismE0ES3_S7_PKaNS0_17constant_iteratorIjlEEPaPlSF_S6_NS0_8equal_toIaEEEE10hipError_tPvRmT2_T3_mT4_T5_T6_T7_T8_P12ihipStream_tbENKUlT_T0_E_clISt17integral_constantIbLb1EESZ_EEDaSU_SV_EUlSU_E_NS1_11comp_targetILNS1_3genE5ELNS1_11target_archE942ELNS1_3gpuE9ELNS1_3repE0EEENS1_30default_config_static_selectorELNS0_4arch9wavefront6targetE0EEEvT1_.numbered_sgpr, 0
	.set _ZN7rocprim17ROCPRIM_400000_NS6detail17trampoline_kernelINS0_14default_configENS1_33run_length_encode_config_selectorIajNS0_4plusIjEEEEZZNS1_33reduce_by_key_impl_wrapped_configILNS1_25lookback_scan_determinismE0ES3_S7_PKaNS0_17constant_iteratorIjlEEPaPlSF_S6_NS0_8equal_toIaEEEE10hipError_tPvRmT2_T3_mT4_T5_T6_T7_T8_P12ihipStream_tbENKUlT_T0_E_clISt17integral_constantIbLb1EESZ_EEDaSU_SV_EUlSU_E_NS1_11comp_targetILNS1_3genE5ELNS1_11target_archE942ELNS1_3gpuE9ELNS1_3repE0EEENS1_30default_config_static_selectorELNS0_4arch9wavefront6targetE0EEEvT1_.num_named_barrier, 0
	.set _ZN7rocprim17ROCPRIM_400000_NS6detail17trampoline_kernelINS0_14default_configENS1_33run_length_encode_config_selectorIajNS0_4plusIjEEEEZZNS1_33reduce_by_key_impl_wrapped_configILNS1_25lookback_scan_determinismE0ES3_S7_PKaNS0_17constant_iteratorIjlEEPaPlSF_S6_NS0_8equal_toIaEEEE10hipError_tPvRmT2_T3_mT4_T5_T6_T7_T8_P12ihipStream_tbENKUlT_T0_E_clISt17integral_constantIbLb1EESZ_EEDaSU_SV_EUlSU_E_NS1_11comp_targetILNS1_3genE5ELNS1_11target_archE942ELNS1_3gpuE9ELNS1_3repE0EEENS1_30default_config_static_selectorELNS0_4arch9wavefront6targetE0EEEvT1_.private_seg_size, 0
	.set _ZN7rocprim17ROCPRIM_400000_NS6detail17trampoline_kernelINS0_14default_configENS1_33run_length_encode_config_selectorIajNS0_4plusIjEEEEZZNS1_33reduce_by_key_impl_wrapped_configILNS1_25lookback_scan_determinismE0ES3_S7_PKaNS0_17constant_iteratorIjlEEPaPlSF_S6_NS0_8equal_toIaEEEE10hipError_tPvRmT2_T3_mT4_T5_T6_T7_T8_P12ihipStream_tbENKUlT_T0_E_clISt17integral_constantIbLb1EESZ_EEDaSU_SV_EUlSU_E_NS1_11comp_targetILNS1_3genE5ELNS1_11target_archE942ELNS1_3gpuE9ELNS1_3repE0EEENS1_30default_config_static_selectorELNS0_4arch9wavefront6targetE0EEEvT1_.uses_vcc, 0
	.set _ZN7rocprim17ROCPRIM_400000_NS6detail17trampoline_kernelINS0_14default_configENS1_33run_length_encode_config_selectorIajNS0_4plusIjEEEEZZNS1_33reduce_by_key_impl_wrapped_configILNS1_25lookback_scan_determinismE0ES3_S7_PKaNS0_17constant_iteratorIjlEEPaPlSF_S6_NS0_8equal_toIaEEEE10hipError_tPvRmT2_T3_mT4_T5_T6_T7_T8_P12ihipStream_tbENKUlT_T0_E_clISt17integral_constantIbLb1EESZ_EEDaSU_SV_EUlSU_E_NS1_11comp_targetILNS1_3genE5ELNS1_11target_archE942ELNS1_3gpuE9ELNS1_3repE0EEENS1_30default_config_static_selectorELNS0_4arch9wavefront6targetE0EEEvT1_.uses_flat_scratch, 0
	.set _ZN7rocprim17ROCPRIM_400000_NS6detail17trampoline_kernelINS0_14default_configENS1_33run_length_encode_config_selectorIajNS0_4plusIjEEEEZZNS1_33reduce_by_key_impl_wrapped_configILNS1_25lookback_scan_determinismE0ES3_S7_PKaNS0_17constant_iteratorIjlEEPaPlSF_S6_NS0_8equal_toIaEEEE10hipError_tPvRmT2_T3_mT4_T5_T6_T7_T8_P12ihipStream_tbENKUlT_T0_E_clISt17integral_constantIbLb1EESZ_EEDaSU_SV_EUlSU_E_NS1_11comp_targetILNS1_3genE5ELNS1_11target_archE942ELNS1_3gpuE9ELNS1_3repE0EEENS1_30default_config_static_selectorELNS0_4arch9wavefront6targetE0EEEvT1_.has_dyn_sized_stack, 0
	.set _ZN7rocprim17ROCPRIM_400000_NS6detail17trampoline_kernelINS0_14default_configENS1_33run_length_encode_config_selectorIajNS0_4plusIjEEEEZZNS1_33reduce_by_key_impl_wrapped_configILNS1_25lookback_scan_determinismE0ES3_S7_PKaNS0_17constant_iteratorIjlEEPaPlSF_S6_NS0_8equal_toIaEEEE10hipError_tPvRmT2_T3_mT4_T5_T6_T7_T8_P12ihipStream_tbENKUlT_T0_E_clISt17integral_constantIbLb1EESZ_EEDaSU_SV_EUlSU_E_NS1_11comp_targetILNS1_3genE5ELNS1_11target_archE942ELNS1_3gpuE9ELNS1_3repE0EEENS1_30default_config_static_selectorELNS0_4arch9wavefront6targetE0EEEvT1_.has_recursion, 0
	.set _ZN7rocprim17ROCPRIM_400000_NS6detail17trampoline_kernelINS0_14default_configENS1_33run_length_encode_config_selectorIajNS0_4plusIjEEEEZZNS1_33reduce_by_key_impl_wrapped_configILNS1_25lookback_scan_determinismE0ES3_S7_PKaNS0_17constant_iteratorIjlEEPaPlSF_S6_NS0_8equal_toIaEEEE10hipError_tPvRmT2_T3_mT4_T5_T6_T7_T8_P12ihipStream_tbENKUlT_T0_E_clISt17integral_constantIbLb1EESZ_EEDaSU_SV_EUlSU_E_NS1_11comp_targetILNS1_3genE5ELNS1_11target_archE942ELNS1_3gpuE9ELNS1_3repE0EEENS1_30default_config_static_selectorELNS0_4arch9wavefront6targetE0EEEvT1_.has_indirect_call, 0
	.section	.AMDGPU.csdata,"",@progbits
; Kernel info:
; codeLenInByte = 0
; TotalNumSgprs: 0
; NumVgprs: 0
; ScratchSize: 0
; MemoryBound: 0
; FloatMode: 240
; IeeeMode: 1
; LDSByteSize: 0 bytes/workgroup (compile time only)
; SGPRBlocks: 0
; VGPRBlocks: 0
; NumSGPRsForWavesPerEU: 1
; NumVGPRsForWavesPerEU: 1
; NamedBarCnt: 0
; Occupancy: 16
; WaveLimiterHint : 0
; COMPUTE_PGM_RSRC2:SCRATCH_EN: 0
; COMPUTE_PGM_RSRC2:USER_SGPR: 2
; COMPUTE_PGM_RSRC2:TRAP_HANDLER: 0
; COMPUTE_PGM_RSRC2:TGID_X_EN: 1
; COMPUTE_PGM_RSRC2:TGID_Y_EN: 0
; COMPUTE_PGM_RSRC2:TGID_Z_EN: 0
; COMPUTE_PGM_RSRC2:TIDIG_COMP_CNT: 0
	.section	.text._ZN7rocprim17ROCPRIM_400000_NS6detail17trampoline_kernelINS0_14default_configENS1_33run_length_encode_config_selectorIajNS0_4plusIjEEEEZZNS1_33reduce_by_key_impl_wrapped_configILNS1_25lookback_scan_determinismE0ES3_S7_PKaNS0_17constant_iteratorIjlEEPaPlSF_S6_NS0_8equal_toIaEEEE10hipError_tPvRmT2_T3_mT4_T5_T6_T7_T8_P12ihipStream_tbENKUlT_T0_E_clISt17integral_constantIbLb1EESZ_EEDaSU_SV_EUlSU_E_NS1_11comp_targetILNS1_3genE4ELNS1_11target_archE910ELNS1_3gpuE8ELNS1_3repE0EEENS1_30default_config_static_selectorELNS0_4arch9wavefront6targetE0EEEvT1_,"axG",@progbits,_ZN7rocprim17ROCPRIM_400000_NS6detail17trampoline_kernelINS0_14default_configENS1_33run_length_encode_config_selectorIajNS0_4plusIjEEEEZZNS1_33reduce_by_key_impl_wrapped_configILNS1_25lookback_scan_determinismE0ES3_S7_PKaNS0_17constant_iteratorIjlEEPaPlSF_S6_NS0_8equal_toIaEEEE10hipError_tPvRmT2_T3_mT4_T5_T6_T7_T8_P12ihipStream_tbENKUlT_T0_E_clISt17integral_constantIbLb1EESZ_EEDaSU_SV_EUlSU_E_NS1_11comp_targetILNS1_3genE4ELNS1_11target_archE910ELNS1_3gpuE8ELNS1_3repE0EEENS1_30default_config_static_selectorELNS0_4arch9wavefront6targetE0EEEvT1_,comdat
	.protected	_ZN7rocprim17ROCPRIM_400000_NS6detail17trampoline_kernelINS0_14default_configENS1_33run_length_encode_config_selectorIajNS0_4plusIjEEEEZZNS1_33reduce_by_key_impl_wrapped_configILNS1_25lookback_scan_determinismE0ES3_S7_PKaNS0_17constant_iteratorIjlEEPaPlSF_S6_NS0_8equal_toIaEEEE10hipError_tPvRmT2_T3_mT4_T5_T6_T7_T8_P12ihipStream_tbENKUlT_T0_E_clISt17integral_constantIbLb1EESZ_EEDaSU_SV_EUlSU_E_NS1_11comp_targetILNS1_3genE4ELNS1_11target_archE910ELNS1_3gpuE8ELNS1_3repE0EEENS1_30default_config_static_selectorELNS0_4arch9wavefront6targetE0EEEvT1_ ; -- Begin function _ZN7rocprim17ROCPRIM_400000_NS6detail17trampoline_kernelINS0_14default_configENS1_33run_length_encode_config_selectorIajNS0_4plusIjEEEEZZNS1_33reduce_by_key_impl_wrapped_configILNS1_25lookback_scan_determinismE0ES3_S7_PKaNS0_17constant_iteratorIjlEEPaPlSF_S6_NS0_8equal_toIaEEEE10hipError_tPvRmT2_T3_mT4_T5_T6_T7_T8_P12ihipStream_tbENKUlT_T0_E_clISt17integral_constantIbLb1EESZ_EEDaSU_SV_EUlSU_E_NS1_11comp_targetILNS1_3genE4ELNS1_11target_archE910ELNS1_3gpuE8ELNS1_3repE0EEENS1_30default_config_static_selectorELNS0_4arch9wavefront6targetE0EEEvT1_
	.globl	_ZN7rocprim17ROCPRIM_400000_NS6detail17trampoline_kernelINS0_14default_configENS1_33run_length_encode_config_selectorIajNS0_4plusIjEEEEZZNS1_33reduce_by_key_impl_wrapped_configILNS1_25lookback_scan_determinismE0ES3_S7_PKaNS0_17constant_iteratorIjlEEPaPlSF_S6_NS0_8equal_toIaEEEE10hipError_tPvRmT2_T3_mT4_T5_T6_T7_T8_P12ihipStream_tbENKUlT_T0_E_clISt17integral_constantIbLb1EESZ_EEDaSU_SV_EUlSU_E_NS1_11comp_targetILNS1_3genE4ELNS1_11target_archE910ELNS1_3gpuE8ELNS1_3repE0EEENS1_30default_config_static_selectorELNS0_4arch9wavefront6targetE0EEEvT1_
	.p2align	8
	.type	_ZN7rocprim17ROCPRIM_400000_NS6detail17trampoline_kernelINS0_14default_configENS1_33run_length_encode_config_selectorIajNS0_4plusIjEEEEZZNS1_33reduce_by_key_impl_wrapped_configILNS1_25lookback_scan_determinismE0ES3_S7_PKaNS0_17constant_iteratorIjlEEPaPlSF_S6_NS0_8equal_toIaEEEE10hipError_tPvRmT2_T3_mT4_T5_T6_T7_T8_P12ihipStream_tbENKUlT_T0_E_clISt17integral_constantIbLb1EESZ_EEDaSU_SV_EUlSU_E_NS1_11comp_targetILNS1_3genE4ELNS1_11target_archE910ELNS1_3gpuE8ELNS1_3repE0EEENS1_30default_config_static_selectorELNS0_4arch9wavefront6targetE0EEEvT1_,@function
_ZN7rocprim17ROCPRIM_400000_NS6detail17trampoline_kernelINS0_14default_configENS1_33run_length_encode_config_selectorIajNS0_4plusIjEEEEZZNS1_33reduce_by_key_impl_wrapped_configILNS1_25lookback_scan_determinismE0ES3_S7_PKaNS0_17constant_iteratorIjlEEPaPlSF_S6_NS0_8equal_toIaEEEE10hipError_tPvRmT2_T3_mT4_T5_T6_T7_T8_P12ihipStream_tbENKUlT_T0_E_clISt17integral_constantIbLb1EESZ_EEDaSU_SV_EUlSU_E_NS1_11comp_targetILNS1_3genE4ELNS1_11target_archE910ELNS1_3gpuE8ELNS1_3repE0EEENS1_30default_config_static_selectorELNS0_4arch9wavefront6targetE0EEEvT1_: ; @_ZN7rocprim17ROCPRIM_400000_NS6detail17trampoline_kernelINS0_14default_configENS1_33run_length_encode_config_selectorIajNS0_4plusIjEEEEZZNS1_33reduce_by_key_impl_wrapped_configILNS1_25lookback_scan_determinismE0ES3_S7_PKaNS0_17constant_iteratorIjlEEPaPlSF_S6_NS0_8equal_toIaEEEE10hipError_tPvRmT2_T3_mT4_T5_T6_T7_T8_P12ihipStream_tbENKUlT_T0_E_clISt17integral_constantIbLb1EESZ_EEDaSU_SV_EUlSU_E_NS1_11comp_targetILNS1_3genE4ELNS1_11target_archE910ELNS1_3gpuE8ELNS1_3repE0EEENS1_30default_config_static_selectorELNS0_4arch9wavefront6targetE0EEEvT1_
; %bb.0:
	.section	.rodata,"a",@progbits
	.p2align	6, 0x0
	.amdhsa_kernel _ZN7rocprim17ROCPRIM_400000_NS6detail17trampoline_kernelINS0_14default_configENS1_33run_length_encode_config_selectorIajNS0_4plusIjEEEEZZNS1_33reduce_by_key_impl_wrapped_configILNS1_25lookback_scan_determinismE0ES3_S7_PKaNS0_17constant_iteratorIjlEEPaPlSF_S6_NS0_8equal_toIaEEEE10hipError_tPvRmT2_T3_mT4_T5_T6_T7_T8_P12ihipStream_tbENKUlT_T0_E_clISt17integral_constantIbLb1EESZ_EEDaSU_SV_EUlSU_E_NS1_11comp_targetILNS1_3genE4ELNS1_11target_archE910ELNS1_3gpuE8ELNS1_3repE0EEENS1_30default_config_static_selectorELNS0_4arch9wavefront6targetE0EEEvT1_
		.amdhsa_group_segment_fixed_size 0
		.amdhsa_private_segment_fixed_size 0
		.amdhsa_kernarg_size 128
		.amdhsa_user_sgpr_count 2
		.amdhsa_user_sgpr_dispatch_ptr 0
		.amdhsa_user_sgpr_queue_ptr 0
		.amdhsa_user_sgpr_kernarg_segment_ptr 1
		.amdhsa_user_sgpr_dispatch_id 0
		.amdhsa_user_sgpr_kernarg_preload_length 0
		.amdhsa_user_sgpr_kernarg_preload_offset 0
		.amdhsa_user_sgpr_private_segment_size 0
		.amdhsa_wavefront_size32 1
		.amdhsa_uses_dynamic_stack 0
		.amdhsa_enable_private_segment 0
		.amdhsa_system_sgpr_workgroup_id_x 1
		.amdhsa_system_sgpr_workgroup_id_y 0
		.amdhsa_system_sgpr_workgroup_id_z 0
		.amdhsa_system_sgpr_workgroup_info 0
		.amdhsa_system_vgpr_workitem_id 0
		.amdhsa_next_free_vgpr 1
		.amdhsa_next_free_sgpr 1
		.amdhsa_named_barrier_count 0
		.amdhsa_reserve_vcc 0
		.amdhsa_float_round_mode_32 0
		.amdhsa_float_round_mode_16_64 0
		.amdhsa_float_denorm_mode_32 3
		.amdhsa_float_denorm_mode_16_64 3
		.amdhsa_fp16_overflow 0
		.amdhsa_memory_ordered 1
		.amdhsa_forward_progress 1
		.amdhsa_inst_pref_size 0
		.amdhsa_round_robin_scheduling 0
		.amdhsa_exception_fp_ieee_invalid_op 0
		.amdhsa_exception_fp_denorm_src 0
		.amdhsa_exception_fp_ieee_div_zero 0
		.amdhsa_exception_fp_ieee_overflow 0
		.amdhsa_exception_fp_ieee_underflow 0
		.amdhsa_exception_fp_ieee_inexact 0
		.amdhsa_exception_int_div_zero 0
	.end_amdhsa_kernel
	.section	.text._ZN7rocprim17ROCPRIM_400000_NS6detail17trampoline_kernelINS0_14default_configENS1_33run_length_encode_config_selectorIajNS0_4plusIjEEEEZZNS1_33reduce_by_key_impl_wrapped_configILNS1_25lookback_scan_determinismE0ES3_S7_PKaNS0_17constant_iteratorIjlEEPaPlSF_S6_NS0_8equal_toIaEEEE10hipError_tPvRmT2_T3_mT4_T5_T6_T7_T8_P12ihipStream_tbENKUlT_T0_E_clISt17integral_constantIbLb1EESZ_EEDaSU_SV_EUlSU_E_NS1_11comp_targetILNS1_3genE4ELNS1_11target_archE910ELNS1_3gpuE8ELNS1_3repE0EEENS1_30default_config_static_selectorELNS0_4arch9wavefront6targetE0EEEvT1_,"axG",@progbits,_ZN7rocprim17ROCPRIM_400000_NS6detail17trampoline_kernelINS0_14default_configENS1_33run_length_encode_config_selectorIajNS0_4plusIjEEEEZZNS1_33reduce_by_key_impl_wrapped_configILNS1_25lookback_scan_determinismE0ES3_S7_PKaNS0_17constant_iteratorIjlEEPaPlSF_S6_NS0_8equal_toIaEEEE10hipError_tPvRmT2_T3_mT4_T5_T6_T7_T8_P12ihipStream_tbENKUlT_T0_E_clISt17integral_constantIbLb1EESZ_EEDaSU_SV_EUlSU_E_NS1_11comp_targetILNS1_3genE4ELNS1_11target_archE910ELNS1_3gpuE8ELNS1_3repE0EEENS1_30default_config_static_selectorELNS0_4arch9wavefront6targetE0EEEvT1_,comdat
.Lfunc_end246:
	.size	_ZN7rocprim17ROCPRIM_400000_NS6detail17trampoline_kernelINS0_14default_configENS1_33run_length_encode_config_selectorIajNS0_4plusIjEEEEZZNS1_33reduce_by_key_impl_wrapped_configILNS1_25lookback_scan_determinismE0ES3_S7_PKaNS0_17constant_iteratorIjlEEPaPlSF_S6_NS0_8equal_toIaEEEE10hipError_tPvRmT2_T3_mT4_T5_T6_T7_T8_P12ihipStream_tbENKUlT_T0_E_clISt17integral_constantIbLb1EESZ_EEDaSU_SV_EUlSU_E_NS1_11comp_targetILNS1_3genE4ELNS1_11target_archE910ELNS1_3gpuE8ELNS1_3repE0EEENS1_30default_config_static_selectorELNS0_4arch9wavefront6targetE0EEEvT1_, .Lfunc_end246-_ZN7rocprim17ROCPRIM_400000_NS6detail17trampoline_kernelINS0_14default_configENS1_33run_length_encode_config_selectorIajNS0_4plusIjEEEEZZNS1_33reduce_by_key_impl_wrapped_configILNS1_25lookback_scan_determinismE0ES3_S7_PKaNS0_17constant_iteratorIjlEEPaPlSF_S6_NS0_8equal_toIaEEEE10hipError_tPvRmT2_T3_mT4_T5_T6_T7_T8_P12ihipStream_tbENKUlT_T0_E_clISt17integral_constantIbLb1EESZ_EEDaSU_SV_EUlSU_E_NS1_11comp_targetILNS1_3genE4ELNS1_11target_archE910ELNS1_3gpuE8ELNS1_3repE0EEENS1_30default_config_static_selectorELNS0_4arch9wavefront6targetE0EEEvT1_
                                        ; -- End function
	.set _ZN7rocprim17ROCPRIM_400000_NS6detail17trampoline_kernelINS0_14default_configENS1_33run_length_encode_config_selectorIajNS0_4plusIjEEEEZZNS1_33reduce_by_key_impl_wrapped_configILNS1_25lookback_scan_determinismE0ES3_S7_PKaNS0_17constant_iteratorIjlEEPaPlSF_S6_NS0_8equal_toIaEEEE10hipError_tPvRmT2_T3_mT4_T5_T6_T7_T8_P12ihipStream_tbENKUlT_T0_E_clISt17integral_constantIbLb1EESZ_EEDaSU_SV_EUlSU_E_NS1_11comp_targetILNS1_3genE4ELNS1_11target_archE910ELNS1_3gpuE8ELNS1_3repE0EEENS1_30default_config_static_selectorELNS0_4arch9wavefront6targetE0EEEvT1_.num_vgpr, 0
	.set _ZN7rocprim17ROCPRIM_400000_NS6detail17trampoline_kernelINS0_14default_configENS1_33run_length_encode_config_selectorIajNS0_4plusIjEEEEZZNS1_33reduce_by_key_impl_wrapped_configILNS1_25lookback_scan_determinismE0ES3_S7_PKaNS0_17constant_iteratorIjlEEPaPlSF_S6_NS0_8equal_toIaEEEE10hipError_tPvRmT2_T3_mT4_T5_T6_T7_T8_P12ihipStream_tbENKUlT_T0_E_clISt17integral_constantIbLb1EESZ_EEDaSU_SV_EUlSU_E_NS1_11comp_targetILNS1_3genE4ELNS1_11target_archE910ELNS1_3gpuE8ELNS1_3repE0EEENS1_30default_config_static_selectorELNS0_4arch9wavefront6targetE0EEEvT1_.num_agpr, 0
	.set _ZN7rocprim17ROCPRIM_400000_NS6detail17trampoline_kernelINS0_14default_configENS1_33run_length_encode_config_selectorIajNS0_4plusIjEEEEZZNS1_33reduce_by_key_impl_wrapped_configILNS1_25lookback_scan_determinismE0ES3_S7_PKaNS0_17constant_iteratorIjlEEPaPlSF_S6_NS0_8equal_toIaEEEE10hipError_tPvRmT2_T3_mT4_T5_T6_T7_T8_P12ihipStream_tbENKUlT_T0_E_clISt17integral_constantIbLb1EESZ_EEDaSU_SV_EUlSU_E_NS1_11comp_targetILNS1_3genE4ELNS1_11target_archE910ELNS1_3gpuE8ELNS1_3repE0EEENS1_30default_config_static_selectorELNS0_4arch9wavefront6targetE0EEEvT1_.numbered_sgpr, 0
	.set _ZN7rocprim17ROCPRIM_400000_NS6detail17trampoline_kernelINS0_14default_configENS1_33run_length_encode_config_selectorIajNS0_4plusIjEEEEZZNS1_33reduce_by_key_impl_wrapped_configILNS1_25lookback_scan_determinismE0ES3_S7_PKaNS0_17constant_iteratorIjlEEPaPlSF_S6_NS0_8equal_toIaEEEE10hipError_tPvRmT2_T3_mT4_T5_T6_T7_T8_P12ihipStream_tbENKUlT_T0_E_clISt17integral_constantIbLb1EESZ_EEDaSU_SV_EUlSU_E_NS1_11comp_targetILNS1_3genE4ELNS1_11target_archE910ELNS1_3gpuE8ELNS1_3repE0EEENS1_30default_config_static_selectorELNS0_4arch9wavefront6targetE0EEEvT1_.num_named_barrier, 0
	.set _ZN7rocprim17ROCPRIM_400000_NS6detail17trampoline_kernelINS0_14default_configENS1_33run_length_encode_config_selectorIajNS0_4plusIjEEEEZZNS1_33reduce_by_key_impl_wrapped_configILNS1_25lookback_scan_determinismE0ES3_S7_PKaNS0_17constant_iteratorIjlEEPaPlSF_S6_NS0_8equal_toIaEEEE10hipError_tPvRmT2_T3_mT4_T5_T6_T7_T8_P12ihipStream_tbENKUlT_T0_E_clISt17integral_constantIbLb1EESZ_EEDaSU_SV_EUlSU_E_NS1_11comp_targetILNS1_3genE4ELNS1_11target_archE910ELNS1_3gpuE8ELNS1_3repE0EEENS1_30default_config_static_selectorELNS0_4arch9wavefront6targetE0EEEvT1_.private_seg_size, 0
	.set _ZN7rocprim17ROCPRIM_400000_NS6detail17trampoline_kernelINS0_14default_configENS1_33run_length_encode_config_selectorIajNS0_4plusIjEEEEZZNS1_33reduce_by_key_impl_wrapped_configILNS1_25lookback_scan_determinismE0ES3_S7_PKaNS0_17constant_iteratorIjlEEPaPlSF_S6_NS0_8equal_toIaEEEE10hipError_tPvRmT2_T3_mT4_T5_T6_T7_T8_P12ihipStream_tbENKUlT_T0_E_clISt17integral_constantIbLb1EESZ_EEDaSU_SV_EUlSU_E_NS1_11comp_targetILNS1_3genE4ELNS1_11target_archE910ELNS1_3gpuE8ELNS1_3repE0EEENS1_30default_config_static_selectorELNS0_4arch9wavefront6targetE0EEEvT1_.uses_vcc, 0
	.set _ZN7rocprim17ROCPRIM_400000_NS6detail17trampoline_kernelINS0_14default_configENS1_33run_length_encode_config_selectorIajNS0_4plusIjEEEEZZNS1_33reduce_by_key_impl_wrapped_configILNS1_25lookback_scan_determinismE0ES3_S7_PKaNS0_17constant_iteratorIjlEEPaPlSF_S6_NS0_8equal_toIaEEEE10hipError_tPvRmT2_T3_mT4_T5_T6_T7_T8_P12ihipStream_tbENKUlT_T0_E_clISt17integral_constantIbLb1EESZ_EEDaSU_SV_EUlSU_E_NS1_11comp_targetILNS1_3genE4ELNS1_11target_archE910ELNS1_3gpuE8ELNS1_3repE0EEENS1_30default_config_static_selectorELNS0_4arch9wavefront6targetE0EEEvT1_.uses_flat_scratch, 0
	.set _ZN7rocprim17ROCPRIM_400000_NS6detail17trampoline_kernelINS0_14default_configENS1_33run_length_encode_config_selectorIajNS0_4plusIjEEEEZZNS1_33reduce_by_key_impl_wrapped_configILNS1_25lookback_scan_determinismE0ES3_S7_PKaNS0_17constant_iteratorIjlEEPaPlSF_S6_NS0_8equal_toIaEEEE10hipError_tPvRmT2_T3_mT4_T5_T6_T7_T8_P12ihipStream_tbENKUlT_T0_E_clISt17integral_constantIbLb1EESZ_EEDaSU_SV_EUlSU_E_NS1_11comp_targetILNS1_3genE4ELNS1_11target_archE910ELNS1_3gpuE8ELNS1_3repE0EEENS1_30default_config_static_selectorELNS0_4arch9wavefront6targetE0EEEvT1_.has_dyn_sized_stack, 0
	.set _ZN7rocprim17ROCPRIM_400000_NS6detail17trampoline_kernelINS0_14default_configENS1_33run_length_encode_config_selectorIajNS0_4plusIjEEEEZZNS1_33reduce_by_key_impl_wrapped_configILNS1_25lookback_scan_determinismE0ES3_S7_PKaNS0_17constant_iteratorIjlEEPaPlSF_S6_NS0_8equal_toIaEEEE10hipError_tPvRmT2_T3_mT4_T5_T6_T7_T8_P12ihipStream_tbENKUlT_T0_E_clISt17integral_constantIbLb1EESZ_EEDaSU_SV_EUlSU_E_NS1_11comp_targetILNS1_3genE4ELNS1_11target_archE910ELNS1_3gpuE8ELNS1_3repE0EEENS1_30default_config_static_selectorELNS0_4arch9wavefront6targetE0EEEvT1_.has_recursion, 0
	.set _ZN7rocprim17ROCPRIM_400000_NS6detail17trampoline_kernelINS0_14default_configENS1_33run_length_encode_config_selectorIajNS0_4plusIjEEEEZZNS1_33reduce_by_key_impl_wrapped_configILNS1_25lookback_scan_determinismE0ES3_S7_PKaNS0_17constant_iteratorIjlEEPaPlSF_S6_NS0_8equal_toIaEEEE10hipError_tPvRmT2_T3_mT4_T5_T6_T7_T8_P12ihipStream_tbENKUlT_T0_E_clISt17integral_constantIbLb1EESZ_EEDaSU_SV_EUlSU_E_NS1_11comp_targetILNS1_3genE4ELNS1_11target_archE910ELNS1_3gpuE8ELNS1_3repE0EEENS1_30default_config_static_selectorELNS0_4arch9wavefront6targetE0EEEvT1_.has_indirect_call, 0
	.section	.AMDGPU.csdata,"",@progbits
; Kernel info:
; codeLenInByte = 0
; TotalNumSgprs: 0
; NumVgprs: 0
; ScratchSize: 0
; MemoryBound: 0
; FloatMode: 240
; IeeeMode: 1
; LDSByteSize: 0 bytes/workgroup (compile time only)
; SGPRBlocks: 0
; VGPRBlocks: 0
; NumSGPRsForWavesPerEU: 1
; NumVGPRsForWavesPerEU: 1
; NamedBarCnt: 0
; Occupancy: 16
; WaveLimiterHint : 0
; COMPUTE_PGM_RSRC2:SCRATCH_EN: 0
; COMPUTE_PGM_RSRC2:USER_SGPR: 2
; COMPUTE_PGM_RSRC2:TRAP_HANDLER: 0
; COMPUTE_PGM_RSRC2:TGID_X_EN: 1
; COMPUTE_PGM_RSRC2:TGID_Y_EN: 0
; COMPUTE_PGM_RSRC2:TGID_Z_EN: 0
; COMPUTE_PGM_RSRC2:TIDIG_COMP_CNT: 0
	.section	.text._ZN7rocprim17ROCPRIM_400000_NS6detail17trampoline_kernelINS0_14default_configENS1_33run_length_encode_config_selectorIajNS0_4plusIjEEEEZZNS1_33reduce_by_key_impl_wrapped_configILNS1_25lookback_scan_determinismE0ES3_S7_PKaNS0_17constant_iteratorIjlEEPaPlSF_S6_NS0_8equal_toIaEEEE10hipError_tPvRmT2_T3_mT4_T5_T6_T7_T8_P12ihipStream_tbENKUlT_T0_E_clISt17integral_constantIbLb1EESZ_EEDaSU_SV_EUlSU_E_NS1_11comp_targetILNS1_3genE3ELNS1_11target_archE908ELNS1_3gpuE7ELNS1_3repE0EEENS1_30default_config_static_selectorELNS0_4arch9wavefront6targetE0EEEvT1_,"axG",@progbits,_ZN7rocprim17ROCPRIM_400000_NS6detail17trampoline_kernelINS0_14default_configENS1_33run_length_encode_config_selectorIajNS0_4plusIjEEEEZZNS1_33reduce_by_key_impl_wrapped_configILNS1_25lookback_scan_determinismE0ES3_S7_PKaNS0_17constant_iteratorIjlEEPaPlSF_S6_NS0_8equal_toIaEEEE10hipError_tPvRmT2_T3_mT4_T5_T6_T7_T8_P12ihipStream_tbENKUlT_T0_E_clISt17integral_constantIbLb1EESZ_EEDaSU_SV_EUlSU_E_NS1_11comp_targetILNS1_3genE3ELNS1_11target_archE908ELNS1_3gpuE7ELNS1_3repE0EEENS1_30default_config_static_selectorELNS0_4arch9wavefront6targetE0EEEvT1_,comdat
	.protected	_ZN7rocprim17ROCPRIM_400000_NS6detail17trampoline_kernelINS0_14default_configENS1_33run_length_encode_config_selectorIajNS0_4plusIjEEEEZZNS1_33reduce_by_key_impl_wrapped_configILNS1_25lookback_scan_determinismE0ES3_S7_PKaNS0_17constant_iteratorIjlEEPaPlSF_S6_NS0_8equal_toIaEEEE10hipError_tPvRmT2_T3_mT4_T5_T6_T7_T8_P12ihipStream_tbENKUlT_T0_E_clISt17integral_constantIbLb1EESZ_EEDaSU_SV_EUlSU_E_NS1_11comp_targetILNS1_3genE3ELNS1_11target_archE908ELNS1_3gpuE7ELNS1_3repE0EEENS1_30default_config_static_selectorELNS0_4arch9wavefront6targetE0EEEvT1_ ; -- Begin function _ZN7rocprim17ROCPRIM_400000_NS6detail17trampoline_kernelINS0_14default_configENS1_33run_length_encode_config_selectorIajNS0_4plusIjEEEEZZNS1_33reduce_by_key_impl_wrapped_configILNS1_25lookback_scan_determinismE0ES3_S7_PKaNS0_17constant_iteratorIjlEEPaPlSF_S6_NS0_8equal_toIaEEEE10hipError_tPvRmT2_T3_mT4_T5_T6_T7_T8_P12ihipStream_tbENKUlT_T0_E_clISt17integral_constantIbLb1EESZ_EEDaSU_SV_EUlSU_E_NS1_11comp_targetILNS1_3genE3ELNS1_11target_archE908ELNS1_3gpuE7ELNS1_3repE0EEENS1_30default_config_static_selectorELNS0_4arch9wavefront6targetE0EEEvT1_
	.globl	_ZN7rocprim17ROCPRIM_400000_NS6detail17trampoline_kernelINS0_14default_configENS1_33run_length_encode_config_selectorIajNS0_4plusIjEEEEZZNS1_33reduce_by_key_impl_wrapped_configILNS1_25lookback_scan_determinismE0ES3_S7_PKaNS0_17constant_iteratorIjlEEPaPlSF_S6_NS0_8equal_toIaEEEE10hipError_tPvRmT2_T3_mT4_T5_T6_T7_T8_P12ihipStream_tbENKUlT_T0_E_clISt17integral_constantIbLb1EESZ_EEDaSU_SV_EUlSU_E_NS1_11comp_targetILNS1_3genE3ELNS1_11target_archE908ELNS1_3gpuE7ELNS1_3repE0EEENS1_30default_config_static_selectorELNS0_4arch9wavefront6targetE0EEEvT1_
	.p2align	8
	.type	_ZN7rocprim17ROCPRIM_400000_NS6detail17trampoline_kernelINS0_14default_configENS1_33run_length_encode_config_selectorIajNS0_4plusIjEEEEZZNS1_33reduce_by_key_impl_wrapped_configILNS1_25lookback_scan_determinismE0ES3_S7_PKaNS0_17constant_iteratorIjlEEPaPlSF_S6_NS0_8equal_toIaEEEE10hipError_tPvRmT2_T3_mT4_T5_T6_T7_T8_P12ihipStream_tbENKUlT_T0_E_clISt17integral_constantIbLb1EESZ_EEDaSU_SV_EUlSU_E_NS1_11comp_targetILNS1_3genE3ELNS1_11target_archE908ELNS1_3gpuE7ELNS1_3repE0EEENS1_30default_config_static_selectorELNS0_4arch9wavefront6targetE0EEEvT1_,@function
_ZN7rocprim17ROCPRIM_400000_NS6detail17trampoline_kernelINS0_14default_configENS1_33run_length_encode_config_selectorIajNS0_4plusIjEEEEZZNS1_33reduce_by_key_impl_wrapped_configILNS1_25lookback_scan_determinismE0ES3_S7_PKaNS0_17constant_iteratorIjlEEPaPlSF_S6_NS0_8equal_toIaEEEE10hipError_tPvRmT2_T3_mT4_T5_T6_T7_T8_P12ihipStream_tbENKUlT_T0_E_clISt17integral_constantIbLb1EESZ_EEDaSU_SV_EUlSU_E_NS1_11comp_targetILNS1_3genE3ELNS1_11target_archE908ELNS1_3gpuE7ELNS1_3repE0EEENS1_30default_config_static_selectorELNS0_4arch9wavefront6targetE0EEEvT1_: ; @_ZN7rocprim17ROCPRIM_400000_NS6detail17trampoline_kernelINS0_14default_configENS1_33run_length_encode_config_selectorIajNS0_4plusIjEEEEZZNS1_33reduce_by_key_impl_wrapped_configILNS1_25lookback_scan_determinismE0ES3_S7_PKaNS0_17constant_iteratorIjlEEPaPlSF_S6_NS0_8equal_toIaEEEE10hipError_tPvRmT2_T3_mT4_T5_T6_T7_T8_P12ihipStream_tbENKUlT_T0_E_clISt17integral_constantIbLb1EESZ_EEDaSU_SV_EUlSU_E_NS1_11comp_targetILNS1_3genE3ELNS1_11target_archE908ELNS1_3gpuE7ELNS1_3repE0EEENS1_30default_config_static_selectorELNS0_4arch9wavefront6targetE0EEEvT1_
; %bb.0:
	.section	.rodata,"a",@progbits
	.p2align	6, 0x0
	.amdhsa_kernel _ZN7rocprim17ROCPRIM_400000_NS6detail17trampoline_kernelINS0_14default_configENS1_33run_length_encode_config_selectorIajNS0_4plusIjEEEEZZNS1_33reduce_by_key_impl_wrapped_configILNS1_25lookback_scan_determinismE0ES3_S7_PKaNS0_17constant_iteratorIjlEEPaPlSF_S6_NS0_8equal_toIaEEEE10hipError_tPvRmT2_T3_mT4_T5_T6_T7_T8_P12ihipStream_tbENKUlT_T0_E_clISt17integral_constantIbLb1EESZ_EEDaSU_SV_EUlSU_E_NS1_11comp_targetILNS1_3genE3ELNS1_11target_archE908ELNS1_3gpuE7ELNS1_3repE0EEENS1_30default_config_static_selectorELNS0_4arch9wavefront6targetE0EEEvT1_
		.amdhsa_group_segment_fixed_size 0
		.amdhsa_private_segment_fixed_size 0
		.amdhsa_kernarg_size 128
		.amdhsa_user_sgpr_count 2
		.amdhsa_user_sgpr_dispatch_ptr 0
		.amdhsa_user_sgpr_queue_ptr 0
		.amdhsa_user_sgpr_kernarg_segment_ptr 1
		.amdhsa_user_sgpr_dispatch_id 0
		.amdhsa_user_sgpr_kernarg_preload_length 0
		.amdhsa_user_sgpr_kernarg_preload_offset 0
		.amdhsa_user_sgpr_private_segment_size 0
		.amdhsa_wavefront_size32 1
		.amdhsa_uses_dynamic_stack 0
		.amdhsa_enable_private_segment 0
		.amdhsa_system_sgpr_workgroup_id_x 1
		.amdhsa_system_sgpr_workgroup_id_y 0
		.amdhsa_system_sgpr_workgroup_id_z 0
		.amdhsa_system_sgpr_workgroup_info 0
		.amdhsa_system_vgpr_workitem_id 0
		.amdhsa_next_free_vgpr 1
		.amdhsa_next_free_sgpr 1
		.amdhsa_named_barrier_count 0
		.amdhsa_reserve_vcc 0
		.amdhsa_float_round_mode_32 0
		.amdhsa_float_round_mode_16_64 0
		.amdhsa_float_denorm_mode_32 3
		.amdhsa_float_denorm_mode_16_64 3
		.amdhsa_fp16_overflow 0
		.amdhsa_memory_ordered 1
		.amdhsa_forward_progress 1
		.amdhsa_inst_pref_size 0
		.amdhsa_round_robin_scheduling 0
		.amdhsa_exception_fp_ieee_invalid_op 0
		.amdhsa_exception_fp_denorm_src 0
		.amdhsa_exception_fp_ieee_div_zero 0
		.amdhsa_exception_fp_ieee_overflow 0
		.amdhsa_exception_fp_ieee_underflow 0
		.amdhsa_exception_fp_ieee_inexact 0
		.amdhsa_exception_int_div_zero 0
	.end_amdhsa_kernel
	.section	.text._ZN7rocprim17ROCPRIM_400000_NS6detail17trampoline_kernelINS0_14default_configENS1_33run_length_encode_config_selectorIajNS0_4plusIjEEEEZZNS1_33reduce_by_key_impl_wrapped_configILNS1_25lookback_scan_determinismE0ES3_S7_PKaNS0_17constant_iteratorIjlEEPaPlSF_S6_NS0_8equal_toIaEEEE10hipError_tPvRmT2_T3_mT4_T5_T6_T7_T8_P12ihipStream_tbENKUlT_T0_E_clISt17integral_constantIbLb1EESZ_EEDaSU_SV_EUlSU_E_NS1_11comp_targetILNS1_3genE3ELNS1_11target_archE908ELNS1_3gpuE7ELNS1_3repE0EEENS1_30default_config_static_selectorELNS0_4arch9wavefront6targetE0EEEvT1_,"axG",@progbits,_ZN7rocprim17ROCPRIM_400000_NS6detail17trampoline_kernelINS0_14default_configENS1_33run_length_encode_config_selectorIajNS0_4plusIjEEEEZZNS1_33reduce_by_key_impl_wrapped_configILNS1_25lookback_scan_determinismE0ES3_S7_PKaNS0_17constant_iteratorIjlEEPaPlSF_S6_NS0_8equal_toIaEEEE10hipError_tPvRmT2_T3_mT4_T5_T6_T7_T8_P12ihipStream_tbENKUlT_T0_E_clISt17integral_constantIbLb1EESZ_EEDaSU_SV_EUlSU_E_NS1_11comp_targetILNS1_3genE3ELNS1_11target_archE908ELNS1_3gpuE7ELNS1_3repE0EEENS1_30default_config_static_selectorELNS0_4arch9wavefront6targetE0EEEvT1_,comdat
.Lfunc_end247:
	.size	_ZN7rocprim17ROCPRIM_400000_NS6detail17trampoline_kernelINS0_14default_configENS1_33run_length_encode_config_selectorIajNS0_4plusIjEEEEZZNS1_33reduce_by_key_impl_wrapped_configILNS1_25lookback_scan_determinismE0ES3_S7_PKaNS0_17constant_iteratorIjlEEPaPlSF_S6_NS0_8equal_toIaEEEE10hipError_tPvRmT2_T3_mT4_T5_T6_T7_T8_P12ihipStream_tbENKUlT_T0_E_clISt17integral_constantIbLb1EESZ_EEDaSU_SV_EUlSU_E_NS1_11comp_targetILNS1_3genE3ELNS1_11target_archE908ELNS1_3gpuE7ELNS1_3repE0EEENS1_30default_config_static_selectorELNS0_4arch9wavefront6targetE0EEEvT1_, .Lfunc_end247-_ZN7rocprim17ROCPRIM_400000_NS6detail17trampoline_kernelINS0_14default_configENS1_33run_length_encode_config_selectorIajNS0_4plusIjEEEEZZNS1_33reduce_by_key_impl_wrapped_configILNS1_25lookback_scan_determinismE0ES3_S7_PKaNS0_17constant_iteratorIjlEEPaPlSF_S6_NS0_8equal_toIaEEEE10hipError_tPvRmT2_T3_mT4_T5_T6_T7_T8_P12ihipStream_tbENKUlT_T0_E_clISt17integral_constantIbLb1EESZ_EEDaSU_SV_EUlSU_E_NS1_11comp_targetILNS1_3genE3ELNS1_11target_archE908ELNS1_3gpuE7ELNS1_3repE0EEENS1_30default_config_static_selectorELNS0_4arch9wavefront6targetE0EEEvT1_
                                        ; -- End function
	.set _ZN7rocprim17ROCPRIM_400000_NS6detail17trampoline_kernelINS0_14default_configENS1_33run_length_encode_config_selectorIajNS0_4plusIjEEEEZZNS1_33reduce_by_key_impl_wrapped_configILNS1_25lookback_scan_determinismE0ES3_S7_PKaNS0_17constant_iteratorIjlEEPaPlSF_S6_NS0_8equal_toIaEEEE10hipError_tPvRmT2_T3_mT4_T5_T6_T7_T8_P12ihipStream_tbENKUlT_T0_E_clISt17integral_constantIbLb1EESZ_EEDaSU_SV_EUlSU_E_NS1_11comp_targetILNS1_3genE3ELNS1_11target_archE908ELNS1_3gpuE7ELNS1_3repE0EEENS1_30default_config_static_selectorELNS0_4arch9wavefront6targetE0EEEvT1_.num_vgpr, 0
	.set _ZN7rocprim17ROCPRIM_400000_NS6detail17trampoline_kernelINS0_14default_configENS1_33run_length_encode_config_selectorIajNS0_4plusIjEEEEZZNS1_33reduce_by_key_impl_wrapped_configILNS1_25lookback_scan_determinismE0ES3_S7_PKaNS0_17constant_iteratorIjlEEPaPlSF_S6_NS0_8equal_toIaEEEE10hipError_tPvRmT2_T3_mT4_T5_T6_T7_T8_P12ihipStream_tbENKUlT_T0_E_clISt17integral_constantIbLb1EESZ_EEDaSU_SV_EUlSU_E_NS1_11comp_targetILNS1_3genE3ELNS1_11target_archE908ELNS1_3gpuE7ELNS1_3repE0EEENS1_30default_config_static_selectorELNS0_4arch9wavefront6targetE0EEEvT1_.num_agpr, 0
	.set _ZN7rocprim17ROCPRIM_400000_NS6detail17trampoline_kernelINS0_14default_configENS1_33run_length_encode_config_selectorIajNS0_4plusIjEEEEZZNS1_33reduce_by_key_impl_wrapped_configILNS1_25lookback_scan_determinismE0ES3_S7_PKaNS0_17constant_iteratorIjlEEPaPlSF_S6_NS0_8equal_toIaEEEE10hipError_tPvRmT2_T3_mT4_T5_T6_T7_T8_P12ihipStream_tbENKUlT_T0_E_clISt17integral_constantIbLb1EESZ_EEDaSU_SV_EUlSU_E_NS1_11comp_targetILNS1_3genE3ELNS1_11target_archE908ELNS1_3gpuE7ELNS1_3repE0EEENS1_30default_config_static_selectorELNS0_4arch9wavefront6targetE0EEEvT1_.numbered_sgpr, 0
	.set _ZN7rocprim17ROCPRIM_400000_NS6detail17trampoline_kernelINS0_14default_configENS1_33run_length_encode_config_selectorIajNS0_4plusIjEEEEZZNS1_33reduce_by_key_impl_wrapped_configILNS1_25lookback_scan_determinismE0ES3_S7_PKaNS0_17constant_iteratorIjlEEPaPlSF_S6_NS0_8equal_toIaEEEE10hipError_tPvRmT2_T3_mT4_T5_T6_T7_T8_P12ihipStream_tbENKUlT_T0_E_clISt17integral_constantIbLb1EESZ_EEDaSU_SV_EUlSU_E_NS1_11comp_targetILNS1_3genE3ELNS1_11target_archE908ELNS1_3gpuE7ELNS1_3repE0EEENS1_30default_config_static_selectorELNS0_4arch9wavefront6targetE0EEEvT1_.num_named_barrier, 0
	.set _ZN7rocprim17ROCPRIM_400000_NS6detail17trampoline_kernelINS0_14default_configENS1_33run_length_encode_config_selectorIajNS0_4plusIjEEEEZZNS1_33reduce_by_key_impl_wrapped_configILNS1_25lookback_scan_determinismE0ES3_S7_PKaNS0_17constant_iteratorIjlEEPaPlSF_S6_NS0_8equal_toIaEEEE10hipError_tPvRmT2_T3_mT4_T5_T6_T7_T8_P12ihipStream_tbENKUlT_T0_E_clISt17integral_constantIbLb1EESZ_EEDaSU_SV_EUlSU_E_NS1_11comp_targetILNS1_3genE3ELNS1_11target_archE908ELNS1_3gpuE7ELNS1_3repE0EEENS1_30default_config_static_selectorELNS0_4arch9wavefront6targetE0EEEvT1_.private_seg_size, 0
	.set _ZN7rocprim17ROCPRIM_400000_NS6detail17trampoline_kernelINS0_14default_configENS1_33run_length_encode_config_selectorIajNS0_4plusIjEEEEZZNS1_33reduce_by_key_impl_wrapped_configILNS1_25lookback_scan_determinismE0ES3_S7_PKaNS0_17constant_iteratorIjlEEPaPlSF_S6_NS0_8equal_toIaEEEE10hipError_tPvRmT2_T3_mT4_T5_T6_T7_T8_P12ihipStream_tbENKUlT_T0_E_clISt17integral_constantIbLb1EESZ_EEDaSU_SV_EUlSU_E_NS1_11comp_targetILNS1_3genE3ELNS1_11target_archE908ELNS1_3gpuE7ELNS1_3repE0EEENS1_30default_config_static_selectorELNS0_4arch9wavefront6targetE0EEEvT1_.uses_vcc, 0
	.set _ZN7rocprim17ROCPRIM_400000_NS6detail17trampoline_kernelINS0_14default_configENS1_33run_length_encode_config_selectorIajNS0_4plusIjEEEEZZNS1_33reduce_by_key_impl_wrapped_configILNS1_25lookback_scan_determinismE0ES3_S7_PKaNS0_17constant_iteratorIjlEEPaPlSF_S6_NS0_8equal_toIaEEEE10hipError_tPvRmT2_T3_mT4_T5_T6_T7_T8_P12ihipStream_tbENKUlT_T0_E_clISt17integral_constantIbLb1EESZ_EEDaSU_SV_EUlSU_E_NS1_11comp_targetILNS1_3genE3ELNS1_11target_archE908ELNS1_3gpuE7ELNS1_3repE0EEENS1_30default_config_static_selectorELNS0_4arch9wavefront6targetE0EEEvT1_.uses_flat_scratch, 0
	.set _ZN7rocprim17ROCPRIM_400000_NS6detail17trampoline_kernelINS0_14default_configENS1_33run_length_encode_config_selectorIajNS0_4plusIjEEEEZZNS1_33reduce_by_key_impl_wrapped_configILNS1_25lookback_scan_determinismE0ES3_S7_PKaNS0_17constant_iteratorIjlEEPaPlSF_S6_NS0_8equal_toIaEEEE10hipError_tPvRmT2_T3_mT4_T5_T6_T7_T8_P12ihipStream_tbENKUlT_T0_E_clISt17integral_constantIbLb1EESZ_EEDaSU_SV_EUlSU_E_NS1_11comp_targetILNS1_3genE3ELNS1_11target_archE908ELNS1_3gpuE7ELNS1_3repE0EEENS1_30default_config_static_selectorELNS0_4arch9wavefront6targetE0EEEvT1_.has_dyn_sized_stack, 0
	.set _ZN7rocprim17ROCPRIM_400000_NS6detail17trampoline_kernelINS0_14default_configENS1_33run_length_encode_config_selectorIajNS0_4plusIjEEEEZZNS1_33reduce_by_key_impl_wrapped_configILNS1_25lookback_scan_determinismE0ES3_S7_PKaNS0_17constant_iteratorIjlEEPaPlSF_S6_NS0_8equal_toIaEEEE10hipError_tPvRmT2_T3_mT4_T5_T6_T7_T8_P12ihipStream_tbENKUlT_T0_E_clISt17integral_constantIbLb1EESZ_EEDaSU_SV_EUlSU_E_NS1_11comp_targetILNS1_3genE3ELNS1_11target_archE908ELNS1_3gpuE7ELNS1_3repE0EEENS1_30default_config_static_selectorELNS0_4arch9wavefront6targetE0EEEvT1_.has_recursion, 0
	.set _ZN7rocprim17ROCPRIM_400000_NS6detail17trampoline_kernelINS0_14default_configENS1_33run_length_encode_config_selectorIajNS0_4plusIjEEEEZZNS1_33reduce_by_key_impl_wrapped_configILNS1_25lookback_scan_determinismE0ES3_S7_PKaNS0_17constant_iteratorIjlEEPaPlSF_S6_NS0_8equal_toIaEEEE10hipError_tPvRmT2_T3_mT4_T5_T6_T7_T8_P12ihipStream_tbENKUlT_T0_E_clISt17integral_constantIbLb1EESZ_EEDaSU_SV_EUlSU_E_NS1_11comp_targetILNS1_3genE3ELNS1_11target_archE908ELNS1_3gpuE7ELNS1_3repE0EEENS1_30default_config_static_selectorELNS0_4arch9wavefront6targetE0EEEvT1_.has_indirect_call, 0
	.section	.AMDGPU.csdata,"",@progbits
; Kernel info:
; codeLenInByte = 0
; TotalNumSgprs: 0
; NumVgprs: 0
; ScratchSize: 0
; MemoryBound: 0
; FloatMode: 240
; IeeeMode: 1
; LDSByteSize: 0 bytes/workgroup (compile time only)
; SGPRBlocks: 0
; VGPRBlocks: 0
; NumSGPRsForWavesPerEU: 1
; NumVGPRsForWavesPerEU: 1
; NamedBarCnt: 0
; Occupancy: 16
; WaveLimiterHint : 0
; COMPUTE_PGM_RSRC2:SCRATCH_EN: 0
; COMPUTE_PGM_RSRC2:USER_SGPR: 2
; COMPUTE_PGM_RSRC2:TRAP_HANDLER: 0
; COMPUTE_PGM_RSRC2:TGID_X_EN: 1
; COMPUTE_PGM_RSRC2:TGID_Y_EN: 0
; COMPUTE_PGM_RSRC2:TGID_Z_EN: 0
; COMPUTE_PGM_RSRC2:TIDIG_COMP_CNT: 0
	.section	.text._ZN7rocprim17ROCPRIM_400000_NS6detail17trampoline_kernelINS0_14default_configENS1_33run_length_encode_config_selectorIajNS0_4plusIjEEEEZZNS1_33reduce_by_key_impl_wrapped_configILNS1_25lookback_scan_determinismE0ES3_S7_PKaNS0_17constant_iteratorIjlEEPaPlSF_S6_NS0_8equal_toIaEEEE10hipError_tPvRmT2_T3_mT4_T5_T6_T7_T8_P12ihipStream_tbENKUlT_T0_E_clISt17integral_constantIbLb1EESZ_EEDaSU_SV_EUlSU_E_NS1_11comp_targetILNS1_3genE2ELNS1_11target_archE906ELNS1_3gpuE6ELNS1_3repE0EEENS1_30default_config_static_selectorELNS0_4arch9wavefront6targetE0EEEvT1_,"axG",@progbits,_ZN7rocprim17ROCPRIM_400000_NS6detail17trampoline_kernelINS0_14default_configENS1_33run_length_encode_config_selectorIajNS0_4plusIjEEEEZZNS1_33reduce_by_key_impl_wrapped_configILNS1_25lookback_scan_determinismE0ES3_S7_PKaNS0_17constant_iteratorIjlEEPaPlSF_S6_NS0_8equal_toIaEEEE10hipError_tPvRmT2_T3_mT4_T5_T6_T7_T8_P12ihipStream_tbENKUlT_T0_E_clISt17integral_constantIbLb1EESZ_EEDaSU_SV_EUlSU_E_NS1_11comp_targetILNS1_3genE2ELNS1_11target_archE906ELNS1_3gpuE6ELNS1_3repE0EEENS1_30default_config_static_selectorELNS0_4arch9wavefront6targetE0EEEvT1_,comdat
	.protected	_ZN7rocprim17ROCPRIM_400000_NS6detail17trampoline_kernelINS0_14default_configENS1_33run_length_encode_config_selectorIajNS0_4plusIjEEEEZZNS1_33reduce_by_key_impl_wrapped_configILNS1_25lookback_scan_determinismE0ES3_S7_PKaNS0_17constant_iteratorIjlEEPaPlSF_S6_NS0_8equal_toIaEEEE10hipError_tPvRmT2_T3_mT4_T5_T6_T7_T8_P12ihipStream_tbENKUlT_T0_E_clISt17integral_constantIbLb1EESZ_EEDaSU_SV_EUlSU_E_NS1_11comp_targetILNS1_3genE2ELNS1_11target_archE906ELNS1_3gpuE6ELNS1_3repE0EEENS1_30default_config_static_selectorELNS0_4arch9wavefront6targetE0EEEvT1_ ; -- Begin function _ZN7rocprim17ROCPRIM_400000_NS6detail17trampoline_kernelINS0_14default_configENS1_33run_length_encode_config_selectorIajNS0_4plusIjEEEEZZNS1_33reduce_by_key_impl_wrapped_configILNS1_25lookback_scan_determinismE0ES3_S7_PKaNS0_17constant_iteratorIjlEEPaPlSF_S6_NS0_8equal_toIaEEEE10hipError_tPvRmT2_T3_mT4_T5_T6_T7_T8_P12ihipStream_tbENKUlT_T0_E_clISt17integral_constantIbLb1EESZ_EEDaSU_SV_EUlSU_E_NS1_11comp_targetILNS1_3genE2ELNS1_11target_archE906ELNS1_3gpuE6ELNS1_3repE0EEENS1_30default_config_static_selectorELNS0_4arch9wavefront6targetE0EEEvT1_
	.globl	_ZN7rocprim17ROCPRIM_400000_NS6detail17trampoline_kernelINS0_14default_configENS1_33run_length_encode_config_selectorIajNS0_4plusIjEEEEZZNS1_33reduce_by_key_impl_wrapped_configILNS1_25lookback_scan_determinismE0ES3_S7_PKaNS0_17constant_iteratorIjlEEPaPlSF_S6_NS0_8equal_toIaEEEE10hipError_tPvRmT2_T3_mT4_T5_T6_T7_T8_P12ihipStream_tbENKUlT_T0_E_clISt17integral_constantIbLb1EESZ_EEDaSU_SV_EUlSU_E_NS1_11comp_targetILNS1_3genE2ELNS1_11target_archE906ELNS1_3gpuE6ELNS1_3repE0EEENS1_30default_config_static_selectorELNS0_4arch9wavefront6targetE0EEEvT1_
	.p2align	8
	.type	_ZN7rocprim17ROCPRIM_400000_NS6detail17trampoline_kernelINS0_14default_configENS1_33run_length_encode_config_selectorIajNS0_4plusIjEEEEZZNS1_33reduce_by_key_impl_wrapped_configILNS1_25lookback_scan_determinismE0ES3_S7_PKaNS0_17constant_iteratorIjlEEPaPlSF_S6_NS0_8equal_toIaEEEE10hipError_tPvRmT2_T3_mT4_T5_T6_T7_T8_P12ihipStream_tbENKUlT_T0_E_clISt17integral_constantIbLb1EESZ_EEDaSU_SV_EUlSU_E_NS1_11comp_targetILNS1_3genE2ELNS1_11target_archE906ELNS1_3gpuE6ELNS1_3repE0EEENS1_30default_config_static_selectorELNS0_4arch9wavefront6targetE0EEEvT1_,@function
_ZN7rocprim17ROCPRIM_400000_NS6detail17trampoline_kernelINS0_14default_configENS1_33run_length_encode_config_selectorIajNS0_4plusIjEEEEZZNS1_33reduce_by_key_impl_wrapped_configILNS1_25lookback_scan_determinismE0ES3_S7_PKaNS0_17constant_iteratorIjlEEPaPlSF_S6_NS0_8equal_toIaEEEE10hipError_tPvRmT2_T3_mT4_T5_T6_T7_T8_P12ihipStream_tbENKUlT_T0_E_clISt17integral_constantIbLb1EESZ_EEDaSU_SV_EUlSU_E_NS1_11comp_targetILNS1_3genE2ELNS1_11target_archE906ELNS1_3gpuE6ELNS1_3repE0EEENS1_30default_config_static_selectorELNS0_4arch9wavefront6targetE0EEEvT1_: ; @_ZN7rocprim17ROCPRIM_400000_NS6detail17trampoline_kernelINS0_14default_configENS1_33run_length_encode_config_selectorIajNS0_4plusIjEEEEZZNS1_33reduce_by_key_impl_wrapped_configILNS1_25lookback_scan_determinismE0ES3_S7_PKaNS0_17constant_iteratorIjlEEPaPlSF_S6_NS0_8equal_toIaEEEE10hipError_tPvRmT2_T3_mT4_T5_T6_T7_T8_P12ihipStream_tbENKUlT_T0_E_clISt17integral_constantIbLb1EESZ_EEDaSU_SV_EUlSU_E_NS1_11comp_targetILNS1_3genE2ELNS1_11target_archE906ELNS1_3gpuE6ELNS1_3repE0EEENS1_30default_config_static_selectorELNS0_4arch9wavefront6targetE0EEEvT1_
; %bb.0:
	.section	.rodata,"a",@progbits
	.p2align	6, 0x0
	.amdhsa_kernel _ZN7rocprim17ROCPRIM_400000_NS6detail17trampoline_kernelINS0_14default_configENS1_33run_length_encode_config_selectorIajNS0_4plusIjEEEEZZNS1_33reduce_by_key_impl_wrapped_configILNS1_25lookback_scan_determinismE0ES3_S7_PKaNS0_17constant_iteratorIjlEEPaPlSF_S6_NS0_8equal_toIaEEEE10hipError_tPvRmT2_T3_mT4_T5_T6_T7_T8_P12ihipStream_tbENKUlT_T0_E_clISt17integral_constantIbLb1EESZ_EEDaSU_SV_EUlSU_E_NS1_11comp_targetILNS1_3genE2ELNS1_11target_archE906ELNS1_3gpuE6ELNS1_3repE0EEENS1_30default_config_static_selectorELNS0_4arch9wavefront6targetE0EEEvT1_
		.amdhsa_group_segment_fixed_size 0
		.amdhsa_private_segment_fixed_size 0
		.amdhsa_kernarg_size 128
		.amdhsa_user_sgpr_count 2
		.amdhsa_user_sgpr_dispatch_ptr 0
		.amdhsa_user_sgpr_queue_ptr 0
		.amdhsa_user_sgpr_kernarg_segment_ptr 1
		.amdhsa_user_sgpr_dispatch_id 0
		.amdhsa_user_sgpr_kernarg_preload_length 0
		.amdhsa_user_sgpr_kernarg_preload_offset 0
		.amdhsa_user_sgpr_private_segment_size 0
		.amdhsa_wavefront_size32 1
		.amdhsa_uses_dynamic_stack 0
		.amdhsa_enable_private_segment 0
		.amdhsa_system_sgpr_workgroup_id_x 1
		.amdhsa_system_sgpr_workgroup_id_y 0
		.amdhsa_system_sgpr_workgroup_id_z 0
		.amdhsa_system_sgpr_workgroup_info 0
		.amdhsa_system_vgpr_workitem_id 0
		.amdhsa_next_free_vgpr 1
		.amdhsa_next_free_sgpr 1
		.amdhsa_named_barrier_count 0
		.amdhsa_reserve_vcc 0
		.amdhsa_float_round_mode_32 0
		.amdhsa_float_round_mode_16_64 0
		.amdhsa_float_denorm_mode_32 3
		.amdhsa_float_denorm_mode_16_64 3
		.amdhsa_fp16_overflow 0
		.amdhsa_memory_ordered 1
		.amdhsa_forward_progress 1
		.amdhsa_inst_pref_size 0
		.amdhsa_round_robin_scheduling 0
		.amdhsa_exception_fp_ieee_invalid_op 0
		.amdhsa_exception_fp_denorm_src 0
		.amdhsa_exception_fp_ieee_div_zero 0
		.amdhsa_exception_fp_ieee_overflow 0
		.amdhsa_exception_fp_ieee_underflow 0
		.amdhsa_exception_fp_ieee_inexact 0
		.amdhsa_exception_int_div_zero 0
	.end_amdhsa_kernel
	.section	.text._ZN7rocprim17ROCPRIM_400000_NS6detail17trampoline_kernelINS0_14default_configENS1_33run_length_encode_config_selectorIajNS0_4plusIjEEEEZZNS1_33reduce_by_key_impl_wrapped_configILNS1_25lookback_scan_determinismE0ES3_S7_PKaNS0_17constant_iteratorIjlEEPaPlSF_S6_NS0_8equal_toIaEEEE10hipError_tPvRmT2_T3_mT4_T5_T6_T7_T8_P12ihipStream_tbENKUlT_T0_E_clISt17integral_constantIbLb1EESZ_EEDaSU_SV_EUlSU_E_NS1_11comp_targetILNS1_3genE2ELNS1_11target_archE906ELNS1_3gpuE6ELNS1_3repE0EEENS1_30default_config_static_selectorELNS0_4arch9wavefront6targetE0EEEvT1_,"axG",@progbits,_ZN7rocprim17ROCPRIM_400000_NS6detail17trampoline_kernelINS0_14default_configENS1_33run_length_encode_config_selectorIajNS0_4plusIjEEEEZZNS1_33reduce_by_key_impl_wrapped_configILNS1_25lookback_scan_determinismE0ES3_S7_PKaNS0_17constant_iteratorIjlEEPaPlSF_S6_NS0_8equal_toIaEEEE10hipError_tPvRmT2_T3_mT4_T5_T6_T7_T8_P12ihipStream_tbENKUlT_T0_E_clISt17integral_constantIbLb1EESZ_EEDaSU_SV_EUlSU_E_NS1_11comp_targetILNS1_3genE2ELNS1_11target_archE906ELNS1_3gpuE6ELNS1_3repE0EEENS1_30default_config_static_selectorELNS0_4arch9wavefront6targetE0EEEvT1_,comdat
.Lfunc_end248:
	.size	_ZN7rocprim17ROCPRIM_400000_NS6detail17trampoline_kernelINS0_14default_configENS1_33run_length_encode_config_selectorIajNS0_4plusIjEEEEZZNS1_33reduce_by_key_impl_wrapped_configILNS1_25lookback_scan_determinismE0ES3_S7_PKaNS0_17constant_iteratorIjlEEPaPlSF_S6_NS0_8equal_toIaEEEE10hipError_tPvRmT2_T3_mT4_T5_T6_T7_T8_P12ihipStream_tbENKUlT_T0_E_clISt17integral_constantIbLb1EESZ_EEDaSU_SV_EUlSU_E_NS1_11comp_targetILNS1_3genE2ELNS1_11target_archE906ELNS1_3gpuE6ELNS1_3repE0EEENS1_30default_config_static_selectorELNS0_4arch9wavefront6targetE0EEEvT1_, .Lfunc_end248-_ZN7rocprim17ROCPRIM_400000_NS6detail17trampoline_kernelINS0_14default_configENS1_33run_length_encode_config_selectorIajNS0_4plusIjEEEEZZNS1_33reduce_by_key_impl_wrapped_configILNS1_25lookback_scan_determinismE0ES3_S7_PKaNS0_17constant_iteratorIjlEEPaPlSF_S6_NS0_8equal_toIaEEEE10hipError_tPvRmT2_T3_mT4_T5_T6_T7_T8_P12ihipStream_tbENKUlT_T0_E_clISt17integral_constantIbLb1EESZ_EEDaSU_SV_EUlSU_E_NS1_11comp_targetILNS1_3genE2ELNS1_11target_archE906ELNS1_3gpuE6ELNS1_3repE0EEENS1_30default_config_static_selectorELNS0_4arch9wavefront6targetE0EEEvT1_
                                        ; -- End function
	.set _ZN7rocprim17ROCPRIM_400000_NS6detail17trampoline_kernelINS0_14default_configENS1_33run_length_encode_config_selectorIajNS0_4plusIjEEEEZZNS1_33reduce_by_key_impl_wrapped_configILNS1_25lookback_scan_determinismE0ES3_S7_PKaNS0_17constant_iteratorIjlEEPaPlSF_S6_NS0_8equal_toIaEEEE10hipError_tPvRmT2_T3_mT4_T5_T6_T7_T8_P12ihipStream_tbENKUlT_T0_E_clISt17integral_constantIbLb1EESZ_EEDaSU_SV_EUlSU_E_NS1_11comp_targetILNS1_3genE2ELNS1_11target_archE906ELNS1_3gpuE6ELNS1_3repE0EEENS1_30default_config_static_selectorELNS0_4arch9wavefront6targetE0EEEvT1_.num_vgpr, 0
	.set _ZN7rocprim17ROCPRIM_400000_NS6detail17trampoline_kernelINS0_14default_configENS1_33run_length_encode_config_selectorIajNS0_4plusIjEEEEZZNS1_33reduce_by_key_impl_wrapped_configILNS1_25lookback_scan_determinismE0ES3_S7_PKaNS0_17constant_iteratorIjlEEPaPlSF_S6_NS0_8equal_toIaEEEE10hipError_tPvRmT2_T3_mT4_T5_T6_T7_T8_P12ihipStream_tbENKUlT_T0_E_clISt17integral_constantIbLb1EESZ_EEDaSU_SV_EUlSU_E_NS1_11comp_targetILNS1_3genE2ELNS1_11target_archE906ELNS1_3gpuE6ELNS1_3repE0EEENS1_30default_config_static_selectorELNS0_4arch9wavefront6targetE0EEEvT1_.num_agpr, 0
	.set _ZN7rocprim17ROCPRIM_400000_NS6detail17trampoline_kernelINS0_14default_configENS1_33run_length_encode_config_selectorIajNS0_4plusIjEEEEZZNS1_33reduce_by_key_impl_wrapped_configILNS1_25lookback_scan_determinismE0ES3_S7_PKaNS0_17constant_iteratorIjlEEPaPlSF_S6_NS0_8equal_toIaEEEE10hipError_tPvRmT2_T3_mT4_T5_T6_T7_T8_P12ihipStream_tbENKUlT_T0_E_clISt17integral_constantIbLb1EESZ_EEDaSU_SV_EUlSU_E_NS1_11comp_targetILNS1_3genE2ELNS1_11target_archE906ELNS1_3gpuE6ELNS1_3repE0EEENS1_30default_config_static_selectorELNS0_4arch9wavefront6targetE0EEEvT1_.numbered_sgpr, 0
	.set _ZN7rocprim17ROCPRIM_400000_NS6detail17trampoline_kernelINS0_14default_configENS1_33run_length_encode_config_selectorIajNS0_4plusIjEEEEZZNS1_33reduce_by_key_impl_wrapped_configILNS1_25lookback_scan_determinismE0ES3_S7_PKaNS0_17constant_iteratorIjlEEPaPlSF_S6_NS0_8equal_toIaEEEE10hipError_tPvRmT2_T3_mT4_T5_T6_T7_T8_P12ihipStream_tbENKUlT_T0_E_clISt17integral_constantIbLb1EESZ_EEDaSU_SV_EUlSU_E_NS1_11comp_targetILNS1_3genE2ELNS1_11target_archE906ELNS1_3gpuE6ELNS1_3repE0EEENS1_30default_config_static_selectorELNS0_4arch9wavefront6targetE0EEEvT1_.num_named_barrier, 0
	.set _ZN7rocprim17ROCPRIM_400000_NS6detail17trampoline_kernelINS0_14default_configENS1_33run_length_encode_config_selectorIajNS0_4plusIjEEEEZZNS1_33reduce_by_key_impl_wrapped_configILNS1_25lookback_scan_determinismE0ES3_S7_PKaNS0_17constant_iteratorIjlEEPaPlSF_S6_NS0_8equal_toIaEEEE10hipError_tPvRmT2_T3_mT4_T5_T6_T7_T8_P12ihipStream_tbENKUlT_T0_E_clISt17integral_constantIbLb1EESZ_EEDaSU_SV_EUlSU_E_NS1_11comp_targetILNS1_3genE2ELNS1_11target_archE906ELNS1_3gpuE6ELNS1_3repE0EEENS1_30default_config_static_selectorELNS0_4arch9wavefront6targetE0EEEvT1_.private_seg_size, 0
	.set _ZN7rocprim17ROCPRIM_400000_NS6detail17trampoline_kernelINS0_14default_configENS1_33run_length_encode_config_selectorIajNS0_4plusIjEEEEZZNS1_33reduce_by_key_impl_wrapped_configILNS1_25lookback_scan_determinismE0ES3_S7_PKaNS0_17constant_iteratorIjlEEPaPlSF_S6_NS0_8equal_toIaEEEE10hipError_tPvRmT2_T3_mT4_T5_T6_T7_T8_P12ihipStream_tbENKUlT_T0_E_clISt17integral_constantIbLb1EESZ_EEDaSU_SV_EUlSU_E_NS1_11comp_targetILNS1_3genE2ELNS1_11target_archE906ELNS1_3gpuE6ELNS1_3repE0EEENS1_30default_config_static_selectorELNS0_4arch9wavefront6targetE0EEEvT1_.uses_vcc, 0
	.set _ZN7rocprim17ROCPRIM_400000_NS6detail17trampoline_kernelINS0_14default_configENS1_33run_length_encode_config_selectorIajNS0_4plusIjEEEEZZNS1_33reduce_by_key_impl_wrapped_configILNS1_25lookback_scan_determinismE0ES3_S7_PKaNS0_17constant_iteratorIjlEEPaPlSF_S6_NS0_8equal_toIaEEEE10hipError_tPvRmT2_T3_mT4_T5_T6_T7_T8_P12ihipStream_tbENKUlT_T0_E_clISt17integral_constantIbLb1EESZ_EEDaSU_SV_EUlSU_E_NS1_11comp_targetILNS1_3genE2ELNS1_11target_archE906ELNS1_3gpuE6ELNS1_3repE0EEENS1_30default_config_static_selectorELNS0_4arch9wavefront6targetE0EEEvT1_.uses_flat_scratch, 0
	.set _ZN7rocprim17ROCPRIM_400000_NS6detail17trampoline_kernelINS0_14default_configENS1_33run_length_encode_config_selectorIajNS0_4plusIjEEEEZZNS1_33reduce_by_key_impl_wrapped_configILNS1_25lookback_scan_determinismE0ES3_S7_PKaNS0_17constant_iteratorIjlEEPaPlSF_S6_NS0_8equal_toIaEEEE10hipError_tPvRmT2_T3_mT4_T5_T6_T7_T8_P12ihipStream_tbENKUlT_T0_E_clISt17integral_constantIbLb1EESZ_EEDaSU_SV_EUlSU_E_NS1_11comp_targetILNS1_3genE2ELNS1_11target_archE906ELNS1_3gpuE6ELNS1_3repE0EEENS1_30default_config_static_selectorELNS0_4arch9wavefront6targetE0EEEvT1_.has_dyn_sized_stack, 0
	.set _ZN7rocprim17ROCPRIM_400000_NS6detail17trampoline_kernelINS0_14default_configENS1_33run_length_encode_config_selectorIajNS0_4plusIjEEEEZZNS1_33reduce_by_key_impl_wrapped_configILNS1_25lookback_scan_determinismE0ES3_S7_PKaNS0_17constant_iteratorIjlEEPaPlSF_S6_NS0_8equal_toIaEEEE10hipError_tPvRmT2_T3_mT4_T5_T6_T7_T8_P12ihipStream_tbENKUlT_T0_E_clISt17integral_constantIbLb1EESZ_EEDaSU_SV_EUlSU_E_NS1_11comp_targetILNS1_3genE2ELNS1_11target_archE906ELNS1_3gpuE6ELNS1_3repE0EEENS1_30default_config_static_selectorELNS0_4arch9wavefront6targetE0EEEvT1_.has_recursion, 0
	.set _ZN7rocprim17ROCPRIM_400000_NS6detail17trampoline_kernelINS0_14default_configENS1_33run_length_encode_config_selectorIajNS0_4plusIjEEEEZZNS1_33reduce_by_key_impl_wrapped_configILNS1_25lookback_scan_determinismE0ES3_S7_PKaNS0_17constant_iteratorIjlEEPaPlSF_S6_NS0_8equal_toIaEEEE10hipError_tPvRmT2_T3_mT4_T5_T6_T7_T8_P12ihipStream_tbENKUlT_T0_E_clISt17integral_constantIbLb1EESZ_EEDaSU_SV_EUlSU_E_NS1_11comp_targetILNS1_3genE2ELNS1_11target_archE906ELNS1_3gpuE6ELNS1_3repE0EEENS1_30default_config_static_selectorELNS0_4arch9wavefront6targetE0EEEvT1_.has_indirect_call, 0
	.section	.AMDGPU.csdata,"",@progbits
; Kernel info:
; codeLenInByte = 0
; TotalNumSgprs: 0
; NumVgprs: 0
; ScratchSize: 0
; MemoryBound: 0
; FloatMode: 240
; IeeeMode: 1
; LDSByteSize: 0 bytes/workgroup (compile time only)
; SGPRBlocks: 0
; VGPRBlocks: 0
; NumSGPRsForWavesPerEU: 1
; NumVGPRsForWavesPerEU: 1
; NamedBarCnt: 0
; Occupancy: 16
; WaveLimiterHint : 0
; COMPUTE_PGM_RSRC2:SCRATCH_EN: 0
; COMPUTE_PGM_RSRC2:USER_SGPR: 2
; COMPUTE_PGM_RSRC2:TRAP_HANDLER: 0
; COMPUTE_PGM_RSRC2:TGID_X_EN: 1
; COMPUTE_PGM_RSRC2:TGID_Y_EN: 0
; COMPUTE_PGM_RSRC2:TGID_Z_EN: 0
; COMPUTE_PGM_RSRC2:TIDIG_COMP_CNT: 0
	.section	.text._ZN7rocprim17ROCPRIM_400000_NS6detail17trampoline_kernelINS0_14default_configENS1_33run_length_encode_config_selectorIajNS0_4plusIjEEEEZZNS1_33reduce_by_key_impl_wrapped_configILNS1_25lookback_scan_determinismE0ES3_S7_PKaNS0_17constant_iteratorIjlEEPaPlSF_S6_NS0_8equal_toIaEEEE10hipError_tPvRmT2_T3_mT4_T5_T6_T7_T8_P12ihipStream_tbENKUlT_T0_E_clISt17integral_constantIbLb1EESZ_EEDaSU_SV_EUlSU_E_NS1_11comp_targetILNS1_3genE10ELNS1_11target_archE1201ELNS1_3gpuE5ELNS1_3repE0EEENS1_30default_config_static_selectorELNS0_4arch9wavefront6targetE0EEEvT1_,"axG",@progbits,_ZN7rocprim17ROCPRIM_400000_NS6detail17trampoline_kernelINS0_14default_configENS1_33run_length_encode_config_selectorIajNS0_4plusIjEEEEZZNS1_33reduce_by_key_impl_wrapped_configILNS1_25lookback_scan_determinismE0ES3_S7_PKaNS0_17constant_iteratorIjlEEPaPlSF_S6_NS0_8equal_toIaEEEE10hipError_tPvRmT2_T3_mT4_T5_T6_T7_T8_P12ihipStream_tbENKUlT_T0_E_clISt17integral_constantIbLb1EESZ_EEDaSU_SV_EUlSU_E_NS1_11comp_targetILNS1_3genE10ELNS1_11target_archE1201ELNS1_3gpuE5ELNS1_3repE0EEENS1_30default_config_static_selectorELNS0_4arch9wavefront6targetE0EEEvT1_,comdat
	.protected	_ZN7rocprim17ROCPRIM_400000_NS6detail17trampoline_kernelINS0_14default_configENS1_33run_length_encode_config_selectorIajNS0_4plusIjEEEEZZNS1_33reduce_by_key_impl_wrapped_configILNS1_25lookback_scan_determinismE0ES3_S7_PKaNS0_17constant_iteratorIjlEEPaPlSF_S6_NS0_8equal_toIaEEEE10hipError_tPvRmT2_T3_mT4_T5_T6_T7_T8_P12ihipStream_tbENKUlT_T0_E_clISt17integral_constantIbLb1EESZ_EEDaSU_SV_EUlSU_E_NS1_11comp_targetILNS1_3genE10ELNS1_11target_archE1201ELNS1_3gpuE5ELNS1_3repE0EEENS1_30default_config_static_selectorELNS0_4arch9wavefront6targetE0EEEvT1_ ; -- Begin function _ZN7rocprim17ROCPRIM_400000_NS6detail17trampoline_kernelINS0_14default_configENS1_33run_length_encode_config_selectorIajNS0_4plusIjEEEEZZNS1_33reduce_by_key_impl_wrapped_configILNS1_25lookback_scan_determinismE0ES3_S7_PKaNS0_17constant_iteratorIjlEEPaPlSF_S6_NS0_8equal_toIaEEEE10hipError_tPvRmT2_T3_mT4_T5_T6_T7_T8_P12ihipStream_tbENKUlT_T0_E_clISt17integral_constantIbLb1EESZ_EEDaSU_SV_EUlSU_E_NS1_11comp_targetILNS1_3genE10ELNS1_11target_archE1201ELNS1_3gpuE5ELNS1_3repE0EEENS1_30default_config_static_selectorELNS0_4arch9wavefront6targetE0EEEvT1_
	.globl	_ZN7rocprim17ROCPRIM_400000_NS6detail17trampoline_kernelINS0_14default_configENS1_33run_length_encode_config_selectorIajNS0_4plusIjEEEEZZNS1_33reduce_by_key_impl_wrapped_configILNS1_25lookback_scan_determinismE0ES3_S7_PKaNS0_17constant_iteratorIjlEEPaPlSF_S6_NS0_8equal_toIaEEEE10hipError_tPvRmT2_T3_mT4_T5_T6_T7_T8_P12ihipStream_tbENKUlT_T0_E_clISt17integral_constantIbLb1EESZ_EEDaSU_SV_EUlSU_E_NS1_11comp_targetILNS1_3genE10ELNS1_11target_archE1201ELNS1_3gpuE5ELNS1_3repE0EEENS1_30default_config_static_selectorELNS0_4arch9wavefront6targetE0EEEvT1_
	.p2align	8
	.type	_ZN7rocprim17ROCPRIM_400000_NS6detail17trampoline_kernelINS0_14default_configENS1_33run_length_encode_config_selectorIajNS0_4plusIjEEEEZZNS1_33reduce_by_key_impl_wrapped_configILNS1_25lookback_scan_determinismE0ES3_S7_PKaNS0_17constant_iteratorIjlEEPaPlSF_S6_NS0_8equal_toIaEEEE10hipError_tPvRmT2_T3_mT4_T5_T6_T7_T8_P12ihipStream_tbENKUlT_T0_E_clISt17integral_constantIbLb1EESZ_EEDaSU_SV_EUlSU_E_NS1_11comp_targetILNS1_3genE10ELNS1_11target_archE1201ELNS1_3gpuE5ELNS1_3repE0EEENS1_30default_config_static_selectorELNS0_4arch9wavefront6targetE0EEEvT1_,@function
_ZN7rocprim17ROCPRIM_400000_NS6detail17trampoline_kernelINS0_14default_configENS1_33run_length_encode_config_selectorIajNS0_4plusIjEEEEZZNS1_33reduce_by_key_impl_wrapped_configILNS1_25lookback_scan_determinismE0ES3_S7_PKaNS0_17constant_iteratorIjlEEPaPlSF_S6_NS0_8equal_toIaEEEE10hipError_tPvRmT2_T3_mT4_T5_T6_T7_T8_P12ihipStream_tbENKUlT_T0_E_clISt17integral_constantIbLb1EESZ_EEDaSU_SV_EUlSU_E_NS1_11comp_targetILNS1_3genE10ELNS1_11target_archE1201ELNS1_3gpuE5ELNS1_3repE0EEENS1_30default_config_static_selectorELNS0_4arch9wavefront6targetE0EEEvT1_: ; @_ZN7rocprim17ROCPRIM_400000_NS6detail17trampoline_kernelINS0_14default_configENS1_33run_length_encode_config_selectorIajNS0_4plusIjEEEEZZNS1_33reduce_by_key_impl_wrapped_configILNS1_25lookback_scan_determinismE0ES3_S7_PKaNS0_17constant_iteratorIjlEEPaPlSF_S6_NS0_8equal_toIaEEEE10hipError_tPvRmT2_T3_mT4_T5_T6_T7_T8_P12ihipStream_tbENKUlT_T0_E_clISt17integral_constantIbLb1EESZ_EEDaSU_SV_EUlSU_E_NS1_11comp_targetILNS1_3genE10ELNS1_11target_archE1201ELNS1_3gpuE5ELNS1_3repE0EEENS1_30default_config_static_selectorELNS0_4arch9wavefront6targetE0EEEvT1_
; %bb.0:
	.section	.rodata,"a",@progbits
	.p2align	6, 0x0
	.amdhsa_kernel _ZN7rocprim17ROCPRIM_400000_NS6detail17trampoline_kernelINS0_14default_configENS1_33run_length_encode_config_selectorIajNS0_4plusIjEEEEZZNS1_33reduce_by_key_impl_wrapped_configILNS1_25lookback_scan_determinismE0ES3_S7_PKaNS0_17constant_iteratorIjlEEPaPlSF_S6_NS0_8equal_toIaEEEE10hipError_tPvRmT2_T3_mT4_T5_T6_T7_T8_P12ihipStream_tbENKUlT_T0_E_clISt17integral_constantIbLb1EESZ_EEDaSU_SV_EUlSU_E_NS1_11comp_targetILNS1_3genE10ELNS1_11target_archE1201ELNS1_3gpuE5ELNS1_3repE0EEENS1_30default_config_static_selectorELNS0_4arch9wavefront6targetE0EEEvT1_
		.amdhsa_group_segment_fixed_size 0
		.amdhsa_private_segment_fixed_size 0
		.amdhsa_kernarg_size 128
		.amdhsa_user_sgpr_count 2
		.amdhsa_user_sgpr_dispatch_ptr 0
		.amdhsa_user_sgpr_queue_ptr 0
		.amdhsa_user_sgpr_kernarg_segment_ptr 1
		.amdhsa_user_sgpr_dispatch_id 0
		.amdhsa_user_sgpr_kernarg_preload_length 0
		.amdhsa_user_sgpr_kernarg_preload_offset 0
		.amdhsa_user_sgpr_private_segment_size 0
		.amdhsa_wavefront_size32 1
		.amdhsa_uses_dynamic_stack 0
		.amdhsa_enable_private_segment 0
		.amdhsa_system_sgpr_workgroup_id_x 1
		.amdhsa_system_sgpr_workgroup_id_y 0
		.amdhsa_system_sgpr_workgroup_id_z 0
		.amdhsa_system_sgpr_workgroup_info 0
		.amdhsa_system_vgpr_workitem_id 0
		.amdhsa_next_free_vgpr 1
		.amdhsa_next_free_sgpr 1
		.amdhsa_named_barrier_count 0
		.amdhsa_reserve_vcc 0
		.amdhsa_float_round_mode_32 0
		.amdhsa_float_round_mode_16_64 0
		.amdhsa_float_denorm_mode_32 3
		.amdhsa_float_denorm_mode_16_64 3
		.amdhsa_fp16_overflow 0
		.amdhsa_memory_ordered 1
		.amdhsa_forward_progress 1
		.amdhsa_inst_pref_size 0
		.amdhsa_round_robin_scheduling 0
		.amdhsa_exception_fp_ieee_invalid_op 0
		.amdhsa_exception_fp_denorm_src 0
		.amdhsa_exception_fp_ieee_div_zero 0
		.amdhsa_exception_fp_ieee_overflow 0
		.amdhsa_exception_fp_ieee_underflow 0
		.amdhsa_exception_fp_ieee_inexact 0
		.amdhsa_exception_int_div_zero 0
	.end_amdhsa_kernel
	.section	.text._ZN7rocprim17ROCPRIM_400000_NS6detail17trampoline_kernelINS0_14default_configENS1_33run_length_encode_config_selectorIajNS0_4plusIjEEEEZZNS1_33reduce_by_key_impl_wrapped_configILNS1_25lookback_scan_determinismE0ES3_S7_PKaNS0_17constant_iteratorIjlEEPaPlSF_S6_NS0_8equal_toIaEEEE10hipError_tPvRmT2_T3_mT4_T5_T6_T7_T8_P12ihipStream_tbENKUlT_T0_E_clISt17integral_constantIbLb1EESZ_EEDaSU_SV_EUlSU_E_NS1_11comp_targetILNS1_3genE10ELNS1_11target_archE1201ELNS1_3gpuE5ELNS1_3repE0EEENS1_30default_config_static_selectorELNS0_4arch9wavefront6targetE0EEEvT1_,"axG",@progbits,_ZN7rocprim17ROCPRIM_400000_NS6detail17trampoline_kernelINS0_14default_configENS1_33run_length_encode_config_selectorIajNS0_4plusIjEEEEZZNS1_33reduce_by_key_impl_wrapped_configILNS1_25lookback_scan_determinismE0ES3_S7_PKaNS0_17constant_iteratorIjlEEPaPlSF_S6_NS0_8equal_toIaEEEE10hipError_tPvRmT2_T3_mT4_T5_T6_T7_T8_P12ihipStream_tbENKUlT_T0_E_clISt17integral_constantIbLb1EESZ_EEDaSU_SV_EUlSU_E_NS1_11comp_targetILNS1_3genE10ELNS1_11target_archE1201ELNS1_3gpuE5ELNS1_3repE0EEENS1_30default_config_static_selectorELNS0_4arch9wavefront6targetE0EEEvT1_,comdat
.Lfunc_end249:
	.size	_ZN7rocprim17ROCPRIM_400000_NS6detail17trampoline_kernelINS0_14default_configENS1_33run_length_encode_config_selectorIajNS0_4plusIjEEEEZZNS1_33reduce_by_key_impl_wrapped_configILNS1_25lookback_scan_determinismE0ES3_S7_PKaNS0_17constant_iteratorIjlEEPaPlSF_S6_NS0_8equal_toIaEEEE10hipError_tPvRmT2_T3_mT4_T5_T6_T7_T8_P12ihipStream_tbENKUlT_T0_E_clISt17integral_constantIbLb1EESZ_EEDaSU_SV_EUlSU_E_NS1_11comp_targetILNS1_3genE10ELNS1_11target_archE1201ELNS1_3gpuE5ELNS1_3repE0EEENS1_30default_config_static_selectorELNS0_4arch9wavefront6targetE0EEEvT1_, .Lfunc_end249-_ZN7rocprim17ROCPRIM_400000_NS6detail17trampoline_kernelINS0_14default_configENS1_33run_length_encode_config_selectorIajNS0_4plusIjEEEEZZNS1_33reduce_by_key_impl_wrapped_configILNS1_25lookback_scan_determinismE0ES3_S7_PKaNS0_17constant_iteratorIjlEEPaPlSF_S6_NS0_8equal_toIaEEEE10hipError_tPvRmT2_T3_mT4_T5_T6_T7_T8_P12ihipStream_tbENKUlT_T0_E_clISt17integral_constantIbLb1EESZ_EEDaSU_SV_EUlSU_E_NS1_11comp_targetILNS1_3genE10ELNS1_11target_archE1201ELNS1_3gpuE5ELNS1_3repE0EEENS1_30default_config_static_selectorELNS0_4arch9wavefront6targetE0EEEvT1_
                                        ; -- End function
	.set _ZN7rocprim17ROCPRIM_400000_NS6detail17trampoline_kernelINS0_14default_configENS1_33run_length_encode_config_selectorIajNS0_4plusIjEEEEZZNS1_33reduce_by_key_impl_wrapped_configILNS1_25lookback_scan_determinismE0ES3_S7_PKaNS0_17constant_iteratorIjlEEPaPlSF_S6_NS0_8equal_toIaEEEE10hipError_tPvRmT2_T3_mT4_T5_T6_T7_T8_P12ihipStream_tbENKUlT_T0_E_clISt17integral_constantIbLb1EESZ_EEDaSU_SV_EUlSU_E_NS1_11comp_targetILNS1_3genE10ELNS1_11target_archE1201ELNS1_3gpuE5ELNS1_3repE0EEENS1_30default_config_static_selectorELNS0_4arch9wavefront6targetE0EEEvT1_.num_vgpr, 0
	.set _ZN7rocprim17ROCPRIM_400000_NS6detail17trampoline_kernelINS0_14default_configENS1_33run_length_encode_config_selectorIajNS0_4plusIjEEEEZZNS1_33reduce_by_key_impl_wrapped_configILNS1_25lookback_scan_determinismE0ES3_S7_PKaNS0_17constant_iteratorIjlEEPaPlSF_S6_NS0_8equal_toIaEEEE10hipError_tPvRmT2_T3_mT4_T5_T6_T7_T8_P12ihipStream_tbENKUlT_T0_E_clISt17integral_constantIbLb1EESZ_EEDaSU_SV_EUlSU_E_NS1_11comp_targetILNS1_3genE10ELNS1_11target_archE1201ELNS1_3gpuE5ELNS1_3repE0EEENS1_30default_config_static_selectorELNS0_4arch9wavefront6targetE0EEEvT1_.num_agpr, 0
	.set _ZN7rocprim17ROCPRIM_400000_NS6detail17trampoline_kernelINS0_14default_configENS1_33run_length_encode_config_selectorIajNS0_4plusIjEEEEZZNS1_33reduce_by_key_impl_wrapped_configILNS1_25lookback_scan_determinismE0ES3_S7_PKaNS0_17constant_iteratorIjlEEPaPlSF_S6_NS0_8equal_toIaEEEE10hipError_tPvRmT2_T3_mT4_T5_T6_T7_T8_P12ihipStream_tbENKUlT_T0_E_clISt17integral_constantIbLb1EESZ_EEDaSU_SV_EUlSU_E_NS1_11comp_targetILNS1_3genE10ELNS1_11target_archE1201ELNS1_3gpuE5ELNS1_3repE0EEENS1_30default_config_static_selectorELNS0_4arch9wavefront6targetE0EEEvT1_.numbered_sgpr, 0
	.set _ZN7rocprim17ROCPRIM_400000_NS6detail17trampoline_kernelINS0_14default_configENS1_33run_length_encode_config_selectorIajNS0_4plusIjEEEEZZNS1_33reduce_by_key_impl_wrapped_configILNS1_25lookback_scan_determinismE0ES3_S7_PKaNS0_17constant_iteratorIjlEEPaPlSF_S6_NS0_8equal_toIaEEEE10hipError_tPvRmT2_T3_mT4_T5_T6_T7_T8_P12ihipStream_tbENKUlT_T0_E_clISt17integral_constantIbLb1EESZ_EEDaSU_SV_EUlSU_E_NS1_11comp_targetILNS1_3genE10ELNS1_11target_archE1201ELNS1_3gpuE5ELNS1_3repE0EEENS1_30default_config_static_selectorELNS0_4arch9wavefront6targetE0EEEvT1_.num_named_barrier, 0
	.set _ZN7rocprim17ROCPRIM_400000_NS6detail17trampoline_kernelINS0_14default_configENS1_33run_length_encode_config_selectorIajNS0_4plusIjEEEEZZNS1_33reduce_by_key_impl_wrapped_configILNS1_25lookback_scan_determinismE0ES3_S7_PKaNS0_17constant_iteratorIjlEEPaPlSF_S6_NS0_8equal_toIaEEEE10hipError_tPvRmT2_T3_mT4_T5_T6_T7_T8_P12ihipStream_tbENKUlT_T0_E_clISt17integral_constantIbLb1EESZ_EEDaSU_SV_EUlSU_E_NS1_11comp_targetILNS1_3genE10ELNS1_11target_archE1201ELNS1_3gpuE5ELNS1_3repE0EEENS1_30default_config_static_selectorELNS0_4arch9wavefront6targetE0EEEvT1_.private_seg_size, 0
	.set _ZN7rocprim17ROCPRIM_400000_NS6detail17trampoline_kernelINS0_14default_configENS1_33run_length_encode_config_selectorIajNS0_4plusIjEEEEZZNS1_33reduce_by_key_impl_wrapped_configILNS1_25lookback_scan_determinismE0ES3_S7_PKaNS0_17constant_iteratorIjlEEPaPlSF_S6_NS0_8equal_toIaEEEE10hipError_tPvRmT2_T3_mT4_T5_T6_T7_T8_P12ihipStream_tbENKUlT_T0_E_clISt17integral_constantIbLb1EESZ_EEDaSU_SV_EUlSU_E_NS1_11comp_targetILNS1_3genE10ELNS1_11target_archE1201ELNS1_3gpuE5ELNS1_3repE0EEENS1_30default_config_static_selectorELNS0_4arch9wavefront6targetE0EEEvT1_.uses_vcc, 0
	.set _ZN7rocprim17ROCPRIM_400000_NS6detail17trampoline_kernelINS0_14default_configENS1_33run_length_encode_config_selectorIajNS0_4plusIjEEEEZZNS1_33reduce_by_key_impl_wrapped_configILNS1_25lookback_scan_determinismE0ES3_S7_PKaNS0_17constant_iteratorIjlEEPaPlSF_S6_NS0_8equal_toIaEEEE10hipError_tPvRmT2_T3_mT4_T5_T6_T7_T8_P12ihipStream_tbENKUlT_T0_E_clISt17integral_constantIbLb1EESZ_EEDaSU_SV_EUlSU_E_NS1_11comp_targetILNS1_3genE10ELNS1_11target_archE1201ELNS1_3gpuE5ELNS1_3repE0EEENS1_30default_config_static_selectorELNS0_4arch9wavefront6targetE0EEEvT1_.uses_flat_scratch, 0
	.set _ZN7rocprim17ROCPRIM_400000_NS6detail17trampoline_kernelINS0_14default_configENS1_33run_length_encode_config_selectorIajNS0_4plusIjEEEEZZNS1_33reduce_by_key_impl_wrapped_configILNS1_25lookback_scan_determinismE0ES3_S7_PKaNS0_17constant_iteratorIjlEEPaPlSF_S6_NS0_8equal_toIaEEEE10hipError_tPvRmT2_T3_mT4_T5_T6_T7_T8_P12ihipStream_tbENKUlT_T0_E_clISt17integral_constantIbLb1EESZ_EEDaSU_SV_EUlSU_E_NS1_11comp_targetILNS1_3genE10ELNS1_11target_archE1201ELNS1_3gpuE5ELNS1_3repE0EEENS1_30default_config_static_selectorELNS0_4arch9wavefront6targetE0EEEvT1_.has_dyn_sized_stack, 0
	.set _ZN7rocprim17ROCPRIM_400000_NS6detail17trampoline_kernelINS0_14default_configENS1_33run_length_encode_config_selectorIajNS0_4plusIjEEEEZZNS1_33reduce_by_key_impl_wrapped_configILNS1_25lookback_scan_determinismE0ES3_S7_PKaNS0_17constant_iteratorIjlEEPaPlSF_S6_NS0_8equal_toIaEEEE10hipError_tPvRmT2_T3_mT4_T5_T6_T7_T8_P12ihipStream_tbENKUlT_T0_E_clISt17integral_constantIbLb1EESZ_EEDaSU_SV_EUlSU_E_NS1_11comp_targetILNS1_3genE10ELNS1_11target_archE1201ELNS1_3gpuE5ELNS1_3repE0EEENS1_30default_config_static_selectorELNS0_4arch9wavefront6targetE0EEEvT1_.has_recursion, 0
	.set _ZN7rocprim17ROCPRIM_400000_NS6detail17trampoline_kernelINS0_14default_configENS1_33run_length_encode_config_selectorIajNS0_4plusIjEEEEZZNS1_33reduce_by_key_impl_wrapped_configILNS1_25lookback_scan_determinismE0ES3_S7_PKaNS0_17constant_iteratorIjlEEPaPlSF_S6_NS0_8equal_toIaEEEE10hipError_tPvRmT2_T3_mT4_T5_T6_T7_T8_P12ihipStream_tbENKUlT_T0_E_clISt17integral_constantIbLb1EESZ_EEDaSU_SV_EUlSU_E_NS1_11comp_targetILNS1_3genE10ELNS1_11target_archE1201ELNS1_3gpuE5ELNS1_3repE0EEENS1_30default_config_static_selectorELNS0_4arch9wavefront6targetE0EEEvT1_.has_indirect_call, 0
	.section	.AMDGPU.csdata,"",@progbits
; Kernel info:
; codeLenInByte = 0
; TotalNumSgprs: 0
; NumVgprs: 0
; ScratchSize: 0
; MemoryBound: 0
; FloatMode: 240
; IeeeMode: 1
; LDSByteSize: 0 bytes/workgroup (compile time only)
; SGPRBlocks: 0
; VGPRBlocks: 0
; NumSGPRsForWavesPerEU: 1
; NumVGPRsForWavesPerEU: 1
; NamedBarCnt: 0
; Occupancy: 16
; WaveLimiterHint : 0
; COMPUTE_PGM_RSRC2:SCRATCH_EN: 0
; COMPUTE_PGM_RSRC2:USER_SGPR: 2
; COMPUTE_PGM_RSRC2:TRAP_HANDLER: 0
; COMPUTE_PGM_RSRC2:TGID_X_EN: 1
; COMPUTE_PGM_RSRC2:TGID_Y_EN: 0
; COMPUTE_PGM_RSRC2:TGID_Z_EN: 0
; COMPUTE_PGM_RSRC2:TIDIG_COMP_CNT: 0
	.section	.text._ZN7rocprim17ROCPRIM_400000_NS6detail17trampoline_kernelINS0_14default_configENS1_33run_length_encode_config_selectorIajNS0_4plusIjEEEEZZNS1_33reduce_by_key_impl_wrapped_configILNS1_25lookback_scan_determinismE0ES3_S7_PKaNS0_17constant_iteratorIjlEEPaPlSF_S6_NS0_8equal_toIaEEEE10hipError_tPvRmT2_T3_mT4_T5_T6_T7_T8_P12ihipStream_tbENKUlT_T0_E_clISt17integral_constantIbLb1EESZ_EEDaSU_SV_EUlSU_E_NS1_11comp_targetILNS1_3genE10ELNS1_11target_archE1200ELNS1_3gpuE4ELNS1_3repE0EEENS1_30default_config_static_selectorELNS0_4arch9wavefront6targetE0EEEvT1_,"axG",@progbits,_ZN7rocprim17ROCPRIM_400000_NS6detail17trampoline_kernelINS0_14default_configENS1_33run_length_encode_config_selectorIajNS0_4plusIjEEEEZZNS1_33reduce_by_key_impl_wrapped_configILNS1_25lookback_scan_determinismE0ES3_S7_PKaNS0_17constant_iteratorIjlEEPaPlSF_S6_NS0_8equal_toIaEEEE10hipError_tPvRmT2_T3_mT4_T5_T6_T7_T8_P12ihipStream_tbENKUlT_T0_E_clISt17integral_constantIbLb1EESZ_EEDaSU_SV_EUlSU_E_NS1_11comp_targetILNS1_3genE10ELNS1_11target_archE1200ELNS1_3gpuE4ELNS1_3repE0EEENS1_30default_config_static_selectorELNS0_4arch9wavefront6targetE0EEEvT1_,comdat
	.protected	_ZN7rocprim17ROCPRIM_400000_NS6detail17trampoline_kernelINS0_14default_configENS1_33run_length_encode_config_selectorIajNS0_4plusIjEEEEZZNS1_33reduce_by_key_impl_wrapped_configILNS1_25lookback_scan_determinismE0ES3_S7_PKaNS0_17constant_iteratorIjlEEPaPlSF_S6_NS0_8equal_toIaEEEE10hipError_tPvRmT2_T3_mT4_T5_T6_T7_T8_P12ihipStream_tbENKUlT_T0_E_clISt17integral_constantIbLb1EESZ_EEDaSU_SV_EUlSU_E_NS1_11comp_targetILNS1_3genE10ELNS1_11target_archE1200ELNS1_3gpuE4ELNS1_3repE0EEENS1_30default_config_static_selectorELNS0_4arch9wavefront6targetE0EEEvT1_ ; -- Begin function _ZN7rocprim17ROCPRIM_400000_NS6detail17trampoline_kernelINS0_14default_configENS1_33run_length_encode_config_selectorIajNS0_4plusIjEEEEZZNS1_33reduce_by_key_impl_wrapped_configILNS1_25lookback_scan_determinismE0ES3_S7_PKaNS0_17constant_iteratorIjlEEPaPlSF_S6_NS0_8equal_toIaEEEE10hipError_tPvRmT2_T3_mT4_T5_T6_T7_T8_P12ihipStream_tbENKUlT_T0_E_clISt17integral_constantIbLb1EESZ_EEDaSU_SV_EUlSU_E_NS1_11comp_targetILNS1_3genE10ELNS1_11target_archE1200ELNS1_3gpuE4ELNS1_3repE0EEENS1_30default_config_static_selectorELNS0_4arch9wavefront6targetE0EEEvT1_
	.globl	_ZN7rocprim17ROCPRIM_400000_NS6detail17trampoline_kernelINS0_14default_configENS1_33run_length_encode_config_selectorIajNS0_4plusIjEEEEZZNS1_33reduce_by_key_impl_wrapped_configILNS1_25lookback_scan_determinismE0ES3_S7_PKaNS0_17constant_iteratorIjlEEPaPlSF_S6_NS0_8equal_toIaEEEE10hipError_tPvRmT2_T3_mT4_T5_T6_T7_T8_P12ihipStream_tbENKUlT_T0_E_clISt17integral_constantIbLb1EESZ_EEDaSU_SV_EUlSU_E_NS1_11comp_targetILNS1_3genE10ELNS1_11target_archE1200ELNS1_3gpuE4ELNS1_3repE0EEENS1_30default_config_static_selectorELNS0_4arch9wavefront6targetE0EEEvT1_
	.p2align	8
	.type	_ZN7rocprim17ROCPRIM_400000_NS6detail17trampoline_kernelINS0_14default_configENS1_33run_length_encode_config_selectorIajNS0_4plusIjEEEEZZNS1_33reduce_by_key_impl_wrapped_configILNS1_25lookback_scan_determinismE0ES3_S7_PKaNS0_17constant_iteratorIjlEEPaPlSF_S6_NS0_8equal_toIaEEEE10hipError_tPvRmT2_T3_mT4_T5_T6_T7_T8_P12ihipStream_tbENKUlT_T0_E_clISt17integral_constantIbLb1EESZ_EEDaSU_SV_EUlSU_E_NS1_11comp_targetILNS1_3genE10ELNS1_11target_archE1200ELNS1_3gpuE4ELNS1_3repE0EEENS1_30default_config_static_selectorELNS0_4arch9wavefront6targetE0EEEvT1_,@function
_ZN7rocprim17ROCPRIM_400000_NS6detail17trampoline_kernelINS0_14default_configENS1_33run_length_encode_config_selectorIajNS0_4plusIjEEEEZZNS1_33reduce_by_key_impl_wrapped_configILNS1_25lookback_scan_determinismE0ES3_S7_PKaNS0_17constant_iteratorIjlEEPaPlSF_S6_NS0_8equal_toIaEEEE10hipError_tPvRmT2_T3_mT4_T5_T6_T7_T8_P12ihipStream_tbENKUlT_T0_E_clISt17integral_constantIbLb1EESZ_EEDaSU_SV_EUlSU_E_NS1_11comp_targetILNS1_3genE10ELNS1_11target_archE1200ELNS1_3gpuE4ELNS1_3repE0EEENS1_30default_config_static_selectorELNS0_4arch9wavefront6targetE0EEEvT1_: ; @_ZN7rocprim17ROCPRIM_400000_NS6detail17trampoline_kernelINS0_14default_configENS1_33run_length_encode_config_selectorIajNS0_4plusIjEEEEZZNS1_33reduce_by_key_impl_wrapped_configILNS1_25lookback_scan_determinismE0ES3_S7_PKaNS0_17constant_iteratorIjlEEPaPlSF_S6_NS0_8equal_toIaEEEE10hipError_tPvRmT2_T3_mT4_T5_T6_T7_T8_P12ihipStream_tbENKUlT_T0_E_clISt17integral_constantIbLb1EESZ_EEDaSU_SV_EUlSU_E_NS1_11comp_targetILNS1_3genE10ELNS1_11target_archE1200ELNS1_3gpuE4ELNS1_3repE0EEENS1_30default_config_static_selectorELNS0_4arch9wavefront6targetE0EEEvT1_
; %bb.0:
	.section	.rodata,"a",@progbits
	.p2align	6, 0x0
	.amdhsa_kernel _ZN7rocprim17ROCPRIM_400000_NS6detail17trampoline_kernelINS0_14default_configENS1_33run_length_encode_config_selectorIajNS0_4plusIjEEEEZZNS1_33reduce_by_key_impl_wrapped_configILNS1_25lookback_scan_determinismE0ES3_S7_PKaNS0_17constant_iteratorIjlEEPaPlSF_S6_NS0_8equal_toIaEEEE10hipError_tPvRmT2_T3_mT4_T5_T6_T7_T8_P12ihipStream_tbENKUlT_T0_E_clISt17integral_constantIbLb1EESZ_EEDaSU_SV_EUlSU_E_NS1_11comp_targetILNS1_3genE10ELNS1_11target_archE1200ELNS1_3gpuE4ELNS1_3repE0EEENS1_30default_config_static_selectorELNS0_4arch9wavefront6targetE0EEEvT1_
		.amdhsa_group_segment_fixed_size 0
		.amdhsa_private_segment_fixed_size 0
		.amdhsa_kernarg_size 128
		.amdhsa_user_sgpr_count 2
		.amdhsa_user_sgpr_dispatch_ptr 0
		.amdhsa_user_sgpr_queue_ptr 0
		.amdhsa_user_sgpr_kernarg_segment_ptr 1
		.amdhsa_user_sgpr_dispatch_id 0
		.amdhsa_user_sgpr_kernarg_preload_length 0
		.amdhsa_user_sgpr_kernarg_preload_offset 0
		.amdhsa_user_sgpr_private_segment_size 0
		.amdhsa_wavefront_size32 1
		.amdhsa_uses_dynamic_stack 0
		.amdhsa_enable_private_segment 0
		.amdhsa_system_sgpr_workgroup_id_x 1
		.amdhsa_system_sgpr_workgroup_id_y 0
		.amdhsa_system_sgpr_workgroup_id_z 0
		.amdhsa_system_sgpr_workgroup_info 0
		.amdhsa_system_vgpr_workitem_id 0
		.amdhsa_next_free_vgpr 1
		.amdhsa_next_free_sgpr 1
		.amdhsa_named_barrier_count 0
		.amdhsa_reserve_vcc 0
		.amdhsa_float_round_mode_32 0
		.amdhsa_float_round_mode_16_64 0
		.amdhsa_float_denorm_mode_32 3
		.amdhsa_float_denorm_mode_16_64 3
		.amdhsa_fp16_overflow 0
		.amdhsa_memory_ordered 1
		.amdhsa_forward_progress 1
		.amdhsa_inst_pref_size 0
		.amdhsa_round_robin_scheduling 0
		.amdhsa_exception_fp_ieee_invalid_op 0
		.amdhsa_exception_fp_denorm_src 0
		.amdhsa_exception_fp_ieee_div_zero 0
		.amdhsa_exception_fp_ieee_overflow 0
		.amdhsa_exception_fp_ieee_underflow 0
		.amdhsa_exception_fp_ieee_inexact 0
		.amdhsa_exception_int_div_zero 0
	.end_amdhsa_kernel
	.section	.text._ZN7rocprim17ROCPRIM_400000_NS6detail17trampoline_kernelINS0_14default_configENS1_33run_length_encode_config_selectorIajNS0_4plusIjEEEEZZNS1_33reduce_by_key_impl_wrapped_configILNS1_25lookback_scan_determinismE0ES3_S7_PKaNS0_17constant_iteratorIjlEEPaPlSF_S6_NS0_8equal_toIaEEEE10hipError_tPvRmT2_T3_mT4_T5_T6_T7_T8_P12ihipStream_tbENKUlT_T0_E_clISt17integral_constantIbLb1EESZ_EEDaSU_SV_EUlSU_E_NS1_11comp_targetILNS1_3genE10ELNS1_11target_archE1200ELNS1_3gpuE4ELNS1_3repE0EEENS1_30default_config_static_selectorELNS0_4arch9wavefront6targetE0EEEvT1_,"axG",@progbits,_ZN7rocprim17ROCPRIM_400000_NS6detail17trampoline_kernelINS0_14default_configENS1_33run_length_encode_config_selectorIajNS0_4plusIjEEEEZZNS1_33reduce_by_key_impl_wrapped_configILNS1_25lookback_scan_determinismE0ES3_S7_PKaNS0_17constant_iteratorIjlEEPaPlSF_S6_NS0_8equal_toIaEEEE10hipError_tPvRmT2_T3_mT4_T5_T6_T7_T8_P12ihipStream_tbENKUlT_T0_E_clISt17integral_constantIbLb1EESZ_EEDaSU_SV_EUlSU_E_NS1_11comp_targetILNS1_3genE10ELNS1_11target_archE1200ELNS1_3gpuE4ELNS1_3repE0EEENS1_30default_config_static_selectorELNS0_4arch9wavefront6targetE0EEEvT1_,comdat
.Lfunc_end250:
	.size	_ZN7rocprim17ROCPRIM_400000_NS6detail17trampoline_kernelINS0_14default_configENS1_33run_length_encode_config_selectorIajNS0_4plusIjEEEEZZNS1_33reduce_by_key_impl_wrapped_configILNS1_25lookback_scan_determinismE0ES3_S7_PKaNS0_17constant_iteratorIjlEEPaPlSF_S6_NS0_8equal_toIaEEEE10hipError_tPvRmT2_T3_mT4_T5_T6_T7_T8_P12ihipStream_tbENKUlT_T0_E_clISt17integral_constantIbLb1EESZ_EEDaSU_SV_EUlSU_E_NS1_11comp_targetILNS1_3genE10ELNS1_11target_archE1200ELNS1_3gpuE4ELNS1_3repE0EEENS1_30default_config_static_selectorELNS0_4arch9wavefront6targetE0EEEvT1_, .Lfunc_end250-_ZN7rocprim17ROCPRIM_400000_NS6detail17trampoline_kernelINS0_14default_configENS1_33run_length_encode_config_selectorIajNS0_4plusIjEEEEZZNS1_33reduce_by_key_impl_wrapped_configILNS1_25lookback_scan_determinismE0ES3_S7_PKaNS0_17constant_iteratorIjlEEPaPlSF_S6_NS0_8equal_toIaEEEE10hipError_tPvRmT2_T3_mT4_T5_T6_T7_T8_P12ihipStream_tbENKUlT_T0_E_clISt17integral_constantIbLb1EESZ_EEDaSU_SV_EUlSU_E_NS1_11comp_targetILNS1_3genE10ELNS1_11target_archE1200ELNS1_3gpuE4ELNS1_3repE0EEENS1_30default_config_static_selectorELNS0_4arch9wavefront6targetE0EEEvT1_
                                        ; -- End function
	.set _ZN7rocprim17ROCPRIM_400000_NS6detail17trampoline_kernelINS0_14default_configENS1_33run_length_encode_config_selectorIajNS0_4plusIjEEEEZZNS1_33reduce_by_key_impl_wrapped_configILNS1_25lookback_scan_determinismE0ES3_S7_PKaNS0_17constant_iteratorIjlEEPaPlSF_S6_NS0_8equal_toIaEEEE10hipError_tPvRmT2_T3_mT4_T5_T6_T7_T8_P12ihipStream_tbENKUlT_T0_E_clISt17integral_constantIbLb1EESZ_EEDaSU_SV_EUlSU_E_NS1_11comp_targetILNS1_3genE10ELNS1_11target_archE1200ELNS1_3gpuE4ELNS1_3repE0EEENS1_30default_config_static_selectorELNS0_4arch9wavefront6targetE0EEEvT1_.num_vgpr, 0
	.set _ZN7rocprim17ROCPRIM_400000_NS6detail17trampoline_kernelINS0_14default_configENS1_33run_length_encode_config_selectorIajNS0_4plusIjEEEEZZNS1_33reduce_by_key_impl_wrapped_configILNS1_25lookback_scan_determinismE0ES3_S7_PKaNS0_17constant_iteratorIjlEEPaPlSF_S6_NS0_8equal_toIaEEEE10hipError_tPvRmT2_T3_mT4_T5_T6_T7_T8_P12ihipStream_tbENKUlT_T0_E_clISt17integral_constantIbLb1EESZ_EEDaSU_SV_EUlSU_E_NS1_11comp_targetILNS1_3genE10ELNS1_11target_archE1200ELNS1_3gpuE4ELNS1_3repE0EEENS1_30default_config_static_selectorELNS0_4arch9wavefront6targetE0EEEvT1_.num_agpr, 0
	.set _ZN7rocprim17ROCPRIM_400000_NS6detail17trampoline_kernelINS0_14default_configENS1_33run_length_encode_config_selectorIajNS0_4plusIjEEEEZZNS1_33reduce_by_key_impl_wrapped_configILNS1_25lookback_scan_determinismE0ES3_S7_PKaNS0_17constant_iteratorIjlEEPaPlSF_S6_NS0_8equal_toIaEEEE10hipError_tPvRmT2_T3_mT4_T5_T6_T7_T8_P12ihipStream_tbENKUlT_T0_E_clISt17integral_constantIbLb1EESZ_EEDaSU_SV_EUlSU_E_NS1_11comp_targetILNS1_3genE10ELNS1_11target_archE1200ELNS1_3gpuE4ELNS1_3repE0EEENS1_30default_config_static_selectorELNS0_4arch9wavefront6targetE0EEEvT1_.numbered_sgpr, 0
	.set _ZN7rocprim17ROCPRIM_400000_NS6detail17trampoline_kernelINS0_14default_configENS1_33run_length_encode_config_selectorIajNS0_4plusIjEEEEZZNS1_33reduce_by_key_impl_wrapped_configILNS1_25lookback_scan_determinismE0ES3_S7_PKaNS0_17constant_iteratorIjlEEPaPlSF_S6_NS0_8equal_toIaEEEE10hipError_tPvRmT2_T3_mT4_T5_T6_T7_T8_P12ihipStream_tbENKUlT_T0_E_clISt17integral_constantIbLb1EESZ_EEDaSU_SV_EUlSU_E_NS1_11comp_targetILNS1_3genE10ELNS1_11target_archE1200ELNS1_3gpuE4ELNS1_3repE0EEENS1_30default_config_static_selectorELNS0_4arch9wavefront6targetE0EEEvT1_.num_named_barrier, 0
	.set _ZN7rocprim17ROCPRIM_400000_NS6detail17trampoline_kernelINS0_14default_configENS1_33run_length_encode_config_selectorIajNS0_4plusIjEEEEZZNS1_33reduce_by_key_impl_wrapped_configILNS1_25lookback_scan_determinismE0ES3_S7_PKaNS0_17constant_iteratorIjlEEPaPlSF_S6_NS0_8equal_toIaEEEE10hipError_tPvRmT2_T3_mT4_T5_T6_T7_T8_P12ihipStream_tbENKUlT_T0_E_clISt17integral_constantIbLb1EESZ_EEDaSU_SV_EUlSU_E_NS1_11comp_targetILNS1_3genE10ELNS1_11target_archE1200ELNS1_3gpuE4ELNS1_3repE0EEENS1_30default_config_static_selectorELNS0_4arch9wavefront6targetE0EEEvT1_.private_seg_size, 0
	.set _ZN7rocprim17ROCPRIM_400000_NS6detail17trampoline_kernelINS0_14default_configENS1_33run_length_encode_config_selectorIajNS0_4plusIjEEEEZZNS1_33reduce_by_key_impl_wrapped_configILNS1_25lookback_scan_determinismE0ES3_S7_PKaNS0_17constant_iteratorIjlEEPaPlSF_S6_NS0_8equal_toIaEEEE10hipError_tPvRmT2_T3_mT4_T5_T6_T7_T8_P12ihipStream_tbENKUlT_T0_E_clISt17integral_constantIbLb1EESZ_EEDaSU_SV_EUlSU_E_NS1_11comp_targetILNS1_3genE10ELNS1_11target_archE1200ELNS1_3gpuE4ELNS1_3repE0EEENS1_30default_config_static_selectorELNS0_4arch9wavefront6targetE0EEEvT1_.uses_vcc, 0
	.set _ZN7rocprim17ROCPRIM_400000_NS6detail17trampoline_kernelINS0_14default_configENS1_33run_length_encode_config_selectorIajNS0_4plusIjEEEEZZNS1_33reduce_by_key_impl_wrapped_configILNS1_25lookback_scan_determinismE0ES3_S7_PKaNS0_17constant_iteratorIjlEEPaPlSF_S6_NS0_8equal_toIaEEEE10hipError_tPvRmT2_T3_mT4_T5_T6_T7_T8_P12ihipStream_tbENKUlT_T0_E_clISt17integral_constantIbLb1EESZ_EEDaSU_SV_EUlSU_E_NS1_11comp_targetILNS1_3genE10ELNS1_11target_archE1200ELNS1_3gpuE4ELNS1_3repE0EEENS1_30default_config_static_selectorELNS0_4arch9wavefront6targetE0EEEvT1_.uses_flat_scratch, 0
	.set _ZN7rocprim17ROCPRIM_400000_NS6detail17trampoline_kernelINS0_14default_configENS1_33run_length_encode_config_selectorIajNS0_4plusIjEEEEZZNS1_33reduce_by_key_impl_wrapped_configILNS1_25lookback_scan_determinismE0ES3_S7_PKaNS0_17constant_iteratorIjlEEPaPlSF_S6_NS0_8equal_toIaEEEE10hipError_tPvRmT2_T3_mT4_T5_T6_T7_T8_P12ihipStream_tbENKUlT_T0_E_clISt17integral_constantIbLb1EESZ_EEDaSU_SV_EUlSU_E_NS1_11comp_targetILNS1_3genE10ELNS1_11target_archE1200ELNS1_3gpuE4ELNS1_3repE0EEENS1_30default_config_static_selectorELNS0_4arch9wavefront6targetE0EEEvT1_.has_dyn_sized_stack, 0
	.set _ZN7rocprim17ROCPRIM_400000_NS6detail17trampoline_kernelINS0_14default_configENS1_33run_length_encode_config_selectorIajNS0_4plusIjEEEEZZNS1_33reduce_by_key_impl_wrapped_configILNS1_25lookback_scan_determinismE0ES3_S7_PKaNS0_17constant_iteratorIjlEEPaPlSF_S6_NS0_8equal_toIaEEEE10hipError_tPvRmT2_T3_mT4_T5_T6_T7_T8_P12ihipStream_tbENKUlT_T0_E_clISt17integral_constantIbLb1EESZ_EEDaSU_SV_EUlSU_E_NS1_11comp_targetILNS1_3genE10ELNS1_11target_archE1200ELNS1_3gpuE4ELNS1_3repE0EEENS1_30default_config_static_selectorELNS0_4arch9wavefront6targetE0EEEvT1_.has_recursion, 0
	.set _ZN7rocprim17ROCPRIM_400000_NS6detail17trampoline_kernelINS0_14default_configENS1_33run_length_encode_config_selectorIajNS0_4plusIjEEEEZZNS1_33reduce_by_key_impl_wrapped_configILNS1_25lookback_scan_determinismE0ES3_S7_PKaNS0_17constant_iteratorIjlEEPaPlSF_S6_NS0_8equal_toIaEEEE10hipError_tPvRmT2_T3_mT4_T5_T6_T7_T8_P12ihipStream_tbENKUlT_T0_E_clISt17integral_constantIbLb1EESZ_EEDaSU_SV_EUlSU_E_NS1_11comp_targetILNS1_3genE10ELNS1_11target_archE1200ELNS1_3gpuE4ELNS1_3repE0EEENS1_30default_config_static_selectorELNS0_4arch9wavefront6targetE0EEEvT1_.has_indirect_call, 0
	.section	.AMDGPU.csdata,"",@progbits
; Kernel info:
; codeLenInByte = 0
; TotalNumSgprs: 0
; NumVgprs: 0
; ScratchSize: 0
; MemoryBound: 0
; FloatMode: 240
; IeeeMode: 1
; LDSByteSize: 0 bytes/workgroup (compile time only)
; SGPRBlocks: 0
; VGPRBlocks: 0
; NumSGPRsForWavesPerEU: 1
; NumVGPRsForWavesPerEU: 1
; NamedBarCnt: 0
; Occupancy: 16
; WaveLimiterHint : 0
; COMPUTE_PGM_RSRC2:SCRATCH_EN: 0
; COMPUTE_PGM_RSRC2:USER_SGPR: 2
; COMPUTE_PGM_RSRC2:TRAP_HANDLER: 0
; COMPUTE_PGM_RSRC2:TGID_X_EN: 1
; COMPUTE_PGM_RSRC2:TGID_Y_EN: 0
; COMPUTE_PGM_RSRC2:TGID_Z_EN: 0
; COMPUTE_PGM_RSRC2:TIDIG_COMP_CNT: 0
	.section	.text._ZN7rocprim17ROCPRIM_400000_NS6detail17trampoline_kernelINS0_14default_configENS1_33run_length_encode_config_selectorIajNS0_4plusIjEEEEZZNS1_33reduce_by_key_impl_wrapped_configILNS1_25lookback_scan_determinismE0ES3_S7_PKaNS0_17constant_iteratorIjlEEPaPlSF_S6_NS0_8equal_toIaEEEE10hipError_tPvRmT2_T3_mT4_T5_T6_T7_T8_P12ihipStream_tbENKUlT_T0_E_clISt17integral_constantIbLb1EESZ_EEDaSU_SV_EUlSU_E_NS1_11comp_targetILNS1_3genE9ELNS1_11target_archE1100ELNS1_3gpuE3ELNS1_3repE0EEENS1_30default_config_static_selectorELNS0_4arch9wavefront6targetE0EEEvT1_,"axG",@progbits,_ZN7rocprim17ROCPRIM_400000_NS6detail17trampoline_kernelINS0_14default_configENS1_33run_length_encode_config_selectorIajNS0_4plusIjEEEEZZNS1_33reduce_by_key_impl_wrapped_configILNS1_25lookback_scan_determinismE0ES3_S7_PKaNS0_17constant_iteratorIjlEEPaPlSF_S6_NS0_8equal_toIaEEEE10hipError_tPvRmT2_T3_mT4_T5_T6_T7_T8_P12ihipStream_tbENKUlT_T0_E_clISt17integral_constantIbLb1EESZ_EEDaSU_SV_EUlSU_E_NS1_11comp_targetILNS1_3genE9ELNS1_11target_archE1100ELNS1_3gpuE3ELNS1_3repE0EEENS1_30default_config_static_selectorELNS0_4arch9wavefront6targetE0EEEvT1_,comdat
	.protected	_ZN7rocprim17ROCPRIM_400000_NS6detail17trampoline_kernelINS0_14default_configENS1_33run_length_encode_config_selectorIajNS0_4plusIjEEEEZZNS1_33reduce_by_key_impl_wrapped_configILNS1_25lookback_scan_determinismE0ES3_S7_PKaNS0_17constant_iteratorIjlEEPaPlSF_S6_NS0_8equal_toIaEEEE10hipError_tPvRmT2_T3_mT4_T5_T6_T7_T8_P12ihipStream_tbENKUlT_T0_E_clISt17integral_constantIbLb1EESZ_EEDaSU_SV_EUlSU_E_NS1_11comp_targetILNS1_3genE9ELNS1_11target_archE1100ELNS1_3gpuE3ELNS1_3repE0EEENS1_30default_config_static_selectorELNS0_4arch9wavefront6targetE0EEEvT1_ ; -- Begin function _ZN7rocprim17ROCPRIM_400000_NS6detail17trampoline_kernelINS0_14default_configENS1_33run_length_encode_config_selectorIajNS0_4plusIjEEEEZZNS1_33reduce_by_key_impl_wrapped_configILNS1_25lookback_scan_determinismE0ES3_S7_PKaNS0_17constant_iteratorIjlEEPaPlSF_S6_NS0_8equal_toIaEEEE10hipError_tPvRmT2_T3_mT4_T5_T6_T7_T8_P12ihipStream_tbENKUlT_T0_E_clISt17integral_constantIbLb1EESZ_EEDaSU_SV_EUlSU_E_NS1_11comp_targetILNS1_3genE9ELNS1_11target_archE1100ELNS1_3gpuE3ELNS1_3repE0EEENS1_30default_config_static_selectorELNS0_4arch9wavefront6targetE0EEEvT1_
	.globl	_ZN7rocprim17ROCPRIM_400000_NS6detail17trampoline_kernelINS0_14default_configENS1_33run_length_encode_config_selectorIajNS0_4plusIjEEEEZZNS1_33reduce_by_key_impl_wrapped_configILNS1_25lookback_scan_determinismE0ES3_S7_PKaNS0_17constant_iteratorIjlEEPaPlSF_S6_NS0_8equal_toIaEEEE10hipError_tPvRmT2_T3_mT4_T5_T6_T7_T8_P12ihipStream_tbENKUlT_T0_E_clISt17integral_constantIbLb1EESZ_EEDaSU_SV_EUlSU_E_NS1_11comp_targetILNS1_3genE9ELNS1_11target_archE1100ELNS1_3gpuE3ELNS1_3repE0EEENS1_30default_config_static_selectorELNS0_4arch9wavefront6targetE0EEEvT1_
	.p2align	8
	.type	_ZN7rocprim17ROCPRIM_400000_NS6detail17trampoline_kernelINS0_14default_configENS1_33run_length_encode_config_selectorIajNS0_4plusIjEEEEZZNS1_33reduce_by_key_impl_wrapped_configILNS1_25lookback_scan_determinismE0ES3_S7_PKaNS0_17constant_iteratorIjlEEPaPlSF_S6_NS0_8equal_toIaEEEE10hipError_tPvRmT2_T3_mT4_T5_T6_T7_T8_P12ihipStream_tbENKUlT_T0_E_clISt17integral_constantIbLb1EESZ_EEDaSU_SV_EUlSU_E_NS1_11comp_targetILNS1_3genE9ELNS1_11target_archE1100ELNS1_3gpuE3ELNS1_3repE0EEENS1_30default_config_static_selectorELNS0_4arch9wavefront6targetE0EEEvT1_,@function
_ZN7rocprim17ROCPRIM_400000_NS6detail17trampoline_kernelINS0_14default_configENS1_33run_length_encode_config_selectorIajNS0_4plusIjEEEEZZNS1_33reduce_by_key_impl_wrapped_configILNS1_25lookback_scan_determinismE0ES3_S7_PKaNS0_17constant_iteratorIjlEEPaPlSF_S6_NS0_8equal_toIaEEEE10hipError_tPvRmT2_T3_mT4_T5_T6_T7_T8_P12ihipStream_tbENKUlT_T0_E_clISt17integral_constantIbLb1EESZ_EEDaSU_SV_EUlSU_E_NS1_11comp_targetILNS1_3genE9ELNS1_11target_archE1100ELNS1_3gpuE3ELNS1_3repE0EEENS1_30default_config_static_selectorELNS0_4arch9wavefront6targetE0EEEvT1_: ; @_ZN7rocprim17ROCPRIM_400000_NS6detail17trampoline_kernelINS0_14default_configENS1_33run_length_encode_config_selectorIajNS0_4plusIjEEEEZZNS1_33reduce_by_key_impl_wrapped_configILNS1_25lookback_scan_determinismE0ES3_S7_PKaNS0_17constant_iteratorIjlEEPaPlSF_S6_NS0_8equal_toIaEEEE10hipError_tPvRmT2_T3_mT4_T5_T6_T7_T8_P12ihipStream_tbENKUlT_T0_E_clISt17integral_constantIbLb1EESZ_EEDaSU_SV_EUlSU_E_NS1_11comp_targetILNS1_3genE9ELNS1_11target_archE1100ELNS1_3gpuE3ELNS1_3repE0EEENS1_30default_config_static_selectorELNS0_4arch9wavefront6targetE0EEEvT1_
; %bb.0:
	.section	.rodata,"a",@progbits
	.p2align	6, 0x0
	.amdhsa_kernel _ZN7rocprim17ROCPRIM_400000_NS6detail17trampoline_kernelINS0_14default_configENS1_33run_length_encode_config_selectorIajNS0_4plusIjEEEEZZNS1_33reduce_by_key_impl_wrapped_configILNS1_25lookback_scan_determinismE0ES3_S7_PKaNS0_17constant_iteratorIjlEEPaPlSF_S6_NS0_8equal_toIaEEEE10hipError_tPvRmT2_T3_mT4_T5_T6_T7_T8_P12ihipStream_tbENKUlT_T0_E_clISt17integral_constantIbLb1EESZ_EEDaSU_SV_EUlSU_E_NS1_11comp_targetILNS1_3genE9ELNS1_11target_archE1100ELNS1_3gpuE3ELNS1_3repE0EEENS1_30default_config_static_selectorELNS0_4arch9wavefront6targetE0EEEvT1_
		.amdhsa_group_segment_fixed_size 0
		.amdhsa_private_segment_fixed_size 0
		.amdhsa_kernarg_size 128
		.amdhsa_user_sgpr_count 2
		.amdhsa_user_sgpr_dispatch_ptr 0
		.amdhsa_user_sgpr_queue_ptr 0
		.amdhsa_user_sgpr_kernarg_segment_ptr 1
		.amdhsa_user_sgpr_dispatch_id 0
		.amdhsa_user_sgpr_kernarg_preload_length 0
		.amdhsa_user_sgpr_kernarg_preload_offset 0
		.amdhsa_user_sgpr_private_segment_size 0
		.amdhsa_wavefront_size32 1
		.amdhsa_uses_dynamic_stack 0
		.amdhsa_enable_private_segment 0
		.amdhsa_system_sgpr_workgroup_id_x 1
		.amdhsa_system_sgpr_workgroup_id_y 0
		.amdhsa_system_sgpr_workgroup_id_z 0
		.amdhsa_system_sgpr_workgroup_info 0
		.amdhsa_system_vgpr_workitem_id 0
		.amdhsa_next_free_vgpr 1
		.amdhsa_next_free_sgpr 1
		.amdhsa_named_barrier_count 0
		.amdhsa_reserve_vcc 0
		.amdhsa_float_round_mode_32 0
		.amdhsa_float_round_mode_16_64 0
		.amdhsa_float_denorm_mode_32 3
		.amdhsa_float_denorm_mode_16_64 3
		.amdhsa_fp16_overflow 0
		.amdhsa_memory_ordered 1
		.amdhsa_forward_progress 1
		.amdhsa_inst_pref_size 0
		.amdhsa_round_robin_scheduling 0
		.amdhsa_exception_fp_ieee_invalid_op 0
		.amdhsa_exception_fp_denorm_src 0
		.amdhsa_exception_fp_ieee_div_zero 0
		.amdhsa_exception_fp_ieee_overflow 0
		.amdhsa_exception_fp_ieee_underflow 0
		.amdhsa_exception_fp_ieee_inexact 0
		.amdhsa_exception_int_div_zero 0
	.end_amdhsa_kernel
	.section	.text._ZN7rocprim17ROCPRIM_400000_NS6detail17trampoline_kernelINS0_14default_configENS1_33run_length_encode_config_selectorIajNS0_4plusIjEEEEZZNS1_33reduce_by_key_impl_wrapped_configILNS1_25lookback_scan_determinismE0ES3_S7_PKaNS0_17constant_iteratorIjlEEPaPlSF_S6_NS0_8equal_toIaEEEE10hipError_tPvRmT2_T3_mT4_T5_T6_T7_T8_P12ihipStream_tbENKUlT_T0_E_clISt17integral_constantIbLb1EESZ_EEDaSU_SV_EUlSU_E_NS1_11comp_targetILNS1_3genE9ELNS1_11target_archE1100ELNS1_3gpuE3ELNS1_3repE0EEENS1_30default_config_static_selectorELNS0_4arch9wavefront6targetE0EEEvT1_,"axG",@progbits,_ZN7rocprim17ROCPRIM_400000_NS6detail17trampoline_kernelINS0_14default_configENS1_33run_length_encode_config_selectorIajNS0_4plusIjEEEEZZNS1_33reduce_by_key_impl_wrapped_configILNS1_25lookback_scan_determinismE0ES3_S7_PKaNS0_17constant_iteratorIjlEEPaPlSF_S6_NS0_8equal_toIaEEEE10hipError_tPvRmT2_T3_mT4_T5_T6_T7_T8_P12ihipStream_tbENKUlT_T0_E_clISt17integral_constantIbLb1EESZ_EEDaSU_SV_EUlSU_E_NS1_11comp_targetILNS1_3genE9ELNS1_11target_archE1100ELNS1_3gpuE3ELNS1_3repE0EEENS1_30default_config_static_selectorELNS0_4arch9wavefront6targetE0EEEvT1_,comdat
.Lfunc_end251:
	.size	_ZN7rocprim17ROCPRIM_400000_NS6detail17trampoline_kernelINS0_14default_configENS1_33run_length_encode_config_selectorIajNS0_4plusIjEEEEZZNS1_33reduce_by_key_impl_wrapped_configILNS1_25lookback_scan_determinismE0ES3_S7_PKaNS0_17constant_iteratorIjlEEPaPlSF_S6_NS0_8equal_toIaEEEE10hipError_tPvRmT2_T3_mT4_T5_T6_T7_T8_P12ihipStream_tbENKUlT_T0_E_clISt17integral_constantIbLb1EESZ_EEDaSU_SV_EUlSU_E_NS1_11comp_targetILNS1_3genE9ELNS1_11target_archE1100ELNS1_3gpuE3ELNS1_3repE0EEENS1_30default_config_static_selectorELNS0_4arch9wavefront6targetE0EEEvT1_, .Lfunc_end251-_ZN7rocprim17ROCPRIM_400000_NS6detail17trampoline_kernelINS0_14default_configENS1_33run_length_encode_config_selectorIajNS0_4plusIjEEEEZZNS1_33reduce_by_key_impl_wrapped_configILNS1_25lookback_scan_determinismE0ES3_S7_PKaNS0_17constant_iteratorIjlEEPaPlSF_S6_NS0_8equal_toIaEEEE10hipError_tPvRmT2_T3_mT4_T5_T6_T7_T8_P12ihipStream_tbENKUlT_T0_E_clISt17integral_constantIbLb1EESZ_EEDaSU_SV_EUlSU_E_NS1_11comp_targetILNS1_3genE9ELNS1_11target_archE1100ELNS1_3gpuE3ELNS1_3repE0EEENS1_30default_config_static_selectorELNS0_4arch9wavefront6targetE0EEEvT1_
                                        ; -- End function
	.set _ZN7rocprim17ROCPRIM_400000_NS6detail17trampoline_kernelINS0_14default_configENS1_33run_length_encode_config_selectorIajNS0_4plusIjEEEEZZNS1_33reduce_by_key_impl_wrapped_configILNS1_25lookback_scan_determinismE0ES3_S7_PKaNS0_17constant_iteratorIjlEEPaPlSF_S6_NS0_8equal_toIaEEEE10hipError_tPvRmT2_T3_mT4_T5_T6_T7_T8_P12ihipStream_tbENKUlT_T0_E_clISt17integral_constantIbLb1EESZ_EEDaSU_SV_EUlSU_E_NS1_11comp_targetILNS1_3genE9ELNS1_11target_archE1100ELNS1_3gpuE3ELNS1_3repE0EEENS1_30default_config_static_selectorELNS0_4arch9wavefront6targetE0EEEvT1_.num_vgpr, 0
	.set _ZN7rocprim17ROCPRIM_400000_NS6detail17trampoline_kernelINS0_14default_configENS1_33run_length_encode_config_selectorIajNS0_4plusIjEEEEZZNS1_33reduce_by_key_impl_wrapped_configILNS1_25lookback_scan_determinismE0ES3_S7_PKaNS0_17constant_iteratorIjlEEPaPlSF_S6_NS0_8equal_toIaEEEE10hipError_tPvRmT2_T3_mT4_T5_T6_T7_T8_P12ihipStream_tbENKUlT_T0_E_clISt17integral_constantIbLb1EESZ_EEDaSU_SV_EUlSU_E_NS1_11comp_targetILNS1_3genE9ELNS1_11target_archE1100ELNS1_3gpuE3ELNS1_3repE0EEENS1_30default_config_static_selectorELNS0_4arch9wavefront6targetE0EEEvT1_.num_agpr, 0
	.set _ZN7rocprim17ROCPRIM_400000_NS6detail17trampoline_kernelINS0_14default_configENS1_33run_length_encode_config_selectorIajNS0_4plusIjEEEEZZNS1_33reduce_by_key_impl_wrapped_configILNS1_25lookback_scan_determinismE0ES3_S7_PKaNS0_17constant_iteratorIjlEEPaPlSF_S6_NS0_8equal_toIaEEEE10hipError_tPvRmT2_T3_mT4_T5_T6_T7_T8_P12ihipStream_tbENKUlT_T0_E_clISt17integral_constantIbLb1EESZ_EEDaSU_SV_EUlSU_E_NS1_11comp_targetILNS1_3genE9ELNS1_11target_archE1100ELNS1_3gpuE3ELNS1_3repE0EEENS1_30default_config_static_selectorELNS0_4arch9wavefront6targetE0EEEvT1_.numbered_sgpr, 0
	.set _ZN7rocprim17ROCPRIM_400000_NS6detail17trampoline_kernelINS0_14default_configENS1_33run_length_encode_config_selectorIajNS0_4plusIjEEEEZZNS1_33reduce_by_key_impl_wrapped_configILNS1_25lookback_scan_determinismE0ES3_S7_PKaNS0_17constant_iteratorIjlEEPaPlSF_S6_NS0_8equal_toIaEEEE10hipError_tPvRmT2_T3_mT4_T5_T6_T7_T8_P12ihipStream_tbENKUlT_T0_E_clISt17integral_constantIbLb1EESZ_EEDaSU_SV_EUlSU_E_NS1_11comp_targetILNS1_3genE9ELNS1_11target_archE1100ELNS1_3gpuE3ELNS1_3repE0EEENS1_30default_config_static_selectorELNS0_4arch9wavefront6targetE0EEEvT1_.num_named_barrier, 0
	.set _ZN7rocprim17ROCPRIM_400000_NS6detail17trampoline_kernelINS0_14default_configENS1_33run_length_encode_config_selectorIajNS0_4plusIjEEEEZZNS1_33reduce_by_key_impl_wrapped_configILNS1_25lookback_scan_determinismE0ES3_S7_PKaNS0_17constant_iteratorIjlEEPaPlSF_S6_NS0_8equal_toIaEEEE10hipError_tPvRmT2_T3_mT4_T5_T6_T7_T8_P12ihipStream_tbENKUlT_T0_E_clISt17integral_constantIbLb1EESZ_EEDaSU_SV_EUlSU_E_NS1_11comp_targetILNS1_3genE9ELNS1_11target_archE1100ELNS1_3gpuE3ELNS1_3repE0EEENS1_30default_config_static_selectorELNS0_4arch9wavefront6targetE0EEEvT1_.private_seg_size, 0
	.set _ZN7rocprim17ROCPRIM_400000_NS6detail17trampoline_kernelINS0_14default_configENS1_33run_length_encode_config_selectorIajNS0_4plusIjEEEEZZNS1_33reduce_by_key_impl_wrapped_configILNS1_25lookback_scan_determinismE0ES3_S7_PKaNS0_17constant_iteratorIjlEEPaPlSF_S6_NS0_8equal_toIaEEEE10hipError_tPvRmT2_T3_mT4_T5_T6_T7_T8_P12ihipStream_tbENKUlT_T0_E_clISt17integral_constantIbLb1EESZ_EEDaSU_SV_EUlSU_E_NS1_11comp_targetILNS1_3genE9ELNS1_11target_archE1100ELNS1_3gpuE3ELNS1_3repE0EEENS1_30default_config_static_selectorELNS0_4arch9wavefront6targetE0EEEvT1_.uses_vcc, 0
	.set _ZN7rocprim17ROCPRIM_400000_NS6detail17trampoline_kernelINS0_14default_configENS1_33run_length_encode_config_selectorIajNS0_4plusIjEEEEZZNS1_33reduce_by_key_impl_wrapped_configILNS1_25lookback_scan_determinismE0ES3_S7_PKaNS0_17constant_iteratorIjlEEPaPlSF_S6_NS0_8equal_toIaEEEE10hipError_tPvRmT2_T3_mT4_T5_T6_T7_T8_P12ihipStream_tbENKUlT_T0_E_clISt17integral_constantIbLb1EESZ_EEDaSU_SV_EUlSU_E_NS1_11comp_targetILNS1_3genE9ELNS1_11target_archE1100ELNS1_3gpuE3ELNS1_3repE0EEENS1_30default_config_static_selectorELNS0_4arch9wavefront6targetE0EEEvT1_.uses_flat_scratch, 0
	.set _ZN7rocprim17ROCPRIM_400000_NS6detail17trampoline_kernelINS0_14default_configENS1_33run_length_encode_config_selectorIajNS0_4plusIjEEEEZZNS1_33reduce_by_key_impl_wrapped_configILNS1_25lookback_scan_determinismE0ES3_S7_PKaNS0_17constant_iteratorIjlEEPaPlSF_S6_NS0_8equal_toIaEEEE10hipError_tPvRmT2_T3_mT4_T5_T6_T7_T8_P12ihipStream_tbENKUlT_T0_E_clISt17integral_constantIbLb1EESZ_EEDaSU_SV_EUlSU_E_NS1_11comp_targetILNS1_3genE9ELNS1_11target_archE1100ELNS1_3gpuE3ELNS1_3repE0EEENS1_30default_config_static_selectorELNS0_4arch9wavefront6targetE0EEEvT1_.has_dyn_sized_stack, 0
	.set _ZN7rocprim17ROCPRIM_400000_NS6detail17trampoline_kernelINS0_14default_configENS1_33run_length_encode_config_selectorIajNS0_4plusIjEEEEZZNS1_33reduce_by_key_impl_wrapped_configILNS1_25lookback_scan_determinismE0ES3_S7_PKaNS0_17constant_iteratorIjlEEPaPlSF_S6_NS0_8equal_toIaEEEE10hipError_tPvRmT2_T3_mT4_T5_T6_T7_T8_P12ihipStream_tbENKUlT_T0_E_clISt17integral_constantIbLb1EESZ_EEDaSU_SV_EUlSU_E_NS1_11comp_targetILNS1_3genE9ELNS1_11target_archE1100ELNS1_3gpuE3ELNS1_3repE0EEENS1_30default_config_static_selectorELNS0_4arch9wavefront6targetE0EEEvT1_.has_recursion, 0
	.set _ZN7rocprim17ROCPRIM_400000_NS6detail17trampoline_kernelINS0_14default_configENS1_33run_length_encode_config_selectorIajNS0_4plusIjEEEEZZNS1_33reduce_by_key_impl_wrapped_configILNS1_25lookback_scan_determinismE0ES3_S7_PKaNS0_17constant_iteratorIjlEEPaPlSF_S6_NS0_8equal_toIaEEEE10hipError_tPvRmT2_T3_mT4_T5_T6_T7_T8_P12ihipStream_tbENKUlT_T0_E_clISt17integral_constantIbLb1EESZ_EEDaSU_SV_EUlSU_E_NS1_11comp_targetILNS1_3genE9ELNS1_11target_archE1100ELNS1_3gpuE3ELNS1_3repE0EEENS1_30default_config_static_selectorELNS0_4arch9wavefront6targetE0EEEvT1_.has_indirect_call, 0
	.section	.AMDGPU.csdata,"",@progbits
; Kernel info:
; codeLenInByte = 0
; TotalNumSgprs: 0
; NumVgprs: 0
; ScratchSize: 0
; MemoryBound: 0
; FloatMode: 240
; IeeeMode: 1
; LDSByteSize: 0 bytes/workgroup (compile time only)
; SGPRBlocks: 0
; VGPRBlocks: 0
; NumSGPRsForWavesPerEU: 1
; NumVGPRsForWavesPerEU: 1
; NamedBarCnt: 0
; Occupancy: 16
; WaveLimiterHint : 0
; COMPUTE_PGM_RSRC2:SCRATCH_EN: 0
; COMPUTE_PGM_RSRC2:USER_SGPR: 2
; COMPUTE_PGM_RSRC2:TRAP_HANDLER: 0
; COMPUTE_PGM_RSRC2:TGID_X_EN: 1
; COMPUTE_PGM_RSRC2:TGID_Y_EN: 0
; COMPUTE_PGM_RSRC2:TGID_Z_EN: 0
; COMPUTE_PGM_RSRC2:TIDIG_COMP_CNT: 0
	.section	.text._ZN7rocprim17ROCPRIM_400000_NS6detail17trampoline_kernelINS0_14default_configENS1_33run_length_encode_config_selectorIajNS0_4plusIjEEEEZZNS1_33reduce_by_key_impl_wrapped_configILNS1_25lookback_scan_determinismE0ES3_S7_PKaNS0_17constant_iteratorIjlEEPaPlSF_S6_NS0_8equal_toIaEEEE10hipError_tPvRmT2_T3_mT4_T5_T6_T7_T8_P12ihipStream_tbENKUlT_T0_E_clISt17integral_constantIbLb1EESZ_EEDaSU_SV_EUlSU_E_NS1_11comp_targetILNS1_3genE8ELNS1_11target_archE1030ELNS1_3gpuE2ELNS1_3repE0EEENS1_30default_config_static_selectorELNS0_4arch9wavefront6targetE0EEEvT1_,"axG",@progbits,_ZN7rocprim17ROCPRIM_400000_NS6detail17trampoline_kernelINS0_14default_configENS1_33run_length_encode_config_selectorIajNS0_4plusIjEEEEZZNS1_33reduce_by_key_impl_wrapped_configILNS1_25lookback_scan_determinismE0ES3_S7_PKaNS0_17constant_iteratorIjlEEPaPlSF_S6_NS0_8equal_toIaEEEE10hipError_tPvRmT2_T3_mT4_T5_T6_T7_T8_P12ihipStream_tbENKUlT_T0_E_clISt17integral_constantIbLb1EESZ_EEDaSU_SV_EUlSU_E_NS1_11comp_targetILNS1_3genE8ELNS1_11target_archE1030ELNS1_3gpuE2ELNS1_3repE0EEENS1_30default_config_static_selectorELNS0_4arch9wavefront6targetE0EEEvT1_,comdat
	.protected	_ZN7rocprim17ROCPRIM_400000_NS6detail17trampoline_kernelINS0_14default_configENS1_33run_length_encode_config_selectorIajNS0_4plusIjEEEEZZNS1_33reduce_by_key_impl_wrapped_configILNS1_25lookback_scan_determinismE0ES3_S7_PKaNS0_17constant_iteratorIjlEEPaPlSF_S6_NS0_8equal_toIaEEEE10hipError_tPvRmT2_T3_mT4_T5_T6_T7_T8_P12ihipStream_tbENKUlT_T0_E_clISt17integral_constantIbLb1EESZ_EEDaSU_SV_EUlSU_E_NS1_11comp_targetILNS1_3genE8ELNS1_11target_archE1030ELNS1_3gpuE2ELNS1_3repE0EEENS1_30default_config_static_selectorELNS0_4arch9wavefront6targetE0EEEvT1_ ; -- Begin function _ZN7rocprim17ROCPRIM_400000_NS6detail17trampoline_kernelINS0_14default_configENS1_33run_length_encode_config_selectorIajNS0_4plusIjEEEEZZNS1_33reduce_by_key_impl_wrapped_configILNS1_25lookback_scan_determinismE0ES3_S7_PKaNS0_17constant_iteratorIjlEEPaPlSF_S6_NS0_8equal_toIaEEEE10hipError_tPvRmT2_T3_mT4_T5_T6_T7_T8_P12ihipStream_tbENKUlT_T0_E_clISt17integral_constantIbLb1EESZ_EEDaSU_SV_EUlSU_E_NS1_11comp_targetILNS1_3genE8ELNS1_11target_archE1030ELNS1_3gpuE2ELNS1_3repE0EEENS1_30default_config_static_selectorELNS0_4arch9wavefront6targetE0EEEvT1_
	.globl	_ZN7rocprim17ROCPRIM_400000_NS6detail17trampoline_kernelINS0_14default_configENS1_33run_length_encode_config_selectorIajNS0_4plusIjEEEEZZNS1_33reduce_by_key_impl_wrapped_configILNS1_25lookback_scan_determinismE0ES3_S7_PKaNS0_17constant_iteratorIjlEEPaPlSF_S6_NS0_8equal_toIaEEEE10hipError_tPvRmT2_T3_mT4_T5_T6_T7_T8_P12ihipStream_tbENKUlT_T0_E_clISt17integral_constantIbLb1EESZ_EEDaSU_SV_EUlSU_E_NS1_11comp_targetILNS1_3genE8ELNS1_11target_archE1030ELNS1_3gpuE2ELNS1_3repE0EEENS1_30default_config_static_selectorELNS0_4arch9wavefront6targetE0EEEvT1_
	.p2align	8
	.type	_ZN7rocprim17ROCPRIM_400000_NS6detail17trampoline_kernelINS0_14default_configENS1_33run_length_encode_config_selectorIajNS0_4plusIjEEEEZZNS1_33reduce_by_key_impl_wrapped_configILNS1_25lookback_scan_determinismE0ES3_S7_PKaNS0_17constant_iteratorIjlEEPaPlSF_S6_NS0_8equal_toIaEEEE10hipError_tPvRmT2_T3_mT4_T5_T6_T7_T8_P12ihipStream_tbENKUlT_T0_E_clISt17integral_constantIbLb1EESZ_EEDaSU_SV_EUlSU_E_NS1_11comp_targetILNS1_3genE8ELNS1_11target_archE1030ELNS1_3gpuE2ELNS1_3repE0EEENS1_30default_config_static_selectorELNS0_4arch9wavefront6targetE0EEEvT1_,@function
_ZN7rocprim17ROCPRIM_400000_NS6detail17trampoline_kernelINS0_14default_configENS1_33run_length_encode_config_selectorIajNS0_4plusIjEEEEZZNS1_33reduce_by_key_impl_wrapped_configILNS1_25lookback_scan_determinismE0ES3_S7_PKaNS0_17constant_iteratorIjlEEPaPlSF_S6_NS0_8equal_toIaEEEE10hipError_tPvRmT2_T3_mT4_T5_T6_T7_T8_P12ihipStream_tbENKUlT_T0_E_clISt17integral_constantIbLb1EESZ_EEDaSU_SV_EUlSU_E_NS1_11comp_targetILNS1_3genE8ELNS1_11target_archE1030ELNS1_3gpuE2ELNS1_3repE0EEENS1_30default_config_static_selectorELNS0_4arch9wavefront6targetE0EEEvT1_: ; @_ZN7rocprim17ROCPRIM_400000_NS6detail17trampoline_kernelINS0_14default_configENS1_33run_length_encode_config_selectorIajNS0_4plusIjEEEEZZNS1_33reduce_by_key_impl_wrapped_configILNS1_25lookback_scan_determinismE0ES3_S7_PKaNS0_17constant_iteratorIjlEEPaPlSF_S6_NS0_8equal_toIaEEEE10hipError_tPvRmT2_T3_mT4_T5_T6_T7_T8_P12ihipStream_tbENKUlT_T0_E_clISt17integral_constantIbLb1EESZ_EEDaSU_SV_EUlSU_E_NS1_11comp_targetILNS1_3genE8ELNS1_11target_archE1030ELNS1_3gpuE2ELNS1_3repE0EEENS1_30default_config_static_selectorELNS0_4arch9wavefront6targetE0EEEvT1_
; %bb.0:
	.section	.rodata,"a",@progbits
	.p2align	6, 0x0
	.amdhsa_kernel _ZN7rocprim17ROCPRIM_400000_NS6detail17trampoline_kernelINS0_14default_configENS1_33run_length_encode_config_selectorIajNS0_4plusIjEEEEZZNS1_33reduce_by_key_impl_wrapped_configILNS1_25lookback_scan_determinismE0ES3_S7_PKaNS0_17constant_iteratorIjlEEPaPlSF_S6_NS0_8equal_toIaEEEE10hipError_tPvRmT2_T3_mT4_T5_T6_T7_T8_P12ihipStream_tbENKUlT_T0_E_clISt17integral_constantIbLb1EESZ_EEDaSU_SV_EUlSU_E_NS1_11comp_targetILNS1_3genE8ELNS1_11target_archE1030ELNS1_3gpuE2ELNS1_3repE0EEENS1_30default_config_static_selectorELNS0_4arch9wavefront6targetE0EEEvT1_
		.amdhsa_group_segment_fixed_size 0
		.amdhsa_private_segment_fixed_size 0
		.amdhsa_kernarg_size 128
		.amdhsa_user_sgpr_count 2
		.amdhsa_user_sgpr_dispatch_ptr 0
		.amdhsa_user_sgpr_queue_ptr 0
		.amdhsa_user_sgpr_kernarg_segment_ptr 1
		.amdhsa_user_sgpr_dispatch_id 0
		.amdhsa_user_sgpr_kernarg_preload_length 0
		.amdhsa_user_sgpr_kernarg_preload_offset 0
		.amdhsa_user_sgpr_private_segment_size 0
		.amdhsa_wavefront_size32 1
		.amdhsa_uses_dynamic_stack 0
		.amdhsa_enable_private_segment 0
		.amdhsa_system_sgpr_workgroup_id_x 1
		.amdhsa_system_sgpr_workgroup_id_y 0
		.amdhsa_system_sgpr_workgroup_id_z 0
		.amdhsa_system_sgpr_workgroup_info 0
		.amdhsa_system_vgpr_workitem_id 0
		.amdhsa_next_free_vgpr 1
		.amdhsa_next_free_sgpr 1
		.amdhsa_named_barrier_count 0
		.amdhsa_reserve_vcc 0
		.amdhsa_float_round_mode_32 0
		.amdhsa_float_round_mode_16_64 0
		.amdhsa_float_denorm_mode_32 3
		.amdhsa_float_denorm_mode_16_64 3
		.amdhsa_fp16_overflow 0
		.amdhsa_memory_ordered 1
		.amdhsa_forward_progress 1
		.amdhsa_inst_pref_size 0
		.amdhsa_round_robin_scheduling 0
		.amdhsa_exception_fp_ieee_invalid_op 0
		.amdhsa_exception_fp_denorm_src 0
		.amdhsa_exception_fp_ieee_div_zero 0
		.amdhsa_exception_fp_ieee_overflow 0
		.amdhsa_exception_fp_ieee_underflow 0
		.amdhsa_exception_fp_ieee_inexact 0
		.amdhsa_exception_int_div_zero 0
	.end_amdhsa_kernel
	.section	.text._ZN7rocprim17ROCPRIM_400000_NS6detail17trampoline_kernelINS0_14default_configENS1_33run_length_encode_config_selectorIajNS0_4plusIjEEEEZZNS1_33reduce_by_key_impl_wrapped_configILNS1_25lookback_scan_determinismE0ES3_S7_PKaNS0_17constant_iteratorIjlEEPaPlSF_S6_NS0_8equal_toIaEEEE10hipError_tPvRmT2_T3_mT4_T5_T6_T7_T8_P12ihipStream_tbENKUlT_T0_E_clISt17integral_constantIbLb1EESZ_EEDaSU_SV_EUlSU_E_NS1_11comp_targetILNS1_3genE8ELNS1_11target_archE1030ELNS1_3gpuE2ELNS1_3repE0EEENS1_30default_config_static_selectorELNS0_4arch9wavefront6targetE0EEEvT1_,"axG",@progbits,_ZN7rocprim17ROCPRIM_400000_NS6detail17trampoline_kernelINS0_14default_configENS1_33run_length_encode_config_selectorIajNS0_4plusIjEEEEZZNS1_33reduce_by_key_impl_wrapped_configILNS1_25lookback_scan_determinismE0ES3_S7_PKaNS0_17constant_iteratorIjlEEPaPlSF_S6_NS0_8equal_toIaEEEE10hipError_tPvRmT2_T3_mT4_T5_T6_T7_T8_P12ihipStream_tbENKUlT_T0_E_clISt17integral_constantIbLb1EESZ_EEDaSU_SV_EUlSU_E_NS1_11comp_targetILNS1_3genE8ELNS1_11target_archE1030ELNS1_3gpuE2ELNS1_3repE0EEENS1_30default_config_static_selectorELNS0_4arch9wavefront6targetE0EEEvT1_,comdat
.Lfunc_end252:
	.size	_ZN7rocprim17ROCPRIM_400000_NS6detail17trampoline_kernelINS0_14default_configENS1_33run_length_encode_config_selectorIajNS0_4plusIjEEEEZZNS1_33reduce_by_key_impl_wrapped_configILNS1_25lookback_scan_determinismE0ES3_S7_PKaNS0_17constant_iteratorIjlEEPaPlSF_S6_NS0_8equal_toIaEEEE10hipError_tPvRmT2_T3_mT4_T5_T6_T7_T8_P12ihipStream_tbENKUlT_T0_E_clISt17integral_constantIbLb1EESZ_EEDaSU_SV_EUlSU_E_NS1_11comp_targetILNS1_3genE8ELNS1_11target_archE1030ELNS1_3gpuE2ELNS1_3repE0EEENS1_30default_config_static_selectorELNS0_4arch9wavefront6targetE0EEEvT1_, .Lfunc_end252-_ZN7rocprim17ROCPRIM_400000_NS6detail17trampoline_kernelINS0_14default_configENS1_33run_length_encode_config_selectorIajNS0_4plusIjEEEEZZNS1_33reduce_by_key_impl_wrapped_configILNS1_25lookback_scan_determinismE0ES3_S7_PKaNS0_17constant_iteratorIjlEEPaPlSF_S6_NS0_8equal_toIaEEEE10hipError_tPvRmT2_T3_mT4_T5_T6_T7_T8_P12ihipStream_tbENKUlT_T0_E_clISt17integral_constantIbLb1EESZ_EEDaSU_SV_EUlSU_E_NS1_11comp_targetILNS1_3genE8ELNS1_11target_archE1030ELNS1_3gpuE2ELNS1_3repE0EEENS1_30default_config_static_selectorELNS0_4arch9wavefront6targetE0EEEvT1_
                                        ; -- End function
	.set _ZN7rocprim17ROCPRIM_400000_NS6detail17trampoline_kernelINS0_14default_configENS1_33run_length_encode_config_selectorIajNS0_4plusIjEEEEZZNS1_33reduce_by_key_impl_wrapped_configILNS1_25lookback_scan_determinismE0ES3_S7_PKaNS0_17constant_iteratorIjlEEPaPlSF_S6_NS0_8equal_toIaEEEE10hipError_tPvRmT2_T3_mT4_T5_T6_T7_T8_P12ihipStream_tbENKUlT_T0_E_clISt17integral_constantIbLb1EESZ_EEDaSU_SV_EUlSU_E_NS1_11comp_targetILNS1_3genE8ELNS1_11target_archE1030ELNS1_3gpuE2ELNS1_3repE0EEENS1_30default_config_static_selectorELNS0_4arch9wavefront6targetE0EEEvT1_.num_vgpr, 0
	.set _ZN7rocprim17ROCPRIM_400000_NS6detail17trampoline_kernelINS0_14default_configENS1_33run_length_encode_config_selectorIajNS0_4plusIjEEEEZZNS1_33reduce_by_key_impl_wrapped_configILNS1_25lookback_scan_determinismE0ES3_S7_PKaNS0_17constant_iteratorIjlEEPaPlSF_S6_NS0_8equal_toIaEEEE10hipError_tPvRmT2_T3_mT4_T5_T6_T7_T8_P12ihipStream_tbENKUlT_T0_E_clISt17integral_constantIbLb1EESZ_EEDaSU_SV_EUlSU_E_NS1_11comp_targetILNS1_3genE8ELNS1_11target_archE1030ELNS1_3gpuE2ELNS1_3repE0EEENS1_30default_config_static_selectorELNS0_4arch9wavefront6targetE0EEEvT1_.num_agpr, 0
	.set _ZN7rocprim17ROCPRIM_400000_NS6detail17trampoline_kernelINS0_14default_configENS1_33run_length_encode_config_selectorIajNS0_4plusIjEEEEZZNS1_33reduce_by_key_impl_wrapped_configILNS1_25lookback_scan_determinismE0ES3_S7_PKaNS0_17constant_iteratorIjlEEPaPlSF_S6_NS0_8equal_toIaEEEE10hipError_tPvRmT2_T3_mT4_T5_T6_T7_T8_P12ihipStream_tbENKUlT_T0_E_clISt17integral_constantIbLb1EESZ_EEDaSU_SV_EUlSU_E_NS1_11comp_targetILNS1_3genE8ELNS1_11target_archE1030ELNS1_3gpuE2ELNS1_3repE0EEENS1_30default_config_static_selectorELNS0_4arch9wavefront6targetE0EEEvT1_.numbered_sgpr, 0
	.set _ZN7rocprim17ROCPRIM_400000_NS6detail17trampoline_kernelINS0_14default_configENS1_33run_length_encode_config_selectorIajNS0_4plusIjEEEEZZNS1_33reduce_by_key_impl_wrapped_configILNS1_25lookback_scan_determinismE0ES3_S7_PKaNS0_17constant_iteratorIjlEEPaPlSF_S6_NS0_8equal_toIaEEEE10hipError_tPvRmT2_T3_mT4_T5_T6_T7_T8_P12ihipStream_tbENKUlT_T0_E_clISt17integral_constantIbLb1EESZ_EEDaSU_SV_EUlSU_E_NS1_11comp_targetILNS1_3genE8ELNS1_11target_archE1030ELNS1_3gpuE2ELNS1_3repE0EEENS1_30default_config_static_selectorELNS0_4arch9wavefront6targetE0EEEvT1_.num_named_barrier, 0
	.set _ZN7rocprim17ROCPRIM_400000_NS6detail17trampoline_kernelINS0_14default_configENS1_33run_length_encode_config_selectorIajNS0_4plusIjEEEEZZNS1_33reduce_by_key_impl_wrapped_configILNS1_25lookback_scan_determinismE0ES3_S7_PKaNS0_17constant_iteratorIjlEEPaPlSF_S6_NS0_8equal_toIaEEEE10hipError_tPvRmT2_T3_mT4_T5_T6_T7_T8_P12ihipStream_tbENKUlT_T0_E_clISt17integral_constantIbLb1EESZ_EEDaSU_SV_EUlSU_E_NS1_11comp_targetILNS1_3genE8ELNS1_11target_archE1030ELNS1_3gpuE2ELNS1_3repE0EEENS1_30default_config_static_selectorELNS0_4arch9wavefront6targetE0EEEvT1_.private_seg_size, 0
	.set _ZN7rocprim17ROCPRIM_400000_NS6detail17trampoline_kernelINS0_14default_configENS1_33run_length_encode_config_selectorIajNS0_4plusIjEEEEZZNS1_33reduce_by_key_impl_wrapped_configILNS1_25lookback_scan_determinismE0ES3_S7_PKaNS0_17constant_iteratorIjlEEPaPlSF_S6_NS0_8equal_toIaEEEE10hipError_tPvRmT2_T3_mT4_T5_T6_T7_T8_P12ihipStream_tbENKUlT_T0_E_clISt17integral_constantIbLb1EESZ_EEDaSU_SV_EUlSU_E_NS1_11comp_targetILNS1_3genE8ELNS1_11target_archE1030ELNS1_3gpuE2ELNS1_3repE0EEENS1_30default_config_static_selectorELNS0_4arch9wavefront6targetE0EEEvT1_.uses_vcc, 0
	.set _ZN7rocprim17ROCPRIM_400000_NS6detail17trampoline_kernelINS0_14default_configENS1_33run_length_encode_config_selectorIajNS0_4plusIjEEEEZZNS1_33reduce_by_key_impl_wrapped_configILNS1_25lookback_scan_determinismE0ES3_S7_PKaNS0_17constant_iteratorIjlEEPaPlSF_S6_NS0_8equal_toIaEEEE10hipError_tPvRmT2_T3_mT4_T5_T6_T7_T8_P12ihipStream_tbENKUlT_T0_E_clISt17integral_constantIbLb1EESZ_EEDaSU_SV_EUlSU_E_NS1_11comp_targetILNS1_3genE8ELNS1_11target_archE1030ELNS1_3gpuE2ELNS1_3repE0EEENS1_30default_config_static_selectorELNS0_4arch9wavefront6targetE0EEEvT1_.uses_flat_scratch, 0
	.set _ZN7rocprim17ROCPRIM_400000_NS6detail17trampoline_kernelINS0_14default_configENS1_33run_length_encode_config_selectorIajNS0_4plusIjEEEEZZNS1_33reduce_by_key_impl_wrapped_configILNS1_25lookback_scan_determinismE0ES3_S7_PKaNS0_17constant_iteratorIjlEEPaPlSF_S6_NS0_8equal_toIaEEEE10hipError_tPvRmT2_T3_mT4_T5_T6_T7_T8_P12ihipStream_tbENKUlT_T0_E_clISt17integral_constantIbLb1EESZ_EEDaSU_SV_EUlSU_E_NS1_11comp_targetILNS1_3genE8ELNS1_11target_archE1030ELNS1_3gpuE2ELNS1_3repE0EEENS1_30default_config_static_selectorELNS0_4arch9wavefront6targetE0EEEvT1_.has_dyn_sized_stack, 0
	.set _ZN7rocprim17ROCPRIM_400000_NS6detail17trampoline_kernelINS0_14default_configENS1_33run_length_encode_config_selectorIajNS0_4plusIjEEEEZZNS1_33reduce_by_key_impl_wrapped_configILNS1_25lookback_scan_determinismE0ES3_S7_PKaNS0_17constant_iteratorIjlEEPaPlSF_S6_NS0_8equal_toIaEEEE10hipError_tPvRmT2_T3_mT4_T5_T6_T7_T8_P12ihipStream_tbENKUlT_T0_E_clISt17integral_constantIbLb1EESZ_EEDaSU_SV_EUlSU_E_NS1_11comp_targetILNS1_3genE8ELNS1_11target_archE1030ELNS1_3gpuE2ELNS1_3repE0EEENS1_30default_config_static_selectorELNS0_4arch9wavefront6targetE0EEEvT1_.has_recursion, 0
	.set _ZN7rocprim17ROCPRIM_400000_NS6detail17trampoline_kernelINS0_14default_configENS1_33run_length_encode_config_selectorIajNS0_4plusIjEEEEZZNS1_33reduce_by_key_impl_wrapped_configILNS1_25lookback_scan_determinismE0ES3_S7_PKaNS0_17constant_iteratorIjlEEPaPlSF_S6_NS0_8equal_toIaEEEE10hipError_tPvRmT2_T3_mT4_T5_T6_T7_T8_P12ihipStream_tbENKUlT_T0_E_clISt17integral_constantIbLb1EESZ_EEDaSU_SV_EUlSU_E_NS1_11comp_targetILNS1_3genE8ELNS1_11target_archE1030ELNS1_3gpuE2ELNS1_3repE0EEENS1_30default_config_static_selectorELNS0_4arch9wavefront6targetE0EEEvT1_.has_indirect_call, 0
	.section	.AMDGPU.csdata,"",@progbits
; Kernel info:
; codeLenInByte = 0
; TotalNumSgprs: 0
; NumVgprs: 0
; ScratchSize: 0
; MemoryBound: 0
; FloatMode: 240
; IeeeMode: 1
; LDSByteSize: 0 bytes/workgroup (compile time only)
; SGPRBlocks: 0
; VGPRBlocks: 0
; NumSGPRsForWavesPerEU: 1
; NumVGPRsForWavesPerEU: 1
; NamedBarCnt: 0
; Occupancy: 16
; WaveLimiterHint : 0
; COMPUTE_PGM_RSRC2:SCRATCH_EN: 0
; COMPUTE_PGM_RSRC2:USER_SGPR: 2
; COMPUTE_PGM_RSRC2:TRAP_HANDLER: 0
; COMPUTE_PGM_RSRC2:TGID_X_EN: 1
; COMPUTE_PGM_RSRC2:TGID_Y_EN: 0
; COMPUTE_PGM_RSRC2:TGID_Z_EN: 0
; COMPUTE_PGM_RSRC2:TIDIG_COMP_CNT: 0
	.section	.text._ZN7rocprim17ROCPRIM_400000_NS6detail17trampoline_kernelINS0_14default_configENS1_33run_length_encode_config_selectorIajNS0_4plusIjEEEEZZNS1_33reduce_by_key_impl_wrapped_configILNS1_25lookback_scan_determinismE0ES3_S7_PKaNS0_17constant_iteratorIjlEEPaPlSF_S6_NS0_8equal_toIaEEEE10hipError_tPvRmT2_T3_mT4_T5_T6_T7_T8_P12ihipStream_tbENKUlT_T0_E_clISt17integral_constantIbLb1EESY_IbLb0EEEEDaSU_SV_EUlSU_E_NS1_11comp_targetILNS1_3genE0ELNS1_11target_archE4294967295ELNS1_3gpuE0ELNS1_3repE0EEENS1_30default_config_static_selectorELNS0_4arch9wavefront6targetE0EEEvT1_,"axG",@progbits,_ZN7rocprim17ROCPRIM_400000_NS6detail17trampoline_kernelINS0_14default_configENS1_33run_length_encode_config_selectorIajNS0_4plusIjEEEEZZNS1_33reduce_by_key_impl_wrapped_configILNS1_25lookback_scan_determinismE0ES3_S7_PKaNS0_17constant_iteratorIjlEEPaPlSF_S6_NS0_8equal_toIaEEEE10hipError_tPvRmT2_T3_mT4_T5_T6_T7_T8_P12ihipStream_tbENKUlT_T0_E_clISt17integral_constantIbLb1EESY_IbLb0EEEEDaSU_SV_EUlSU_E_NS1_11comp_targetILNS1_3genE0ELNS1_11target_archE4294967295ELNS1_3gpuE0ELNS1_3repE0EEENS1_30default_config_static_selectorELNS0_4arch9wavefront6targetE0EEEvT1_,comdat
	.protected	_ZN7rocprim17ROCPRIM_400000_NS6detail17trampoline_kernelINS0_14default_configENS1_33run_length_encode_config_selectorIajNS0_4plusIjEEEEZZNS1_33reduce_by_key_impl_wrapped_configILNS1_25lookback_scan_determinismE0ES3_S7_PKaNS0_17constant_iteratorIjlEEPaPlSF_S6_NS0_8equal_toIaEEEE10hipError_tPvRmT2_T3_mT4_T5_T6_T7_T8_P12ihipStream_tbENKUlT_T0_E_clISt17integral_constantIbLb1EESY_IbLb0EEEEDaSU_SV_EUlSU_E_NS1_11comp_targetILNS1_3genE0ELNS1_11target_archE4294967295ELNS1_3gpuE0ELNS1_3repE0EEENS1_30default_config_static_selectorELNS0_4arch9wavefront6targetE0EEEvT1_ ; -- Begin function _ZN7rocprim17ROCPRIM_400000_NS6detail17trampoline_kernelINS0_14default_configENS1_33run_length_encode_config_selectorIajNS0_4plusIjEEEEZZNS1_33reduce_by_key_impl_wrapped_configILNS1_25lookback_scan_determinismE0ES3_S7_PKaNS0_17constant_iteratorIjlEEPaPlSF_S6_NS0_8equal_toIaEEEE10hipError_tPvRmT2_T3_mT4_T5_T6_T7_T8_P12ihipStream_tbENKUlT_T0_E_clISt17integral_constantIbLb1EESY_IbLb0EEEEDaSU_SV_EUlSU_E_NS1_11comp_targetILNS1_3genE0ELNS1_11target_archE4294967295ELNS1_3gpuE0ELNS1_3repE0EEENS1_30default_config_static_selectorELNS0_4arch9wavefront6targetE0EEEvT1_
	.globl	_ZN7rocprim17ROCPRIM_400000_NS6detail17trampoline_kernelINS0_14default_configENS1_33run_length_encode_config_selectorIajNS0_4plusIjEEEEZZNS1_33reduce_by_key_impl_wrapped_configILNS1_25lookback_scan_determinismE0ES3_S7_PKaNS0_17constant_iteratorIjlEEPaPlSF_S6_NS0_8equal_toIaEEEE10hipError_tPvRmT2_T3_mT4_T5_T6_T7_T8_P12ihipStream_tbENKUlT_T0_E_clISt17integral_constantIbLb1EESY_IbLb0EEEEDaSU_SV_EUlSU_E_NS1_11comp_targetILNS1_3genE0ELNS1_11target_archE4294967295ELNS1_3gpuE0ELNS1_3repE0EEENS1_30default_config_static_selectorELNS0_4arch9wavefront6targetE0EEEvT1_
	.p2align	8
	.type	_ZN7rocprim17ROCPRIM_400000_NS6detail17trampoline_kernelINS0_14default_configENS1_33run_length_encode_config_selectorIajNS0_4plusIjEEEEZZNS1_33reduce_by_key_impl_wrapped_configILNS1_25lookback_scan_determinismE0ES3_S7_PKaNS0_17constant_iteratorIjlEEPaPlSF_S6_NS0_8equal_toIaEEEE10hipError_tPvRmT2_T3_mT4_T5_T6_T7_T8_P12ihipStream_tbENKUlT_T0_E_clISt17integral_constantIbLb1EESY_IbLb0EEEEDaSU_SV_EUlSU_E_NS1_11comp_targetILNS1_3genE0ELNS1_11target_archE4294967295ELNS1_3gpuE0ELNS1_3repE0EEENS1_30default_config_static_selectorELNS0_4arch9wavefront6targetE0EEEvT1_,@function
_ZN7rocprim17ROCPRIM_400000_NS6detail17trampoline_kernelINS0_14default_configENS1_33run_length_encode_config_selectorIajNS0_4plusIjEEEEZZNS1_33reduce_by_key_impl_wrapped_configILNS1_25lookback_scan_determinismE0ES3_S7_PKaNS0_17constant_iteratorIjlEEPaPlSF_S6_NS0_8equal_toIaEEEE10hipError_tPvRmT2_T3_mT4_T5_T6_T7_T8_P12ihipStream_tbENKUlT_T0_E_clISt17integral_constantIbLb1EESY_IbLb0EEEEDaSU_SV_EUlSU_E_NS1_11comp_targetILNS1_3genE0ELNS1_11target_archE4294967295ELNS1_3gpuE0ELNS1_3repE0EEENS1_30default_config_static_selectorELNS0_4arch9wavefront6targetE0EEEvT1_: ; @_ZN7rocprim17ROCPRIM_400000_NS6detail17trampoline_kernelINS0_14default_configENS1_33run_length_encode_config_selectorIajNS0_4plusIjEEEEZZNS1_33reduce_by_key_impl_wrapped_configILNS1_25lookback_scan_determinismE0ES3_S7_PKaNS0_17constant_iteratorIjlEEPaPlSF_S6_NS0_8equal_toIaEEEE10hipError_tPvRmT2_T3_mT4_T5_T6_T7_T8_P12ihipStream_tbENKUlT_T0_E_clISt17integral_constantIbLb1EESY_IbLb0EEEEDaSU_SV_EUlSU_E_NS1_11comp_targetILNS1_3genE0ELNS1_11target_archE4294967295ELNS1_3gpuE0ELNS1_3repE0EEENS1_30default_config_static_selectorELNS0_4arch9wavefront6targetE0EEEvT1_
; %bb.0:
	s_endpgm
	.section	.rodata,"a",@progbits
	.p2align	6, 0x0
	.amdhsa_kernel _ZN7rocprim17ROCPRIM_400000_NS6detail17trampoline_kernelINS0_14default_configENS1_33run_length_encode_config_selectorIajNS0_4plusIjEEEEZZNS1_33reduce_by_key_impl_wrapped_configILNS1_25lookback_scan_determinismE0ES3_S7_PKaNS0_17constant_iteratorIjlEEPaPlSF_S6_NS0_8equal_toIaEEEE10hipError_tPvRmT2_T3_mT4_T5_T6_T7_T8_P12ihipStream_tbENKUlT_T0_E_clISt17integral_constantIbLb1EESY_IbLb0EEEEDaSU_SV_EUlSU_E_NS1_11comp_targetILNS1_3genE0ELNS1_11target_archE4294967295ELNS1_3gpuE0ELNS1_3repE0EEENS1_30default_config_static_selectorELNS0_4arch9wavefront6targetE0EEEvT1_
		.amdhsa_group_segment_fixed_size 0
		.amdhsa_private_segment_fixed_size 0
		.amdhsa_kernarg_size 128
		.amdhsa_user_sgpr_count 2
		.amdhsa_user_sgpr_dispatch_ptr 0
		.amdhsa_user_sgpr_queue_ptr 0
		.amdhsa_user_sgpr_kernarg_segment_ptr 1
		.amdhsa_user_sgpr_dispatch_id 0
		.amdhsa_user_sgpr_kernarg_preload_length 0
		.amdhsa_user_sgpr_kernarg_preload_offset 0
		.amdhsa_user_sgpr_private_segment_size 0
		.amdhsa_wavefront_size32 1
		.amdhsa_uses_dynamic_stack 0
		.amdhsa_enable_private_segment 0
		.amdhsa_system_sgpr_workgroup_id_x 1
		.amdhsa_system_sgpr_workgroup_id_y 0
		.amdhsa_system_sgpr_workgroup_id_z 0
		.amdhsa_system_sgpr_workgroup_info 0
		.amdhsa_system_vgpr_workitem_id 0
		.amdhsa_next_free_vgpr 1
		.amdhsa_next_free_sgpr 1
		.amdhsa_named_barrier_count 0
		.amdhsa_reserve_vcc 0
		.amdhsa_float_round_mode_32 0
		.amdhsa_float_round_mode_16_64 0
		.amdhsa_float_denorm_mode_32 3
		.amdhsa_float_denorm_mode_16_64 3
		.amdhsa_fp16_overflow 0
		.amdhsa_memory_ordered 1
		.amdhsa_forward_progress 1
		.amdhsa_inst_pref_size 1
		.amdhsa_round_robin_scheduling 0
		.amdhsa_exception_fp_ieee_invalid_op 0
		.amdhsa_exception_fp_denorm_src 0
		.amdhsa_exception_fp_ieee_div_zero 0
		.amdhsa_exception_fp_ieee_overflow 0
		.amdhsa_exception_fp_ieee_underflow 0
		.amdhsa_exception_fp_ieee_inexact 0
		.amdhsa_exception_int_div_zero 0
	.end_amdhsa_kernel
	.section	.text._ZN7rocprim17ROCPRIM_400000_NS6detail17trampoline_kernelINS0_14default_configENS1_33run_length_encode_config_selectorIajNS0_4plusIjEEEEZZNS1_33reduce_by_key_impl_wrapped_configILNS1_25lookback_scan_determinismE0ES3_S7_PKaNS0_17constant_iteratorIjlEEPaPlSF_S6_NS0_8equal_toIaEEEE10hipError_tPvRmT2_T3_mT4_T5_T6_T7_T8_P12ihipStream_tbENKUlT_T0_E_clISt17integral_constantIbLb1EESY_IbLb0EEEEDaSU_SV_EUlSU_E_NS1_11comp_targetILNS1_3genE0ELNS1_11target_archE4294967295ELNS1_3gpuE0ELNS1_3repE0EEENS1_30default_config_static_selectorELNS0_4arch9wavefront6targetE0EEEvT1_,"axG",@progbits,_ZN7rocprim17ROCPRIM_400000_NS6detail17trampoline_kernelINS0_14default_configENS1_33run_length_encode_config_selectorIajNS0_4plusIjEEEEZZNS1_33reduce_by_key_impl_wrapped_configILNS1_25lookback_scan_determinismE0ES3_S7_PKaNS0_17constant_iteratorIjlEEPaPlSF_S6_NS0_8equal_toIaEEEE10hipError_tPvRmT2_T3_mT4_T5_T6_T7_T8_P12ihipStream_tbENKUlT_T0_E_clISt17integral_constantIbLb1EESY_IbLb0EEEEDaSU_SV_EUlSU_E_NS1_11comp_targetILNS1_3genE0ELNS1_11target_archE4294967295ELNS1_3gpuE0ELNS1_3repE0EEENS1_30default_config_static_selectorELNS0_4arch9wavefront6targetE0EEEvT1_,comdat
.Lfunc_end253:
	.size	_ZN7rocprim17ROCPRIM_400000_NS6detail17trampoline_kernelINS0_14default_configENS1_33run_length_encode_config_selectorIajNS0_4plusIjEEEEZZNS1_33reduce_by_key_impl_wrapped_configILNS1_25lookback_scan_determinismE0ES3_S7_PKaNS0_17constant_iteratorIjlEEPaPlSF_S6_NS0_8equal_toIaEEEE10hipError_tPvRmT2_T3_mT4_T5_T6_T7_T8_P12ihipStream_tbENKUlT_T0_E_clISt17integral_constantIbLb1EESY_IbLb0EEEEDaSU_SV_EUlSU_E_NS1_11comp_targetILNS1_3genE0ELNS1_11target_archE4294967295ELNS1_3gpuE0ELNS1_3repE0EEENS1_30default_config_static_selectorELNS0_4arch9wavefront6targetE0EEEvT1_, .Lfunc_end253-_ZN7rocprim17ROCPRIM_400000_NS6detail17trampoline_kernelINS0_14default_configENS1_33run_length_encode_config_selectorIajNS0_4plusIjEEEEZZNS1_33reduce_by_key_impl_wrapped_configILNS1_25lookback_scan_determinismE0ES3_S7_PKaNS0_17constant_iteratorIjlEEPaPlSF_S6_NS0_8equal_toIaEEEE10hipError_tPvRmT2_T3_mT4_T5_T6_T7_T8_P12ihipStream_tbENKUlT_T0_E_clISt17integral_constantIbLb1EESY_IbLb0EEEEDaSU_SV_EUlSU_E_NS1_11comp_targetILNS1_3genE0ELNS1_11target_archE4294967295ELNS1_3gpuE0ELNS1_3repE0EEENS1_30default_config_static_selectorELNS0_4arch9wavefront6targetE0EEEvT1_
                                        ; -- End function
	.set _ZN7rocprim17ROCPRIM_400000_NS6detail17trampoline_kernelINS0_14default_configENS1_33run_length_encode_config_selectorIajNS0_4plusIjEEEEZZNS1_33reduce_by_key_impl_wrapped_configILNS1_25lookback_scan_determinismE0ES3_S7_PKaNS0_17constant_iteratorIjlEEPaPlSF_S6_NS0_8equal_toIaEEEE10hipError_tPvRmT2_T3_mT4_T5_T6_T7_T8_P12ihipStream_tbENKUlT_T0_E_clISt17integral_constantIbLb1EESY_IbLb0EEEEDaSU_SV_EUlSU_E_NS1_11comp_targetILNS1_3genE0ELNS1_11target_archE4294967295ELNS1_3gpuE0ELNS1_3repE0EEENS1_30default_config_static_selectorELNS0_4arch9wavefront6targetE0EEEvT1_.num_vgpr, 0
	.set _ZN7rocprim17ROCPRIM_400000_NS6detail17trampoline_kernelINS0_14default_configENS1_33run_length_encode_config_selectorIajNS0_4plusIjEEEEZZNS1_33reduce_by_key_impl_wrapped_configILNS1_25lookback_scan_determinismE0ES3_S7_PKaNS0_17constant_iteratorIjlEEPaPlSF_S6_NS0_8equal_toIaEEEE10hipError_tPvRmT2_T3_mT4_T5_T6_T7_T8_P12ihipStream_tbENKUlT_T0_E_clISt17integral_constantIbLb1EESY_IbLb0EEEEDaSU_SV_EUlSU_E_NS1_11comp_targetILNS1_3genE0ELNS1_11target_archE4294967295ELNS1_3gpuE0ELNS1_3repE0EEENS1_30default_config_static_selectorELNS0_4arch9wavefront6targetE0EEEvT1_.num_agpr, 0
	.set _ZN7rocprim17ROCPRIM_400000_NS6detail17trampoline_kernelINS0_14default_configENS1_33run_length_encode_config_selectorIajNS0_4plusIjEEEEZZNS1_33reduce_by_key_impl_wrapped_configILNS1_25lookback_scan_determinismE0ES3_S7_PKaNS0_17constant_iteratorIjlEEPaPlSF_S6_NS0_8equal_toIaEEEE10hipError_tPvRmT2_T3_mT4_T5_T6_T7_T8_P12ihipStream_tbENKUlT_T0_E_clISt17integral_constantIbLb1EESY_IbLb0EEEEDaSU_SV_EUlSU_E_NS1_11comp_targetILNS1_3genE0ELNS1_11target_archE4294967295ELNS1_3gpuE0ELNS1_3repE0EEENS1_30default_config_static_selectorELNS0_4arch9wavefront6targetE0EEEvT1_.numbered_sgpr, 0
	.set _ZN7rocprim17ROCPRIM_400000_NS6detail17trampoline_kernelINS0_14default_configENS1_33run_length_encode_config_selectorIajNS0_4plusIjEEEEZZNS1_33reduce_by_key_impl_wrapped_configILNS1_25lookback_scan_determinismE0ES3_S7_PKaNS0_17constant_iteratorIjlEEPaPlSF_S6_NS0_8equal_toIaEEEE10hipError_tPvRmT2_T3_mT4_T5_T6_T7_T8_P12ihipStream_tbENKUlT_T0_E_clISt17integral_constantIbLb1EESY_IbLb0EEEEDaSU_SV_EUlSU_E_NS1_11comp_targetILNS1_3genE0ELNS1_11target_archE4294967295ELNS1_3gpuE0ELNS1_3repE0EEENS1_30default_config_static_selectorELNS0_4arch9wavefront6targetE0EEEvT1_.num_named_barrier, 0
	.set _ZN7rocprim17ROCPRIM_400000_NS6detail17trampoline_kernelINS0_14default_configENS1_33run_length_encode_config_selectorIajNS0_4plusIjEEEEZZNS1_33reduce_by_key_impl_wrapped_configILNS1_25lookback_scan_determinismE0ES3_S7_PKaNS0_17constant_iteratorIjlEEPaPlSF_S6_NS0_8equal_toIaEEEE10hipError_tPvRmT2_T3_mT4_T5_T6_T7_T8_P12ihipStream_tbENKUlT_T0_E_clISt17integral_constantIbLb1EESY_IbLb0EEEEDaSU_SV_EUlSU_E_NS1_11comp_targetILNS1_3genE0ELNS1_11target_archE4294967295ELNS1_3gpuE0ELNS1_3repE0EEENS1_30default_config_static_selectorELNS0_4arch9wavefront6targetE0EEEvT1_.private_seg_size, 0
	.set _ZN7rocprim17ROCPRIM_400000_NS6detail17trampoline_kernelINS0_14default_configENS1_33run_length_encode_config_selectorIajNS0_4plusIjEEEEZZNS1_33reduce_by_key_impl_wrapped_configILNS1_25lookback_scan_determinismE0ES3_S7_PKaNS0_17constant_iteratorIjlEEPaPlSF_S6_NS0_8equal_toIaEEEE10hipError_tPvRmT2_T3_mT4_T5_T6_T7_T8_P12ihipStream_tbENKUlT_T0_E_clISt17integral_constantIbLb1EESY_IbLb0EEEEDaSU_SV_EUlSU_E_NS1_11comp_targetILNS1_3genE0ELNS1_11target_archE4294967295ELNS1_3gpuE0ELNS1_3repE0EEENS1_30default_config_static_selectorELNS0_4arch9wavefront6targetE0EEEvT1_.uses_vcc, 0
	.set _ZN7rocprim17ROCPRIM_400000_NS6detail17trampoline_kernelINS0_14default_configENS1_33run_length_encode_config_selectorIajNS0_4plusIjEEEEZZNS1_33reduce_by_key_impl_wrapped_configILNS1_25lookback_scan_determinismE0ES3_S7_PKaNS0_17constant_iteratorIjlEEPaPlSF_S6_NS0_8equal_toIaEEEE10hipError_tPvRmT2_T3_mT4_T5_T6_T7_T8_P12ihipStream_tbENKUlT_T0_E_clISt17integral_constantIbLb1EESY_IbLb0EEEEDaSU_SV_EUlSU_E_NS1_11comp_targetILNS1_3genE0ELNS1_11target_archE4294967295ELNS1_3gpuE0ELNS1_3repE0EEENS1_30default_config_static_selectorELNS0_4arch9wavefront6targetE0EEEvT1_.uses_flat_scratch, 0
	.set _ZN7rocprim17ROCPRIM_400000_NS6detail17trampoline_kernelINS0_14default_configENS1_33run_length_encode_config_selectorIajNS0_4plusIjEEEEZZNS1_33reduce_by_key_impl_wrapped_configILNS1_25lookback_scan_determinismE0ES3_S7_PKaNS0_17constant_iteratorIjlEEPaPlSF_S6_NS0_8equal_toIaEEEE10hipError_tPvRmT2_T3_mT4_T5_T6_T7_T8_P12ihipStream_tbENKUlT_T0_E_clISt17integral_constantIbLb1EESY_IbLb0EEEEDaSU_SV_EUlSU_E_NS1_11comp_targetILNS1_3genE0ELNS1_11target_archE4294967295ELNS1_3gpuE0ELNS1_3repE0EEENS1_30default_config_static_selectorELNS0_4arch9wavefront6targetE0EEEvT1_.has_dyn_sized_stack, 0
	.set _ZN7rocprim17ROCPRIM_400000_NS6detail17trampoline_kernelINS0_14default_configENS1_33run_length_encode_config_selectorIajNS0_4plusIjEEEEZZNS1_33reduce_by_key_impl_wrapped_configILNS1_25lookback_scan_determinismE0ES3_S7_PKaNS0_17constant_iteratorIjlEEPaPlSF_S6_NS0_8equal_toIaEEEE10hipError_tPvRmT2_T3_mT4_T5_T6_T7_T8_P12ihipStream_tbENKUlT_T0_E_clISt17integral_constantIbLb1EESY_IbLb0EEEEDaSU_SV_EUlSU_E_NS1_11comp_targetILNS1_3genE0ELNS1_11target_archE4294967295ELNS1_3gpuE0ELNS1_3repE0EEENS1_30default_config_static_selectorELNS0_4arch9wavefront6targetE0EEEvT1_.has_recursion, 0
	.set _ZN7rocprim17ROCPRIM_400000_NS6detail17trampoline_kernelINS0_14default_configENS1_33run_length_encode_config_selectorIajNS0_4plusIjEEEEZZNS1_33reduce_by_key_impl_wrapped_configILNS1_25lookback_scan_determinismE0ES3_S7_PKaNS0_17constant_iteratorIjlEEPaPlSF_S6_NS0_8equal_toIaEEEE10hipError_tPvRmT2_T3_mT4_T5_T6_T7_T8_P12ihipStream_tbENKUlT_T0_E_clISt17integral_constantIbLb1EESY_IbLb0EEEEDaSU_SV_EUlSU_E_NS1_11comp_targetILNS1_3genE0ELNS1_11target_archE4294967295ELNS1_3gpuE0ELNS1_3repE0EEENS1_30default_config_static_selectorELNS0_4arch9wavefront6targetE0EEEvT1_.has_indirect_call, 0
	.section	.AMDGPU.csdata,"",@progbits
; Kernel info:
; codeLenInByte = 4
; TotalNumSgprs: 0
; NumVgprs: 0
; ScratchSize: 0
; MemoryBound: 0
; FloatMode: 240
; IeeeMode: 1
; LDSByteSize: 0 bytes/workgroup (compile time only)
; SGPRBlocks: 0
; VGPRBlocks: 0
; NumSGPRsForWavesPerEU: 1
; NumVGPRsForWavesPerEU: 1
; NamedBarCnt: 0
; Occupancy: 16
; WaveLimiterHint : 0
; COMPUTE_PGM_RSRC2:SCRATCH_EN: 0
; COMPUTE_PGM_RSRC2:USER_SGPR: 2
; COMPUTE_PGM_RSRC2:TRAP_HANDLER: 0
; COMPUTE_PGM_RSRC2:TGID_X_EN: 1
; COMPUTE_PGM_RSRC2:TGID_Y_EN: 0
; COMPUTE_PGM_RSRC2:TGID_Z_EN: 0
; COMPUTE_PGM_RSRC2:TIDIG_COMP_CNT: 0
	.section	.text._ZN7rocprim17ROCPRIM_400000_NS6detail17trampoline_kernelINS0_14default_configENS1_33run_length_encode_config_selectorIajNS0_4plusIjEEEEZZNS1_33reduce_by_key_impl_wrapped_configILNS1_25lookback_scan_determinismE0ES3_S7_PKaNS0_17constant_iteratorIjlEEPaPlSF_S6_NS0_8equal_toIaEEEE10hipError_tPvRmT2_T3_mT4_T5_T6_T7_T8_P12ihipStream_tbENKUlT_T0_E_clISt17integral_constantIbLb1EESY_IbLb0EEEEDaSU_SV_EUlSU_E_NS1_11comp_targetILNS1_3genE5ELNS1_11target_archE942ELNS1_3gpuE9ELNS1_3repE0EEENS1_30default_config_static_selectorELNS0_4arch9wavefront6targetE0EEEvT1_,"axG",@progbits,_ZN7rocprim17ROCPRIM_400000_NS6detail17trampoline_kernelINS0_14default_configENS1_33run_length_encode_config_selectorIajNS0_4plusIjEEEEZZNS1_33reduce_by_key_impl_wrapped_configILNS1_25lookback_scan_determinismE0ES3_S7_PKaNS0_17constant_iteratorIjlEEPaPlSF_S6_NS0_8equal_toIaEEEE10hipError_tPvRmT2_T3_mT4_T5_T6_T7_T8_P12ihipStream_tbENKUlT_T0_E_clISt17integral_constantIbLb1EESY_IbLb0EEEEDaSU_SV_EUlSU_E_NS1_11comp_targetILNS1_3genE5ELNS1_11target_archE942ELNS1_3gpuE9ELNS1_3repE0EEENS1_30default_config_static_selectorELNS0_4arch9wavefront6targetE0EEEvT1_,comdat
	.protected	_ZN7rocprim17ROCPRIM_400000_NS6detail17trampoline_kernelINS0_14default_configENS1_33run_length_encode_config_selectorIajNS0_4plusIjEEEEZZNS1_33reduce_by_key_impl_wrapped_configILNS1_25lookback_scan_determinismE0ES3_S7_PKaNS0_17constant_iteratorIjlEEPaPlSF_S6_NS0_8equal_toIaEEEE10hipError_tPvRmT2_T3_mT4_T5_T6_T7_T8_P12ihipStream_tbENKUlT_T0_E_clISt17integral_constantIbLb1EESY_IbLb0EEEEDaSU_SV_EUlSU_E_NS1_11comp_targetILNS1_3genE5ELNS1_11target_archE942ELNS1_3gpuE9ELNS1_3repE0EEENS1_30default_config_static_selectorELNS0_4arch9wavefront6targetE0EEEvT1_ ; -- Begin function _ZN7rocprim17ROCPRIM_400000_NS6detail17trampoline_kernelINS0_14default_configENS1_33run_length_encode_config_selectorIajNS0_4plusIjEEEEZZNS1_33reduce_by_key_impl_wrapped_configILNS1_25lookback_scan_determinismE0ES3_S7_PKaNS0_17constant_iteratorIjlEEPaPlSF_S6_NS0_8equal_toIaEEEE10hipError_tPvRmT2_T3_mT4_T5_T6_T7_T8_P12ihipStream_tbENKUlT_T0_E_clISt17integral_constantIbLb1EESY_IbLb0EEEEDaSU_SV_EUlSU_E_NS1_11comp_targetILNS1_3genE5ELNS1_11target_archE942ELNS1_3gpuE9ELNS1_3repE0EEENS1_30default_config_static_selectorELNS0_4arch9wavefront6targetE0EEEvT1_
	.globl	_ZN7rocprim17ROCPRIM_400000_NS6detail17trampoline_kernelINS0_14default_configENS1_33run_length_encode_config_selectorIajNS0_4plusIjEEEEZZNS1_33reduce_by_key_impl_wrapped_configILNS1_25lookback_scan_determinismE0ES3_S7_PKaNS0_17constant_iteratorIjlEEPaPlSF_S6_NS0_8equal_toIaEEEE10hipError_tPvRmT2_T3_mT4_T5_T6_T7_T8_P12ihipStream_tbENKUlT_T0_E_clISt17integral_constantIbLb1EESY_IbLb0EEEEDaSU_SV_EUlSU_E_NS1_11comp_targetILNS1_3genE5ELNS1_11target_archE942ELNS1_3gpuE9ELNS1_3repE0EEENS1_30default_config_static_selectorELNS0_4arch9wavefront6targetE0EEEvT1_
	.p2align	8
	.type	_ZN7rocprim17ROCPRIM_400000_NS6detail17trampoline_kernelINS0_14default_configENS1_33run_length_encode_config_selectorIajNS0_4plusIjEEEEZZNS1_33reduce_by_key_impl_wrapped_configILNS1_25lookback_scan_determinismE0ES3_S7_PKaNS0_17constant_iteratorIjlEEPaPlSF_S6_NS0_8equal_toIaEEEE10hipError_tPvRmT2_T3_mT4_T5_T6_T7_T8_P12ihipStream_tbENKUlT_T0_E_clISt17integral_constantIbLb1EESY_IbLb0EEEEDaSU_SV_EUlSU_E_NS1_11comp_targetILNS1_3genE5ELNS1_11target_archE942ELNS1_3gpuE9ELNS1_3repE0EEENS1_30default_config_static_selectorELNS0_4arch9wavefront6targetE0EEEvT1_,@function
_ZN7rocprim17ROCPRIM_400000_NS6detail17trampoline_kernelINS0_14default_configENS1_33run_length_encode_config_selectorIajNS0_4plusIjEEEEZZNS1_33reduce_by_key_impl_wrapped_configILNS1_25lookback_scan_determinismE0ES3_S7_PKaNS0_17constant_iteratorIjlEEPaPlSF_S6_NS0_8equal_toIaEEEE10hipError_tPvRmT2_T3_mT4_T5_T6_T7_T8_P12ihipStream_tbENKUlT_T0_E_clISt17integral_constantIbLb1EESY_IbLb0EEEEDaSU_SV_EUlSU_E_NS1_11comp_targetILNS1_3genE5ELNS1_11target_archE942ELNS1_3gpuE9ELNS1_3repE0EEENS1_30default_config_static_selectorELNS0_4arch9wavefront6targetE0EEEvT1_: ; @_ZN7rocprim17ROCPRIM_400000_NS6detail17trampoline_kernelINS0_14default_configENS1_33run_length_encode_config_selectorIajNS0_4plusIjEEEEZZNS1_33reduce_by_key_impl_wrapped_configILNS1_25lookback_scan_determinismE0ES3_S7_PKaNS0_17constant_iteratorIjlEEPaPlSF_S6_NS0_8equal_toIaEEEE10hipError_tPvRmT2_T3_mT4_T5_T6_T7_T8_P12ihipStream_tbENKUlT_T0_E_clISt17integral_constantIbLb1EESY_IbLb0EEEEDaSU_SV_EUlSU_E_NS1_11comp_targetILNS1_3genE5ELNS1_11target_archE942ELNS1_3gpuE9ELNS1_3repE0EEENS1_30default_config_static_selectorELNS0_4arch9wavefront6targetE0EEEvT1_
; %bb.0:
	.section	.rodata,"a",@progbits
	.p2align	6, 0x0
	.amdhsa_kernel _ZN7rocprim17ROCPRIM_400000_NS6detail17trampoline_kernelINS0_14default_configENS1_33run_length_encode_config_selectorIajNS0_4plusIjEEEEZZNS1_33reduce_by_key_impl_wrapped_configILNS1_25lookback_scan_determinismE0ES3_S7_PKaNS0_17constant_iteratorIjlEEPaPlSF_S6_NS0_8equal_toIaEEEE10hipError_tPvRmT2_T3_mT4_T5_T6_T7_T8_P12ihipStream_tbENKUlT_T0_E_clISt17integral_constantIbLb1EESY_IbLb0EEEEDaSU_SV_EUlSU_E_NS1_11comp_targetILNS1_3genE5ELNS1_11target_archE942ELNS1_3gpuE9ELNS1_3repE0EEENS1_30default_config_static_selectorELNS0_4arch9wavefront6targetE0EEEvT1_
		.amdhsa_group_segment_fixed_size 0
		.amdhsa_private_segment_fixed_size 0
		.amdhsa_kernarg_size 128
		.amdhsa_user_sgpr_count 2
		.amdhsa_user_sgpr_dispatch_ptr 0
		.amdhsa_user_sgpr_queue_ptr 0
		.amdhsa_user_sgpr_kernarg_segment_ptr 1
		.amdhsa_user_sgpr_dispatch_id 0
		.amdhsa_user_sgpr_kernarg_preload_length 0
		.amdhsa_user_sgpr_kernarg_preload_offset 0
		.amdhsa_user_sgpr_private_segment_size 0
		.amdhsa_wavefront_size32 1
		.amdhsa_uses_dynamic_stack 0
		.amdhsa_enable_private_segment 0
		.amdhsa_system_sgpr_workgroup_id_x 1
		.amdhsa_system_sgpr_workgroup_id_y 0
		.amdhsa_system_sgpr_workgroup_id_z 0
		.amdhsa_system_sgpr_workgroup_info 0
		.amdhsa_system_vgpr_workitem_id 0
		.amdhsa_next_free_vgpr 1
		.amdhsa_next_free_sgpr 1
		.amdhsa_named_barrier_count 0
		.amdhsa_reserve_vcc 0
		.amdhsa_float_round_mode_32 0
		.amdhsa_float_round_mode_16_64 0
		.amdhsa_float_denorm_mode_32 3
		.amdhsa_float_denorm_mode_16_64 3
		.amdhsa_fp16_overflow 0
		.amdhsa_memory_ordered 1
		.amdhsa_forward_progress 1
		.amdhsa_inst_pref_size 0
		.amdhsa_round_robin_scheduling 0
		.amdhsa_exception_fp_ieee_invalid_op 0
		.amdhsa_exception_fp_denorm_src 0
		.amdhsa_exception_fp_ieee_div_zero 0
		.amdhsa_exception_fp_ieee_overflow 0
		.amdhsa_exception_fp_ieee_underflow 0
		.amdhsa_exception_fp_ieee_inexact 0
		.amdhsa_exception_int_div_zero 0
	.end_amdhsa_kernel
	.section	.text._ZN7rocprim17ROCPRIM_400000_NS6detail17trampoline_kernelINS0_14default_configENS1_33run_length_encode_config_selectorIajNS0_4plusIjEEEEZZNS1_33reduce_by_key_impl_wrapped_configILNS1_25lookback_scan_determinismE0ES3_S7_PKaNS0_17constant_iteratorIjlEEPaPlSF_S6_NS0_8equal_toIaEEEE10hipError_tPvRmT2_T3_mT4_T5_T6_T7_T8_P12ihipStream_tbENKUlT_T0_E_clISt17integral_constantIbLb1EESY_IbLb0EEEEDaSU_SV_EUlSU_E_NS1_11comp_targetILNS1_3genE5ELNS1_11target_archE942ELNS1_3gpuE9ELNS1_3repE0EEENS1_30default_config_static_selectorELNS0_4arch9wavefront6targetE0EEEvT1_,"axG",@progbits,_ZN7rocprim17ROCPRIM_400000_NS6detail17trampoline_kernelINS0_14default_configENS1_33run_length_encode_config_selectorIajNS0_4plusIjEEEEZZNS1_33reduce_by_key_impl_wrapped_configILNS1_25lookback_scan_determinismE0ES3_S7_PKaNS0_17constant_iteratorIjlEEPaPlSF_S6_NS0_8equal_toIaEEEE10hipError_tPvRmT2_T3_mT4_T5_T6_T7_T8_P12ihipStream_tbENKUlT_T0_E_clISt17integral_constantIbLb1EESY_IbLb0EEEEDaSU_SV_EUlSU_E_NS1_11comp_targetILNS1_3genE5ELNS1_11target_archE942ELNS1_3gpuE9ELNS1_3repE0EEENS1_30default_config_static_selectorELNS0_4arch9wavefront6targetE0EEEvT1_,comdat
.Lfunc_end254:
	.size	_ZN7rocprim17ROCPRIM_400000_NS6detail17trampoline_kernelINS0_14default_configENS1_33run_length_encode_config_selectorIajNS0_4plusIjEEEEZZNS1_33reduce_by_key_impl_wrapped_configILNS1_25lookback_scan_determinismE0ES3_S7_PKaNS0_17constant_iteratorIjlEEPaPlSF_S6_NS0_8equal_toIaEEEE10hipError_tPvRmT2_T3_mT4_T5_T6_T7_T8_P12ihipStream_tbENKUlT_T0_E_clISt17integral_constantIbLb1EESY_IbLb0EEEEDaSU_SV_EUlSU_E_NS1_11comp_targetILNS1_3genE5ELNS1_11target_archE942ELNS1_3gpuE9ELNS1_3repE0EEENS1_30default_config_static_selectorELNS0_4arch9wavefront6targetE0EEEvT1_, .Lfunc_end254-_ZN7rocprim17ROCPRIM_400000_NS6detail17trampoline_kernelINS0_14default_configENS1_33run_length_encode_config_selectorIajNS0_4plusIjEEEEZZNS1_33reduce_by_key_impl_wrapped_configILNS1_25lookback_scan_determinismE0ES3_S7_PKaNS0_17constant_iteratorIjlEEPaPlSF_S6_NS0_8equal_toIaEEEE10hipError_tPvRmT2_T3_mT4_T5_T6_T7_T8_P12ihipStream_tbENKUlT_T0_E_clISt17integral_constantIbLb1EESY_IbLb0EEEEDaSU_SV_EUlSU_E_NS1_11comp_targetILNS1_3genE5ELNS1_11target_archE942ELNS1_3gpuE9ELNS1_3repE0EEENS1_30default_config_static_selectorELNS0_4arch9wavefront6targetE0EEEvT1_
                                        ; -- End function
	.set _ZN7rocprim17ROCPRIM_400000_NS6detail17trampoline_kernelINS0_14default_configENS1_33run_length_encode_config_selectorIajNS0_4plusIjEEEEZZNS1_33reduce_by_key_impl_wrapped_configILNS1_25lookback_scan_determinismE0ES3_S7_PKaNS0_17constant_iteratorIjlEEPaPlSF_S6_NS0_8equal_toIaEEEE10hipError_tPvRmT2_T3_mT4_T5_T6_T7_T8_P12ihipStream_tbENKUlT_T0_E_clISt17integral_constantIbLb1EESY_IbLb0EEEEDaSU_SV_EUlSU_E_NS1_11comp_targetILNS1_3genE5ELNS1_11target_archE942ELNS1_3gpuE9ELNS1_3repE0EEENS1_30default_config_static_selectorELNS0_4arch9wavefront6targetE0EEEvT1_.num_vgpr, 0
	.set _ZN7rocprim17ROCPRIM_400000_NS6detail17trampoline_kernelINS0_14default_configENS1_33run_length_encode_config_selectorIajNS0_4plusIjEEEEZZNS1_33reduce_by_key_impl_wrapped_configILNS1_25lookback_scan_determinismE0ES3_S7_PKaNS0_17constant_iteratorIjlEEPaPlSF_S6_NS0_8equal_toIaEEEE10hipError_tPvRmT2_T3_mT4_T5_T6_T7_T8_P12ihipStream_tbENKUlT_T0_E_clISt17integral_constantIbLb1EESY_IbLb0EEEEDaSU_SV_EUlSU_E_NS1_11comp_targetILNS1_3genE5ELNS1_11target_archE942ELNS1_3gpuE9ELNS1_3repE0EEENS1_30default_config_static_selectorELNS0_4arch9wavefront6targetE0EEEvT1_.num_agpr, 0
	.set _ZN7rocprim17ROCPRIM_400000_NS6detail17trampoline_kernelINS0_14default_configENS1_33run_length_encode_config_selectorIajNS0_4plusIjEEEEZZNS1_33reduce_by_key_impl_wrapped_configILNS1_25lookback_scan_determinismE0ES3_S7_PKaNS0_17constant_iteratorIjlEEPaPlSF_S6_NS0_8equal_toIaEEEE10hipError_tPvRmT2_T3_mT4_T5_T6_T7_T8_P12ihipStream_tbENKUlT_T0_E_clISt17integral_constantIbLb1EESY_IbLb0EEEEDaSU_SV_EUlSU_E_NS1_11comp_targetILNS1_3genE5ELNS1_11target_archE942ELNS1_3gpuE9ELNS1_3repE0EEENS1_30default_config_static_selectorELNS0_4arch9wavefront6targetE0EEEvT1_.numbered_sgpr, 0
	.set _ZN7rocprim17ROCPRIM_400000_NS6detail17trampoline_kernelINS0_14default_configENS1_33run_length_encode_config_selectorIajNS0_4plusIjEEEEZZNS1_33reduce_by_key_impl_wrapped_configILNS1_25lookback_scan_determinismE0ES3_S7_PKaNS0_17constant_iteratorIjlEEPaPlSF_S6_NS0_8equal_toIaEEEE10hipError_tPvRmT2_T3_mT4_T5_T6_T7_T8_P12ihipStream_tbENKUlT_T0_E_clISt17integral_constantIbLb1EESY_IbLb0EEEEDaSU_SV_EUlSU_E_NS1_11comp_targetILNS1_3genE5ELNS1_11target_archE942ELNS1_3gpuE9ELNS1_3repE0EEENS1_30default_config_static_selectorELNS0_4arch9wavefront6targetE0EEEvT1_.num_named_barrier, 0
	.set _ZN7rocprim17ROCPRIM_400000_NS6detail17trampoline_kernelINS0_14default_configENS1_33run_length_encode_config_selectorIajNS0_4plusIjEEEEZZNS1_33reduce_by_key_impl_wrapped_configILNS1_25lookback_scan_determinismE0ES3_S7_PKaNS0_17constant_iteratorIjlEEPaPlSF_S6_NS0_8equal_toIaEEEE10hipError_tPvRmT2_T3_mT4_T5_T6_T7_T8_P12ihipStream_tbENKUlT_T0_E_clISt17integral_constantIbLb1EESY_IbLb0EEEEDaSU_SV_EUlSU_E_NS1_11comp_targetILNS1_3genE5ELNS1_11target_archE942ELNS1_3gpuE9ELNS1_3repE0EEENS1_30default_config_static_selectorELNS0_4arch9wavefront6targetE0EEEvT1_.private_seg_size, 0
	.set _ZN7rocprim17ROCPRIM_400000_NS6detail17trampoline_kernelINS0_14default_configENS1_33run_length_encode_config_selectorIajNS0_4plusIjEEEEZZNS1_33reduce_by_key_impl_wrapped_configILNS1_25lookback_scan_determinismE0ES3_S7_PKaNS0_17constant_iteratorIjlEEPaPlSF_S6_NS0_8equal_toIaEEEE10hipError_tPvRmT2_T3_mT4_T5_T6_T7_T8_P12ihipStream_tbENKUlT_T0_E_clISt17integral_constantIbLb1EESY_IbLb0EEEEDaSU_SV_EUlSU_E_NS1_11comp_targetILNS1_3genE5ELNS1_11target_archE942ELNS1_3gpuE9ELNS1_3repE0EEENS1_30default_config_static_selectorELNS0_4arch9wavefront6targetE0EEEvT1_.uses_vcc, 0
	.set _ZN7rocprim17ROCPRIM_400000_NS6detail17trampoline_kernelINS0_14default_configENS1_33run_length_encode_config_selectorIajNS0_4plusIjEEEEZZNS1_33reduce_by_key_impl_wrapped_configILNS1_25lookback_scan_determinismE0ES3_S7_PKaNS0_17constant_iteratorIjlEEPaPlSF_S6_NS0_8equal_toIaEEEE10hipError_tPvRmT2_T3_mT4_T5_T6_T7_T8_P12ihipStream_tbENKUlT_T0_E_clISt17integral_constantIbLb1EESY_IbLb0EEEEDaSU_SV_EUlSU_E_NS1_11comp_targetILNS1_3genE5ELNS1_11target_archE942ELNS1_3gpuE9ELNS1_3repE0EEENS1_30default_config_static_selectorELNS0_4arch9wavefront6targetE0EEEvT1_.uses_flat_scratch, 0
	.set _ZN7rocprim17ROCPRIM_400000_NS6detail17trampoline_kernelINS0_14default_configENS1_33run_length_encode_config_selectorIajNS0_4plusIjEEEEZZNS1_33reduce_by_key_impl_wrapped_configILNS1_25lookback_scan_determinismE0ES3_S7_PKaNS0_17constant_iteratorIjlEEPaPlSF_S6_NS0_8equal_toIaEEEE10hipError_tPvRmT2_T3_mT4_T5_T6_T7_T8_P12ihipStream_tbENKUlT_T0_E_clISt17integral_constantIbLb1EESY_IbLb0EEEEDaSU_SV_EUlSU_E_NS1_11comp_targetILNS1_3genE5ELNS1_11target_archE942ELNS1_3gpuE9ELNS1_3repE0EEENS1_30default_config_static_selectorELNS0_4arch9wavefront6targetE0EEEvT1_.has_dyn_sized_stack, 0
	.set _ZN7rocprim17ROCPRIM_400000_NS6detail17trampoline_kernelINS0_14default_configENS1_33run_length_encode_config_selectorIajNS0_4plusIjEEEEZZNS1_33reduce_by_key_impl_wrapped_configILNS1_25lookback_scan_determinismE0ES3_S7_PKaNS0_17constant_iteratorIjlEEPaPlSF_S6_NS0_8equal_toIaEEEE10hipError_tPvRmT2_T3_mT4_T5_T6_T7_T8_P12ihipStream_tbENKUlT_T0_E_clISt17integral_constantIbLb1EESY_IbLb0EEEEDaSU_SV_EUlSU_E_NS1_11comp_targetILNS1_3genE5ELNS1_11target_archE942ELNS1_3gpuE9ELNS1_3repE0EEENS1_30default_config_static_selectorELNS0_4arch9wavefront6targetE0EEEvT1_.has_recursion, 0
	.set _ZN7rocprim17ROCPRIM_400000_NS6detail17trampoline_kernelINS0_14default_configENS1_33run_length_encode_config_selectorIajNS0_4plusIjEEEEZZNS1_33reduce_by_key_impl_wrapped_configILNS1_25lookback_scan_determinismE0ES3_S7_PKaNS0_17constant_iteratorIjlEEPaPlSF_S6_NS0_8equal_toIaEEEE10hipError_tPvRmT2_T3_mT4_T5_T6_T7_T8_P12ihipStream_tbENKUlT_T0_E_clISt17integral_constantIbLb1EESY_IbLb0EEEEDaSU_SV_EUlSU_E_NS1_11comp_targetILNS1_3genE5ELNS1_11target_archE942ELNS1_3gpuE9ELNS1_3repE0EEENS1_30default_config_static_selectorELNS0_4arch9wavefront6targetE0EEEvT1_.has_indirect_call, 0
	.section	.AMDGPU.csdata,"",@progbits
; Kernel info:
; codeLenInByte = 0
; TotalNumSgprs: 0
; NumVgprs: 0
; ScratchSize: 0
; MemoryBound: 0
; FloatMode: 240
; IeeeMode: 1
; LDSByteSize: 0 bytes/workgroup (compile time only)
; SGPRBlocks: 0
; VGPRBlocks: 0
; NumSGPRsForWavesPerEU: 1
; NumVGPRsForWavesPerEU: 1
; NamedBarCnt: 0
; Occupancy: 16
; WaveLimiterHint : 0
; COMPUTE_PGM_RSRC2:SCRATCH_EN: 0
; COMPUTE_PGM_RSRC2:USER_SGPR: 2
; COMPUTE_PGM_RSRC2:TRAP_HANDLER: 0
; COMPUTE_PGM_RSRC2:TGID_X_EN: 1
; COMPUTE_PGM_RSRC2:TGID_Y_EN: 0
; COMPUTE_PGM_RSRC2:TGID_Z_EN: 0
; COMPUTE_PGM_RSRC2:TIDIG_COMP_CNT: 0
	.section	.text._ZN7rocprim17ROCPRIM_400000_NS6detail17trampoline_kernelINS0_14default_configENS1_33run_length_encode_config_selectorIajNS0_4plusIjEEEEZZNS1_33reduce_by_key_impl_wrapped_configILNS1_25lookback_scan_determinismE0ES3_S7_PKaNS0_17constant_iteratorIjlEEPaPlSF_S6_NS0_8equal_toIaEEEE10hipError_tPvRmT2_T3_mT4_T5_T6_T7_T8_P12ihipStream_tbENKUlT_T0_E_clISt17integral_constantIbLb1EESY_IbLb0EEEEDaSU_SV_EUlSU_E_NS1_11comp_targetILNS1_3genE4ELNS1_11target_archE910ELNS1_3gpuE8ELNS1_3repE0EEENS1_30default_config_static_selectorELNS0_4arch9wavefront6targetE0EEEvT1_,"axG",@progbits,_ZN7rocprim17ROCPRIM_400000_NS6detail17trampoline_kernelINS0_14default_configENS1_33run_length_encode_config_selectorIajNS0_4plusIjEEEEZZNS1_33reduce_by_key_impl_wrapped_configILNS1_25lookback_scan_determinismE0ES3_S7_PKaNS0_17constant_iteratorIjlEEPaPlSF_S6_NS0_8equal_toIaEEEE10hipError_tPvRmT2_T3_mT4_T5_T6_T7_T8_P12ihipStream_tbENKUlT_T0_E_clISt17integral_constantIbLb1EESY_IbLb0EEEEDaSU_SV_EUlSU_E_NS1_11comp_targetILNS1_3genE4ELNS1_11target_archE910ELNS1_3gpuE8ELNS1_3repE0EEENS1_30default_config_static_selectorELNS0_4arch9wavefront6targetE0EEEvT1_,comdat
	.protected	_ZN7rocprim17ROCPRIM_400000_NS6detail17trampoline_kernelINS0_14default_configENS1_33run_length_encode_config_selectorIajNS0_4plusIjEEEEZZNS1_33reduce_by_key_impl_wrapped_configILNS1_25lookback_scan_determinismE0ES3_S7_PKaNS0_17constant_iteratorIjlEEPaPlSF_S6_NS0_8equal_toIaEEEE10hipError_tPvRmT2_T3_mT4_T5_T6_T7_T8_P12ihipStream_tbENKUlT_T0_E_clISt17integral_constantIbLb1EESY_IbLb0EEEEDaSU_SV_EUlSU_E_NS1_11comp_targetILNS1_3genE4ELNS1_11target_archE910ELNS1_3gpuE8ELNS1_3repE0EEENS1_30default_config_static_selectorELNS0_4arch9wavefront6targetE0EEEvT1_ ; -- Begin function _ZN7rocprim17ROCPRIM_400000_NS6detail17trampoline_kernelINS0_14default_configENS1_33run_length_encode_config_selectorIajNS0_4plusIjEEEEZZNS1_33reduce_by_key_impl_wrapped_configILNS1_25lookback_scan_determinismE0ES3_S7_PKaNS0_17constant_iteratorIjlEEPaPlSF_S6_NS0_8equal_toIaEEEE10hipError_tPvRmT2_T3_mT4_T5_T6_T7_T8_P12ihipStream_tbENKUlT_T0_E_clISt17integral_constantIbLb1EESY_IbLb0EEEEDaSU_SV_EUlSU_E_NS1_11comp_targetILNS1_3genE4ELNS1_11target_archE910ELNS1_3gpuE8ELNS1_3repE0EEENS1_30default_config_static_selectorELNS0_4arch9wavefront6targetE0EEEvT1_
	.globl	_ZN7rocprim17ROCPRIM_400000_NS6detail17trampoline_kernelINS0_14default_configENS1_33run_length_encode_config_selectorIajNS0_4plusIjEEEEZZNS1_33reduce_by_key_impl_wrapped_configILNS1_25lookback_scan_determinismE0ES3_S7_PKaNS0_17constant_iteratorIjlEEPaPlSF_S6_NS0_8equal_toIaEEEE10hipError_tPvRmT2_T3_mT4_T5_T6_T7_T8_P12ihipStream_tbENKUlT_T0_E_clISt17integral_constantIbLb1EESY_IbLb0EEEEDaSU_SV_EUlSU_E_NS1_11comp_targetILNS1_3genE4ELNS1_11target_archE910ELNS1_3gpuE8ELNS1_3repE0EEENS1_30default_config_static_selectorELNS0_4arch9wavefront6targetE0EEEvT1_
	.p2align	8
	.type	_ZN7rocprim17ROCPRIM_400000_NS6detail17trampoline_kernelINS0_14default_configENS1_33run_length_encode_config_selectorIajNS0_4plusIjEEEEZZNS1_33reduce_by_key_impl_wrapped_configILNS1_25lookback_scan_determinismE0ES3_S7_PKaNS0_17constant_iteratorIjlEEPaPlSF_S6_NS0_8equal_toIaEEEE10hipError_tPvRmT2_T3_mT4_T5_T6_T7_T8_P12ihipStream_tbENKUlT_T0_E_clISt17integral_constantIbLb1EESY_IbLb0EEEEDaSU_SV_EUlSU_E_NS1_11comp_targetILNS1_3genE4ELNS1_11target_archE910ELNS1_3gpuE8ELNS1_3repE0EEENS1_30default_config_static_selectorELNS0_4arch9wavefront6targetE0EEEvT1_,@function
_ZN7rocprim17ROCPRIM_400000_NS6detail17trampoline_kernelINS0_14default_configENS1_33run_length_encode_config_selectorIajNS0_4plusIjEEEEZZNS1_33reduce_by_key_impl_wrapped_configILNS1_25lookback_scan_determinismE0ES3_S7_PKaNS0_17constant_iteratorIjlEEPaPlSF_S6_NS0_8equal_toIaEEEE10hipError_tPvRmT2_T3_mT4_T5_T6_T7_T8_P12ihipStream_tbENKUlT_T0_E_clISt17integral_constantIbLb1EESY_IbLb0EEEEDaSU_SV_EUlSU_E_NS1_11comp_targetILNS1_3genE4ELNS1_11target_archE910ELNS1_3gpuE8ELNS1_3repE0EEENS1_30default_config_static_selectorELNS0_4arch9wavefront6targetE0EEEvT1_: ; @_ZN7rocprim17ROCPRIM_400000_NS6detail17trampoline_kernelINS0_14default_configENS1_33run_length_encode_config_selectorIajNS0_4plusIjEEEEZZNS1_33reduce_by_key_impl_wrapped_configILNS1_25lookback_scan_determinismE0ES3_S7_PKaNS0_17constant_iteratorIjlEEPaPlSF_S6_NS0_8equal_toIaEEEE10hipError_tPvRmT2_T3_mT4_T5_T6_T7_T8_P12ihipStream_tbENKUlT_T0_E_clISt17integral_constantIbLb1EESY_IbLb0EEEEDaSU_SV_EUlSU_E_NS1_11comp_targetILNS1_3genE4ELNS1_11target_archE910ELNS1_3gpuE8ELNS1_3repE0EEENS1_30default_config_static_selectorELNS0_4arch9wavefront6targetE0EEEvT1_
; %bb.0:
	.section	.rodata,"a",@progbits
	.p2align	6, 0x0
	.amdhsa_kernel _ZN7rocprim17ROCPRIM_400000_NS6detail17trampoline_kernelINS0_14default_configENS1_33run_length_encode_config_selectorIajNS0_4plusIjEEEEZZNS1_33reduce_by_key_impl_wrapped_configILNS1_25lookback_scan_determinismE0ES3_S7_PKaNS0_17constant_iteratorIjlEEPaPlSF_S6_NS0_8equal_toIaEEEE10hipError_tPvRmT2_T3_mT4_T5_T6_T7_T8_P12ihipStream_tbENKUlT_T0_E_clISt17integral_constantIbLb1EESY_IbLb0EEEEDaSU_SV_EUlSU_E_NS1_11comp_targetILNS1_3genE4ELNS1_11target_archE910ELNS1_3gpuE8ELNS1_3repE0EEENS1_30default_config_static_selectorELNS0_4arch9wavefront6targetE0EEEvT1_
		.amdhsa_group_segment_fixed_size 0
		.amdhsa_private_segment_fixed_size 0
		.amdhsa_kernarg_size 128
		.amdhsa_user_sgpr_count 2
		.amdhsa_user_sgpr_dispatch_ptr 0
		.amdhsa_user_sgpr_queue_ptr 0
		.amdhsa_user_sgpr_kernarg_segment_ptr 1
		.amdhsa_user_sgpr_dispatch_id 0
		.amdhsa_user_sgpr_kernarg_preload_length 0
		.amdhsa_user_sgpr_kernarg_preload_offset 0
		.amdhsa_user_sgpr_private_segment_size 0
		.amdhsa_wavefront_size32 1
		.amdhsa_uses_dynamic_stack 0
		.amdhsa_enable_private_segment 0
		.amdhsa_system_sgpr_workgroup_id_x 1
		.amdhsa_system_sgpr_workgroup_id_y 0
		.amdhsa_system_sgpr_workgroup_id_z 0
		.amdhsa_system_sgpr_workgroup_info 0
		.amdhsa_system_vgpr_workitem_id 0
		.amdhsa_next_free_vgpr 1
		.amdhsa_next_free_sgpr 1
		.amdhsa_named_barrier_count 0
		.amdhsa_reserve_vcc 0
		.amdhsa_float_round_mode_32 0
		.amdhsa_float_round_mode_16_64 0
		.amdhsa_float_denorm_mode_32 3
		.amdhsa_float_denorm_mode_16_64 3
		.amdhsa_fp16_overflow 0
		.amdhsa_memory_ordered 1
		.amdhsa_forward_progress 1
		.amdhsa_inst_pref_size 0
		.amdhsa_round_robin_scheduling 0
		.amdhsa_exception_fp_ieee_invalid_op 0
		.amdhsa_exception_fp_denorm_src 0
		.amdhsa_exception_fp_ieee_div_zero 0
		.amdhsa_exception_fp_ieee_overflow 0
		.amdhsa_exception_fp_ieee_underflow 0
		.amdhsa_exception_fp_ieee_inexact 0
		.amdhsa_exception_int_div_zero 0
	.end_amdhsa_kernel
	.section	.text._ZN7rocprim17ROCPRIM_400000_NS6detail17trampoline_kernelINS0_14default_configENS1_33run_length_encode_config_selectorIajNS0_4plusIjEEEEZZNS1_33reduce_by_key_impl_wrapped_configILNS1_25lookback_scan_determinismE0ES3_S7_PKaNS0_17constant_iteratorIjlEEPaPlSF_S6_NS0_8equal_toIaEEEE10hipError_tPvRmT2_T3_mT4_T5_T6_T7_T8_P12ihipStream_tbENKUlT_T0_E_clISt17integral_constantIbLb1EESY_IbLb0EEEEDaSU_SV_EUlSU_E_NS1_11comp_targetILNS1_3genE4ELNS1_11target_archE910ELNS1_3gpuE8ELNS1_3repE0EEENS1_30default_config_static_selectorELNS0_4arch9wavefront6targetE0EEEvT1_,"axG",@progbits,_ZN7rocprim17ROCPRIM_400000_NS6detail17trampoline_kernelINS0_14default_configENS1_33run_length_encode_config_selectorIajNS0_4plusIjEEEEZZNS1_33reduce_by_key_impl_wrapped_configILNS1_25lookback_scan_determinismE0ES3_S7_PKaNS0_17constant_iteratorIjlEEPaPlSF_S6_NS0_8equal_toIaEEEE10hipError_tPvRmT2_T3_mT4_T5_T6_T7_T8_P12ihipStream_tbENKUlT_T0_E_clISt17integral_constantIbLb1EESY_IbLb0EEEEDaSU_SV_EUlSU_E_NS1_11comp_targetILNS1_3genE4ELNS1_11target_archE910ELNS1_3gpuE8ELNS1_3repE0EEENS1_30default_config_static_selectorELNS0_4arch9wavefront6targetE0EEEvT1_,comdat
.Lfunc_end255:
	.size	_ZN7rocprim17ROCPRIM_400000_NS6detail17trampoline_kernelINS0_14default_configENS1_33run_length_encode_config_selectorIajNS0_4plusIjEEEEZZNS1_33reduce_by_key_impl_wrapped_configILNS1_25lookback_scan_determinismE0ES3_S7_PKaNS0_17constant_iteratorIjlEEPaPlSF_S6_NS0_8equal_toIaEEEE10hipError_tPvRmT2_T3_mT4_T5_T6_T7_T8_P12ihipStream_tbENKUlT_T0_E_clISt17integral_constantIbLb1EESY_IbLb0EEEEDaSU_SV_EUlSU_E_NS1_11comp_targetILNS1_3genE4ELNS1_11target_archE910ELNS1_3gpuE8ELNS1_3repE0EEENS1_30default_config_static_selectorELNS0_4arch9wavefront6targetE0EEEvT1_, .Lfunc_end255-_ZN7rocprim17ROCPRIM_400000_NS6detail17trampoline_kernelINS0_14default_configENS1_33run_length_encode_config_selectorIajNS0_4plusIjEEEEZZNS1_33reduce_by_key_impl_wrapped_configILNS1_25lookback_scan_determinismE0ES3_S7_PKaNS0_17constant_iteratorIjlEEPaPlSF_S6_NS0_8equal_toIaEEEE10hipError_tPvRmT2_T3_mT4_T5_T6_T7_T8_P12ihipStream_tbENKUlT_T0_E_clISt17integral_constantIbLb1EESY_IbLb0EEEEDaSU_SV_EUlSU_E_NS1_11comp_targetILNS1_3genE4ELNS1_11target_archE910ELNS1_3gpuE8ELNS1_3repE0EEENS1_30default_config_static_selectorELNS0_4arch9wavefront6targetE0EEEvT1_
                                        ; -- End function
	.set _ZN7rocprim17ROCPRIM_400000_NS6detail17trampoline_kernelINS0_14default_configENS1_33run_length_encode_config_selectorIajNS0_4plusIjEEEEZZNS1_33reduce_by_key_impl_wrapped_configILNS1_25lookback_scan_determinismE0ES3_S7_PKaNS0_17constant_iteratorIjlEEPaPlSF_S6_NS0_8equal_toIaEEEE10hipError_tPvRmT2_T3_mT4_T5_T6_T7_T8_P12ihipStream_tbENKUlT_T0_E_clISt17integral_constantIbLb1EESY_IbLb0EEEEDaSU_SV_EUlSU_E_NS1_11comp_targetILNS1_3genE4ELNS1_11target_archE910ELNS1_3gpuE8ELNS1_3repE0EEENS1_30default_config_static_selectorELNS0_4arch9wavefront6targetE0EEEvT1_.num_vgpr, 0
	.set _ZN7rocprim17ROCPRIM_400000_NS6detail17trampoline_kernelINS0_14default_configENS1_33run_length_encode_config_selectorIajNS0_4plusIjEEEEZZNS1_33reduce_by_key_impl_wrapped_configILNS1_25lookback_scan_determinismE0ES3_S7_PKaNS0_17constant_iteratorIjlEEPaPlSF_S6_NS0_8equal_toIaEEEE10hipError_tPvRmT2_T3_mT4_T5_T6_T7_T8_P12ihipStream_tbENKUlT_T0_E_clISt17integral_constantIbLb1EESY_IbLb0EEEEDaSU_SV_EUlSU_E_NS1_11comp_targetILNS1_3genE4ELNS1_11target_archE910ELNS1_3gpuE8ELNS1_3repE0EEENS1_30default_config_static_selectorELNS0_4arch9wavefront6targetE0EEEvT1_.num_agpr, 0
	.set _ZN7rocprim17ROCPRIM_400000_NS6detail17trampoline_kernelINS0_14default_configENS1_33run_length_encode_config_selectorIajNS0_4plusIjEEEEZZNS1_33reduce_by_key_impl_wrapped_configILNS1_25lookback_scan_determinismE0ES3_S7_PKaNS0_17constant_iteratorIjlEEPaPlSF_S6_NS0_8equal_toIaEEEE10hipError_tPvRmT2_T3_mT4_T5_T6_T7_T8_P12ihipStream_tbENKUlT_T0_E_clISt17integral_constantIbLb1EESY_IbLb0EEEEDaSU_SV_EUlSU_E_NS1_11comp_targetILNS1_3genE4ELNS1_11target_archE910ELNS1_3gpuE8ELNS1_3repE0EEENS1_30default_config_static_selectorELNS0_4arch9wavefront6targetE0EEEvT1_.numbered_sgpr, 0
	.set _ZN7rocprim17ROCPRIM_400000_NS6detail17trampoline_kernelINS0_14default_configENS1_33run_length_encode_config_selectorIajNS0_4plusIjEEEEZZNS1_33reduce_by_key_impl_wrapped_configILNS1_25lookback_scan_determinismE0ES3_S7_PKaNS0_17constant_iteratorIjlEEPaPlSF_S6_NS0_8equal_toIaEEEE10hipError_tPvRmT2_T3_mT4_T5_T6_T7_T8_P12ihipStream_tbENKUlT_T0_E_clISt17integral_constantIbLb1EESY_IbLb0EEEEDaSU_SV_EUlSU_E_NS1_11comp_targetILNS1_3genE4ELNS1_11target_archE910ELNS1_3gpuE8ELNS1_3repE0EEENS1_30default_config_static_selectorELNS0_4arch9wavefront6targetE0EEEvT1_.num_named_barrier, 0
	.set _ZN7rocprim17ROCPRIM_400000_NS6detail17trampoline_kernelINS0_14default_configENS1_33run_length_encode_config_selectorIajNS0_4plusIjEEEEZZNS1_33reduce_by_key_impl_wrapped_configILNS1_25lookback_scan_determinismE0ES3_S7_PKaNS0_17constant_iteratorIjlEEPaPlSF_S6_NS0_8equal_toIaEEEE10hipError_tPvRmT2_T3_mT4_T5_T6_T7_T8_P12ihipStream_tbENKUlT_T0_E_clISt17integral_constantIbLb1EESY_IbLb0EEEEDaSU_SV_EUlSU_E_NS1_11comp_targetILNS1_3genE4ELNS1_11target_archE910ELNS1_3gpuE8ELNS1_3repE0EEENS1_30default_config_static_selectorELNS0_4arch9wavefront6targetE0EEEvT1_.private_seg_size, 0
	.set _ZN7rocprim17ROCPRIM_400000_NS6detail17trampoline_kernelINS0_14default_configENS1_33run_length_encode_config_selectorIajNS0_4plusIjEEEEZZNS1_33reduce_by_key_impl_wrapped_configILNS1_25lookback_scan_determinismE0ES3_S7_PKaNS0_17constant_iteratorIjlEEPaPlSF_S6_NS0_8equal_toIaEEEE10hipError_tPvRmT2_T3_mT4_T5_T6_T7_T8_P12ihipStream_tbENKUlT_T0_E_clISt17integral_constantIbLb1EESY_IbLb0EEEEDaSU_SV_EUlSU_E_NS1_11comp_targetILNS1_3genE4ELNS1_11target_archE910ELNS1_3gpuE8ELNS1_3repE0EEENS1_30default_config_static_selectorELNS0_4arch9wavefront6targetE0EEEvT1_.uses_vcc, 0
	.set _ZN7rocprim17ROCPRIM_400000_NS6detail17trampoline_kernelINS0_14default_configENS1_33run_length_encode_config_selectorIajNS0_4plusIjEEEEZZNS1_33reduce_by_key_impl_wrapped_configILNS1_25lookback_scan_determinismE0ES3_S7_PKaNS0_17constant_iteratorIjlEEPaPlSF_S6_NS0_8equal_toIaEEEE10hipError_tPvRmT2_T3_mT4_T5_T6_T7_T8_P12ihipStream_tbENKUlT_T0_E_clISt17integral_constantIbLb1EESY_IbLb0EEEEDaSU_SV_EUlSU_E_NS1_11comp_targetILNS1_3genE4ELNS1_11target_archE910ELNS1_3gpuE8ELNS1_3repE0EEENS1_30default_config_static_selectorELNS0_4arch9wavefront6targetE0EEEvT1_.uses_flat_scratch, 0
	.set _ZN7rocprim17ROCPRIM_400000_NS6detail17trampoline_kernelINS0_14default_configENS1_33run_length_encode_config_selectorIajNS0_4plusIjEEEEZZNS1_33reduce_by_key_impl_wrapped_configILNS1_25lookback_scan_determinismE0ES3_S7_PKaNS0_17constant_iteratorIjlEEPaPlSF_S6_NS0_8equal_toIaEEEE10hipError_tPvRmT2_T3_mT4_T5_T6_T7_T8_P12ihipStream_tbENKUlT_T0_E_clISt17integral_constantIbLb1EESY_IbLb0EEEEDaSU_SV_EUlSU_E_NS1_11comp_targetILNS1_3genE4ELNS1_11target_archE910ELNS1_3gpuE8ELNS1_3repE0EEENS1_30default_config_static_selectorELNS0_4arch9wavefront6targetE0EEEvT1_.has_dyn_sized_stack, 0
	.set _ZN7rocprim17ROCPRIM_400000_NS6detail17trampoline_kernelINS0_14default_configENS1_33run_length_encode_config_selectorIajNS0_4plusIjEEEEZZNS1_33reduce_by_key_impl_wrapped_configILNS1_25lookback_scan_determinismE0ES3_S7_PKaNS0_17constant_iteratorIjlEEPaPlSF_S6_NS0_8equal_toIaEEEE10hipError_tPvRmT2_T3_mT4_T5_T6_T7_T8_P12ihipStream_tbENKUlT_T0_E_clISt17integral_constantIbLb1EESY_IbLb0EEEEDaSU_SV_EUlSU_E_NS1_11comp_targetILNS1_3genE4ELNS1_11target_archE910ELNS1_3gpuE8ELNS1_3repE0EEENS1_30default_config_static_selectorELNS0_4arch9wavefront6targetE0EEEvT1_.has_recursion, 0
	.set _ZN7rocprim17ROCPRIM_400000_NS6detail17trampoline_kernelINS0_14default_configENS1_33run_length_encode_config_selectorIajNS0_4plusIjEEEEZZNS1_33reduce_by_key_impl_wrapped_configILNS1_25lookback_scan_determinismE0ES3_S7_PKaNS0_17constant_iteratorIjlEEPaPlSF_S6_NS0_8equal_toIaEEEE10hipError_tPvRmT2_T3_mT4_T5_T6_T7_T8_P12ihipStream_tbENKUlT_T0_E_clISt17integral_constantIbLb1EESY_IbLb0EEEEDaSU_SV_EUlSU_E_NS1_11comp_targetILNS1_3genE4ELNS1_11target_archE910ELNS1_3gpuE8ELNS1_3repE0EEENS1_30default_config_static_selectorELNS0_4arch9wavefront6targetE0EEEvT1_.has_indirect_call, 0
	.section	.AMDGPU.csdata,"",@progbits
; Kernel info:
; codeLenInByte = 0
; TotalNumSgprs: 0
; NumVgprs: 0
; ScratchSize: 0
; MemoryBound: 0
; FloatMode: 240
; IeeeMode: 1
; LDSByteSize: 0 bytes/workgroup (compile time only)
; SGPRBlocks: 0
; VGPRBlocks: 0
; NumSGPRsForWavesPerEU: 1
; NumVGPRsForWavesPerEU: 1
; NamedBarCnt: 0
; Occupancy: 16
; WaveLimiterHint : 0
; COMPUTE_PGM_RSRC2:SCRATCH_EN: 0
; COMPUTE_PGM_RSRC2:USER_SGPR: 2
; COMPUTE_PGM_RSRC2:TRAP_HANDLER: 0
; COMPUTE_PGM_RSRC2:TGID_X_EN: 1
; COMPUTE_PGM_RSRC2:TGID_Y_EN: 0
; COMPUTE_PGM_RSRC2:TGID_Z_EN: 0
; COMPUTE_PGM_RSRC2:TIDIG_COMP_CNT: 0
	.section	.text._ZN7rocprim17ROCPRIM_400000_NS6detail17trampoline_kernelINS0_14default_configENS1_33run_length_encode_config_selectorIajNS0_4plusIjEEEEZZNS1_33reduce_by_key_impl_wrapped_configILNS1_25lookback_scan_determinismE0ES3_S7_PKaNS0_17constant_iteratorIjlEEPaPlSF_S6_NS0_8equal_toIaEEEE10hipError_tPvRmT2_T3_mT4_T5_T6_T7_T8_P12ihipStream_tbENKUlT_T0_E_clISt17integral_constantIbLb1EESY_IbLb0EEEEDaSU_SV_EUlSU_E_NS1_11comp_targetILNS1_3genE3ELNS1_11target_archE908ELNS1_3gpuE7ELNS1_3repE0EEENS1_30default_config_static_selectorELNS0_4arch9wavefront6targetE0EEEvT1_,"axG",@progbits,_ZN7rocprim17ROCPRIM_400000_NS6detail17trampoline_kernelINS0_14default_configENS1_33run_length_encode_config_selectorIajNS0_4plusIjEEEEZZNS1_33reduce_by_key_impl_wrapped_configILNS1_25lookback_scan_determinismE0ES3_S7_PKaNS0_17constant_iteratorIjlEEPaPlSF_S6_NS0_8equal_toIaEEEE10hipError_tPvRmT2_T3_mT4_T5_T6_T7_T8_P12ihipStream_tbENKUlT_T0_E_clISt17integral_constantIbLb1EESY_IbLb0EEEEDaSU_SV_EUlSU_E_NS1_11comp_targetILNS1_3genE3ELNS1_11target_archE908ELNS1_3gpuE7ELNS1_3repE0EEENS1_30default_config_static_selectorELNS0_4arch9wavefront6targetE0EEEvT1_,comdat
	.protected	_ZN7rocprim17ROCPRIM_400000_NS6detail17trampoline_kernelINS0_14default_configENS1_33run_length_encode_config_selectorIajNS0_4plusIjEEEEZZNS1_33reduce_by_key_impl_wrapped_configILNS1_25lookback_scan_determinismE0ES3_S7_PKaNS0_17constant_iteratorIjlEEPaPlSF_S6_NS0_8equal_toIaEEEE10hipError_tPvRmT2_T3_mT4_T5_T6_T7_T8_P12ihipStream_tbENKUlT_T0_E_clISt17integral_constantIbLb1EESY_IbLb0EEEEDaSU_SV_EUlSU_E_NS1_11comp_targetILNS1_3genE3ELNS1_11target_archE908ELNS1_3gpuE7ELNS1_3repE0EEENS1_30default_config_static_selectorELNS0_4arch9wavefront6targetE0EEEvT1_ ; -- Begin function _ZN7rocprim17ROCPRIM_400000_NS6detail17trampoline_kernelINS0_14default_configENS1_33run_length_encode_config_selectorIajNS0_4plusIjEEEEZZNS1_33reduce_by_key_impl_wrapped_configILNS1_25lookback_scan_determinismE0ES3_S7_PKaNS0_17constant_iteratorIjlEEPaPlSF_S6_NS0_8equal_toIaEEEE10hipError_tPvRmT2_T3_mT4_T5_T6_T7_T8_P12ihipStream_tbENKUlT_T0_E_clISt17integral_constantIbLb1EESY_IbLb0EEEEDaSU_SV_EUlSU_E_NS1_11comp_targetILNS1_3genE3ELNS1_11target_archE908ELNS1_3gpuE7ELNS1_3repE0EEENS1_30default_config_static_selectorELNS0_4arch9wavefront6targetE0EEEvT1_
	.globl	_ZN7rocprim17ROCPRIM_400000_NS6detail17trampoline_kernelINS0_14default_configENS1_33run_length_encode_config_selectorIajNS0_4plusIjEEEEZZNS1_33reduce_by_key_impl_wrapped_configILNS1_25lookback_scan_determinismE0ES3_S7_PKaNS0_17constant_iteratorIjlEEPaPlSF_S6_NS0_8equal_toIaEEEE10hipError_tPvRmT2_T3_mT4_T5_T6_T7_T8_P12ihipStream_tbENKUlT_T0_E_clISt17integral_constantIbLb1EESY_IbLb0EEEEDaSU_SV_EUlSU_E_NS1_11comp_targetILNS1_3genE3ELNS1_11target_archE908ELNS1_3gpuE7ELNS1_3repE0EEENS1_30default_config_static_selectorELNS0_4arch9wavefront6targetE0EEEvT1_
	.p2align	8
	.type	_ZN7rocprim17ROCPRIM_400000_NS6detail17trampoline_kernelINS0_14default_configENS1_33run_length_encode_config_selectorIajNS0_4plusIjEEEEZZNS1_33reduce_by_key_impl_wrapped_configILNS1_25lookback_scan_determinismE0ES3_S7_PKaNS0_17constant_iteratorIjlEEPaPlSF_S6_NS0_8equal_toIaEEEE10hipError_tPvRmT2_T3_mT4_T5_T6_T7_T8_P12ihipStream_tbENKUlT_T0_E_clISt17integral_constantIbLb1EESY_IbLb0EEEEDaSU_SV_EUlSU_E_NS1_11comp_targetILNS1_3genE3ELNS1_11target_archE908ELNS1_3gpuE7ELNS1_3repE0EEENS1_30default_config_static_selectorELNS0_4arch9wavefront6targetE0EEEvT1_,@function
_ZN7rocprim17ROCPRIM_400000_NS6detail17trampoline_kernelINS0_14default_configENS1_33run_length_encode_config_selectorIajNS0_4plusIjEEEEZZNS1_33reduce_by_key_impl_wrapped_configILNS1_25lookback_scan_determinismE0ES3_S7_PKaNS0_17constant_iteratorIjlEEPaPlSF_S6_NS0_8equal_toIaEEEE10hipError_tPvRmT2_T3_mT4_T5_T6_T7_T8_P12ihipStream_tbENKUlT_T0_E_clISt17integral_constantIbLb1EESY_IbLb0EEEEDaSU_SV_EUlSU_E_NS1_11comp_targetILNS1_3genE3ELNS1_11target_archE908ELNS1_3gpuE7ELNS1_3repE0EEENS1_30default_config_static_selectorELNS0_4arch9wavefront6targetE0EEEvT1_: ; @_ZN7rocprim17ROCPRIM_400000_NS6detail17trampoline_kernelINS0_14default_configENS1_33run_length_encode_config_selectorIajNS0_4plusIjEEEEZZNS1_33reduce_by_key_impl_wrapped_configILNS1_25lookback_scan_determinismE0ES3_S7_PKaNS0_17constant_iteratorIjlEEPaPlSF_S6_NS0_8equal_toIaEEEE10hipError_tPvRmT2_T3_mT4_T5_T6_T7_T8_P12ihipStream_tbENKUlT_T0_E_clISt17integral_constantIbLb1EESY_IbLb0EEEEDaSU_SV_EUlSU_E_NS1_11comp_targetILNS1_3genE3ELNS1_11target_archE908ELNS1_3gpuE7ELNS1_3repE0EEENS1_30default_config_static_selectorELNS0_4arch9wavefront6targetE0EEEvT1_
; %bb.0:
	.section	.rodata,"a",@progbits
	.p2align	6, 0x0
	.amdhsa_kernel _ZN7rocprim17ROCPRIM_400000_NS6detail17trampoline_kernelINS0_14default_configENS1_33run_length_encode_config_selectorIajNS0_4plusIjEEEEZZNS1_33reduce_by_key_impl_wrapped_configILNS1_25lookback_scan_determinismE0ES3_S7_PKaNS0_17constant_iteratorIjlEEPaPlSF_S6_NS0_8equal_toIaEEEE10hipError_tPvRmT2_T3_mT4_T5_T6_T7_T8_P12ihipStream_tbENKUlT_T0_E_clISt17integral_constantIbLb1EESY_IbLb0EEEEDaSU_SV_EUlSU_E_NS1_11comp_targetILNS1_3genE3ELNS1_11target_archE908ELNS1_3gpuE7ELNS1_3repE0EEENS1_30default_config_static_selectorELNS0_4arch9wavefront6targetE0EEEvT1_
		.amdhsa_group_segment_fixed_size 0
		.amdhsa_private_segment_fixed_size 0
		.amdhsa_kernarg_size 128
		.amdhsa_user_sgpr_count 2
		.amdhsa_user_sgpr_dispatch_ptr 0
		.amdhsa_user_sgpr_queue_ptr 0
		.amdhsa_user_sgpr_kernarg_segment_ptr 1
		.amdhsa_user_sgpr_dispatch_id 0
		.amdhsa_user_sgpr_kernarg_preload_length 0
		.amdhsa_user_sgpr_kernarg_preload_offset 0
		.amdhsa_user_sgpr_private_segment_size 0
		.amdhsa_wavefront_size32 1
		.amdhsa_uses_dynamic_stack 0
		.amdhsa_enable_private_segment 0
		.amdhsa_system_sgpr_workgroup_id_x 1
		.amdhsa_system_sgpr_workgroup_id_y 0
		.amdhsa_system_sgpr_workgroup_id_z 0
		.amdhsa_system_sgpr_workgroup_info 0
		.amdhsa_system_vgpr_workitem_id 0
		.amdhsa_next_free_vgpr 1
		.amdhsa_next_free_sgpr 1
		.amdhsa_named_barrier_count 0
		.amdhsa_reserve_vcc 0
		.amdhsa_float_round_mode_32 0
		.amdhsa_float_round_mode_16_64 0
		.amdhsa_float_denorm_mode_32 3
		.amdhsa_float_denorm_mode_16_64 3
		.amdhsa_fp16_overflow 0
		.amdhsa_memory_ordered 1
		.amdhsa_forward_progress 1
		.amdhsa_inst_pref_size 0
		.amdhsa_round_robin_scheduling 0
		.amdhsa_exception_fp_ieee_invalid_op 0
		.amdhsa_exception_fp_denorm_src 0
		.amdhsa_exception_fp_ieee_div_zero 0
		.amdhsa_exception_fp_ieee_overflow 0
		.amdhsa_exception_fp_ieee_underflow 0
		.amdhsa_exception_fp_ieee_inexact 0
		.amdhsa_exception_int_div_zero 0
	.end_amdhsa_kernel
	.section	.text._ZN7rocprim17ROCPRIM_400000_NS6detail17trampoline_kernelINS0_14default_configENS1_33run_length_encode_config_selectorIajNS0_4plusIjEEEEZZNS1_33reduce_by_key_impl_wrapped_configILNS1_25lookback_scan_determinismE0ES3_S7_PKaNS0_17constant_iteratorIjlEEPaPlSF_S6_NS0_8equal_toIaEEEE10hipError_tPvRmT2_T3_mT4_T5_T6_T7_T8_P12ihipStream_tbENKUlT_T0_E_clISt17integral_constantIbLb1EESY_IbLb0EEEEDaSU_SV_EUlSU_E_NS1_11comp_targetILNS1_3genE3ELNS1_11target_archE908ELNS1_3gpuE7ELNS1_3repE0EEENS1_30default_config_static_selectorELNS0_4arch9wavefront6targetE0EEEvT1_,"axG",@progbits,_ZN7rocprim17ROCPRIM_400000_NS6detail17trampoline_kernelINS0_14default_configENS1_33run_length_encode_config_selectorIajNS0_4plusIjEEEEZZNS1_33reduce_by_key_impl_wrapped_configILNS1_25lookback_scan_determinismE0ES3_S7_PKaNS0_17constant_iteratorIjlEEPaPlSF_S6_NS0_8equal_toIaEEEE10hipError_tPvRmT2_T3_mT4_T5_T6_T7_T8_P12ihipStream_tbENKUlT_T0_E_clISt17integral_constantIbLb1EESY_IbLb0EEEEDaSU_SV_EUlSU_E_NS1_11comp_targetILNS1_3genE3ELNS1_11target_archE908ELNS1_3gpuE7ELNS1_3repE0EEENS1_30default_config_static_selectorELNS0_4arch9wavefront6targetE0EEEvT1_,comdat
.Lfunc_end256:
	.size	_ZN7rocprim17ROCPRIM_400000_NS6detail17trampoline_kernelINS0_14default_configENS1_33run_length_encode_config_selectorIajNS0_4plusIjEEEEZZNS1_33reduce_by_key_impl_wrapped_configILNS1_25lookback_scan_determinismE0ES3_S7_PKaNS0_17constant_iteratorIjlEEPaPlSF_S6_NS0_8equal_toIaEEEE10hipError_tPvRmT2_T3_mT4_T5_T6_T7_T8_P12ihipStream_tbENKUlT_T0_E_clISt17integral_constantIbLb1EESY_IbLb0EEEEDaSU_SV_EUlSU_E_NS1_11comp_targetILNS1_3genE3ELNS1_11target_archE908ELNS1_3gpuE7ELNS1_3repE0EEENS1_30default_config_static_selectorELNS0_4arch9wavefront6targetE0EEEvT1_, .Lfunc_end256-_ZN7rocprim17ROCPRIM_400000_NS6detail17trampoline_kernelINS0_14default_configENS1_33run_length_encode_config_selectorIajNS0_4plusIjEEEEZZNS1_33reduce_by_key_impl_wrapped_configILNS1_25lookback_scan_determinismE0ES3_S7_PKaNS0_17constant_iteratorIjlEEPaPlSF_S6_NS0_8equal_toIaEEEE10hipError_tPvRmT2_T3_mT4_T5_T6_T7_T8_P12ihipStream_tbENKUlT_T0_E_clISt17integral_constantIbLb1EESY_IbLb0EEEEDaSU_SV_EUlSU_E_NS1_11comp_targetILNS1_3genE3ELNS1_11target_archE908ELNS1_3gpuE7ELNS1_3repE0EEENS1_30default_config_static_selectorELNS0_4arch9wavefront6targetE0EEEvT1_
                                        ; -- End function
	.set _ZN7rocprim17ROCPRIM_400000_NS6detail17trampoline_kernelINS0_14default_configENS1_33run_length_encode_config_selectorIajNS0_4plusIjEEEEZZNS1_33reduce_by_key_impl_wrapped_configILNS1_25lookback_scan_determinismE0ES3_S7_PKaNS0_17constant_iteratorIjlEEPaPlSF_S6_NS0_8equal_toIaEEEE10hipError_tPvRmT2_T3_mT4_T5_T6_T7_T8_P12ihipStream_tbENKUlT_T0_E_clISt17integral_constantIbLb1EESY_IbLb0EEEEDaSU_SV_EUlSU_E_NS1_11comp_targetILNS1_3genE3ELNS1_11target_archE908ELNS1_3gpuE7ELNS1_3repE0EEENS1_30default_config_static_selectorELNS0_4arch9wavefront6targetE0EEEvT1_.num_vgpr, 0
	.set _ZN7rocprim17ROCPRIM_400000_NS6detail17trampoline_kernelINS0_14default_configENS1_33run_length_encode_config_selectorIajNS0_4plusIjEEEEZZNS1_33reduce_by_key_impl_wrapped_configILNS1_25lookback_scan_determinismE0ES3_S7_PKaNS0_17constant_iteratorIjlEEPaPlSF_S6_NS0_8equal_toIaEEEE10hipError_tPvRmT2_T3_mT4_T5_T6_T7_T8_P12ihipStream_tbENKUlT_T0_E_clISt17integral_constantIbLb1EESY_IbLb0EEEEDaSU_SV_EUlSU_E_NS1_11comp_targetILNS1_3genE3ELNS1_11target_archE908ELNS1_3gpuE7ELNS1_3repE0EEENS1_30default_config_static_selectorELNS0_4arch9wavefront6targetE0EEEvT1_.num_agpr, 0
	.set _ZN7rocprim17ROCPRIM_400000_NS6detail17trampoline_kernelINS0_14default_configENS1_33run_length_encode_config_selectorIajNS0_4plusIjEEEEZZNS1_33reduce_by_key_impl_wrapped_configILNS1_25lookback_scan_determinismE0ES3_S7_PKaNS0_17constant_iteratorIjlEEPaPlSF_S6_NS0_8equal_toIaEEEE10hipError_tPvRmT2_T3_mT4_T5_T6_T7_T8_P12ihipStream_tbENKUlT_T0_E_clISt17integral_constantIbLb1EESY_IbLb0EEEEDaSU_SV_EUlSU_E_NS1_11comp_targetILNS1_3genE3ELNS1_11target_archE908ELNS1_3gpuE7ELNS1_3repE0EEENS1_30default_config_static_selectorELNS0_4arch9wavefront6targetE0EEEvT1_.numbered_sgpr, 0
	.set _ZN7rocprim17ROCPRIM_400000_NS6detail17trampoline_kernelINS0_14default_configENS1_33run_length_encode_config_selectorIajNS0_4plusIjEEEEZZNS1_33reduce_by_key_impl_wrapped_configILNS1_25lookback_scan_determinismE0ES3_S7_PKaNS0_17constant_iteratorIjlEEPaPlSF_S6_NS0_8equal_toIaEEEE10hipError_tPvRmT2_T3_mT4_T5_T6_T7_T8_P12ihipStream_tbENKUlT_T0_E_clISt17integral_constantIbLb1EESY_IbLb0EEEEDaSU_SV_EUlSU_E_NS1_11comp_targetILNS1_3genE3ELNS1_11target_archE908ELNS1_3gpuE7ELNS1_3repE0EEENS1_30default_config_static_selectorELNS0_4arch9wavefront6targetE0EEEvT1_.num_named_barrier, 0
	.set _ZN7rocprim17ROCPRIM_400000_NS6detail17trampoline_kernelINS0_14default_configENS1_33run_length_encode_config_selectorIajNS0_4plusIjEEEEZZNS1_33reduce_by_key_impl_wrapped_configILNS1_25lookback_scan_determinismE0ES3_S7_PKaNS0_17constant_iteratorIjlEEPaPlSF_S6_NS0_8equal_toIaEEEE10hipError_tPvRmT2_T3_mT4_T5_T6_T7_T8_P12ihipStream_tbENKUlT_T0_E_clISt17integral_constantIbLb1EESY_IbLb0EEEEDaSU_SV_EUlSU_E_NS1_11comp_targetILNS1_3genE3ELNS1_11target_archE908ELNS1_3gpuE7ELNS1_3repE0EEENS1_30default_config_static_selectorELNS0_4arch9wavefront6targetE0EEEvT1_.private_seg_size, 0
	.set _ZN7rocprim17ROCPRIM_400000_NS6detail17trampoline_kernelINS0_14default_configENS1_33run_length_encode_config_selectorIajNS0_4plusIjEEEEZZNS1_33reduce_by_key_impl_wrapped_configILNS1_25lookback_scan_determinismE0ES3_S7_PKaNS0_17constant_iteratorIjlEEPaPlSF_S6_NS0_8equal_toIaEEEE10hipError_tPvRmT2_T3_mT4_T5_T6_T7_T8_P12ihipStream_tbENKUlT_T0_E_clISt17integral_constantIbLb1EESY_IbLb0EEEEDaSU_SV_EUlSU_E_NS1_11comp_targetILNS1_3genE3ELNS1_11target_archE908ELNS1_3gpuE7ELNS1_3repE0EEENS1_30default_config_static_selectorELNS0_4arch9wavefront6targetE0EEEvT1_.uses_vcc, 0
	.set _ZN7rocprim17ROCPRIM_400000_NS6detail17trampoline_kernelINS0_14default_configENS1_33run_length_encode_config_selectorIajNS0_4plusIjEEEEZZNS1_33reduce_by_key_impl_wrapped_configILNS1_25lookback_scan_determinismE0ES3_S7_PKaNS0_17constant_iteratorIjlEEPaPlSF_S6_NS0_8equal_toIaEEEE10hipError_tPvRmT2_T3_mT4_T5_T6_T7_T8_P12ihipStream_tbENKUlT_T0_E_clISt17integral_constantIbLb1EESY_IbLb0EEEEDaSU_SV_EUlSU_E_NS1_11comp_targetILNS1_3genE3ELNS1_11target_archE908ELNS1_3gpuE7ELNS1_3repE0EEENS1_30default_config_static_selectorELNS0_4arch9wavefront6targetE0EEEvT1_.uses_flat_scratch, 0
	.set _ZN7rocprim17ROCPRIM_400000_NS6detail17trampoline_kernelINS0_14default_configENS1_33run_length_encode_config_selectorIajNS0_4plusIjEEEEZZNS1_33reduce_by_key_impl_wrapped_configILNS1_25lookback_scan_determinismE0ES3_S7_PKaNS0_17constant_iteratorIjlEEPaPlSF_S6_NS0_8equal_toIaEEEE10hipError_tPvRmT2_T3_mT4_T5_T6_T7_T8_P12ihipStream_tbENKUlT_T0_E_clISt17integral_constantIbLb1EESY_IbLb0EEEEDaSU_SV_EUlSU_E_NS1_11comp_targetILNS1_3genE3ELNS1_11target_archE908ELNS1_3gpuE7ELNS1_3repE0EEENS1_30default_config_static_selectorELNS0_4arch9wavefront6targetE0EEEvT1_.has_dyn_sized_stack, 0
	.set _ZN7rocprim17ROCPRIM_400000_NS6detail17trampoline_kernelINS0_14default_configENS1_33run_length_encode_config_selectorIajNS0_4plusIjEEEEZZNS1_33reduce_by_key_impl_wrapped_configILNS1_25lookback_scan_determinismE0ES3_S7_PKaNS0_17constant_iteratorIjlEEPaPlSF_S6_NS0_8equal_toIaEEEE10hipError_tPvRmT2_T3_mT4_T5_T6_T7_T8_P12ihipStream_tbENKUlT_T0_E_clISt17integral_constantIbLb1EESY_IbLb0EEEEDaSU_SV_EUlSU_E_NS1_11comp_targetILNS1_3genE3ELNS1_11target_archE908ELNS1_3gpuE7ELNS1_3repE0EEENS1_30default_config_static_selectorELNS0_4arch9wavefront6targetE0EEEvT1_.has_recursion, 0
	.set _ZN7rocprim17ROCPRIM_400000_NS6detail17trampoline_kernelINS0_14default_configENS1_33run_length_encode_config_selectorIajNS0_4plusIjEEEEZZNS1_33reduce_by_key_impl_wrapped_configILNS1_25lookback_scan_determinismE0ES3_S7_PKaNS0_17constant_iteratorIjlEEPaPlSF_S6_NS0_8equal_toIaEEEE10hipError_tPvRmT2_T3_mT4_T5_T6_T7_T8_P12ihipStream_tbENKUlT_T0_E_clISt17integral_constantIbLb1EESY_IbLb0EEEEDaSU_SV_EUlSU_E_NS1_11comp_targetILNS1_3genE3ELNS1_11target_archE908ELNS1_3gpuE7ELNS1_3repE0EEENS1_30default_config_static_selectorELNS0_4arch9wavefront6targetE0EEEvT1_.has_indirect_call, 0
	.section	.AMDGPU.csdata,"",@progbits
; Kernel info:
; codeLenInByte = 0
; TotalNumSgprs: 0
; NumVgprs: 0
; ScratchSize: 0
; MemoryBound: 0
; FloatMode: 240
; IeeeMode: 1
; LDSByteSize: 0 bytes/workgroup (compile time only)
; SGPRBlocks: 0
; VGPRBlocks: 0
; NumSGPRsForWavesPerEU: 1
; NumVGPRsForWavesPerEU: 1
; NamedBarCnt: 0
; Occupancy: 16
; WaveLimiterHint : 0
; COMPUTE_PGM_RSRC2:SCRATCH_EN: 0
; COMPUTE_PGM_RSRC2:USER_SGPR: 2
; COMPUTE_PGM_RSRC2:TRAP_HANDLER: 0
; COMPUTE_PGM_RSRC2:TGID_X_EN: 1
; COMPUTE_PGM_RSRC2:TGID_Y_EN: 0
; COMPUTE_PGM_RSRC2:TGID_Z_EN: 0
; COMPUTE_PGM_RSRC2:TIDIG_COMP_CNT: 0
	.section	.text._ZN7rocprim17ROCPRIM_400000_NS6detail17trampoline_kernelINS0_14default_configENS1_33run_length_encode_config_selectorIajNS0_4plusIjEEEEZZNS1_33reduce_by_key_impl_wrapped_configILNS1_25lookback_scan_determinismE0ES3_S7_PKaNS0_17constant_iteratorIjlEEPaPlSF_S6_NS0_8equal_toIaEEEE10hipError_tPvRmT2_T3_mT4_T5_T6_T7_T8_P12ihipStream_tbENKUlT_T0_E_clISt17integral_constantIbLb1EESY_IbLb0EEEEDaSU_SV_EUlSU_E_NS1_11comp_targetILNS1_3genE2ELNS1_11target_archE906ELNS1_3gpuE6ELNS1_3repE0EEENS1_30default_config_static_selectorELNS0_4arch9wavefront6targetE0EEEvT1_,"axG",@progbits,_ZN7rocprim17ROCPRIM_400000_NS6detail17trampoline_kernelINS0_14default_configENS1_33run_length_encode_config_selectorIajNS0_4plusIjEEEEZZNS1_33reduce_by_key_impl_wrapped_configILNS1_25lookback_scan_determinismE0ES3_S7_PKaNS0_17constant_iteratorIjlEEPaPlSF_S6_NS0_8equal_toIaEEEE10hipError_tPvRmT2_T3_mT4_T5_T6_T7_T8_P12ihipStream_tbENKUlT_T0_E_clISt17integral_constantIbLb1EESY_IbLb0EEEEDaSU_SV_EUlSU_E_NS1_11comp_targetILNS1_3genE2ELNS1_11target_archE906ELNS1_3gpuE6ELNS1_3repE0EEENS1_30default_config_static_selectorELNS0_4arch9wavefront6targetE0EEEvT1_,comdat
	.protected	_ZN7rocprim17ROCPRIM_400000_NS6detail17trampoline_kernelINS0_14default_configENS1_33run_length_encode_config_selectorIajNS0_4plusIjEEEEZZNS1_33reduce_by_key_impl_wrapped_configILNS1_25lookback_scan_determinismE0ES3_S7_PKaNS0_17constant_iteratorIjlEEPaPlSF_S6_NS0_8equal_toIaEEEE10hipError_tPvRmT2_T3_mT4_T5_T6_T7_T8_P12ihipStream_tbENKUlT_T0_E_clISt17integral_constantIbLb1EESY_IbLb0EEEEDaSU_SV_EUlSU_E_NS1_11comp_targetILNS1_3genE2ELNS1_11target_archE906ELNS1_3gpuE6ELNS1_3repE0EEENS1_30default_config_static_selectorELNS0_4arch9wavefront6targetE0EEEvT1_ ; -- Begin function _ZN7rocprim17ROCPRIM_400000_NS6detail17trampoline_kernelINS0_14default_configENS1_33run_length_encode_config_selectorIajNS0_4plusIjEEEEZZNS1_33reduce_by_key_impl_wrapped_configILNS1_25lookback_scan_determinismE0ES3_S7_PKaNS0_17constant_iteratorIjlEEPaPlSF_S6_NS0_8equal_toIaEEEE10hipError_tPvRmT2_T3_mT4_T5_T6_T7_T8_P12ihipStream_tbENKUlT_T0_E_clISt17integral_constantIbLb1EESY_IbLb0EEEEDaSU_SV_EUlSU_E_NS1_11comp_targetILNS1_3genE2ELNS1_11target_archE906ELNS1_3gpuE6ELNS1_3repE0EEENS1_30default_config_static_selectorELNS0_4arch9wavefront6targetE0EEEvT1_
	.globl	_ZN7rocprim17ROCPRIM_400000_NS6detail17trampoline_kernelINS0_14default_configENS1_33run_length_encode_config_selectorIajNS0_4plusIjEEEEZZNS1_33reduce_by_key_impl_wrapped_configILNS1_25lookback_scan_determinismE0ES3_S7_PKaNS0_17constant_iteratorIjlEEPaPlSF_S6_NS0_8equal_toIaEEEE10hipError_tPvRmT2_T3_mT4_T5_T6_T7_T8_P12ihipStream_tbENKUlT_T0_E_clISt17integral_constantIbLb1EESY_IbLb0EEEEDaSU_SV_EUlSU_E_NS1_11comp_targetILNS1_3genE2ELNS1_11target_archE906ELNS1_3gpuE6ELNS1_3repE0EEENS1_30default_config_static_selectorELNS0_4arch9wavefront6targetE0EEEvT1_
	.p2align	8
	.type	_ZN7rocprim17ROCPRIM_400000_NS6detail17trampoline_kernelINS0_14default_configENS1_33run_length_encode_config_selectorIajNS0_4plusIjEEEEZZNS1_33reduce_by_key_impl_wrapped_configILNS1_25lookback_scan_determinismE0ES3_S7_PKaNS0_17constant_iteratorIjlEEPaPlSF_S6_NS0_8equal_toIaEEEE10hipError_tPvRmT2_T3_mT4_T5_T6_T7_T8_P12ihipStream_tbENKUlT_T0_E_clISt17integral_constantIbLb1EESY_IbLb0EEEEDaSU_SV_EUlSU_E_NS1_11comp_targetILNS1_3genE2ELNS1_11target_archE906ELNS1_3gpuE6ELNS1_3repE0EEENS1_30default_config_static_selectorELNS0_4arch9wavefront6targetE0EEEvT1_,@function
_ZN7rocprim17ROCPRIM_400000_NS6detail17trampoline_kernelINS0_14default_configENS1_33run_length_encode_config_selectorIajNS0_4plusIjEEEEZZNS1_33reduce_by_key_impl_wrapped_configILNS1_25lookback_scan_determinismE0ES3_S7_PKaNS0_17constant_iteratorIjlEEPaPlSF_S6_NS0_8equal_toIaEEEE10hipError_tPvRmT2_T3_mT4_T5_T6_T7_T8_P12ihipStream_tbENKUlT_T0_E_clISt17integral_constantIbLb1EESY_IbLb0EEEEDaSU_SV_EUlSU_E_NS1_11comp_targetILNS1_3genE2ELNS1_11target_archE906ELNS1_3gpuE6ELNS1_3repE0EEENS1_30default_config_static_selectorELNS0_4arch9wavefront6targetE0EEEvT1_: ; @_ZN7rocprim17ROCPRIM_400000_NS6detail17trampoline_kernelINS0_14default_configENS1_33run_length_encode_config_selectorIajNS0_4plusIjEEEEZZNS1_33reduce_by_key_impl_wrapped_configILNS1_25lookback_scan_determinismE0ES3_S7_PKaNS0_17constant_iteratorIjlEEPaPlSF_S6_NS0_8equal_toIaEEEE10hipError_tPvRmT2_T3_mT4_T5_T6_T7_T8_P12ihipStream_tbENKUlT_T0_E_clISt17integral_constantIbLb1EESY_IbLb0EEEEDaSU_SV_EUlSU_E_NS1_11comp_targetILNS1_3genE2ELNS1_11target_archE906ELNS1_3gpuE6ELNS1_3repE0EEENS1_30default_config_static_selectorELNS0_4arch9wavefront6targetE0EEEvT1_
; %bb.0:
	.section	.rodata,"a",@progbits
	.p2align	6, 0x0
	.amdhsa_kernel _ZN7rocprim17ROCPRIM_400000_NS6detail17trampoline_kernelINS0_14default_configENS1_33run_length_encode_config_selectorIajNS0_4plusIjEEEEZZNS1_33reduce_by_key_impl_wrapped_configILNS1_25lookback_scan_determinismE0ES3_S7_PKaNS0_17constant_iteratorIjlEEPaPlSF_S6_NS0_8equal_toIaEEEE10hipError_tPvRmT2_T3_mT4_T5_T6_T7_T8_P12ihipStream_tbENKUlT_T0_E_clISt17integral_constantIbLb1EESY_IbLb0EEEEDaSU_SV_EUlSU_E_NS1_11comp_targetILNS1_3genE2ELNS1_11target_archE906ELNS1_3gpuE6ELNS1_3repE0EEENS1_30default_config_static_selectorELNS0_4arch9wavefront6targetE0EEEvT1_
		.amdhsa_group_segment_fixed_size 0
		.amdhsa_private_segment_fixed_size 0
		.amdhsa_kernarg_size 128
		.amdhsa_user_sgpr_count 2
		.amdhsa_user_sgpr_dispatch_ptr 0
		.amdhsa_user_sgpr_queue_ptr 0
		.amdhsa_user_sgpr_kernarg_segment_ptr 1
		.amdhsa_user_sgpr_dispatch_id 0
		.amdhsa_user_sgpr_kernarg_preload_length 0
		.amdhsa_user_sgpr_kernarg_preload_offset 0
		.amdhsa_user_sgpr_private_segment_size 0
		.amdhsa_wavefront_size32 1
		.amdhsa_uses_dynamic_stack 0
		.amdhsa_enable_private_segment 0
		.amdhsa_system_sgpr_workgroup_id_x 1
		.amdhsa_system_sgpr_workgroup_id_y 0
		.amdhsa_system_sgpr_workgroup_id_z 0
		.amdhsa_system_sgpr_workgroup_info 0
		.amdhsa_system_vgpr_workitem_id 0
		.amdhsa_next_free_vgpr 1
		.amdhsa_next_free_sgpr 1
		.amdhsa_named_barrier_count 0
		.amdhsa_reserve_vcc 0
		.amdhsa_float_round_mode_32 0
		.amdhsa_float_round_mode_16_64 0
		.amdhsa_float_denorm_mode_32 3
		.amdhsa_float_denorm_mode_16_64 3
		.amdhsa_fp16_overflow 0
		.amdhsa_memory_ordered 1
		.amdhsa_forward_progress 1
		.amdhsa_inst_pref_size 0
		.amdhsa_round_robin_scheduling 0
		.amdhsa_exception_fp_ieee_invalid_op 0
		.amdhsa_exception_fp_denorm_src 0
		.amdhsa_exception_fp_ieee_div_zero 0
		.amdhsa_exception_fp_ieee_overflow 0
		.amdhsa_exception_fp_ieee_underflow 0
		.amdhsa_exception_fp_ieee_inexact 0
		.amdhsa_exception_int_div_zero 0
	.end_amdhsa_kernel
	.section	.text._ZN7rocprim17ROCPRIM_400000_NS6detail17trampoline_kernelINS0_14default_configENS1_33run_length_encode_config_selectorIajNS0_4plusIjEEEEZZNS1_33reduce_by_key_impl_wrapped_configILNS1_25lookback_scan_determinismE0ES3_S7_PKaNS0_17constant_iteratorIjlEEPaPlSF_S6_NS0_8equal_toIaEEEE10hipError_tPvRmT2_T3_mT4_T5_T6_T7_T8_P12ihipStream_tbENKUlT_T0_E_clISt17integral_constantIbLb1EESY_IbLb0EEEEDaSU_SV_EUlSU_E_NS1_11comp_targetILNS1_3genE2ELNS1_11target_archE906ELNS1_3gpuE6ELNS1_3repE0EEENS1_30default_config_static_selectorELNS0_4arch9wavefront6targetE0EEEvT1_,"axG",@progbits,_ZN7rocprim17ROCPRIM_400000_NS6detail17trampoline_kernelINS0_14default_configENS1_33run_length_encode_config_selectorIajNS0_4plusIjEEEEZZNS1_33reduce_by_key_impl_wrapped_configILNS1_25lookback_scan_determinismE0ES3_S7_PKaNS0_17constant_iteratorIjlEEPaPlSF_S6_NS0_8equal_toIaEEEE10hipError_tPvRmT2_T3_mT4_T5_T6_T7_T8_P12ihipStream_tbENKUlT_T0_E_clISt17integral_constantIbLb1EESY_IbLb0EEEEDaSU_SV_EUlSU_E_NS1_11comp_targetILNS1_3genE2ELNS1_11target_archE906ELNS1_3gpuE6ELNS1_3repE0EEENS1_30default_config_static_selectorELNS0_4arch9wavefront6targetE0EEEvT1_,comdat
.Lfunc_end257:
	.size	_ZN7rocprim17ROCPRIM_400000_NS6detail17trampoline_kernelINS0_14default_configENS1_33run_length_encode_config_selectorIajNS0_4plusIjEEEEZZNS1_33reduce_by_key_impl_wrapped_configILNS1_25lookback_scan_determinismE0ES3_S7_PKaNS0_17constant_iteratorIjlEEPaPlSF_S6_NS0_8equal_toIaEEEE10hipError_tPvRmT2_T3_mT4_T5_T6_T7_T8_P12ihipStream_tbENKUlT_T0_E_clISt17integral_constantIbLb1EESY_IbLb0EEEEDaSU_SV_EUlSU_E_NS1_11comp_targetILNS1_3genE2ELNS1_11target_archE906ELNS1_3gpuE6ELNS1_3repE0EEENS1_30default_config_static_selectorELNS0_4arch9wavefront6targetE0EEEvT1_, .Lfunc_end257-_ZN7rocprim17ROCPRIM_400000_NS6detail17trampoline_kernelINS0_14default_configENS1_33run_length_encode_config_selectorIajNS0_4plusIjEEEEZZNS1_33reduce_by_key_impl_wrapped_configILNS1_25lookback_scan_determinismE0ES3_S7_PKaNS0_17constant_iteratorIjlEEPaPlSF_S6_NS0_8equal_toIaEEEE10hipError_tPvRmT2_T3_mT4_T5_T6_T7_T8_P12ihipStream_tbENKUlT_T0_E_clISt17integral_constantIbLb1EESY_IbLb0EEEEDaSU_SV_EUlSU_E_NS1_11comp_targetILNS1_3genE2ELNS1_11target_archE906ELNS1_3gpuE6ELNS1_3repE0EEENS1_30default_config_static_selectorELNS0_4arch9wavefront6targetE0EEEvT1_
                                        ; -- End function
	.set _ZN7rocprim17ROCPRIM_400000_NS6detail17trampoline_kernelINS0_14default_configENS1_33run_length_encode_config_selectorIajNS0_4plusIjEEEEZZNS1_33reduce_by_key_impl_wrapped_configILNS1_25lookback_scan_determinismE0ES3_S7_PKaNS0_17constant_iteratorIjlEEPaPlSF_S6_NS0_8equal_toIaEEEE10hipError_tPvRmT2_T3_mT4_T5_T6_T7_T8_P12ihipStream_tbENKUlT_T0_E_clISt17integral_constantIbLb1EESY_IbLb0EEEEDaSU_SV_EUlSU_E_NS1_11comp_targetILNS1_3genE2ELNS1_11target_archE906ELNS1_3gpuE6ELNS1_3repE0EEENS1_30default_config_static_selectorELNS0_4arch9wavefront6targetE0EEEvT1_.num_vgpr, 0
	.set _ZN7rocprim17ROCPRIM_400000_NS6detail17trampoline_kernelINS0_14default_configENS1_33run_length_encode_config_selectorIajNS0_4plusIjEEEEZZNS1_33reduce_by_key_impl_wrapped_configILNS1_25lookback_scan_determinismE0ES3_S7_PKaNS0_17constant_iteratorIjlEEPaPlSF_S6_NS0_8equal_toIaEEEE10hipError_tPvRmT2_T3_mT4_T5_T6_T7_T8_P12ihipStream_tbENKUlT_T0_E_clISt17integral_constantIbLb1EESY_IbLb0EEEEDaSU_SV_EUlSU_E_NS1_11comp_targetILNS1_3genE2ELNS1_11target_archE906ELNS1_3gpuE6ELNS1_3repE0EEENS1_30default_config_static_selectorELNS0_4arch9wavefront6targetE0EEEvT1_.num_agpr, 0
	.set _ZN7rocprim17ROCPRIM_400000_NS6detail17trampoline_kernelINS0_14default_configENS1_33run_length_encode_config_selectorIajNS0_4plusIjEEEEZZNS1_33reduce_by_key_impl_wrapped_configILNS1_25lookback_scan_determinismE0ES3_S7_PKaNS0_17constant_iteratorIjlEEPaPlSF_S6_NS0_8equal_toIaEEEE10hipError_tPvRmT2_T3_mT4_T5_T6_T7_T8_P12ihipStream_tbENKUlT_T0_E_clISt17integral_constantIbLb1EESY_IbLb0EEEEDaSU_SV_EUlSU_E_NS1_11comp_targetILNS1_3genE2ELNS1_11target_archE906ELNS1_3gpuE6ELNS1_3repE0EEENS1_30default_config_static_selectorELNS0_4arch9wavefront6targetE0EEEvT1_.numbered_sgpr, 0
	.set _ZN7rocprim17ROCPRIM_400000_NS6detail17trampoline_kernelINS0_14default_configENS1_33run_length_encode_config_selectorIajNS0_4plusIjEEEEZZNS1_33reduce_by_key_impl_wrapped_configILNS1_25lookback_scan_determinismE0ES3_S7_PKaNS0_17constant_iteratorIjlEEPaPlSF_S6_NS0_8equal_toIaEEEE10hipError_tPvRmT2_T3_mT4_T5_T6_T7_T8_P12ihipStream_tbENKUlT_T0_E_clISt17integral_constantIbLb1EESY_IbLb0EEEEDaSU_SV_EUlSU_E_NS1_11comp_targetILNS1_3genE2ELNS1_11target_archE906ELNS1_3gpuE6ELNS1_3repE0EEENS1_30default_config_static_selectorELNS0_4arch9wavefront6targetE0EEEvT1_.num_named_barrier, 0
	.set _ZN7rocprim17ROCPRIM_400000_NS6detail17trampoline_kernelINS0_14default_configENS1_33run_length_encode_config_selectorIajNS0_4plusIjEEEEZZNS1_33reduce_by_key_impl_wrapped_configILNS1_25lookback_scan_determinismE0ES3_S7_PKaNS0_17constant_iteratorIjlEEPaPlSF_S6_NS0_8equal_toIaEEEE10hipError_tPvRmT2_T3_mT4_T5_T6_T7_T8_P12ihipStream_tbENKUlT_T0_E_clISt17integral_constantIbLb1EESY_IbLb0EEEEDaSU_SV_EUlSU_E_NS1_11comp_targetILNS1_3genE2ELNS1_11target_archE906ELNS1_3gpuE6ELNS1_3repE0EEENS1_30default_config_static_selectorELNS0_4arch9wavefront6targetE0EEEvT1_.private_seg_size, 0
	.set _ZN7rocprim17ROCPRIM_400000_NS6detail17trampoline_kernelINS0_14default_configENS1_33run_length_encode_config_selectorIajNS0_4plusIjEEEEZZNS1_33reduce_by_key_impl_wrapped_configILNS1_25lookback_scan_determinismE0ES3_S7_PKaNS0_17constant_iteratorIjlEEPaPlSF_S6_NS0_8equal_toIaEEEE10hipError_tPvRmT2_T3_mT4_T5_T6_T7_T8_P12ihipStream_tbENKUlT_T0_E_clISt17integral_constantIbLb1EESY_IbLb0EEEEDaSU_SV_EUlSU_E_NS1_11comp_targetILNS1_3genE2ELNS1_11target_archE906ELNS1_3gpuE6ELNS1_3repE0EEENS1_30default_config_static_selectorELNS0_4arch9wavefront6targetE0EEEvT1_.uses_vcc, 0
	.set _ZN7rocprim17ROCPRIM_400000_NS6detail17trampoline_kernelINS0_14default_configENS1_33run_length_encode_config_selectorIajNS0_4plusIjEEEEZZNS1_33reduce_by_key_impl_wrapped_configILNS1_25lookback_scan_determinismE0ES3_S7_PKaNS0_17constant_iteratorIjlEEPaPlSF_S6_NS0_8equal_toIaEEEE10hipError_tPvRmT2_T3_mT4_T5_T6_T7_T8_P12ihipStream_tbENKUlT_T0_E_clISt17integral_constantIbLb1EESY_IbLb0EEEEDaSU_SV_EUlSU_E_NS1_11comp_targetILNS1_3genE2ELNS1_11target_archE906ELNS1_3gpuE6ELNS1_3repE0EEENS1_30default_config_static_selectorELNS0_4arch9wavefront6targetE0EEEvT1_.uses_flat_scratch, 0
	.set _ZN7rocprim17ROCPRIM_400000_NS6detail17trampoline_kernelINS0_14default_configENS1_33run_length_encode_config_selectorIajNS0_4plusIjEEEEZZNS1_33reduce_by_key_impl_wrapped_configILNS1_25lookback_scan_determinismE0ES3_S7_PKaNS0_17constant_iteratorIjlEEPaPlSF_S6_NS0_8equal_toIaEEEE10hipError_tPvRmT2_T3_mT4_T5_T6_T7_T8_P12ihipStream_tbENKUlT_T0_E_clISt17integral_constantIbLb1EESY_IbLb0EEEEDaSU_SV_EUlSU_E_NS1_11comp_targetILNS1_3genE2ELNS1_11target_archE906ELNS1_3gpuE6ELNS1_3repE0EEENS1_30default_config_static_selectorELNS0_4arch9wavefront6targetE0EEEvT1_.has_dyn_sized_stack, 0
	.set _ZN7rocprim17ROCPRIM_400000_NS6detail17trampoline_kernelINS0_14default_configENS1_33run_length_encode_config_selectorIajNS0_4plusIjEEEEZZNS1_33reduce_by_key_impl_wrapped_configILNS1_25lookback_scan_determinismE0ES3_S7_PKaNS0_17constant_iteratorIjlEEPaPlSF_S6_NS0_8equal_toIaEEEE10hipError_tPvRmT2_T3_mT4_T5_T6_T7_T8_P12ihipStream_tbENKUlT_T0_E_clISt17integral_constantIbLb1EESY_IbLb0EEEEDaSU_SV_EUlSU_E_NS1_11comp_targetILNS1_3genE2ELNS1_11target_archE906ELNS1_3gpuE6ELNS1_3repE0EEENS1_30default_config_static_selectorELNS0_4arch9wavefront6targetE0EEEvT1_.has_recursion, 0
	.set _ZN7rocprim17ROCPRIM_400000_NS6detail17trampoline_kernelINS0_14default_configENS1_33run_length_encode_config_selectorIajNS0_4plusIjEEEEZZNS1_33reduce_by_key_impl_wrapped_configILNS1_25lookback_scan_determinismE0ES3_S7_PKaNS0_17constant_iteratorIjlEEPaPlSF_S6_NS0_8equal_toIaEEEE10hipError_tPvRmT2_T3_mT4_T5_T6_T7_T8_P12ihipStream_tbENKUlT_T0_E_clISt17integral_constantIbLb1EESY_IbLb0EEEEDaSU_SV_EUlSU_E_NS1_11comp_targetILNS1_3genE2ELNS1_11target_archE906ELNS1_3gpuE6ELNS1_3repE0EEENS1_30default_config_static_selectorELNS0_4arch9wavefront6targetE0EEEvT1_.has_indirect_call, 0
	.section	.AMDGPU.csdata,"",@progbits
; Kernel info:
; codeLenInByte = 0
; TotalNumSgprs: 0
; NumVgprs: 0
; ScratchSize: 0
; MemoryBound: 0
; FloatMode: 240
; IeeeMode: 1
; LDSByteSize: 0 bytes/workgroup (compile time only)
; SGPRBlocks: 0
; VGPRBlocks: 0
; NumSGPRsForWavesPerEU: 1
; NumVGPRsForWavesPerEU: 1
; NamedBarCnt: 0
; Occupancy: 16
; WaveLimiterHint : 0
; COMPUTE_PGM_RSRC2:SCRATCH_EN: 0
; COMPUTE_PGM_RSRC2:USER_SGPR: 2
; COMPUTE_PGM_RSRC2:TRAP_HANDLER: 0
; COMPUTE_PGM_RSRC2:TGID_X_EN: 1
; COMPUTE_PGM_RSRC2:TGID_Y_EN: 0
; COMPUTE_PGM_RSRC2:TGID_Z_EN: 0
; COMPUTE_PGM_RSRC2:TIDIG_COMP_CNT: 0
	.section	.text._ZN7rocprim17ROCPRIM_400000_NS6detail17trampoline_kernelINS0_14default_configENS1_33run_length_encode_config_selectorIajNS0_4plusIjEEEEZZNS1_33reduce_by_key_impl_wrapped_configILNS1_25lookback_scan_determinismE0ES3_S7_PKaNS0_17constant_iteratorIjlEEPaPlSF_S6_NS0_8equal_toIaEEEE10hipError_tPvRmT2_T3_mT4_T5_T6_T7_T8_P12ihipStream_tbENKUlT_T0_E_clISt17integral_constantIbLb1EESY_IbLb0EEEEDaSU_SV_EUlSU_E_NS1_11comp_targetILNS1_3genE10ELNS1_11target_archE1201ELNS1_3gpuE5ELNS1_3repE0EEENS1_30default_config_static_selectorELNS0_4arch9wavefront6targetE0EEEvT1_,"axG",@progbits,_ZN7rocprim17ROCPRIM_400000_NS6detail17trampoline_kernelINS0_14default_configENS1_33run_length_encode_config_selectorIajNS0_4plusIjEEEEZZNS1_33reduce_by_key_impl_wrapped_configILNS1_25lookback_scan_determinismE0ES3_S7_PKaNS0_17constant_iteratorIjlEEPaPlSF_S6_NS0_8equal_toIaEEEE10hipError_tPvRmT2_T3_mT4_T5_T6_T7_T8_P12ihipStream_tbENKUlT_T0_E_clISt17integral_constantIbLb1EESY_IbLb0EEEEDaSU_SV_EUlSU_E_NS1_11comp_targetILNS1_3genE10ELNS1_11target_archE1201ELNS1_3gpuE5ELNS1_3repE0EEENS1_30default_config_static_selectorELNS0_4arch9wavefront6targetE0EEEvT1_,comdat
	.protected	_ZN7rocprim17ROCPRIM_400000_NS6detail17trampoline_kernelINS0_14default_configENS1_33run_length_encode_config_selectorIajNS0_4plusIjEEEEZZNS1_33reduce_by_key_impl_wrapped_configILNS1_25lookback_scan_determinismE0ES3_S7_PKaNS0_17constant_iteratorIjlEEPaPlSF_S6_NS0_8equal_toIaEEEE10hipError_tPvRmT2_T3_mT4_T5_T6_T7_T8_P12ihipStream_tbENKUlT_T0_E_clISt17integral_constantIbLb1EESY_IbLb0EEEEDaSU_SV_EUlSU_E_NS1_11comp_targetILNS1_3genE10ELNS1_11target_archE1201ELNS1_3gpuE5ELNS1_3repE0EEENS1_30default_config_static_selectorELNS0_4arch9wavefront6targetE0EEEvT1_ ; -- Begin function _ZN7rocprim17ROCPRIM_400000_NS6detail17trampoline_kernelINS0_14default_configENS1_33run_length_encode_config_selectorIajNS0_4plusIjEEEEZZNS1_33reduce_by_key_impl_wrapped_configILNS1_25lookback_scan_determinismE0ES3_S7_PKaNS0_17constant_iteratorIjlEEPaPlSF_S6_NS0_8equal_toIaEEEE10hipError_tPvRmT2_T3_mT4_T5_T6_T7_T8_P12ihipStream_tbENKUlT_T0_E_clISt17integral_constantIbLb1EESY_IbLb0EEEEDaSU_SV_EUlSU_E_NS1_11comp_targetILNS1_3genE10ELNS1_11target_archE1201ELNS1_3gpuE5ELNS1_3repE0EEENS1_30default_config_static_selectorELNS0_4arch9wavefront6targetE0EEEvT1_
	.globl	_ZN7rocprim17ROCPRIM_400000_NS6detail17trampoline_kernelINS0_14default_configENS1_33run_length_encode_config_selectorIajNS0_4plusIjEEEEZZNS1_33reduce_by_key_impl_wrapped_configILNS1_25lookback_scan_determinismE0ES3_S7_PKaNS0_17constant_iteratorIjlEEPaPlSF_S6_NS0_8equal_toIaEEEE10hipError_tPvRmT2_T3_mT4_T5_T6_T7_T8_P12ihipStream_tbENKUlT_T0_E_clISt17integral_constantIbLb1EESY_IbLb0EEEEDaSU_SV_EUlSU_E_NS1_11comp_targetILNS1_3genE10ELNS1_11target_archE1201ELNS1_3gpuE5ELNS1_3repE0EEENS1_30default_config_static_selectorELNS0_4arch9wavefront6targetE0EEEvT1_
	.p2align	8
	.type	_ZN7rocprim17ROCPRIM_400000_NS6detail17trampoline_kernelINS0_14default_configENS1_33run_length_encode_config_selectorIajNS0_4plusIjEEEEZZNS1_33reduce_by_key_impl_wrapped_configILNS1_25lookback_scan_determinismE0ES3_S7_PKaNS0_17constant_iteratorIjlEEPaPlSF_S6_NS0_8equal_toIaEEEE10hipError_tPvRmT2_T3_mT4_T5_T6_T7_T8_P12ihipStream_tbENKUlT_T0_E_clISt17integral_constantIbLb1EESY_IbLb0EEEEDaSU_SV_EUlSU_E_NS1_11comp_targetILNS1_3genE10ELNS1_11target_archE1201ELNS1_3gpuE5ELNS1_3repE0EEENS1_30default_config_static_selectorELNS0_4arch9wavefront6targetE0EEEvT1_,@function
_ZN7rocprim17ROCPRIM_400000_NS6detail17trampoline_kernelINS0_14default_configENS1_33run_length_encode_config_selectorIajNS0_4plusIjEEEEZZNS1_33reduce_by_key_impl_wrapped_configILNS1_25lookback_scan_determinismE0ES3_S7_PKaNS0_17constant_iteratorIjlEEPaPlSF_S6_NS0_8equal_toIaEEEE10hipError_tPvRmT2_T3_mT4_T5_T6_T7_T8_P12ihipStream_tbENKUlT_T0_E_clISt17integral_constantIbLb1EESY_IbLb0EEEEDaSU_SV_EUlSU_E_NS1_11comp_targetILNS1_3genE10ELNS1_11target_archE1201ELNS1_3gpuE5ELNS1_3repE0EEENS1_30default_config_static_selectorELNS0_4arch9wavefront6targetE0EEEvT1_: ; @_ZN7rocprim17ROCPRIM_400000_NS6detail17trampoline_kernelINS0_14default_configENS1_33run_length_encode_config_selectorIajNS0_4plusIjEEEEZZNS1_33reduce_by_key_impl_wrapped_configILNS1_25lookback_scan_determinismE0ES3_S7_PKaNS0_17constant_iteratorIjlEEPaPlSF_S6_NS0_8equal_toIaEEEE10hipError_tPvRmT2_T3_mT4_T5_T6_T7_T8_P12ihipStream_tbENKUlT_T0_E_clISt17integral_constantIbLb1EESY_IbLb0EEEEDaSU_SV_EUlSU_E_NS1_11comp_targetILNS1_3genE10ELNS1_11target_archE1201ELNS1_3gpuE5ELNS1_3repE0EEENS1_30default_config_static_selectorELNS0_4arch9wavefront6targetE0EEEvT1_
; %bb.0:
	.section	.rodata,"a",@progbits
	.p2align	6, 0x0
	.amdhsa_kernel _ZN7rocprim17ROCPRIM_400000_NS6detail17trampoline_kernelINS0_14default_configENS1_33run_length_encode_config_selectorIajNS0_4plusIjEEEEZZNS1_33reduce_by_key_impl_wrapped_configILNS1_25lookback_scan_determinismE0ES3_S7_PKaNS0_17constant_iteratorIjlEEPaPlSF_S6_NS0_8equal_toIaEEEE10hipError_tPvRmT2_T3_mT4_T5_T6_T7_T8_P12ihipStream_tbENKUlT_T0_E_clISt17integral_constantIbLb1EESY_IbLb0EEEEDaSU_SV_EUlSU_E_NS1_11comp_targetILNS1_3genE10ELNS1_11target_archE1201ELNS1_3gpuE5ELNS1_3repE0EEENS1_30default_config_static_selectorELNS0_4arch9wavefront6targetE0EEEvT1_
		.amdhsa_group_segment_fixed_size 0
		.amdhsa_private_segment_fixed_size 0
		.amdhsa_kernarg_size 128
		.amdhsa_user_sgpr_count 2
		.amdhsa_user_sgpr_dispatch_ptr 0
		.amdhsa_user_sgpr_queue_ptr 0
		.amdhsa_user_sgpr_kernarg_segment_ptr 1
		.amdhsa_user_sgpr_dispatch_id 0
		.amdhsa_user_sgpr_kernarg_preload_length 0
		.amdhsa_user_sgpr_kernarg_preload_offset 0
		.amdhsa_user_sgpr_private_segment_size 0
		.amdhsa_wavefront_size32 1
		.amdhsa_uses_dynamic_stack 0
		.amdhsa_enable_private_segment 0
		.amdhsa_system_sgpr_workgroup_id_x 1
		.amdhsa_system_sgpr_workgroup_id_y 0
		.amdhsa_system_sgpr_workgroup_id_z 0
		.amdhsa_system_sgpr_workgroup_info 0
		.amdhsa_system_vgpr_workitem_id 0
		.amdhsa_next_free_vgpr 1
		.amdhsa_next_free_sgpr 1
		.amdhsa_named_barrier_count 0
		.amdhsa_reserve_vcc 0
		.amdhsa_float_round_mode_32 0
		.amdhsa_float_round_mode_16_64 0
		.amdhsa_float_denorm_mode_32 3
		.amdhsa_float_denorm_mode_16_64 3
		.amdhsa_fp16_overflow 0
		.amdhsa_memory_ordered 1
		.amdhsa_forward_progress 1
		.amdhsa_inst_pref_size 0
		.amdhsa_round_robin_scheduling 0
		.amdhsa_exception_fp_ieee_invalid_op 0
		.amdhsa_exception_fp_denorm_src 0
		.amdhsa_exception_fp_ieee_div_zero 0
		.amdhsa_exception_fp_ieee_overflow 0
		.amdhsa_exception_fp_ieee_underflow 0
		.amdhsa_exception_fp_ieee_inexact 0
		.amdhsa_exception_int_div_zero 0
	.end_amdhsa_kernel
	.section	.text._ZN7rocprim17ROCPRIM_400000_NS6detail17trampoline_kernelINS0_14default_configENS1_33run_length_encode_config_selectorIajNS0_4plusIjEEEEZZNS1_33reduce_by_key_impl_wrapped_configILNS1_25lookback_scan_determinismE0ES3_S7_PKaNS0_17constant_iteratorIjlEEPaPlSF_S6_NS0_8equal_toIaEEEE10hipError_tPvRmT2_T3_mT4_T5_T6_T7_T8_P12ihipStream_tbENKUlT_T0_E_clISt17integral_constantIbLb1EESY_IbLb0EEEEDaSU_SV_EUlSU_E_NS1_11comp_targetILNS1_3genE10ELNS1_11target_archE1201ELNS1_3gpuE5ELNS1_3repE0EEENS1_30default_config_static_selectorELNS0_4arch9wavefront6targetE0EEEvT1_,"axG",@progbits,_ZN7rocprim17ROCPRIM_400000_NS6detail17trampoline_kernelINS0_14default_configENS1_33run_length_encode_config_selectorIajNS0_4plusIjEEEEZZNS1_33reduce_by_key_impl_wrapped_configILNS1_25lookback_scan_determinismE0ES3_S7_PKaNS0_17constant_iteratorIjlEEPaPlSF_S6_NS0_8equal_toIaEEEE10hipError_tPvRmT2_T3_mT4_T5_T6_T7_T8_P12ihipStream_tbENKUlT_T0_E_clISt17integral_constantIbLb1EESY_IbLb0EEEEDaSU_SV_EUlSU_E_NS1_11comp_targetILNS1_3genE10ELNS1_11target_archE1201ELNS1_3gpuE5ELNS1_3repE0EEENS1_30default_config_static_selectorELNS0_4arch9wavefront6targetE0EEEvT1_,comdat
.Lfunc_end258:
	.size	_ZN7rocprim17ROCPRIM_400000_NS6detail17trampoline_kernelINS0_14default_configENS1_33run_length_encode_config_selectorIajNS0_4plusIjEEEEZZNS1_33reduce_by_key_impl_wrapped_configILNS1_25lookback_scan_determinismE0ES3_S7_PKaNS0_17constant_iteratorIjlEEPaPlSF_S6_NS0_8equal_toIaEEEE10hipError_tPvRmT2_T3_mT4_T5_T6_T7_T8_P12ihipStream_tbENKUlT_T0_E_clISt17integral_constantIbLb1EESY_IbLb0EEEEDaSU_SV_EUlSU_E_NS1_11comp_targetILNS1_3genE10ELNS1_11target_archE1201ELNS1_3gpuE5ELNS1_3repE0EEENS1_30default_config_static_selectorELNS0_4arch9wavefront6targetE0EEEvT1_, .Lfunc_end258-_ZN7rocprim17ROCPRIM_400000_NS6detail17trampoline_kernelINS0_14default_configENS1_33run_length_encode_config_selectorIajNS0_4plusIjEEEEZZNS1_33reduce_by_key_impl_wrapped_configILNS1_25lookback_scan_determinismE0ES3_S7_PKaNS0_17constant_iteratorIjlEEPaPlSF_S6_NS0_8equal_toIaEEEE10hipError_tPvRmT2_T3_mT4_T5_T6_T7_T8_P12ihipStream_tbENKUlT_T0_E_clISt17integral_constantIbLb1EESY_IbLb0EEEEDaSU_SV_EUlSU_E_NS1_11comp_targetILNS1_3genE10ELNS1_11target_archE1201ELNS1_3gpuE5ELNS1_3repE0EEENS1_30default_config_static_selectorELNS0_4arch9wavefront6targetE0EEEvT1_
                                        ; -- End function
	.set _ZN7rocprim17ROCPRIM_400000_NS6detail17trampoline_kernelINS0_14default_configENS1_33run_length_encode_config_selectorIajNS0_4plusIjEEEEZZNS1_33reduce_by_key_impl_wrapped_configILNS1_25lookback_scan_determinismE0ES3_S7_PKaNS0_17constant_iteratorIjlEEPaPlSF_S6_NS0_8equal_toIaEEEE10hipError_tPvRmT2_T3_mT4_T5_T6_T7_T8_P12ihipStream_tbENKUlT_T0_E_clISt17integral_constantIbLb1EESY_IbLb0EEEEDaSU_SV_EUlSU_E_NS1_11comp_targetILNS1_3genE10ELNS1_11target_archE1201ELNS1_3gpuE5ELNS1_3repE0EEENS1_30default_config_static_selectorELNS0_4arch9wavefront6targetE0EEEvT1_.num_vgpr, 0
	.set _ZN7rocprim17ROCPRIM_400000_NS6detail17trampoline_kernelINS0_14default_configENS1_33run_length_encode_config_selectorIajNS0_4plusIjEEEEZZNS1_33reduce_by_key_impl_wrapped_configILNS1_25lookback_scan_determinismE0ES3_S7_PKaNS0_17constant_iteratorIjlEEPaPlSF_S6_NS0_8equal_toIaEEEE10hipError_tPvRmT2_T3_mT4_T5_T6_T7_T8_P12ihipStream_tbENKUlT_T0_E_clISt17integral_constantIbLb1EESY_IbLb0EEEEDaSU_SV_EUlSU_E_NS1_11comp_targetILNS1_3genE10ELNS1_11target_archE1201ELNS1_3gpuE5ELNS1_3repE0EEENS1_30default_config_static_selectorELNS0_4arch9wavefront6targetE0EEEvT1_.num_agpr, 0
	.set _ZN7rocprim17ROCPRIM_400000_NS6detail17trampoline_kernelINS0_14default_configENS1_33run_length_encode_config_selectorIajNS0_4plusIjEEEEZZNS1_33reduce_by_key_impl_wrapped_configILNS1_25lookback_scan_determinismE0ES3_S7_PKaNS0_17constant_iteratorIjlEEPaPlSF_S6_NS0_8equal_toIaEEEE10hipError_tPvRmT2_T3_mT4_T5_T6_T7_T8_P12ihipStream_tbENKUlT_T0_E_clISt17integral_constantIbLb1EESY_IbLb0EEEEDaSU_SV_EUlSU_E_NS1_11comp_targetILNS1_3genE10ELNS1_11target_archE1201ELNS1_3gpuE5ELNS1_3repE0EEENS1_30default_config_static_selectorELNS0_4arch9wavefront6targetE0EEEvT1_.numbered_sgpr, 0
	.set _ZN7rocprim17ROCPRIM_400000_NS6detail17trampoline_kernelINS0_14default_configENS1_33run_length_encode_config_selectorIajNS0_4plusIjEEEEZZNS1_33reduce_by_key_impl_wrapped_configILNS1_25lookback_scan_determinismE0ES3_S7_PKaNS0_17constant_iteratorIjlEEPaPlSF_S6_NS0_8equal_toIaEEEE10hipError_tPvRmT2_T3_mT4_T5_T6_T7_T8_P12ihipStream_tbENKUlT_T0_E_clISt17integral_constantIbLb1EESY_IbLb0EEEEDaSU_SV_EUlSU_E_NS1_11comp_targetILNS1_3genE10ELNS1_11target_archE1201ELNS1_3gpuE5ELNS1_3repE0EEENS1_30default_config_static_selectorELNS0_4arch9wavefront6targetE0EEEvT1_.num_named_barrier, 0
	.set _ZN7rocprim17ROCPRIM_400000_NS6detail17trampoline_kernelINS0_14default_configENS1_33run_length_encode_config_selectorIajNS0_4plusIjEEEEZZNS1_33reduce_by_key_impl_wrapped_configILNS1_25lookback_scan_determinismE0ES3_S7_PKaNS0_17constant_iteratorIjlEEPaPlSF_S6_NS0_8equal_toIaEEEE10hipError_tPvRmT2_T3_mT4_T5_T6_T7_T8_P12ihipStream_tbENKUlT_T0_E_clISt17integral_constantIbLb1EESY_IbLb0EEEEDaSU_SV_EUlSU_E_NS1_11comp_targetILNS1_3genE10ELNS1_11target_archE1201ELNS1_3gpuE5ELNS1_3repE0EEENS1_30default_config_static_selectorELNS0_4arch9wavefront6targetE0EEEvT1_.private_seg_size, 0
	.set _ZN7rocprim17ROCPRIM_400000_NS6detail17trampoline_kernelINS0_14default_configENS1_33run_length_encode_config_selectorIajNS0_4plusIjEEEEZZNS1_33reduce_by_key_impl_wrapped_configILNS1_25lookback_scan_determinismE0ES3_S7_PKaNS0_17constant_iteratorIjlEEPaPlSF_S6_NS0_8equal_toIaEEEE10hipError_tPvRmT2_T3_mT4_T5_T6_T7_T8_P12ihipStream_tbENKUlT_T0_E_clISt17integral_constantIbLb1EESY_IbLb0EEEEDaSU_SV_EUlSU_E_NS1_11comp_targetILNS1_3genE10ELNS1_11target_archE1201ELNS1_3gpuE5ELNS1_3repE0EEENS1_30default_config_static_selectorELNS0_4arch9wavefront6targetE0EEEvT1_.uses_vcc, 0
	.set _ZN7rocprim17ROCPRIM_400000_NS6detail17trampoline_kernelINS0_14default_configENS1_33run_length_encode_config_selectorIajNS0_4plusIjEEEEZZNS1_33reduce_by_key_impl_wrapped_configILNS1_25lookback_scan_determinismE0ES3_S7_PKaNS0_17constant_iteratorIjlEEPaPlSF_S6_NS0_8equal_toIaEEEE10hipError_tPvRmT2_T3_mT4_T5_T6_T7_T8_P12ihipStream_tbENKUlT_T0_E_clISt17integral_constantIbLb1EESY_IbLb0EEEEDaSU_SV_EUlSU_E_NS1_11comp_targetILNS1_3genE10ELNS1_11target_archE1201ELNS1_3gpuE5ELNS1_3repE0EEENS1_30default_config_static_selectorELNS0_4arch9wavefront6targetE0EEEvT1_.uses_flat_scratch, 0
	.set _ZN7rocprim17ROCPRIM_400000_NS6detail17trampoline_kernelINS0_14default_configENS1_33run_length_encode_config_selectorIajNS0_4plusIjEEEEZZNS1_33reduce_by_key_impl_wrapped_configILNS1_25lookback_scan_determinismE0ES3_S7_PKaNS0_17constant_iteratorIjlEEPaPlSF_S6_NS0_8equal_toIaEEEE10hipError_tPvRmT2_T3_mT4_T5_T6_T7_T8_P12ihipStream_tbENKUlT_T0_E_clISt17integral_constantIbLb1EESY_IbLb0EEEEDaSU_SV_EUlSU_E_NS1_11comp_targetILNS1_3genE10ELNS1_11target_archE1201ELNS1_3gpuE5ELNS1_3repE0EEENS1_30default_config_static_selectorELNS0_4arch9wavefront6targetE0EEEvT1_.has_dyn_sized_stack, 0
	.set _ZN7rocprim17ROCPRIM_400000_NS6detail17trampoline_kernelINS0_14default_configENS1_33run_length_encode_config_selectorIajNS0_4plusIjEEEEZZNS1_33reduce_by_key_impl_wrapped_configILNS1_25lookback_scan_determinismE0ES3_S7_PKaNS0_17constant_iteratorIjlEEPaPlSF_S6_NS0_8equal_toIaEEEE10hipError_tPvRmT2_T3_mT4_T5_T6_T7_T8_P12ihipStream_tbENKUlT_T0_E_clISt17integral_constantIbLb1EESY_IbLb0EEEEDaSU_SV_EUlSU_E_NS1_11comp_targetILNS1_3genE10ELNS1_11target_archE1201ELNS1_3gpuE5ELNS1_3repE0EEENS1_30default_config_static_selectorELNS0_4arch9wavefront6targetE0EEEvT1_.has_recursion, 0
	.set _ZN7rocprim17ROCPRIM_400000_NS6detail17trampoline_kernelINS0_14default_configENS1_33run_length_encode_config_selectorIajNS0_4plusIjEEEEZZNS1_33reduce_by_key_impl_wrapped_configILNS1_25lookback_scan_determinismE0ES3_S7_PKaNS0_17constant_iteratorIjlEEPaPlSF_S6_NS0_8equal_toIaEEEE10hipError_tPvRmT2_T3_mT4_T5_T6_T7_T8_P12ihipStream_tbENKUlT_T0_E_clISt17integral_constantIbLb1EESY_IbLb0EEEEDaSU_SV_EUlSU_E_NS1_11comp_targetILNS1_3genE10ELNS1_11target_archE1201ELNS1_3gpuE5ELNS1_3repE0EEENS1_30default_config_static_selectorELNS0_4arch9wavefront6targetE0EEEvT1_.has_indirect_call, 0
	.section	.AMDGPU.csdata,"",@progbits
; Kernel info:
; codeLenInByte = 0
; TotalNumSgprs: 0
; NumVgprs: 0
; ScratchSize: 0
; MemoryBound: 0
; FloatMode: 240
; IeeeMode: 1
; LDSByteSize: 0 bytes/workgroup (compile time only)
; SGPRBlocks: 0
; VGPRBlocks: 0
; NumSGPRsForWavesPerEU: 1
; NumVGPRsForWavesPerEU: 1
; NamedBarCnt: 0
; Occupancy: 16
; WaveLimiterHint : 0
; COMPUTE_PGM_RSRC2:SCRATCH_EN: 0
; COMPUTE_PGM_RSRC2:USER_SGPR: 2
; COMPUTE_PGM_RSRC2:TRAP_HANDLER: 0
; COMPUTE_PGM_RSRC2:TGID_X_EN: 1
; COMPUTE_PGM_RSRC2:TGID_Y_EN: 0
; COMPUTE_PGM_RSRC2:TGID_Z_EN: 0
; COMPUTE_PGM_RSRC2:TIDIG_COMP_CNT: 0
	.section	.text._ZN7rocprim17ROCPRIM_400000_NS6detail17trampoline_kernelINS0_14default_configENS1_33run_length_encode_config_selectorIajNS0_4plusIjEEEEZZNS1_33reduce_by_key_impl_wrapped_configILNS1_25lookback_scan_determinismE0ES3_S7_PKaNS0_17constant_iteratorIjlEEPaPlSF_S6_NS0_8equal_toIaEEEE10hipError_tPvRmT2_T3_mT4_T5_T6_T7_T8_P12ihipStream_tbENKUlT_T0_E_clISt17integral_constantIbLb1EESY_IbLb0EEEEDaSU_SV_EUlSU_E_NS1_11comp_targetILNS1_3genE10ELNS1_11target_archE1200ELNS1_3gpuE4ELNS1_3repE0EEENS1_30default_config_static_selectorELNS0_4arch9wavefront6targetE0EEEvT1_,"axG",@progbits,_ZN7rocprim17ROCPRIM_400000_NS6detail17trampoline_kernelINS0_14default_configENS1_33run_length_encode_config_selectorIajNS0_4plusIjEEEEZZNS1_33reduce_by_key_impl_wrapped_configILNS1_25lookback_scan_determinismE0ES3_S7_PKaNS0_17constant_iteratorIjlEEPaPlSF_S6_NS0_8equal_toIaEEEE10hipError_tPvRmT2_T3_mT4_T5_T6_T7_T8_P12ihipStream_tbENKUlT_T0_E_clISt17integral_constantIbLb1EESY_IbLb0EEEEDaSU_SV_EUlSU_E_NS1_11comp_targetILNS1_3genE10ELNS1_11target_archE1200ELNS1_3gpuE4ELNS1_3repE0EEENS1_30default_config_static_selectorELNS0_4arch9wavefront6targetE0EEEvT1_,comdat
	.protected	_ZN7rocprim17ROCPRIM_400000_NS6detail17trampoline_kernelINS0_14default_configENS1_33run_length_encode_config_selectorIajNS0_4plusIjEEEEZZNS1_33reduce_by_key_impl_wrapped_configILNS1_25lookback_scan_determinismE0ES3_S7_PKaNS0_17constant_iteratorIjlEEPaPlSF_S6_NS0_8equal_toIaEEEE10hipError_tPvRmT2_T3_mT4_T5_T6_T7_T8_P12ihipStream_tbENKUlT_T0_E_clISt17integral_constantIbLb1EESY_IbLb0EEEEDaSU_SV_EUlSU_E_NS1_11comp_targetILNS1_3genE10ELNS1_11target_archE1200ELNS1_3gpuE4ELNS1_3repE0EEENS1_30default_config_static_selectorELNS0_4arch9wavefront6targetE0EEEvT1_ ; -- Begin function _ZN7rocprim17ROCPRIM_400000_NS6detail17trampoline_kernelINS0_14default_configENS1_33run_length_encode_config_selectorIajNS0_4plusIjEEEEZZNS1_33reduce_by_key_impl_wrapped_configILNS1_25lookback_scan_determinismE0ES3_S7_PKaNS0_17constant_iteratorIjlEEPaPlSF_S6_NS0_8equal_toIaEEEE10hipError_tPvRmT2_T3_mT4_T5_T6_T7_T8_P12ihipStream_tbENKUlT_T0_E_clISt17integral_constantIbLb1EESY_IbLb0EEEEDaSU_SV_EUlSU_E_NS1_11comp_targetILNS1_3genE10ELNS1_11target_archE1200ELNS1_3gpuE4ELNS1_3repE0EEENS1_30default_config_static_selectorELNS0_4arch9wavefront6targetE0EEEvT1_
	.globl	_ZN7rocprim17ROCPRIM_400000_NS6detail17trampoline_kernelINS0_14default_configENS1_33run_length_encode_config_selectorIajNS0_4plusIjEEEEZZNS1_33reduce_by_key_impl_wrapped_configILNS1_25lookback_scan_determinismE0ES3_S7_PKaNS0_17constant_iteratorIjlEEPaPlSF_S6_NS0_8equal_toIaEEEE10hipError_tPvRmT2_T3_mT4_T5_T6_T7_T8_P12ihipStream_tbENKUlT_T0_E_clISt17integral_constantIbLb1EESY_IbLb0EEEEDaSU_SV_EUlSU_E_NS1_11comp_targetILNS1_3genE10ELNS1_11target_archE1200ELNS1_3gpuE4ELNS1_3repE0EEENS1_30default_config_static_selectorELNS0_4arch9wavefront6targetE0EEEvT1_
	.p2align	8
	.type	_ZN7rocprim17ROCPRIM_400000_NS6detail17trampoline_kernelINS0_14default_configENS1_33run_length_encode_config_selectorIajNS0_4plusIjEEEEZZNS1_33reduce_by_key_impl_wrapped_configILNS1_25lookback_scan_determinismE0ES3_S7_PKaNS0_17constant_iteratorIjlEEPaPlSF_S6_NS0_8equal_toIaEEEE10hipError_tPvRmT2_T3_mT4_T5_T6_T7_T8_P12ihipStream_tbENKUlT_T0_E_clISt17integral_constantIbLb1EESY_IbLb0EEEEDaSU_SV_EUlSU_E_NS1_11comp_targetILNS1_3genE10ELNS1_11target_archE1200ELNS1_3gpuE4ELNS1_3repE0EEENS1_30default_config_static_selectorELNS0_4arch9wavefront6targetE0EEEvT1_,@function
_ZN7rocprim17ROCPRIM_400000_NS6detail17trampoline_kernelINS0_14default_configENS1_33run_length_encode_config_selectorIajNS0_4plusIjEEEEZZNS1_33reduce_by_key_impl_wrapped_configILNS1_25lookback_scan_determinismE0ES3_S7_PKaNS0_17constant_iteratorIjlEEPaPlSF_S6_NS0_8equal_toIaEEEE10hipError_tPvRmT2_T3_mT4_T5_T6_T7_T8_P12ihipStream_tbENKUlT_T0_E_clISt17integral_constantIbLb1EESY_IbLb0EEEEDaSU_SV_EUlSU_E_NS1_11comp_targetILNS1_3genE10ELNS1_11target_archE1200ELNS1_3gpuE4ELNS1_3repE0EEENS1_30default_config_static_selectorELNS0_4arch9wavefront6targetE0EEEvT1_: ; @_ZN7rocprim17ROCPRIM_400000_NS6detail17trampoline_kernelINS0_14default_configENS1_33run_length_encode_config_selectorIajNS0_4plusIjEEEEZZNS1_33reduce_by_key_impl_wrapped_configILNS1_25lookback_scan_determinismE0ES3_S7_PKaNS0_17constant_iteratorIjlEEPaPlSF_S6_NS0_8equal_toIaEEEE10hipError_tPvRmT2_T3_mT4_T5_T6_T7_T8_P12ihipStream_tbENKUlT_T0_E_clISt17integral_constantIbLb1EESY_IbLb0EEEEDaSU_SV_EUlSU_E_NS1_11comp_targetILNS1_3genE10ELNS1_11target_archE1200ELNS1_3gpuE4ELNS1_3repE0EEENS1_30default_config_static_selectorELNS0_4arch9wavefront6targetE0EEEvT1_
; %bb.0:
	.section	.rodata,"a",@progbits
	.p2align	6, 0x0
	.amdhsa_kernel _ZN7rocprim17ROCPRIM_400000_NS6detail17trampoline_kernelINS0_14default_configENS1_33run_length_encode_config_selectorIajNS0_4plusIjEEEEZZNS1_33reduce_by_key_impl_wrapped_configILNS1_25lookback_scan_determinismE0ES3_S7_PKaNS0_17constant_iteratorIjlEEPaPlSF_S6_NS0_8equal_toIaEEEE10hipError_tPvRmT2_T3_mT4_T5_T6_T7_T8_P12ihipStream_tbENKUlT_T0_E_clISt17integral_constantIbLb1EESY_IbLb0EEEEDaSU_SV_EUlSU_E_NS1_11comp_targetILNS1_3genE10ELNS1_11target_archE1200ELNS1_3gpuE4ELNS1_3repE0EEENS1_30default_config_static_selectorELNS0_4arch9wavefront6targetE0EEEvT1_
		.amdhsa_group_segment_fixed_size 0
		.amdhsa_private_segment_fixed_size 0
		.amdhsa_kernarg_size 128
		.amdhsa_user_sgpr_count 2
		.amdhsa_user_sgpr_dispatch_ptr 0
		.amdhsa_user_sgpr_queue_ptr 0
		.amdhsa_user_sgpr_kernarg_segment_ptr 1
		.amdhsa_user_sgpr_dispatch_id 0
		.amdhsa_user_sgpr_kernarg_preload_length 0
		.amdhsa_user_sgpr_kernarg_preload_offset 0
		.amdhsa_user_sgpr_private_segment_size 0
		.amdhsa_wavefront_size32 1
		.amdhsa_uses_dynamic_stack 0
		.amdhsa_enable_private_segment 0
		.amdhsa_system_sgpr_workgroup_id_x 1
		.amdhsa_system_sgpr_workgroup_id_y 0
		.amdhsa_system_sgpr_workgroup_id_z 0
		.amdhsa_system_sgpr_workgroup_info 0
		.amdhsa_system_vgpr_workitem_id 0
		.amdhsa_next_free_vgpr 1
		.amdhsa_next_free_sgpr 1
		.amdhsa_named_barrier_count 0
		.amdhsa_reserve_vcc 0
		.amdhsa_float_round_mode_32 0
		.amdhsa_float_round_mode_16_64 0
		.amdhsa_float_denorm_mode_32 3
		.amdhsa_float_denorm_mode_16_64 3
		.amdhsa_fp16_overflow 0
		.amdhsa_memory_ordered 1
		.amdhsa_forward_progress 1
		.amdhsa_inst_pref_size 0
		.amdhsa_round_robin_scheduling 0
		.amdhsa_exception_fp_ieee_invalid_op 0
		.amdhsa_exception_fp_denorm_src 0
		.amdhsa_exception_fp_ieee_div_zero 0
		.amdhsa_exception_fp_ieee_overflow 0
		.amdhsa_exception_fp_ieee_underflow 0
		.amdhsa_exception_fp_ieee_inexact 0
		.amdhsa_exception_int_div_zero 0
	.end_amdhsa_kernel
	.section	.text._ZN7rocprim17ROCPRIM_400000_NS6detail17trampoline_kernelINS0_14default_configENS1_33run_length_encode_config_selectorIajNS0_4plusIjEEEEZZNS1_33reduce_by_key_impl_wrapped_configILNS1_25lookback_scan_determinismE0ES3_S7_PKaNS0_17constant_iteratorIjlEEPaPlSF_S6_NS0_8equal_toIaEEEE10hipError_tPvRmT2_T3_mT4_T5_T6_T7_T8_P12ihipStream_tbENKUlT_T0_E_clISt17integral_constantIbLb1EESY_IbLb0EEEEDaSU_SV_EUlSU_E_NS1_11comp_targetILNS1_3genE10ELNS1_11target_archE1200ELNS1_3gpuE4ELNS1_3repE0EEENS1_30default_config_static_selectorELNS0_4arch9wavefront6targetE0EEEvT1_,"axG",@progbits,_ZN7rocprim17ROCPRIM_400000_NS6detail17trampoline_kernelINS0_14default_configENS1_33run_length_encode_config_selectorIajNS0_4plusIjEEEEZZNS1_33reduce_by_key_impl_wrapped_configILNS1_25lookback_scan_determinismE0ES3_S7_PKaNS0_17constant_iteratorIjlEEPaPlSF_S6_NS0_8equal_toIaEEEE10hipError_tPvRmT2_T3_mT4_T5_T6_T7_T8_P12ihipStream_tbENKUlT_T0_E_clISt17integral_constantIbLb1EESY_IbLb0EEEEDaSU_SV_EUlSU_E_NS1_11comp_targetILNS1_3genE10ELNS1_11target_archE1200ELNS1_3gpuE4ELNS1_3repE0EEENS1_30default_config_static_selectorELNS0_4arch9wavefront6targetE0EEEvT1_,comdat
.Lfunc_end259:
	.size	_ZN7rocprim17ROCPRIM_400000_NS6detail17trampoline_kernelINS0_14default_configENS1_33run_length_encode_config_selectorIajNS0_4plusIjEEEEZZNS1_33reduce_by_key_impl_wrapped_configILNS1_25lookback_scan_determinismE0ES3_S7_PKaNS0_17constant_iteratorIjlEEPaPlSF_S6_NS0_8equal_toIaEEEE10hipError_tPvRmT2_T3_mT4_T5_T6_T7_T8_P12ihipStream_tbENKUlT_T0_E_clISt17integral_constantIbLb1EESY_IbLb0EEEEDaSU_SV_EUlSU_E_NS1_11comp_targetILNS1_3genE10ELNS1_11target_archE1200ELNS1_3gpuE4ELNS1_3repE0EEENS1_30default_config_static_selectorELNS0_4arch9wavefront6targetE0EEEvT1_, .Lfunc_end259-_ZN7rocprim17ROCPRIM_400000_NS6detail17trampoline_kernelINS0_14default_configENS1_33run_length_encode_config_selectorIajNS0_4plusIjEEEEZZNS1_33reduce_by_key_impl_wrapped_configILNS1_25lookback_scan_determinismE0ES3_S7_PKaNS0_17constant_iteratorIjlEEPaPlSF_S6_NS0_8equal_toIaEEEE10hipError_tPvRmT2_T3_mT4_T5_T6_T7_T8_P12ihipStream_tbENKUlT_T0_E_clISt17integral_constantIbLb1EESY_IbLb0EEEEDaSU_SV_EUlSU_E_NS1_11comp_targetILNS1_3genE10ELNS1_11target_archE1200ELNS1_3gpuE4ELNS1_3repE0EEENS1_30default_config_static_selectorELNS0_4arch9wavefront6targetE0EEEvT1_
                                        ; -- End function
	.set _ZN7rocprim17ROCPRIM_400000_NS6detail17trampoline_kernelINS0_14default_configENS1_33run_length_encode_config_selectorIajNS0_4plusIjEEEEZZNS1_33reduce_by_key_impl_wrapped_configILNS1_25lookback_scan_determinismE0ES3_S7_PKaNS0_17constant_iteratorIjlEEPaPlSF_S6_NS0_8equal_toIaEEEE10hipError_tPvRmT2_T3_mT4_T5_T6_T7_T8_P12ihipStream_tbENKUlT_T0_E_clISt17integral_constantIbLb1EESY_IbLb0EEEEDaSU_SV_EUlSU_E_NS1_11comp_targetILNS1_3genE10ELNS1_11target_archE1200ELNS1_3gpuE4ELNS1_3repE0EEENS1_30default_config_static_selectorELNS0_4arch9wavefront6targetE0EEEvT1_.num_vgpr, 0
	.set _ZN7rocprim17ROCPRIM_400000_NS6detail17trampoline_kernelINS0_14default_configENS1_33run_length_encode_config_selectorIajNS0_4plusIjEEEEZZNS1_33reduce_by_key_impl_wrapped_configILNS1_25lookback_scan_determinismE0ES3_S7_PKaNS0_17constant_iteratorIjlEEPaPlSF_S6_NS0_8equal_toIaEEEE10hipError_tPvRmT2_T3_mT4_T5_T6_T7_T8_P12ihipStream_tbENKUlT_T0_E_clISt17integral_constantIbLb1EESY_IbLb0EEEEDaSU_SV_EUlSU_E_NS1_11comp_targetILNS1_3genE10ELNS1_11target_archE1200ELNS1_3gpuE4ELNS1_3repE0EEENS1_30default_config_static_selectorELNS0_4arch9wavefront6targetE0EEEvT1_.num_agpr, 0
	.set _ZN7rocprim17ROCPRIM_400000_NS6detail17trampoline_kernelINS0_14default_configENS1_33run_length_encode_config_selectorIajNS0_4plusIjEEEEZZNS1_33reduce_by_key_impl_wrapped_configILNS1_25lookback_scan_determinismE0ES3_S7_PKaNS0_17constant_iteratorIjlEEPaPlSF_S6_NS0_8equal_toIaEEEE10hipError_tPvRmT2_T3_mT4_T5_T6_T7_T8_P12ihipStream_tbENKUlT_T0_E_clISt17integral_constantIbLb1EESY_IbLb0EEEEDaSU_SV_EUlSU_E_NS1_11comp_targetILNS1_3genE10ELNS1_11target_archE1200ELNS1_3gpuE4ELNS1_3repE0EEENS1_30default_config_static_selectorELNS0_4arch9wavefront6targetE0EEEvT1_.numbered_sgpr, 0
	.set _ZN7rocprim17ROCPRIM_400000_NS6detail17trampoline_kernelINS0_14default_configENS1_33run_length_encode_config_selectorIajNS0_4plusIjEEEEZZNS1_33reduce_by_key_impl_wrapped_configILNS1_25lookback_scan_determinismE0ES3_S7_PKaNS0_17constant_iteratorIjlEEPaPlSF_S6_NS0_8equal_toIaEEEE10hipError_tPvRmT2_T3_mT4_T5_T6_T7_T8_P12ihipStream_tbENKUlT_T0_E_clISt17integral_constantIbLb1EESY_IbLb0EEEEDaSU_SV_EUlSU_E_NS1_11comp_targetILNS1_3genE10ELNS1_11target_archE1200ELNS1_3gpuE4ELNS1_3repE0EEENS1_30default_config_static_selectorELNS0_4arch9wavefront6targetE0EEEvT1_.num_named_barrier, 0
	.set _ZN7rocprim17ROCPRIM_400000_NS6detail17trampoline_kernelINS0_14default_configENS1_33run_length_encode_config_selectorIajNS0_4plusIjEEEEZZNS1_33reduce_by_key_impl_wrapped_configILNS1_25lookback_scan_determinismE0ES3_S7_PKaNS0_17constant_iteratorIjlEEPaPlSF_S6_NS0_8equal_toIaEEEE10hipError_tPvRmT2_T3_mT4_T5_T6_T7_T8_P12ihipStream_tbENKUlT_T0_E_clISt17integral_constantIbLb1EESY_IbLb0EEEEDaSU_SV_EUlSU_E_NS1_11comp_targetILNS1_3genE10ELNS1_11target_archE1200ELNS1_3gpuE4ELNS1_3repE0EEENS1_30default_config_static_selectorELNS0_4arch9wavefront6targetE0EEEvT1_.private_seg_size, 0
	.set _ZN7rocprim17ROCPRIM_400000_NS6detail17trampoline_kernelINS0_14default_configENS1_33run_length_encode_config_selectorIajNS0_4plusIjEEEEZZNS1_33reduce_by_key_impl_wrapped_configILNS1_25lookback_scan_determinismE0ES3_S7_PKaNS0_17constant_iteratorIjlEEPaPlSF_S6_NS0_8equal_toIaEEEE10hipError_tPvRmT2_T3_mT4_T5_T6_T7_T8_P12ihipStream_tbENKUlT_T0_E_clISt17integral_constantIbLb1EESY_IbLb0EEEEDaSU_SV_EUlSU_E_NS1_11comp_targetILNS1_3genE10ELNS1_11target_archE1200ELNS1_3gpuE4ELNS1_3repE0EEENS1_30default_config_static_selectorELNS0_4arch9wavefront6targetE0EEEvT1_.uses_vcc, 0
	.set _ZN7rocprim17ROCPRIM_400000_NS6detail17trampoline_kernelINS0_14default_configENS1_33run_length_encode_config_selectorIajNS0_4plusIjEEEEZZNS1_33reduce_by_key_impl_wrapped_configILNS1_25lookback_scan_determinismE0ES3_S7_PKaNS0_17constant_iteratorIjlEEPaPlSF_S6_NS0_8equal_toIaEEEE10hipError_tPvRmT2_T3_mT4_T5_T6_T7_T8_P12ihipStream_tbENKUlT_T0_E_clISt17integral_constantIbLb1EESY_IbLb0EEEEDaSU_SV_EUlSU_E_NS1_11comp_targetILNS1_3genE10ELNS1_11target_archE1200ELNS1_3gpuE4ELNS1_3repE0EEENS1_30default_config_static_selectorELNS0_4arch9wavefront6targetE0EEEvT1_.uses_flat_scratch, 0
	.set _ZN7rocprim17ROCPRIM_400000_NS6detail17trampoline_kernelINS0_14default_configENS1_33run_length_encode_config_selectorIajNS0_4plusIjEEEEZZNS1_33reduce_by_key_impl_wrapped_configILNS1_25lookback_scan_determinismE0ES3_S7_PKaNS0_17constant_iteratorIjlEEPaPlSF_S6_NS0_8equal_toIaEEEE10hipError_tPvRmT2_T3_mT4_T5_T6_T7_T8_P12ihipStream_tbENKUlT_T0_E_clISt17integral_constantIbLb1EESY_IbLb0EEEEDaSU_SV_EUlSU_E_NS1_11comp_targetILNS1_3genE10ELNS1_11target_archE1200ELNS1_3gpuE4ELNS1_3repE0EEENS1_30default_config_static_selectorELNS0_4arch9wavefront6targetE0EEEvT1_.has_dyn_sized_stack, 0
	.set _ZN7rocprim17ROCPRIM_400000_NS6detail17trampoline_kernelINS0_14default_configENS1_33run_length_encode_config_selectorIajNS0_4plusIjEEEEZZNS1_33reduce_by_key_impl_wrapped_configILNS1_25lookback_scan_determinismE0ES3_S7_PKaNS0_17constant_iteratorIjlEEPaPlSF_S6_NS0_8equal_toIaEEEE10hipError_tPvRmT2_T3_mT4_T5_T6_T7_T8_P12ihipStream_tbENKUlT_T0_E_clISt17integral_constantIbLb1EESY_IbLb0EEEEDaSU_SV_EUlSU_E_NS1_11comp_targetILNS1_3genE10ELNS1_11target_archE1200ELNS1_3gpuE4ELNS1_3repE0EEENS1_30default_config_static_selectorELNS0_4arch9wavefront6targetE0EEEvT1_.has_recursion, 0
	.set _ZN7rocprim17ROCPRIM_400000_NS6detail17trampoline_kernelINS0_14default_configENS1_33run_length_encode_config_selectorIajNS0_4plusIjEEEEZZNS1_33reduce_by_key_impl_wrapped_configILNS1_25lookback_scan_determinismE0ES3_S7_PKaNS0_17constant_iteratorIjlEEPaPlSF_S6_NS0_8equal_toIaEEEE10hipError_tPvRmT2_T3_mT4_T5_T6_T7_T8_P12ihipStream_tbENKUlT_T0_E_clISt17integral_constantIbLb1EESY_IbLb0EEEEDaSU_SV_EUlSU_E_NS1_11comp_targetILNS1_3genE10ELNS1_11target_archE1200ELNS1_3gpuE4ELNS1_3repE0EEENS1_30default_config_static_selectorELNS0_4arch9wavefront6targetE0EEEvT1_.has_indirect_call, 0
	.section	.AMDGPU.csdata,"",@progbits
; Kernel info:
; codeLenInByte = 0
; TotalNumSgprs: 0
; NumVgprs: 0
; ScratchSize: 0
; MemoryBound: 0
; FloatMode: 240
; IeeeMode: 1
; LDSByteSize: 0 bytes/workgroup (compile time only)
; SGPRBlocks: 0
; VGPRBlocks: 0
; NumSGPRsForWavesPerEU: 1
; NumVGPRsForWavesPerEU: 1
; NamedBarCnt: 0
; Occupancy: 16
; WaveLimiterHint : 0
; COMPUTE_PGM_RSRC2:SCRATCH_EN: 0
; COMPUTE_PGM_RSRC2:USER_SGPR: 2
; COMPUTE_PGM_RSRC2:TRAP_HANDLER: 0
; COMPUTE_PGM_RSRC2:TGID_X_EN: 1
; COMPUTE_PGM_RSRC2:TGID_Y_EN: 0
; COMPUTE_PGM_RSRC2:TGID_Z_EN: 0
; COMPUTE_PGM_RSRC2:TIDIG_COMP_CNT: 0
	.section	.text._ZN7rocprim17ROCPRIM_400000_NS6detail17trampoline_kernelINS0_14default_configENS1_33run_length_encode_config_selectorIajNS0_4plusIjEEEEZZNS1_33reduce_by_key_impl_wrapped_configILNS1_25lookback_scan_determinismE0ES3_S7_PKaNS0_17constant_iteratorIjlEEPaPlSF_S6_NS0_8equal_toIaEEEE10hipError_tPvRmT2_T3_mT4_T5_T6_T7_T8_P12ihipStream_tbENKUlT_T0_E_clISt17integral_constantIbLb1EESY_IbLb0EEEEDaSU_SV_EUlSU_E_NS1_11comp_targetILNS1_3genE9ELNS1_11target_archE1100ELNS1_3gpuE3ELNS1_3repE0EEENS1_30default_config_static_selectorELNS0_4arch9wavefront6targetE0EEEvT1_,"axG",@progbits,_ZN7rocprim17ROCPRIM_400000_NS6detail17trampoline_kernelINS0_14default_configENS1_33run_length_encode_config_selectorIajNS0_4plusIjEEEEZZNS1_33reduce_by_key_impl_wrapped_configILNS1_25lookback_scan_determinismE0ES3_S7_PKaNS0_17constant_iteratorIjlEEPaPlSF_S6_NS0_8equal_toIaEEEE10hipError_tPvRmT2_T3_mT4_T5_T6_T7_T8_P12ihipStream_tbENKUlT_T0_E_clISt17integral_constantIbLb1EESY_IbLb0EEEEDaSU_SV_EUlSU_E_NS1_11comp_targetILNS1_3genE9ELNS1_11target_archE1100ELNS1_3gpuE3ELNS1_3repE0EEENS1_30default_config_static_selectorELNS0_4arch9wavefront6targetE0EEEvT1_,comdat
	.protected	_ZN7rocprim17ROCPRIM_400000_NS6detail17trampoline_kernelINS0_14default_configENS1_33run_length_encode_config_selectorIajNS0_4plusIjEEEEZZNS1_33reduce_by_key_impl_wrapped_configILNS1_25lookback_scan_determinismE0ES3_S7_PKaNS0_17constant_iteratorIjlEEPaPlSF_S6_NS0_8equal_toIaEEEE10hipError_tPvRmT2_T3_mT4_T5_T6_T7_T8_P12ihipStream_tbENKUlT_T0_E_clISt17integral_constantIbLb1EESY_IbLb0EEEEDaSU_SV_EUlSU_E_NS1_11comp_targetILNS1_3genE9ELNS1_11target_archE1100ELNS1_3gpuE3ELNS1_3repE0EEENS1_30default_config_static_selectorELNS0_4arch9wavefront6targetE0EEEvT1_ ; -- Begin function _ZN7rocprim17ROCPRIM_400000_NS6detail17trampoline_kernelINS0_14default_configENS1_33run_length_encode_config_selectorIajNS0_4plusIjEEEEZZNS1_33reduce_by_key_impl_wrapped_configILNS1_25lookback_scan_determinismE0ES3_S7_PKaNS0_17constant_iteratorIjlEEPaPlSF_S6_NS0_8equal_toIaEEEE10hipError_tPvRmT2_T3_mT4_T5_T6_T7_T8_P12ihipStream_tbENKUlT_T0_E_clISt17integral_constantIbLb1EESY_IbLb0EEEEDaSU_SV_EUlSU_E_NS1_11comp_targetILNS1_3genE9ELNS1_11target_archE1100ELNS1_3gpuE3ELNS1_3repE0EEENS1_30default_config_static_selectorELNS0_4arch9wavefront6targetE0EEEvT1_
	.globl	_ZN7rocprim17ROCPRIM_400000_NS6detail17trampoline_kernelINS0_14default_configENS1_33run_length_encode_config_selectorIajNS0_4plusIjEEEEZZNS1_33reduce_by_key_impl_wrapped_configILNS1_25lookback_scan_determinismE0ES3_S7_PKaNS0_17constant_iteratorIjlEEPaPlSF_S6_NS0_8equal_toIaEEEE10hipError_tPvRmT2_T3_mT4_T5_T6_T7_T8_P12ihipStream_tbENKUlT_T0_E_clISt17integral_constantIbLb1EESY_IbLb0EEEEDaSU_SV_EUlSU_E_NS1_11comp_targetILNS1_3genE9ELNS1_11target_archE1100ELNS1_3gpuE3ELNS1_3repE0EEENS1_30default_config_static_selectorELNS0_4arch9wavefront6targetE0EEEvT1_
	.p2align	8
	.type	_ZN7rocprim17ROCPRIM_400000_NS6detail17trampoline_kernelINS0_14default_configENS1_33run_length_encode_config_selectorIajNS0_4plusIjEEEEZZNS1_33reduce_by_key_impl_wrapped_configILNS1_25lookback_scan_determinismE0ES3_S7_PKaNS0_17constant_iteratorIjlEEPaPlSF_S6_NS0_8equal_toIaEEEE10hipError_tPvRmT2_T3_mT4_T5_T6_T7_T8_P12ihipStream_tbENKUlT_T0_E_clISt17integral_constantIbLb1EESY_IbLb0EEEEDaSU_SV_EUlSU_E_NS1_11comp_targetILNS1_3genE9ELNS1_11target_archE1100ELNS1_3gpuE3ELNS1_3repE0EEENS1_30default_config_static_selectorELNS0_4arch9wavefront6targetE0EEEvT1_,@function
_ZN7rocprim17ROCPRIM_400000_NS6detail17trampoline_kernelINS0_14default_configENS1_33run_length_encode_config_selectorIajNS0_4plusIjEEEEZZNS1_33reduce_by_key_impl_wrapped_configILNS1_25lookback_scan_determinismE0ES3_S7_PKaNS0_17constant_iteratorIjlEEPaPlSF_S6_NS0_8equal_toIaEEEE10hipError_tPvRmT2_T3_mT4_T5_T6_T7_T8_P12ihipStream_tbENKUlT_T0_E_clISt17integral_constantIbLb1EESY_IbLb0EEEEDaSU_SV_EUlSU_E_NS1_11comp_targetILNS1_3genE9ELNS1_11target_archE1100ELNS1_3gpuE3ELNS1_3repE0EEENS1_30default_config_static_selectorELNS0_4arch9wavefront6targetE0EEEvT1_: ; @_ZN7rocprim17ROCPRIM_400000_NS6detail17trampoline_kernelINS0_14default_configENS1_33run_length_encode_config_selectorIajNS0_4plusIjEEEEZZNS1_33reduce_by_key_impl_wrapped_configILNS1_25lookback_scan_determinismE0ES3_S7_PKaNS0_17constant_iteratorIjlEEPaPlSF_S6_NS0_8equal_toIaEEEE10hipError_tPvRmT2_T3_mT4_T5_T6_T7_T8_P12ihipStream_tbENKUlT_T0_E_clISt17integral_constantIbLb1EESY_IbLb0EEEEDaSU_SV_EUlSU_E_NS1_11comp_targetILNS1_3genE9ELNS1_11target_archE1100ELNS1_3gpuE3ELNS1_3repE0EEENS1_30default_config_static_selectorELNS0_4arch9wavefront6targetE0EEEvT1_
; %bb.0:
	.section	.rodata,"a",@progbits
	.p2align	6, 0x0
	.amdhsa_kernel _ZN7rocprim17ROCPRIM_400000_NS6detail17trampoline_kernelINS0_14default_configENS1_33run_length_encode_config_selectorIajNS0_4plusIjEEEEZZNS1_33reduce_by_key_impl_wrapped_configILNS1_25lookback_scan_determinismE0ES3_S7_PKaNS0_17constant_iteratorIjlEEPaPlSF_S6_NS0_8equal_toIaEEEE10hipError_tPvRmT2_T3_mT4_T5_T6_T7_T8_P12ihipStream_tbENKUlT_T0_E_clISt17integral_constantIbLb1EESY_IbLb0EEEEDaSU_SV_EUlSU_E_NS1_11comp_targetILNS1_3genE9ELNS1_11target_archE1100ELNS1_3gpuE3ELNS1_3repE0EEENS1_30default_config_static_selectorELNS0_4arch9wavefront6targetE0EEEvT1_
		.amdhsa_group_segment_fixed_size 0
		.amdhsa_private_segment_fixed_size 0
		.amdhsa_kernarg_size 128
		.amdhsa_user_sgpr_count 2
		.amdhsa_user_sgpr_dispatch_ptr 0
		.amdhsa_user_sgpr_queue_ptr 0
		.amdhsa_user_sgpr_kernarg_segment_ptr 1
		.amdhsa_user_sgpr_dispatch_id 0
		.amdhsa_user_sgpr_kernarg_preload_length 0
		.amdhsa_user_sgpr_kernarg_preload_offset 0
		.amdhsa_user_sgpr_private_segment_size 0
		.amdhsa_wavefront_size32 1
		.amdhsa_uses_dynamic_stack 0
		.amdhsa_enable_private_segment 0
		.amdhsa_system_sgpr_workgroup_id_x 1
		.amdhsa_system_sgpr_workgroup_id_y 0
		.amdhsa_system_sgpr_workgroup_id_z 0
		.amdhsa_system_sgpr_workgroup_info 0
		.amdhsa_system_vgpr_workitem_id 0
		.amdhsa_next_free_vgpr 1
		.amdhsa_next_free_sgpr 1
		.amdhsa_named_barrier_count 0
		.amdhsa_reserve_vcc 0
		.amdhsa_float_round_mode_32 0
		.amdhsa_float_round_mode_16_64 0
		.amdhsa_float_denorm_mode_32 3
		.amdhsa_float_denorm_mode_16_64 3
		.amdhsa_fp16_overflow 0
		.amdhsa_memory_ordered 1
		.amdhsa_forward_progress 1
		.amdhsa_inst_pref_size 0
		.amdhsa_round_robin_scheduling 0
		.amdhsa_exception_fp_ieee_invalid_op 0
		.amdhsa_exception_fp_denorm_src 0
		.amdhsa_exception_fp_ieee_div_zero 0
		.amdhsa_exception_fp_ieee_overflow 0
		.amdhsa_exception_fp_ieee_underflow 0
		.amdhsa_exception_fp_ieee_inexact 0
		.amdhsa_exception_int_div_zero 0
	.end_amdhsa_kernel
	.section	.text._ZN7rocprim17ROCPRIM_400000_NS6detail17trampoline_kernelINS0_14default_configENS1_33run_length_encode_config_selectorIajNS0_4plusIjEEEEZZNS1_33reduce_by_key_impl_wrapped_configILNS1_25lookback_scan_determinismE0ES3_S7_PKaNS0_17constant_iteratorIjlEEPaPlSF_S6_NS0_8equal_toIaEEEE10hipError_tPvRmT2_T3_mT4_T5_T6_T7_T8_P12ihipStream_tbENKUlT_T0_E_clISt17integral_constantIbLb1EESY_IbLb0EEEEDaSU_SV_EUlSU_E_NS1_11comp_targetILNS1_3genE9ELNS1_11target_archE1100ELNS1_3gpuE3ELNS1_3repE0EEENS1_30default_config_static_selectorELNS0_4arch9wavefront6targetE0EEEvT1_,"axG",@progbits,_ZN7rocprim17ROCPRIM_400000_NS6detail17trampoline_kernelINS0_14default_configENS1_33run_length_encode_config_selectorIajNS0_4plusIjEEEEZZNS1_33reduce_by_key_impl_wrapped_configILNS1_25lookback_scan_determinismE0ES3_S7_PKaNS0_17constant_iteratorIjlEEPaPlSF_S6_NS0_8equal_toIaEEEE10hipError_tPvRmT2_T3_mT4_T5_T6_T7_T8_P12ihipStream_tbENKUlT_T0_E_clISt17integral_constantIbLb1EESY_IbLb0EEEEDaSU_SV_EUlSU_E_NS1_11comp_targetILNS1_3genE9ELNS1_11target_archE1100ELNS1_3gpuE3ELNS1_3repE0EEENS1_30default_config_static_selectorELNS0_4arch9wavefront6targetE0EEEvT1_,comdat
.Lfunc_end260:
	.size	_ZN7rocprim17ROCPRIM_400000_NS6detail17trampoline_kernelINS0_14default_configENS1_33run_length_encode_config_selectorIajNS0_4plusIjEEEEZZNS1_33reduce_by_key_impl_wrapped_configILNS1_25lookback_scan_determinismE0ES3_S7_PKaNS0_17constant_iteratorIjlEEPaPlSF_S6_NS0_8equal_toIaEEEE10hipError_tPvRmT2_T3_mT4_T5_T6_T7_T8_P12ihipStream_tbENKUlT_T0_E_clISt17integral_constantIbLb1EESY_IbLb0EEEEDaSU_SV_EUlSU_E_NS1_11comp_targetILNS1_3genE9ELNS1_11target_archE1100ELNS1_3gpuE3ELNS1_3repE0EEENS1_30default_config_static_selectorELNS0_4arch9wavefront6targetE0EEEvT1_, .Lfunc_end260-_ZN7rocprim17ROCPRIM_400000_NS6detail17trampoline_kernelINS0_14default_configENS1_33run_length_encode_config_selectorIajNS0_4plusIjEEEEZZNS1_33reduce_by_key_impl_wrapped_configILNS1_25lookback_scan_determinismE0ES3_S7_PKaNS0_17constant_iteratorIjlEEPaPlSF_S6_NS0_8equal_toIaEEEE10hipError_tPvRmT2_T3_mT4_T5_T6_T7_T8_P12ihipStream_tbENKUlT_T0_E_clISt17integral_constantIbLb1EESY_IbLb0EEEEDaSU_SV_EUlSU_E_NS1_11comp_targetILNS1_3genE9ELNS1_11target_archE1100ELNS1_3gpuE3ELNS1_3repE0EEENS1_30default_config_static_selectorELNS0_4arch9wavefront6targetE0EEEvT1_
                                        ; -- End function
	.set _ZN7rocprim17ROCPRIM_400000_NS6detail17trampoline_kernelINS0_14default_configENS1_33run_length_encode_config_selectorIajNS0_4plusIjEEEEZZNS1_33reduce_by_key_impl_wrapped_configILNS1_25lookback_scan_determinismE0ES3_S7_PKaNS0_17constant_iteratorIjlEEPaPlSF_S6_NS0_8equal_toIaEEEE10hipError_tPvRmT2_T3_mT4_T5_T6_T7_T8_P12ihipStream_tbENKUlT_T0_E_clISt17integral_constantIbLb1EESY_IbLb0EEEEDaSU_SV_EUlSU_E_NS1_11comp_targetILNS1_3genE9ELNS1_11target_archE1100ELNS1_3gpuE3ELNS1_3repE0EEENS1_30default_config_static_selectorELNS0_4arch9wavefront6targetE0EEEvT1_.num_vgpr, 0
	.set _ZN7rocprim17ROCPRIM_400000_NS6detail17trampoline_kernelINS0_14default_configENS1_33run_length_encode_config_selectorIajNS0_4plusIjEEEEZZNS1_33reduce_by_key_impl_wrapped_configILNS1_25lookback_scan_determinismE0ES3_S7_PKaNS0_17constant_iteratorIjlEEPaPlSF_S6_NS0_8equal_toIaEEEE10hipError_tPvRmT2_T3_mT4_T5_T6_T7_T8_P12ihipStream_tbENKUlT_T0_E_clISt17integral_constantIbLb1EESY_IbLb0EEEEDaSU_SV_EUlSU_E_NS1_11comp_targetILNS1_3genE9ELNS1_11target_archE1100ELNS1_3gpuE3ELNS1_3repE0EEENS1_30default_config_static_selectorELNS0_4arch9wavefront6targetE0EEEvT1_.num_agpr, 0
	.set _ZN7rocprim17ROCPRIM_400000_NS6detail17trampoline_kernelINS0_14default_configENS1_33run_length_encode_config_selectorIajNS0_4plusIjEEEEZZNS1_33reduce_by_key_impl_wrapped_configILNS1_25lookback_scan_determinismE0ES3_S7_PKaNS0_17constant_iteratorIjlEEPaPlSF_S6_NS0_8equal_toIaEEEE10hipError_tPvRmT2_T3_mT4_T5_T6_T7_T8_P12ihipStream_tbENKUlT_T0_E_clISt17integral_constantIbLb1EESY_IbLb0EEEEDaSU_SV_EUlSU_E_NS1_11comp_targetILNS1_3genE9ELNS1_11target_archE1100ELNS1_3gpuE3ELNS1_3repE0EEENS1_30default_config_static_selectorELNS0_4arch9wavefront6targetE0EEEvT1_.numbered_sgpr, 0
	.set _ZN7rocprim17ROCPRIM_400000_NS6detail17trampoline_kernelINS0_14default_configENS1_33run_length_encode_config_selectorIajNS0_4plusIjEEEEZZNS1_33reduce_by_key_impl_wrapped_configILNS1_25lookback_scan_determinismE0ES3_S7_PKaNS0_17constant_iteratorIjlEEPaPlSF_S6_NS0_8equal_toIaEEEE10hipError_tPvRmT2_T3_mT4_T5_T6_T7_T8_P12ihipStream_tbENKUlT_T0_E_clISt17integral_constantIbLb1EESY_IbLb0EEEEDaSU_SV_EUlSU_E_NS1_11comp_targetILNS1_3genE9ELNS1_11target_archE1100ELNS1_3gpuE3ELNS1_3repE0EEENS1_30default_config_static_selectorELNS0_4arch9wavefront6targetE0EEEvT1_.num_named_barrier, 0
	.set _ZN7rocprim17ROCPRIM_400000_NS6detail17trampoline_kernelINS0_14default_configENS1_33run_length_encode_config_selectorIajNS0_4plusIjEEEEZZNS1_33reduce_by_key_impl_wrapped_configILNS1_25lookback_scan_determinismE0ES3_S7_PKaNS0_17constant_iteratorIjlEEPaPlSF_S6_NS0_8equal_toIaEEEE10hipError_tPvRmT2_T3_mT4_T5_T6_T7_T8_P12ihipStream_tbENKUlT_T0_E_clISt17integral_constantIbLb1EESY_IbLb0EEEEDaSU_SV_EUlSU_E_NS1_11comp_targetILNS1_3genE9ELNS1_11target_archE1100ELNS1_3gpuE3ELNS1_3repE0EEENS1_30default_config_static_selectorELNS0_4arch9wavefront6targetE0EEEvT1_.private_seg_size, 0
	.set _ZN7rocprim17ROCPRIM_400000_NS6detail17trampoline_kernelINS0_14default_configENS1_33run_length_encode_config_selectorIajNS0_4plusIjEEEEZZNS1_33reduce_by_key_impl_wrapped_configILNS1_25lookback_scan_determinismE0ES3_S7_PKaNS0_17constant_iteratorIjlEEPaPlSF_S6_NS0_8equal_toIaEEEE10hipError_tPvRmT2_T3_mT4_T5_T6_T7_T8_P12ihipStream_tbENKUlT_T0_E_clISt17integral_constantIbLb1EESY_IbLb0EEEEDaSU_SV_EUlSU_E_NS1_11comp_targetILNS1_3genE9ELNS1_11target_archE1100ELNS1_3gpuE3ELNS1_3repE0EEENS1_30default_config_static_selectorELNS0_4arch9wavefront6targetE0EEEvT1_.uses_vcc, 0
	.set _ZN7rocprim17ROCPRIM_400000_NS6detail17trampoline_kernelINS0_14default_configENS1_33run_length_encode_config_selectorIajNS0_4plusIjEEEEZZNS1_33reduce_by_key_impl_wrapped_configILNS1_25lookback_scan_determinismE0ES3_S7_PKaNS0_17constant_iteratorIjlEEPaPlSF_S6_NS0_8equal_toIaEEEE10hipError_tPvRmT2_T3_mT4_T5_T6_T7_T8_P12ihipStream_tbENKUlT_T0_E_clISt17integral_constantIbLb1EESY_IbLb0EEEEDaSU_SV_EUlSU_E_NS1_11comp_targetILNS1_3genE9ELNS1_11target_archE1100ELNS1_3gpuE3ELNS1_3repE0EEENS1_30default_config_static_selectorELNS0_4arch9wavefront6targetE0EEEvT1_.uses_flat_scratch, 0
	.set _ZN7rocprim17ROCPRIM_400000_NS6detail17trampoline_kernelINS0_14default_configENS1_33run_length_encode_config_selectorIajNS0_4plusIjEEEEZZNS1_33reduce_by_key_impl_wrapped_configILNS1_25lookback_scan_determinismE0ES3_S7_PKaNS0_17constant_iteratorIjlEEPaPlSF_S6_NS0_8equal_toIaEEEE10hipError_tPvRmT2_T3_mT4_T5_T6_T7_T8_P12ihipStream_tbENKUlT_T0_E_clISt17integral_constantIbLb1EESY_IbLb0EEEEDaSU_SV_EUlSU_E_NS1_11comp_targetILNS1_3genE9ELNS1_11target_archE1100ELNS1_3gpuE3ELNS1_3repE0EEENS1_30default_config_static_selectorELNS0_4arch9wavefront6targetE0EEEvT1_.has_dyn_sized_stack, 0
	.set _ZN7rocprim17ROCPRIM_400000_NS6detail17trampoline_kernelINS0_14default_configENS1_33run_length_encode_config_selectorIajNS0_4plusIjEEEEZZNS1_33reduce_by_key_impl_wrapped_configILNS1_25lookback_scan_determinismE0ES3_S7_PKaNS0_17constant_iteratorIjlEEPaPlSF_S6_NS0_8equal_toIaEEEE10hipError_tPvRmT2_T3_mT4_T5_T6_T7_T8_P12ihipStream_tbENKUlT_T0_E_clISt17integral_constantIbLb1EESY_IbLb0EEEEDaSU_SV_EUlSU_E_NS1_11comp_targetILNS1_3genE9ELNS1_11target_archE1100ELNS1_3gpuE3ELNS1_3repE0EEENS1_30default_config_static_selectorELNS0_4arch9wavefront6targetE0EEEvT1_.has_recursion, 0
	.set _ZN7rocprim17ROCPRIM_400000_NS6detail17trampoline_kernelINS0_14default_configENS1_33run_length_encode_config_selectorIajNS0_4plusIjEEEEZZNS1_33reduce_by_key_impl_wrapped_configILNS1_25lookback_scan_determinismE0ES3_S7_PKaNS0_17constant_iteratorIjlEEPaPlSF_S6_NS0_8equal_toIaEEEE10hipError_tPvRmT2_T3_mT4_T5_T6_T7_T8_P12ihipStream_tbENKUlT_T0_E_clISt17integral_constantIbLb1EESY_IbLb0EEEEDaSU_SV_EUlSU_E_NS1_11comp_targetILNS1_3genE9ELNS1_11target_archE1100ELNS1_3gpuE3ELNS1_3repE0EEENS1_30default_config_static_selectorELNS0_4arch9wavefront6targetE0EEEvT1_.has_indirect_call, 0
	.section	.AMDGPU.csdata,"",@progbits
; Kernel info:
; codeLenInByte = 0
; TotalNumSgprs: 0
; NumVgprs: 0
; ScratchSize: 0
; MemoryBound: 0
; FloatMode: 240
; IeeeMode: 1
; LDSByteSize: 0 bytes/workgroup (compile time only)
; SGPRBlocks: 0
; VGPRBlocks: 0
; NumSGPRsForWavesPerEU: 1
; NumVGPRsForWavesPerEU: 1
; NamedBarCnt: 0
; Occupancy: 16
; WaveLimiterHint : 0
; COMPUTE_PGM_RSRC2:SCRATCH_EN: 0
; COMPUTE_PGM_RSRC2:USER_SGPR: 2
; COMPUTE_PGM_RSRC2:TRAP_HANDLER: 0
; COMPUTE_PGM_RSRC2:TGID_X_EN: 1
; COMPUTE_PGM_RSRC2:TGID_Y_EN: 0
; COMPUTE_PGM_RSRC2:TGID_Z_EN: 0
; COMPUTE_PGM_RSRC2:TIDIG_COMP_CNT: 0
	.section	.text._ZN7rocprim17ROCPRIM_400000_NS6detail17trampoline_kernelINS0_14default_configENS1_33run_length_encode_config_selectorIajNS0_4plusIjEEEEZZNS1_33reduce_by_key_impl_wrapped_configILNS1_25lookback_scan_determinismE0ES3_S7_PKaNS0_17constant_iteratorIjlEEPaPlSF_S6_NS0_8equal_toIaEEEE10hipError_tPvRmT2_T3_mT4_T5_T6_T7_T8_P12ihipStream_tbENKUlT_T0_E_clISt17integral_constantIbLb1EESY_IbLb0EEEEDaSU_SV_EUlSU_E_NS1_11comp_targetILNS1_3genE8ELNS1_11target_archE1030ELNS1_3gpuE2ELNS1_3repE0EEENS1_30default_config_static_selectorELNS0_4arch9wavefront6targetE0EEEvT1_,"axG",@progbits,_ZN7rocprim17ROCPRIM_400000_NS6detail17trampoline_kernelINS0_14default_configENS1_33run_length_encode_config_selectorIajNS0_4plusIjEEEEZZNS1_33reduce_by_key_impl_wrapped_configILNS1_25lookback_scan_determinismE0ES3_S7_PKaNS0_17constant_iteratorIjlEEPaPlSF_S6_NS0_8equal_toIaEEEE10hipError_tPvRmT2_T3_mT4_T5_T6_T7_T8_P12ihipStream_tbENKUlT_T0_E_clISt17integral_constantIbLb1EESY_IbLb0EEEEDaSU_SV_EUlSU_E_NS1_11comp_targetILNS1_3genE8ELNS1_11target_archE1030ELNS1_3gpuE2ELNS1_3repE0EEENS1_30default_config_static_selectorELNS0_4arch9wavefront6targetE0EEEvT1_,comdat
	.protected	_ZN7rocprim17ROCPRIM_400000_NS6detail17trampoline_kernelINS0_14default_configENS1_33run_length_encode_config_selectorIajNS0_4plusIjEEEEZZNS1_33reduce_by_key_impl_wrapped_configILNS1_25lookback_scan_determinismE0ES3_S7_PKaNS0_17constant_iteratorIjlEEPaPlSF_S6_NS0_8equal_toIaEEEE10hipError_tPvRmT2_T3_mT4_T5_T6_T7_T8_P12ihipStream_tbENKUlT_T0_E_clISt17integral_constantIbLb1EESY_IbLb0EEEEDaSU_SV_EUlSU_E_NS1_11comp_targetILNS1_3genE8ELNS1_11target_archE1030ELNS1_3gpuE2ELNS1_3repE0EEENS1_30default_config_static_selectorELNS0_4arch9wavefront6targetE0EEEvT1_ ; -- Begin function _ZN7rocprim17ROCPRIM_400000_NS6detail17trampoline_kernelINS0_14default_configENS1_33run_length_encode_config_selectorIajNS0_4plusIjEEEEZZNS1_33reduce_by_key_impl_wrapped_configILNS1_25lookback_scan_determinismE0ES3_S7_PKaNS0_17constant_iteratorIjlEEPaPlSF_S6_NS0_8equal_toIaEEEE10hipError_tPvRmT2_T3_mT4_T5_T6_T7_T8_P12ihipStream_tbENKUlT_T0_E_clISt17integral_constantIbLb1EESY_IbLb0EEEEDaSU_SV_EUlSU_E_NS1_11comp_targetILNS1_3genE8ELNS1_11target_archE1030ELNS1_3gpuE2ELNS1_3repE0EEENS1_30default_config_static_selectorELNS0_4arch9wavefront6targetE0EEEvT1_
	.globl	_ZN7rocprim17ROCPRIM_400000_NS6detail17trampoline_kernelINS0_14default_configENS1_33run_length_encode_config_selectorIajNS0_4plusIjEEEEZZNS1_33reduce_by_key_impl_wrapped_configILNS1_25lookback_scan_determinismE0ES3_S7_PKaNS0_17constant_iteratorIjlEEPaPlSF_S6_NS0_8equal_toIaEEEE10hipError_tPvRmT2_T3_mT4_T5_T6_T7_T8_P12ihipStream_tbENKUlT_T0_E_clISt17integral_constantIbLb1EESY_IbLb0EEEEDaSU_SV_EUlSU_E_NS1_11comp_targetILNS1_3genE8ELNS1_11target_archE1030ELNS1_3gpuE2ELNS1_3repE0EEENS1_30default_config_static_selectorELNS0_4arch9wavefront6targetE0EEEvT1_
	.p2align	8
	.type	_ZN7rocprim17ROCPRIM_400000_NS6detail17trampoline_kernelINS0_14default_configENS1_33run_length_encode_config_selectorIajNS0_4plusIjEEEEZZNS1_33reduce_by_key_impl_wrapped_configILNS1_25lookback_scan_determinismE0ES3_S7_PKaNS0_17constant_iteratorIjlEEPaPlSF_S6_NS0_8equal_toIaEEEE10hipError_tPvRmT2_T3_mT4_T5_T6_T7_T8_P12ihipStream_tbENKUlT_T0_E_clISt17integral_constantIbLb1EESY_IbLb0EEEEDaSU_SV_EUlSU_E_NS1_11comp_targetILNS1_3genE8ELNS1_11target_archE1030ELNS1_3gpuE2ELNS1_3repE0EEENS1_30default_config_static_selectorELNS0_4arch9wavefront6targetE0EEEvT1_,@function
_ZN7rocprim17ROCPRIM_400000_NS6detail17trampoline_kernelINS0_14default_configENS1_33run_length_encode_config_selectorIajNS0_4plusIjEEEEZZNS1_33reduce_by_key_impl_wrapped_configILNS1_25lookback_scan_determinismE0ES3_S7_PKaNS0_17constant_iteratorIjlEEPaPlSF_S6_NS0_8equal_toIaEEEE10hipError_tPvRmT2_T3_mT4_T5_T6_T7_T8_P12ihipStream_tbENKUlT_T0_E_clISt17integral_constantIbLb1EESY_IbLb0EEEEDaSU_SV_EUlSU_E_NS1_11comp_targetILNS1_3genE8ELNS1_11target_archE1030ELNS1_3gpuE2ELNS1_3repE0EEENS1_30default_config_static_selectorELNS0_4arch9wavefront6targetE0EEEvT1_: ; @_ZN7rocprim17ROCPRIM_400000_NS6detail17trampoline_kernelINS0_14default_configENS1_33run_length_encode_config_selectorIajNS0_4plusIjEEEEZZNS1_33reduce_by_key_impl_wrapped_configILNS1_25lookback_scan_determinismE0ES3_S7_PKaNS0_17constant_iteratorIjlEEPaPlSF_S6_NS0_8equal_toIaEEEE10hipError_tPvRmT2_T3_mT4_T5_T6_T7_T8_P12ihipStream_tbENKUlT_T0_E_clISt17integral_constantIbLb1EESY_IbLb0EEEEDaSU_SV_EUlSU_E_NS1_11comp_targetILNS1_3genE8ELNS1_11target_archE1030ELNS1_3gpuE2ELNS1_3repE0EEENS1_30default_config_static_selectorELNS0_4arch9wavefront6targetE0EEEvT1_
; %bb.0:
	.section	.rodata,"a",@progbits
	.p2align	6, 0x0
	.amdhsa_kernel _ZN7rocprim17ROCPRIM_400000_NS6detail17trampoline_kernelINS0_14default_configENS1_33run_length_encode_config_selectorIajNS0_4plusIjEEEEZZNS1_33reduce_by_key_impl_wrapped_configILNS1_25lookback_scan_determinismE0ES3_S7_PKaNS0_17constant_iteratorIjlEEPaPlSF_S6_NS0_8equal_toIaEEEE10hipError_tPvRmT2_T3_mT4_T5_T6_T7_T8_P12ihipStream_tbENKUlT_T0_E_clISt17integral_constantIbLb1EESY_IbLb0EEEEDaSU_SV_EUlSU_E_NS1_11comp_targetILNS1_3genE8ELNS1_11target_archE1030ELNS1_3gpuE2ELNS1_3repE0EEENS1_30default_config_static_selectorELNS0_4arch9wavefront6targetE0EEEvT1_
		.amdhsa_group_segment_fixed_size 0
		.amdhsa_private_segment_fixed_size 0
		.amdhsa_kernarg_size 128
		.amdhsa_user_sgpr_count 2
		.amdhsa_user_sgpr_dispatch_ptr 0
		.amdhsa_user_sgpr_queue_ptr 0
		.amdhsa_user_sgpr_kernarg_segment_ptr 1
		.amdhsa_user_sgpr_dispatch_id 0
		.amdhsa_user_sgpr_kernarg_preload_length 0
		.amdhsa_user_sgpr_kernarg_preload_offset 0
		.amdhsa_user_sgpr_private_segment_size 0
		.amdhsa_wavefront_size32 1
		.amdhsa_uses_dynamic_stack 0
		.amdhsa_enable_private_segment 0
		.amdhsa_system_sgpr_workgroup_id_x 1
		.amdhsa_system_sgpr_workgroup_id_y 0
		.amdhsa_system_sgpr_workgroup_id_z 0
		.amdhsa_system_sgpr_workgroup_info 0
		.amdhsa_system_vgpr_workitem_id 0
		.amdhsa_next_free_vgpr 1
		.amdhsa_next_free_sgpr 1
		.amdhsa_named_barrier_count 0
		.amdhsa_reserve_vcc 0
		.amdhsa_float_round_mode_32 0
		.amdhsa_float_round_mode_16_64 0
		.amdhsa_float_denorm_mode_32 3
		.amdhsa_float_denorm_mode_16_64 3
		.amdhsa_fp16_overflow 0
		.amdhsa_memory_ordered 1
		.amdhsa_forward_progress 1
		.amdhsa_inst_pref_size 0
		.amdhsa_round_robin_scheduling 0
		.amdhsa_exception_fp_ieee_invalid_op 0
		.amdhsa_exception_fp_denorm_src 0
		.amdhsa_exception_fp_ieee_div_zero 0
		.amdhsa_exception_fp_ieee_overflow 0
		.amdhsa_exception_fp_ieee_underflow 0
		.amdhsa_exception_fp_ieee_inexact 0
		.amdhsa_exception_int_div_zero 0
	.end_amdhsa_kernel
	.section	.text._ZN7rocprim17ROCPRIM_400000_NS6detail17trampoline_kernelINS0_14default_configENS1_33run_length_encode_config_selectorIajNS0_4plusIjEEEEZZNS1_33reduce_by_key_impl_wrapped_configILNS1_25lookback_scan_determinismE0ES3_S7_PKaNS0_17constant_iteratorIjlEEPaPlSF_S6_NS0_8equal_toIaEEEE10hipError_tPvRmT2_T3_mT4_T5_T6_T7_T8_P12ihipStream_tbENKUlT_T0_E_clISt17integral_constantIbLb1EESY_IbLb0EEEEDaSU_SV_EUlSU_E_NS1_11comp_targetILNS1_3genE8ELNS1_11target_archE1030ELNS1_3gpuE2ELNS1_3repE0EEENS1_30default_config_static_selectorELNS0_4arch9wavefront6targetE0EEEvT1_,"axG",@progbits,_ZN7rocprim17ROCPRIM_400000_NS6detail17trampoline_kernelINS0_14default_configENS1_33run_length_encode_config_selectorIajNS0_4plusIjEEEEZZNS1_33reduce_by_key_impl_wrapped_configILNS1_25lookback_scan_determinismE0ES3_S7_PKaNS0_17constant_iteratorIjlEEPaPlSF_S6_NS0_8equal_toIaEEEE10hipError_tPvRmT2_T3_mT4_T5_T6_T7_T8_P12ihipStream_tbENKUlT_T0_E_clISt17integral_constantIbLb1EESY_IbLb0EEEEDaSU_SV_EUlSU_E_NS1_11comp_targetILNS1_3genE8ELNS1_11target_archE1030ELNS1_3gpuE2ELNS1_3repE0EEENS1_30default_config_static_selectorELNS0_4arch9wavefront6targetE0EEEvT1_,comdat
.Lfunc_end261:
	.size	_ZN7rocprim17ROCPRIM_400000_NS6detail17trampoline_kernelINS0_14default_configENS1_33run_length_encode_config_selectorIajNS0_4plusIjEEEEZZNS1_33reduce_by_key_impl_wrapped_configILNS1_25lookback_scan_determinismE0ES3_S7_PKaNS0_17constant_iteratorIjlEEPaPlSF_S6_NS0_8equal_toIaEEEE10hipError_tPvRmT2_T3_mT4_T5_T6_T7_T8_P12ihipStream_tbENKUlT_T0_E_clISt17integral_constantIbLb1EESY_IbLb0EEEEDaSU_SV_EUlSU_E_NS1_11comp_targetILNS1_3genE8ELNS1_11target_archE1030ELNS1_3gpuE2ELNS1_3repE0EEENS1_30default_config_static_selectorELNS0_4arch9wavefront6targetE0EEEvT1_, .Lfunc_end261-_ZN7rocprim17ROCPRIM_400000_NS6detail17trampoline_kernelINS0_14default_configENS1_33run_length_encode_config_selectorIajNS0_4plusIjEEEEZZNS1_33reduce_by_key_impl_wrapped_configILNS1_25lookback_scan_determinismE0ES3_S7_PKaNS0_17constant_iteratorIjlEEPaPlSF_S6_NS0_8equal_toIaEEEE10hipError_tPvRmT2_T3_mT4_T5_T6_T7_T8_P12ihipStream_tbENKUlT_T0_E_clISt17integral_constantIbLb1EESY_IbLb0EEEEDaSU_SV_EUlSU_E_NS1_11comp_targetILNS1_3genE8ELNS1_11target_archE1030ELNS1_3gpuE2ELNS1_3repE0EEENS1_30default_config_static_selectorELNS0_4arch9wavefront6targetE0EEEvT1_
                                        ; -- End function
	.set _ZN7rocprim17ROCPRIM_400000_NS6detail17trampoline_kernelINS0_14default_configENS1_33run_length_encode_config_selectorIajNS0_4plusIjEEEEZZNS1_33reduce_by_key_impl_wrapped_configILNS1_25lookback_scan_determinismE0ES3_S7_PKaNS0_17constant_iteratorIjlEEPaPlSF_S6_NS0_8equal_toIaEEEE10hipError_tPvRmT2_T3_mT4_T5_T6_T7_T8_P12ihipStream_tbENKUlT_T0_E_clISt17integral_constantIbLb1EESY_IbLb0EEEEDaSU_SV_EUlSU_E_NS1_11comp_targetILNS1_3genE8ELNS1_11target_archE1030ELNS1_3gpuE2ELNS1_3repE0EEENS1_30default_config_static_selectorELNS0_4arch9wavefront6targetE0EEEvT1_.num_vgpr, 0
	.set _ZN7rocprim17ROCPRIM_400000_NS6detail17trampoline_kernelINS0_14default_configENS1_33run_length_encode_config_selectorIajNS0_4plusIjEEEEZZNS1_33reduce_by_key_impl_wrapped_configILNS1_25lookback_scan_determinismE0ES3_S7_PKaNS0_17constant_iteratorIjlEEPaPlSF_S6_NS0_8equal_toIaEEEE10hipError_tPvRmT2_T3_mT4_T5_T6_T7_T8_P12ihipStream_tbENKUlT_T0_E_clISt17integral_constantIbLb1EESY_IbLb0EEEEDaSU_SV_EUlSU_E_NS1_11comp_targetILNS1_3genE8ELNS1_11target_archE1030ELNS1_3gpuE2ELNS1_3repE0EEENS1_30default_config_static_selectorELNS0_4arch9wavefront6targetE0EEEvT1_.num_agpr, 0
	.set _ZN7rocprim17ROCPRIM_400000_NS6detail17trampoline_kernelINS0_14default_configENS1_33run_length_encode_config_selectorIajNS0_4plusIjEEEEZZNS1_33reduce_by_key_impl_wrapped_configILNS1_25lookback_scan_determinismE0ES3_S7_PKaNS0_17constant_iteratorIjlEEPaPlSF_S6_NS0_8equal_toIaEEEE10hipError_tPvRmT2_T3_mT4_T5_T6_T7_T8_P12ihipStream_tbENKUlT_T0_E_clISt17integral_constantIbLb1EESY_IbLb0EEEEDaSU_SV_EUlSU_E_NS1_11comp_targetILNS1_3genE8ELNS1_11target_archE1030ELNS1_3gpuE2ELNS1_3repE0EEENS1_30default_config_static_selectorELNS0_4arch9wavefront6targetE0EEEvT1_.numbered_sgpr, 0
	.set _ZN7rocprim17ROCPRIM_400000_NS6detail17trampoline_kernelINS0_14default_configENS1_33run_length_encode_config_selectorIajNS0_4plusIjEEEEZZNS1_33reduce_by_key_impl_wrapped_configILNS1_25lookback_scan_determinismE0ES3_S7_PKaNS0_17constant_iteratorIjlEEPaPlSF_S6_NS0_8equal_toIaEEEE10hipError_tPvRmT2_T3_mT4_T5_T6_T7_T8_P12ihipStream_tbENKUlT_T0_E_clISt17integral_constantIbLb1EESY_IbLb0EEEEDaSU_SV_EUlSU_E_NS1_11comp_targetILNS1_3genE8ELNS1_11target_archE1030ELNS1_3gpuE2ELNS1_3repE0EEENS1_30default_config_static_selectorELNS0_4arch9wavefront6targetE0EEEvT1_.num_named_barrier, 0
	.set _ZN7rocprim17ROCPRIM_400000_NS6detail17trampoline_kernelINS0_14default_configENS1_33run_length_encode_config_selectorIajNS0_4plusIjEEEEZZNS1_33reduce_by_key_impl_wrapped_configILNS1_25lookback_scan_determinismE0ES3_S7_PKaNS0_17constant_iteratorIjlEEPaPlSF_S6_NS0_8equal_toIaEEEE10hipError_tPvRmT2_T3_mT4_T5_T6_T7_T8_P12ihipStream_tbENKUlT_T0_E_clISt17integral_constantIbLb1EESY_IbLb0EEEEDaSU_SV_EUlSU_E_NS1_11comp_targetILNS1_3genE8ELNS1_11target_archE1030ELNS1_3gpuE2ELNS1_3repE0EEENS1_30default_config_static_selectorELNS0_4arch9wavefront6targetE0EEEvT1_.private_seg_size, 0
	.set _ZN7rocprim17ROCPRIM_400000_NS6detail17trampoline_kernelINS0_14default_configENS1_33run_length_encode_config_selectorIajNS0_4plusIjEEEEZZNS1_33reduce_by_key_impl_wrapped_configILNS1_25lookback_scan_determinismE0ES3_S7_PKaNS0_17constant_iteratorIjlEEPaPlSF_S6_NS0_8equal_toIaEEEE10hipError_tPvRmT2_T3_mT4_T5_T6_T7_T8_P12ihipStream_tbENKUlT_T0_E_clISt17integral_constantIbLb1EESY_IbLb0EEEEDaSU_SV_EUlSU_E_NS1_11comp_targetILNS1_3genE8ELNS1_11target_archE1030ELNS1_3gpuE2ELNS1_3repE0EEENS1_30default_config_static_selectorELNS0_4arch9wavefront6targetE0EEEvT1_.uses_vcc, 0
	.set _ZN7rocprim17ROCPRIM_400000_NS6detail17trampoline_kernelINS0_14default_configENS1_33run_length_encode_config_selectorIajNS0_4plusIjEEEEZZNS1_33reduce_by_key_impl_wrapped_configILNS1_25lookback_scan_determinismE0ES3_S7_PKaNS0_17constant_iteratorIjlEEPaPlSF_S6_NS0_8equal_toIaEEEE10hipError_tPvRmT2_T3_mT4_T5_T6_T7_T8_P12ihipStream_tbENKUlT_T0_E_clISt17integral_constantIbLb1EESY_IbLb0EEEEDaSU_SV_EUlSU_E_NS1_11comp_targetILNS1_3genE8ELNS1_11target_archE1030ELNS1_3gpuE2ELNS1_3repE0EEENS1_30default_config_static_selectorELNS0_4arch9wavefront6targetE0EEEvT1_.uses_flat_scratch, 0
	.set _ZN7rocprim17ROCPRIM_400000_NS6detail17trampoline_kernelINS0_14default_configENS1_33run_length_encode_config_selectorIajNS0_4plusIjEEEEZZNS1_33reduce_by_key_impl_wrapped_configILNS1_25lookback_scan_determinismE0ES3_S7_PKaNS0_17constant_iteratorIjlEEPaPlSF_S6_NS0_8equal_toIaEEEE10hipError_tPvRmT2_T3_mT4_T5_T6_T7_T8_P12ihipStream_tbENKUlT_T0_E_clISt17integral_constantIbLb1EESY_IbLb0EEEEDaSU_SV_EUlSU_E_NS1_11comp_targetILNS1_3genE8ELNS1_11target_archE1030ELNS1_3gpuE2ELNS1_3repE0EEENS1_30default_config_static_selectorELNS0_4arch9wavefront6targetE0EEEvT1_.has_dyn_sized_stack, 0
	.set _ZN7rocprim17ROCPRIM_400000_NS6detail17trampoline_kernelINS0_14default_configENS1_33run_length_encode_config_selectorIajNS0_4plusIjEEEEZZNS1_33reduce_by_key_impl_wrapped_configILNS1_25lookback_scan_determinismE0ES3_S7_PKaNS0_17constant_iteratorIjlEEPaPlSF_S6_NS0_8equal_toIaEEEE10hipError_tPvRmT2_T3_mT4_T5_T6_T7_T8_P12ihipStream_tbENKUlT_T0_E_clISt17integral_constantIbLb1EESY_IbLb0EEEEDaSU_SV_EUlSU_E_NS1_11comp_targetILNS1_3genE8ELNS1_11target_archE1030ELNS1_3gpuE2ELNS1_3repE0EEENS1_30default_config_static_selectorELNS0_4arch9wavefront6targetE0EEEvT1_.has_recursion, 0
	.set _ZN7rocprim17ROCPRIM_400000_NS6detail17trampoline_kernelINS0_14default_configENS1_33run_length_encode_config_selectorIajNS0_4plusIjEEEEZZNS1_33reduce_by_key_impl_wrapped_configILNS1_25lookback_scan_determinismE0ES3_S7_PKaNS0_17constant_iteratorIjlEEPaPlSF_S6_NS0_8equal_toIaEEEE10hipError_tPvRmT2_T3_mT4_T5_T6_T7_T8_P12ihipStream_tbENKUlT_T0_E_clISt17integral_constantIbLb1EESY_IbLb0EEEEDaSU_SV_EUlSU_E_NS1_11comp_targetILNS1_3genE8ELNS1_11target_archE1030ELNS1_3gpuE2ELNS1_3repE0EEENS1_30default_config_static_selectorELNS0_4arch9wavefront6targetE0EEEvT1_.has_indirect_call, 0
	.section	.AMDGPU.csdata,"",@progbits
; Kernel info:
; codeLenInByte = 0
; TotalNumSgprs: 0
; NumVgprs: 0
; ScratchSize: 0
; MemoryBound: 0
; FloatMode: 240
; IeeeMode: 1
; LDSByteSize: 0 bytes/workgroup (compile time only)
; SGPRBlocks: 0
; VGPRBlocks: 0
; NumSGPRsForWavesPerEU: 1
; NumVGPRsForWavesPerEU: 1
; NamedBarCnt: 0
; Occupancy: 16
; WaveLimiterHint : 0
; COMPUTE_PGM_RSRC2:SCRATCH_EN: 0
; COMPUTE_PGM_RSRC2:USER_SGPR: 2
; COMPUTE_PGM_RSRC2:TRAP_HANDLER: 0
; COMPUTE_PGM_RSRC2:TGID_X_EN: 1
; COMPUTE_PGM_RSRC2:TGID_Y_EN: 0
; COMPUTE_PGM_RSRC2:TGID_Z_EN: 0
; COMPUTE_PGM_RSRC2:TIDIG_COMP_CNT: 0
	.section	.text._ZN7rocprim17ROCPRIM_400000_NS6detail17trampoline_kernelINS0_14default_configENS1_33run_length_encode_config_selectorIajNS0_4plusIjEEEEZZNS1_33reduce_by_key_impl_wrapped_configILNS1_25lookback_scan_determinismE0ES3_S7_PKaNS0_17constant_iteratorIjlEEPaPlSF_S6_NS0_8equal_toIaEEEE10hipError_tPvRmT2_T3_mT4_T5_T6_T7_T8_P12ihipStream_tbENKUlT_T0_E_clISt17integral_constantIbLb0EESY_IbLb1EEEEDaSU_SV_EUlSU_E_NS1_11comp_targetILNS1_3genE0ELNS1_11target_archE4294967295ELNS1_3gpuE0ELNS1_3repE0EEENS1_30default_config_static_selectorELNS0_4arch9wavefront6targetE0EEEvT1_,"axG",@progbits,_ZN7rocprim17ROCPRIM_400000_NS6detail17trampoline_kernelINS0_14default_configENS1_33run_length_encode_config_selectorIajNS0_4plusIjEEEEZZNS1_33reduce_by_key_impl_wrapped_configILNS1_25lookback_scan_determinismE0ES3_S7_PKaNS0_17constant_iteratorIjlEEPaPlSF_S6_NS0_8equal_toIaEEEE10hipError_tPvRmT2_T3_mT4_T5_T6_T7_T8_P12ihipStream_tbENKUlT_T0_E_clISt17integral_constantIbLb0EESY_IbLb1EEEEDaSU_SV_EUlSU_E_NS1_11comp_targetILNS1_3genE0ELNS1_11target_archE4294967295ELNS1_3gpuE0ELNS1_3repE0EEENS1_30default_config_static_selectorELNS0_4arch9wavefront6targetE0EEEvT1_,comdat
	.protected	_ZN7rocprim17ROCPRIM_400000_NS6detail17trampoline_kernelINS0_14default_configENS1_33run_length_encode_config_selectorIajNS0_4plusIjEEEEZZNS1_33reduce_by_key_impl_wrapped_configILNS1_25lookback_scan_determinismE0ES3_S7_PKaNS0_17constant_iteratorIjlEEPaPlSF_S6_NS0_8equal_toIaEEEE10hipError_tPvRmT2_T3_mT4_T5_T6_T7_T8_P12ihipStream_tbENKUlT_T0_E_clISt17integral_constantIbLb0EESY_IbLb1EEEEDaSU_SV_EUlSU_E_NS1_11comp_targetILNS1_3genE0ELNS1_11target_archE4294967295ELNS1_3gpuE0ELNS1_3repE0EEENS1_30default_config_static_selectorELNS0_4arch9wavefront6targetE0EEEvT1_ ; -- Begin function _ZN7rocprim17ROCPRIM_400000_NS6detail17trampoline_kernelINS0_14default_configENS1_33run_length_encode_config_selectorIajNS0_4plusIjEEEEZZNS1_33reduce_by_key_impl_wrapped_configILNS1_25lookback_scan_determinismE0ES3_S7_PKaNS0_17constant_iteratorIjlEEPaPlSF_S6_NS0_8equal_toIaEEEE10hipError_tPvRmT2_T3_mT4_T5_T6_T7_T8_P12ihipStream_tbENKUlT_T0_E_clISt17integral_constantIbLb0EESY_IbLb1EEEEDaSU_SV_EUlSU_E_NS1_11comp_targetILNS1_3genE0ELNS1_11target_archE4294967295ELNS1_3gpuE0ELNS1_3repE0EEENS1_30default_config_static_selectorELNS0_4arch9wavefront6targetE0EEEvT1_
	.globl	_ZN7rocprim17ROCPRIM_400000_NS6detail17trampoline_kernelINS0_14default_configENS1_33run_length_encode_config_selectorIajNS0_4plusIjEEEEZZNS1_33reduce_by_key_impl_wrapped_configILNS1_25lookback_scan_determinismE0ES3_S7_PKaNS0_17constant_iteratorIjlEEPaPlSF_S6_NS0_8equal_toIaEEEE10hipError_tPvRmT2_T3_mT4_T5_T6_T7_T8_P12ihipStream_tbENKUlT_T0_E_clISt17integral_constantIbLb0EESY_IbLb1EEEEDaSU_SV_EUlSU_E_NS1_11comp_targetILNS1_3genE0ELNS1_11target_archE4294967295ELNS1_3gpuE0ELNS1_3repE0EEENS1_30default_config_static_selectorELNS0_4arch9wavefront6targetE0EEEvT1_
	.p2align	8
	.type	_ZN7rocprim17ROCPRIM_400000_NS6detail17trampoline_kernelINS0_14default_configENS1_33run_length_encode_config_selectorIajNS0_4plusIjEEEEZZNS1_33reduce_by_key_impl_wrapped_configILNS1_25lookback_scan_determinismE0ES3_S7_PKaNS0_17constant_iteratorIjlEEPaPlSF_S6_NS0_8equal_toIaEEEE10hipError_tPvRmT2_T3_mT4_T5_T6_T7_T8_P12ihipStream_tbENKUlT_T0_E_clISt17integral_constantIbLb0EESY_IbLb1EEEEDaSU_SV_EUlSU_E_NS1_11comp_targetILNS1_3genE0ELNS1_11target_archE4294967295ELNS1_3gpuE0ELNS1_3repE0EEENS1_30default_config_static_selectorELNS0_4arch9wavefront6targetE0EEEvT1_,@function
_ZN7rocprim17ROCPRIM_400000_NS6detail17trampoline_kernelINS0_14default_configENS1_33run_length_encode_config_selectorIajNS0_4plusIjEEEEZZNS1_33reduce_by_key_impl_wrapped_configILNS1_25lookback_scan_determinismE0ES3_S7_PKaNS0_17constant_iteratorIjlEEPaPlSF_S6_NS0_8equal_toIaEEEE10hipError_tPvRmT2_T3_mT4_T5_T6_T7_T8_P12ihipStream_tbENKUlT_T0_E_clISt17integral_constantIbLb0EESY_IbLb1EEEEDaSU_SV_EUlSU_E_NS1_11comp_targetILNS1_3genE0ELNS1_11target_archE4294967295ELNS1_3gpuE0ELNS1_3repE0EEENS1_30default_config_static_selectorELNS0_4arch9wavefront6targetE0EEEvT1_: ; @_ZN7rocprim17ROCPRIM_400000_NS6detail17trampoline_kernelINS0_14default_configENS1_33run_length_encode_config_selectorIajNS0_4plusIjEEEEZZNS1_33reduce_by_key_impl_wrapped_configILNS1_25lookback_scan_determinismE0ES3_S7_PKaNS0_17constant_iteratorIjlEEPaPlSF_S6_NS0_8equal_toIaEEEE10hipError_tPvRmT2_T3_mT4_T5_T6_T7_T8_P12ihipStream_tbENKUlT_T0_E_clISt17integral_constantIbLb0EESY_IbLb1EEEEDaSU_SV_EUlSU_E_NS1_11comp_targetILNS1_3genE0ELNS1_11target_archE4294967295ELNS1_3gpuE0ELNS1_3repE0EEENS1_30default_config_static_selectorELNS0_4arch9wavefront6targetE0EEEvT1_
; %bb.0:
	s_clause 0x5
	s_load_b32 s8, s[0:1], 0x10
	s_load_b128 s[24:27], s[0:1], 0x20
	s_load_b64 s[34:35], s[0:1], 0x30
	s_load_b64 s[36:37], s[0:1], 0x70
	s_load_b128 s[28:31], s[0:1], 0x60
	s_load_b256 s[16:23], s[0:1], 0x40
	v_cmp_ne_u32_e64 s3, 0, v0
	v_cmp_eq_u32_e64 s2, 0, v0
	s_and_saveexec_b32 s4, s2
	s_cbranch_execz .LBB262_4
; %bb.1:
	s_mov_b32 s6, exec_lo
	s_mov_b32 s5, exec_lo
	v_mbcnt_lo_u32_b32 v1, s6, 0
                                        ; implicit-def: $vgpr2
	s_delay_alu instid0(VALU_DEP_1)
	v_cmpx_eq_u32_e32 0, v1
	s_cbranch_execz .LBB262_3
; %bb.2:
	s_load_b64 s[10:11], s[0:1], 0x78
	s_bcnt1_i32_b32 s6, s6
	s_delay_alu instid0(SALU_CYCLE_1)
	v_dual_mov_b32 v2, 0 :: v_dual_mov_b32 v3, s6
	s_wait_xcnt 0x0
	s_wait_kmcnt 0x0
	global_atomic_add_u32 v2, v2, v3, s[10:11] th:TH_ATOMIC_RETURN scope:SCOPE_DEV
.LBB262_3:
	s_wait_xcnt 0x0
	s_or_b32 exec_lo, exec_lo, s5
	s_wait_loadcnt 0x0
	v_readfirstlane_b32 s5, v2
	s_delay_alu instid0(VALU_DEP_1)
	v_dual_mov_b32 v2, 0 :: v_dual_add_nc_u32 v1, s5, v1
	ds_store_b32 v2, v1
.LBB262_4:
	s_or_b32 exec_lo, exec_lo, s4
	v_mov_b32_e32 v3, 0
	s_wait_dscnt 0x0
	s_barrier_signal -1
	s_barrier_wait -1
	ds_load_b32 v1, v3
	s_load_b128 s[4:7], s[0:1], 0x0
	s_wait_kmcnt 0x0
	s_mul_u64 s[0:1], s[20:21], s[18:19]
	s_mov_b32 s21, 0
	v_mad_u32_u24 v4, v0, 13, v0
	s_wait_dscnt 0x0
	s_barrier_signal -1
	s_barrier_wait -1
	v_mul_lo_u32 v2, 0xe00, v1
	v_readfirstlane_b32 s20, v1
	s_add_nc_u64 s[4:5], s[4:5], s[6:7]
	s_add_nc_u64 s[6:7], s[22:23], -1
	s_delay_alu instid0(SALU_CYCLE_1) | instskip(SKIP_1) | instid1(SALU_CYCLE_1)
	s_mul_i32 s23, s6, 0xfffff200
	s_add_nc_u64 s[14:15], s[0:1], s[20:21]
	s_cmp_eq_u64 s[14:15], s[6:7]
	s_cselect_b32 s22, -1, 0
	v_add_nc_u64_e32 v[2:3], s[4:5], v[2:3]
	s_cmp_lg_u64 s[14:15], s[6:7]
	s_cselect_b32 s0, -1, 0
	s_and_b32 vcc_lo, exec_lo, s22
	s_cbranch_vccnz .LBB262_6
; %bb.5:
	s_delay_alu instid0(VALU_DEP_1) | instskip(NEXT) | instid1(VALU_DEP_2)
	v_readfirstlane_b32 s4, v2
	v_readfirstlane_b32 s5, v3
	s_mov_b32 s1, 0
	s_mov_b32 s21, -1
	s_clause 0xd
	global_load_u8 v1, v0, s[4:5]
	global_load_u8 v5, v0, s[4:5] offset:256
	global_load_u8 v6, v0, s[4:5] offset:512
	;; [unrolled: 1-line block ×13, first 2 shown]
	s_wait_loadcnt 0xd
	ds_store_b8 v0, v1
	s_wait_loadcnt 0xc
	ds_store_b8 v0, v5 offset:256
	s_wait_loadcnt 0xb
	ds_store_b8 v0, v6 offset:512
	;; [unrolled: 2-line block ×13, first 2 shown]
	s_wait_dscnt 0x0
	s_barrier_signal -1
	s_barrier_wait -1
	ds_load_u16 v1, v4
	ds_load_b96 v[10:12], v4 offset:2
	s_wait_dscnt 0x1
	v_lshrrev_b16 v13, 8, v1
	s_branch .LBB262_7
.LBB262_6:
	s_mov_b32 s1, -1
                                        ; implicit-def: $vgpr10
                                        ; implicit-def: $vgpr1
                                        ; implicit-def: $vgpr13
.LBB262_7:
	v_dual_mov_b32 v50, s8 :: v_dual_mov_b32 v51, s8
	v_dual_mov_b32 v52, s8 :: v_dual_mov_b32 v54, s8
	;; [unrolled: 1-line block ×6, first 2 shown]
	v_mov_b32_e32 v53, s8
	s_and_not1_b32 vcc_lo, exec_lo, s1
	s_add_co_i32 s23, s23, s28
                                        ; implicit-def: $vgpr76
	s_cbranch_vccnz .LBB262_37
; %bb.8:
	s_mov_b32 s1, exec_lo
                                        ; implicit-def: $vgpr1
	v_cmpx_gt_u32_e64 s23, v0
	s_cbranch_execz .LBB262_10
; %bb.9:
	v_readfirstlane_b32 s4, v2
	v_readfirstlane_b32 s5, v3
	global_load_u8 v1, v0, s[4:5]
.LBB262_10:
	s_wait_xcnt 0x0
	s_or_b32 exec_lo, exec_lo, s1
	v_or_b32_e32 v5, 0x100, v0
	s_delay_alu instid0(VALU_DEP_1)
	v_cmp_gt_u32_e32 vcc_lo, s23, v5
                                        ; implicit-def: $vgpr5
	s_and_saveexec_b32 s1, vcc_lo
	s_cbranch_execz .LBB262_12
; %bb.11:
	v_readfirstlane_b32 s4, v2
	v_readfirstlane_b32 s5, v3
	global_load_u8 v5, v0, s[4:5] offset:256
.LBB262_12:
	s_wait_xcnt 0x0
	s_or_b32 exec_lo, exec_lo, s1
	v_or_b32_e32 v6, 0x200, v0
	s_delay_alu instid0(VALU_DEP_1)
	v_cmp_gt_u32_e32 vcc_lo, s23, v6
                                        ; implicit-def: $vgpr6
	s_and_saveexec_b32 s1, vcc_lo
	s_cbranch_execz .LBB262_14
; %bb.13:
	v_readfirstlane_b32 s4, v2
	v_readfirstlane_b32 s5, v3
	global_load_u8 v6, v0, s[4:5] offset:512
.LBB262_14:
	s_wait_xcnt 0x0
	s_or_b32 exec_lo, exec_lo, s1
	v_or_b32_e32 v7, 0x300, v0
	s_delay_alu instid0(VALU_DEP_1)
	v_cmp_gt_u32_e32 vcc_lo, s23, v7
                                        ; implicit-def: $vgpr7
	s_and_saveexec_b32 s1, vcc_lo
	s_cbranch_execz .LBB262_16
; %bb.15:
	v_readfirstlane_b32 s4, v2
	v_readfirstlane_b32 s5, v3
	global_load_u8 v7, v0, s[4:5] offset:768
.LBB262_16:
	s_wait_xcnt 0x0
	s_or_b32 exec_lo, exec_lo, s1
	v_or_b32_e32 v8, 0x400, v0
	s_delay_alu instid0(VALU_DEP_1)
	v_cmp_gt_u32_e32 vcc_lo, s23, v8
                                        ; implicit-def: $vgpr8
	s_and_saveexec_b32 s1, vcc_lo
	s_cbranch_execz .LBB262_18
; %bb.17:
	v_readfirstlane_b32 s4, v2
	v_readfirstlane_b32 s5, v3
	global_load_u8 v8, v0, s[4:5] offset:1024
.LBB262_18:
	s_wait_xcnt 0x0
	s_or_b32 exec_lo, exec_lo, s1
	v_or_b32_e32 v9, 0x500, v0
	s_delay_alu instid0(VALU_DEP_1)
	v_cmp_gt_u32_e32 vcc_lo, s23, v9
                                        ; implicit-def: $vgpr9
	s_and_saveexec_b32 s1, vcc_lo
	s_cbranch_execz .LBB262_20
; %bb.19:
	v_readfirstlane_b32 s4, v2
	v_readfirstlane_b32 s5, v3
	global_load_u8 v9, v0, s[4:5] offset:1280
.LBB262_20:
	s_wait_xcnt 0x0
	s_or_b32 exec_lo, exec_lo, s1
	s_wait_dscnt 0x0
	v_or_b32_e32 v10, 0x600, v0
	s_delay_alu instid0(VALU_DEP_1)
	v_cmp_gt_u32_e32 vcc_lo, s23, v10
                                        ; implicit-def: $vgpr10
	s_and_saveexec_b32 s1, vcc_lo
	s_cbranch_execz .LBB262_22
; %bb.21:
	v_readfirstlane_b32 s4, v2
	v_readfirstlane_b32 s5, v3
	global_load_u8 v10, v0, s[4:5] offset:1536
.LBB262_22:
	s_wait_xcnt 0x0
	s_or_b32 exec_lo, exec_lo, s1
	v_or_b32_e32 v11, 0x700, v0
	s_delay_alu instid0(VALU_DEP_1)
	v_cmp_gt_u32_e32 vcc_lo, s23, v11
                                        ; implicit-def: $vgpr11
	s_and_saveexec_b32 s1, vcc_lo
	s_cbranch_execz .LBB262_24
; %bb.23:
	v_readfirstlane_b32 s4, v2
	v_readfirstlane_b32 s5, v3
	global_load_u8 v11, v0, s[4:5] offset:1792
.LBB262_24:
	s_wait_xcnt 0x0
	s_or_b32 exec_lo, exec_lo, s1
	v_or_b32_e32 v12, 0x800, v0
	s_delay_alu instid0(VALU_DEP_1)
	v_cmp_gt_u32_e32 vcc_lo, s23, v12
                                        ; implicit-def: $vgpr12
	s_and_saveexec_b32 s1, vcc_lo
	s_cbranch_execz .LBB262_26
; %bb.25:
	v_readfirstlane_b32 s4, v2
	v_readfirstlane_b32 s5, v3
	global_load_u8 v12, v0, s[4:5] offset:2048
.LBB262_26:
	s_wait_xcnt 0x0
	s_or_b32 exec_lo, exec_lo, s1
	v_or_b32_e32 v13, 0x900, v0
	s_delay_alu instid0(VALU_DEP_1)
	v_cmp_gt_u32_e32 vcc_lo, s23, v13
                                        ; implicit-def: $vgpr13
	s_and_saveexec_b32 s1, vcc_lo
	s_cbranch_execz .LBB262_28
; %bb.27:
	v_readfirstlane_b32 s4, v2
	v_readfirstlane_b32 s5, v3
	global_load_u8 v13, v0, s[4:5] offset:2304
.LBB262_28:
	s_wait_xcnt 0x0
	s_or_b32 exec_lo, exec_lo, s1
	v_or_b32_e32 v14, 0xa00, v0
	s_delay_alu instid0(VALU_DEP_1)
	v_cmp_gt_u32_e32 vcc_lo, s23, v14
                                        ; implicit-def: $vgpr14
	s_and_saveexec_b32 s1, vcc_lo
	s_cbranch_execz .LBB262_30
; %bb.29:
	v_readfirstlane_b32 s4, v2
	v_readfirstlane_b32 s5, v3
	global_load_u8 v14, v0, s[4:5] offset:2560
.LBB262_30:
	s_wait_xcnt 0x0
	s_or_b32 exec_lo, exec_lo, s1
	v_or_b32_e32 v15, 0xb00, v0
	s_delay_alu instid0(VALU_DEP_1)
	v_cmp_gt_u32_e32 vcc_lo, s23, v15
                                        ; implicit-def: $vgpr15
	s_and_saveexec_b32 s1, vcc_lo
	s_cbranch_execz .LBB262_32
; %bb.31:
	v_readfirstlane_b32 s4, v2
	v_readfirstlane_b32 s5, v3
	global_load_u8 v15, v0, s[4:5] offset:2816
.LBB262_32:
	s_wait_xcnt 0x0
	s_or_b32 exec_lo, exec_lo, s1
	v_or_b32_e32 v16, 0xc00, v0
	s_delay_alu instid0(VALU_DEP_1)
	v_cmp_gt_u32_e32 vcc_lo, s23, v16
                                        ; implicit-def: $vgpr16
	s_and_saveexec_b32 s1, vcc_lo
	s_cbranch_execz .LBB262_34
; %bb.33:
	v_readfirstlane_b32 s4, v2
	v_readfirstlane_b32 s5, v3
	global_load_u8 v16, v0, s[4:5] offset:3072
.LBB262_34:
	s_wait_xcnt 0x0
	s_or_b32 exec_lo, exec_lo, s1
	v_or_b32_e32 v17, 0xd00, v0
	s_delay_alu instid0(VALU_DEP_1)
	v_cmp_gt_u32_e32 vcc_lo, s23, v17
                                        ; implicit-def: $vgpr17
	s_and_saveexec_b32 s1, vcc_lo
	s_cbranch_execz .LBB262_36
; %bb.35:
	v_readfirstlane_b32 s4, v2
	v_readfirstlane_b32 s5, v3
	global_load_u8 v17, v0, s[4:5] offset:3328
.LBB262_36:
	s_wait_xcnt 0x0
	s_or_b32 exec_lo, exec_lo, s1
	s_wait_loadcnt 0x0
	ds_store_b8 v0, v1
	ds_store_b8 v0, v5 offset:256
	ds_store_b8 v0, v6 offset:512
	;; [unrolled: 1-line block ×13, first 2 shown]
	v_mul_u32_u24_e32 v5, 14, v0
	s_wait_dscnt 0x0
	s_barrier_signal -1
	s_barrier_wait -1
	ds_load_u16 v1, v4
	ds_load_b96 v[10:12], v4 offset:2
	v_dual_mov_b32 v76, 0 :: v_dual_bitop2_b32 v4, 1, v5 bitop3:0x54
	v_cmp_gt_u32_e32 vcc_lo, s23, v5
	v_mad_u32_u24 v5, v0, 14, 2
	v_mad_u32_u24 v6, v0, 14, 4
	v_cndmask_b32_e64 v53, 0, s8, vcc_lo
	v_cmp_gt_u32_e32 vcc_lo, s23, v4
	v_mad_u32_u24 v4, v0, 14, 3
	v_cndmask_b32_e64 v55, 0, s8, vcc_lo
	v_cmp_gt_u32_e32 vcc_lo, s23, v5
	v_mad_u32_u24 v5, v0, 14, 5
	s_wait_dscnt 0x1
	v_lshrrev_b16 v13, 8, v1
	v_cndmask_b32_e64 v72, 0, s8, vcc_lo
	v_cmp_gt_u32_e32 vcc_lo, s23, v4
	v_mad_u32_u24 v4, v0, 14, 6
	v_cndmask_b32_e64 v74, 0, s8, vcc_lo
	v_cmp_gt_u32_e32 vcc_lo, s23, v6
	v_mad_u32_u24 v6, v0, 14, 8
	;; [unrolled: 3-line block ×8, first 2 shown]
	v_cndmask_b32_e64 v52, 0, s8, vcc_lo
	v_cmp_gt_u32_e32 vcc_lo, s23, v4
	s_delay_alu instid0(VALU_DEP_3)
	v_cmp_gt_u32_e64 s21, s23, v5
	v_cndmask_b32_e64 v51, 0, s8, vcc_lo
	v_cmp_gt_u32_e32 vcc_lo, s23, v6
	v_cndmask_b32_e64 v50, 0, s8, vcc_lo
.LBB262_37:
	s_delay_alu instid0(VALU_DEP_4)
	s_and_saveexec_b32 s1, s21
; %bb.38:
	v_mov_b32_e32 v76, s8
; %bb.39:
	s_or_b32 exec_lo, exec_lo, s1
	s_cmp_eq_u64 s[14:15], 0
	s_wait_dscnt 0x0
	s_cselect_b32 s21, -1, 0
	s_cmp_lg_u64 s[14:15], 0
	s_barrier_signal -1
	s_cselect_b32 s39, -1, 0
	s_and_b32 vcc_lo, exec_lo, s0
	s_barrier_wait -1
	s_cbranch_vccz .LBB262_44
; %bb.40:
	s_and_b32 vcc_lo, exec_lo, s39
	s_cbranch_vccz .LBB262_45
; %bb.41:
	global_load_u8 v4, v[2:3], off offset:-1
	v_dual_lshrrev_b32 v5, 16, v12 :: v_dual_lshrrev_b32 v6, 24, v12
	v_dual_lshrrev_b32 v7, 8, v12 :: v_dual_lshrrev_b32 v8, 16, v11
	v_lshrrev_b32_e32 v9, 16, v10
	s_delay_alu instid0(VALU_DEP_3)
	v_and_b32_e32 v5, 0xff, v5
	ds_store_b8 v0, v6
	v_and_b32_e32 v7, 0xff, v7
	v_and_b32_e32 v14, 0xff, v12
	v_lshrrev_b32_e32 v15, 8, v11
	v_cmp_ne_u16_e32 vcc_lo, v5, v6
	v_lshrrev_b32_e32 v6, 24, v11
	v_cmp_ne_u16_e64 s0, v7, v5
	v_and_b32_e32 v5, 0xff, v8
	v_cmp_ne_u16_e64 s1, v14, v7
	v_and_b32_e32 v8, 0xff, v11
	v_cmp_ne_u16_e64 s4, v6, v14
	v_lshrrev_b32_e32 v14, 24, v10
	v_and_b32_e32 v7, 0xff, v15
	v_cmp_ne_u16_e64 s5, v5, v6
	v_lshrrev_b32_e32 v6, 8, v10
	s_wait_loadcnt_dscnt 0x0
	v_cmp_ne_u16_e64 s8, v14, v8
	v_cmp_ne_u16_e64 s6, v7, v5
	;; [unrolled: 1-line block ×3, first 2 shown]
	v_and_b32_e32 v7, 0xff, v9
	v_and_b32_e32 v6, 0xff, v6
	;; [unrolled: 1-line block ×5, first 2 shown]
	v_cmp_ne_u16_e64 s13, v7, v14
	v_cmp_ne_u16_e64 s9, v6, v7
	;; [unrolled: 1-line block ×5, first 2 shown]
	s_barrier_signal -1
	s_barrier_wait -1
	s_and_saveexec_b32 s33, s3
; %bb.42:
	v_add_nc_u32_e32 v4, -1, v0
	ds_load_u8 v4, v4
; %bb.43:
	s_or_b32 exec_lo, exec_lo, s33
	s_wait_dscnt 0x0
	v_and_b32_e32 v4, 0xff, v4
	v_cndmask_b32_e64 v61, 0, 1, vcc_lo
	v_cndmask_b32_e64 v59, 0, 1, s0
	v_cndmask_b32_e64 v56, 0, 1, s1
	;; [unrolled: 1-line block ×12, first 2 shown]
	v_cmp_ne_u16_e64 s38, v4, v5
	s_mov_b32 s33, -1
	s_branch .LBB262_49
.LBB262_44:
	s_mov_b32 s33, 0
                                        ; implicit-def: $sgpr38
                                        ; implicit-def: $vgpr61
                                        ; implicit-def: $vgpr59
                                        ; implicit-def: $vgpr56
                                        ; implicit-def: $vgpr21
                                        ; implicit-def: $vgpr57
                                        ; implicit-def: $vgpr58
                                        ; implicit-def: $vgpr60
                                        ; implicit-def: $vgpr62
                                        ; implicit-def: $vgpr64
                                        ; implicit-def: $vgpr63
                                        ; implicit-def: $vgpr65
                                        ; implicit-def: $vgpr66
                                        ; implicit-def: $vgpr67
	s_cbranch_execnz .LBB262_50
	s_branch .LBB262_58
.LBB262_45:
	s_mov_b32 s33, 0
                                        ; implicit-def: $sgpr38
                                        ; implicit-def: $vgpr61
                                        ; implicit-def: $vgpr59
                                        ; implicit-def: $vgpr56
                                        ; implicit-def: $vgpr21
                                        ; implicit-def: $vgpr57
                                        ; implicit-def: $vgpr58
                                        ; implicit-def: $vgpr60
                                        ; implicit-def: $vgpr62
                                        ; implicit-def: $vgpr64
                                        ; implicit-def: $vgpr63
                                        ; implicit-def: $vgpr65
                                        ; implicit-def: $vgpr66
                                        ; implicit-def: $vgpr67
	s_cbranch_execz .LBB262_49
; %bb.46:
	v_dual_lshrrev_b32 v4, 16, v12 :: v_dual_lshrrev_b32 v5, 16, v11
	v_dual_lshrrev_b32 v6, 8, v12 :: v_dual_lshrrev_b32 v7, 16, v10
	v_dual_lshrrev_b32 v8, 24, v12 :: v_dual_lshrrev_b32 v14, 24, v11
	s_delay_alu instid0(VALU_DEP_3) | instskip(SKIP_1) | instid1(VALU_DEP_4)
	v_and_b32_e32 v4, 0xff, v4
	v_and_b32_e32 v9, 0xff, v12
	;; [unrolled: 1-line block ×3, first 2 shown]
	ds_store_b8 v0, v8
	s_wait_dscnt 0x0
	v_cmp_ne_u16_e32 vcc_lo, v4, v8
	v_lshrrev_b32_e32 v8, 8, v11
	v_cmp_ne_u16_e64 s0, v6, v4
	v_cmp_ne_u16_e64 s1, v9, v6
	v_and_b32_e32 v4, 0xff, v5
	v_cmp_ne_u16_e64 s4, v14, v9
	v_and_b32_e32 v6, 0xff, v11
	v_lshrrev_b32_e32 v9, 8, v10
	v_and_b32_e32 v5, 0xff, v8
	v_lshrrev_b32_e32 v8, 24, v10
	v_cmp_ne_u16_e64 s5, v4, v14
	s_barrier_signal -1
	s_barrier_wait -1
	v_cmp_ne_u16_e64 s6, v5, v4
	v_cmp_ne_u16_e64 s7, v6, v5
	;; [unrolled: 1-line block ×3, first 2 shown]
	v_and_b32_e32 v5, 0xff, v7
	v_and_b32_e32 v6, 0xff, v9
	;; [unrolled: 1-line block ×5, first 2 shown]
	v_cmp_ne_u16_e64 s9, v5, v8
	v_cmp_ne_u16_e64 s10, v6, v5
	v_cmp_ne_u16_e64 s11, v7, v6
	v_cmp_ne_u16_e64 s12, v9, v7
	v_cmp_ne_u16_e64 s13, v4, v9
                                        ; implicit-def: $sgpr38
	s_and_saveexec_b32 s40, s3
	s_delay_alu instid0(SALU_CYCLE_1)
	s_xor_b32 s40, exec_lo, s40
	s_cbranch_execz .LBB262_48
; %bb.47:
	v_add_nc_u32_e32 v5, -1, v0
	s_or_b32 s33, s33, exec_lo
	ds_load_u8 v5, v5
	s_wait_dscnt 0x0
	v_cmp_ne_u16_e64 s38, v5, v4
.LBB262_48:
	s_or_b32 exec_lo, exec_lo, s40
	v_cndmask_b32_e64 v61, 0, 1, vcc_lo
	v_cndmask_b32_e64 v59, 0, 1, s0
	v_cndmask_b32_e64 v56, 0, 1, s1
	;; [unrolled: 1-line block ×12, first 2 shown]
.LBB262_49:
	s_branch .LBB262_58
.LBB262_50:
	s_mov_b64 s[0:1], 0xfffffffffffff200
	v_dual_lshrrev_b32 v41, 16, v12 :: v_dual_lshrrev_b32 v39, 16, v11
	v_lshrrev_b32_e32 v37, 16, v10
	v_mul_u32_u24_e32 v4, 14, v0
	v_mad_u32_u24 v6, v0, 14, 13
	v_mad_u32_u24 v32, v0, 14, 12
	v_mad_u32_u24 v30, v0, 14, 11
	v_and_b32_e32 v40, 0xff, v12
	v_mad_u32_u24 v28, v0, 14, 10
	v_mad_u32_u24 v26, v0, 14, 9
	v_mad_u32_u24 v24, v0, 14, 8
	v_mad_u32_u24 v22, v0, 14, 7
	v_and_b32_e32 v38, 0xff, v11
	v_mad_u32_u24 v20, v0, 14, 6
	;; [unrolled: 5-line block ×3, first 2 shown]
	v_and_b32_e32 v36, 0xff, v13
	v_and_b32_e32 v34, 0xff, v1
	s_mul_u64 s[0:1], s[14:15], s[0:1]
	s_and_b32 vcc_lo, exec_lo, s39
	s_add_nc_u64 s[12:13], s[0:1], s[28:29]
	s_cbranch_vccz .LBB262_54
; %bb.51:
	global_load_u8 v2, v[2:3], off offset:-1
	s_wait_xcnt 0x0
	v_dual_mov_b32 v7, 0 :: v_dual_lshrrev_b32 v3, 24, v12
	v_lshrrev_b32_e32 v5, 8, v12
	v_and_b32_e32 v9, 0xff, v41
	s_delay_alu instid0(VALU_DEP_3) | instskip(SKIP_1) | instid1(VALU_DEP_4)
	v_dual_mov_b32 v43, v7 :: v_dual_bitop2_b32 v42, 1, v4 bitop3:0x54
	v_mov_b32_e32 v33, v7
	v_and_b32_e32 v5, 0xff, v5
	v_dual_mov_b32 v31, v7 :: v_dual_mov_b32 v29, v7
	v_cmp_gt_u64_e32 vcc_lo, s[12:13], v[6:7]
	v_cmp_ne_u16_e64 s0, v9, v3
	s_delay_alu instid0(VALU_DEP_4)
	v_cmp_ne_u16_e64 s4, v5, v9
	v_lshrrev_b32_e32 v9, 24, v11
	ds_store_b8 v0, v3
	v_dual_lshrrev_b32 v3, 8, v11 :: v_dual_mov_b32 v27, v7
	v_mov_b32_e32 v25, v7
	v_cmp_gt_u64_e64 s1, s[12:13], v[32:33]
	v_cmp_gt_u64_e64 s5, s[12:13], v[30:31]
	v_cmp_ne_u16_e64 s6, v40, v5
	v_and_b32_e32 v5, 0xff, v39
	v_and_b32_e32 v3, 0xff, v3
	s_and_b32 s11, vcc_lo, s0
	v_cmp_gt_u64_e32 vcc_lo, s[12:13], v[26:27]
	v_dual_mov_b32 v23, v7 :: v_dual_mov_b32 v21, v7
	v_cmp_ne_u16_e64 s0, v5, v9
	s_and_b32 s14, s1, s4
	s_and_b32 s15, s5, s6
	v_cmp_ne_u16_e64 s4, v3, v5
	v_cmp_ne_u16_e64 s6, v38, v3
	v_dual_lshrrev_b32 v3, 24, v10 :: v_dual_mov_b32 v19, v7
	s_and_b32 s38, vcc_lo, s0
	v_cmp_gt_u64_e32 vcc_lo, s[12:13], v[20:21]
	v_cmp_ne_u16_e64 s8, v9, v40
	s_delay_alu instid0(VALU_DEP_3)
	v_cmp_ne_u16_e64 s0, v3, v38
	v_and_b32_e32 v5, 0xff, v37
	v_dual_mov_b32 v17, v7 :: v_dual_lshrrev_b32 v9, 8, v10
	v_cmp_gt_u64_e64 s7, s[12:13], v[28:29]
	v_cmp_gt_u64_e64 s1, s[12:13], v[24:25]
	;; [unrolled: 1-line block ×3, first 2 shown]
	s_and_b32 s39, vcc_lo, s0
	v_cmp_ne_u16_e64 s0, v5, v3
	v_and_b32_e32 v3, 0xff, v9
	v_dual_mov_b32 v15, v7 :: v_dual_mov_b32 v9, v7
	s_and_b32 s28, s7, s8
	s_and_b32 s33, s1, s4
	;; [unrolled: 1-line block ×3, first 2 shown]
	v_cmp_gt_u64_e32 vcc_lo, s[12:13], v[18:19]
	v_cmp_gt_u64_e64 s1, s[12:13], v[16:17]
	v_cmp_gt_u64_e64 s5, s[12:13], v[14:15]
	;; [unrolled: 1-line block ×4, first 2 shown]
	v_cmp_ne_u16_e64 s4, v3, v5
	v_cmp_ne_u16_e64 s6, v35, v3
	;; [unrolled: 1-line block ×4, first 2 shown]
	s_and_b32 s0, vcc_lo, s0
	s_and_b32 s1, s1, s4
	s_and_b32 s4, s5, s6
	;; [unrolled: 1-line block ×4, first 2 shown]
	s_wait_loadcnt_dscnt 0x0
	s_barrier_signal -1
	s_barrier_wait -1
	s_and_saveexec_b32 s7, s3
; %bb.52:
	v_add_nc_u32_e32 v2, -1, v0
	ds_load_u8 v2, v2
; %bb.53:
	s_or_b32 exec_lo, exec_lo, s7
	v_mov_b32_e32 v5, v7
	s_wait_dscnt 0x0
	v_and_b32_e32 v2, 0xff, v2
	v_cndmask_b32_e64 v64, 0, 1, s0
	v_cndmask_b32_e64 v61, 0, 1, s11
	;; [unrolled: 1-line block ×3, first 2 shown]
	v_cmp_gt_u64_e32 vcc_lo, s[12:13], v[4:5]
	v_cmp_ne_u16_e64 s0, v2, v34
	v_cndmask_b32_e64 v56, 0, 1, s15
	v_cndmask_b32_e64 v21, 0, 1, s28
	;; [unrolled: 1-line block ×10, first 2 shown]
	s_and_b32 s38, vcc_lo, s0
	s_mov_b32 s33, -1
	s_branch .LBB262_58
.LBB262_54:
                                        ; implicit-def: $sgpr38
                                        ; implicit-def: $vgpr61
                                        ; implicit-def: $vgpr59
                                        ; implicit-def: $vgpr56
                                        ; implicit-def: $vgpr21
                                        ; implicit-def: $vgpr57
                                        ; implicit-def: $vgpr58
                                        ; implicit-def: $vgpr60
                                        ; implicit-def: $vgpr62
                                        ; implicit-def: $vgpr64
                                        ; implicit-def: $vgpr63
                                        ; implicit-def: $vgpr65
                                        ; implicit-def: $vgpr66
                                        ; implicit-def: $vgpr67
	s_cbranch_execz .LBB262_58
; %bb.55:
	v_dual_mov_b32 v7, 0 :: v_dual_lshrrev_b32 v2, 24, v12
	v_and_b32_e32 v3, 0xff, v41
	v_lshrrev_b32_e32 v5, 8, v12
	v_cmp_ne_u16_e64 s9, v36, v35
	ds_store_b8 v0, v2
	v_cmp_gt_u64_e32 vcc_lo, s[12:13], v[6:7]
	v_dual_mov_b32 v31, v7 :: v_dual_mov_b32 v29, v7
	v_mov_b32_e32 v33, v7
	v_cmp_ne_u16_e64 s0, v3, v2
	v_and_b32_e32 v2, 0xff, v5
	v_lshrrev_b32_e32 v5, 24, v11
	v_cmp_gt_u64_e64 s7, s[12:13], v[28:29]
	v_dual_mov_b32 v27, v7 :: v_dual_mov_b32 v25, v7
	s_delay_alu instid0(VALU_DEP_4)
	v_cmp_ne_u16_e64 s5, v2, v3
	v_cmp_ne_u16_e64 s6, v40, v2
	v_lshrrev_b32_e32 v2, 8, v11
	s_and_b32 s11, vcc_lo, s0
	v_cmp_ne_u16_e32 vcc_lo, v5, v40
	v_cmp_gt_u64_e64 s4, s[12:13], v[30:31]
	v_and_b32_e32 v3, 0xff, v39
	v_and_b32_e32 v2, 0xff, v2
	v_dual_mov_b32 v23, v7 :: v_dual_mov_b32 v21, v7
	s_and_b32 s28, s7, vcc_lo
	v_cmp_gt_u64_e32 vcc_lo, s[12:13], v[26:27]
	v_cmp_ne_u16_e64 s0, v3, v5
	v_cmp_gt_u64_e64 s1, s[12:13], v[32:33]
	s_and_b32 s15, s4, s6
	v_cmp_ne_u16_e64 s4, v2, v3
	v_dual_lshrrev_b32 v3, 24, v10 :: v_dual_mov_b32 v19, v7
	s_and_b32 s29, vcc_lo, s0
	v_cmp_gt_u64_e32 vcc_lo, s[12:13], v[20:21]
	v_cmp_ne_u16_e64 s6, v38, v2
	s_delay_alu instid0(VALU_DEP_3)
	v_cmp_ne_u16_e64 s0, v3, v38
	v_and_b32_e32 v2, 0xff, v37
	v_dual_lshrrev_b32 v5, 8, v10 :: v_dual_mov_b32 v17, v7
	s_and_b32 s14, s1, s5
	v_cmp_gt_u64_e64 s1, s[12:13], v[24:25]
	v_cmp_gt_u64_e64 s5, s[12:13], v[22:23]
	v_dual_mov_b32 v15, v7 :: v_dual_mov_b32 v9, v7
	v_or_b32_e32 v6, 1, v4
	s_and_b32 s41, vcc_lo, s0
	v_cmp_ne_u16_e64 s0, v2, v3
	v_and_b32_e32 v3, 0xff, v5
	s_and_b32 s39, s1, s4
	s_and_b32 s40, s5, s6
	v_cmp_gt_u64_e32 vcc_lo, s[12:13], v[18:19]
	v_cmp_gt_u64_e64 s1, s[12:13], v[16:17]
	v_cmp_gt_u64_e64 s5, s[12:13], v[14:15]
	;; [unrolled: 1-line block ×4, first 2 shown]
	v_cmp_ne_u16_e64 s4, v3, v2
	v_cmp_ne_u16_e64 s6, v35, v3
	v_cmp_ne_u16_e64 s10, v34, v36
	s_and_b32 s42, vcc_lo, s0
	s_wait_dscnt 0x0
	s_and_b32 s1, s1, s4
	s_and_b32 s4, s5, s6
	;; [unrolled: 1-line block ×4, first 2 shown]
	s_barrier_signal -1
	s_barrier_wait -1
                                        ; implicit-def: $sgpr38
	s_and_saveexec_b32 s7, s3
	s_cbranch_execz .LBB262_57
; %bb.56:
	v_dual_mov_b32 v5, v7 :: v_dual_add_nc_u32 v2, -1, v0
	s_or_b32 s33, s33, exec_lo
	ds_load_u8 v2, v2
	v_cmp_gt_u64_e32 vcc_lo, s[12:13], v[4:5]
	s_wait_dscnt 0x0
	v_and_b32_e32 v2, 0xff, v2
	s_delay_alu instid0(VALU_DEP_1)
	v_cmp_ne_u16_e64 s0, v2, v34
	s_and_b32 s38, vcc_lo, s0
.LBB262_57:
	s_or_b32 exec_lo, exec_lo, s7
	v_cndmask_b32_e64 v61, 0, 1, s11
	v_cndmask_b32_e64 v59, 0, 1, s14
	;; [unrolled: 1-line block ×13, first 2 shown]
.LBB262_58:
	v_mov_b32_e32 v68, 1
	s_and_saveexec_b32 s0, s33
; %bb.59:
	v_cndmask_b32_e64 v68, 0, 1, s38
; %bb.60:
	s_or_b32 exec_lo, exec_lo, s0
	s_delay_alu instid0(VALU_DEP_1)
	v_add_nc_u32_e32 v2, v67, v68
	v_cmp_eq_u32_e64 s12, 0, v67
	v_cmp_eq_u32_e64 s11, 0, v66
	;; [unrolled: 1-line block ×4, first 2 shown]
	v_add3_u32 v80, v2, v66, v65
	v_cmp_eq_u32_e64 s8, 0, v64
	v_cmp_eq_u32_e64 s7, 0, v62
	;; [unrolled: 1-line block ×8, first 2 shown]
	v_mbcnt_lo_u32_b32 v77, -1, 0
	v_dual_lshrrev_b32 v78, 5, v0 :: v_dual_bitop2_b32 v79, 31, v0 bitop3:0x54
	s_cmp_eq_u64 s[18:19], 0
	v_cmp_eq_u32_e32 vcc_lo, 0, v61
	s_cselect_b32 s18, -1, 0
	s_cmp_lg_u32 s20, 0
	s_cbranch_scc0 .LBB262_81
; %bb.61:
	v_add3_u32 v3, v80, v63, v64
	v_cndmask_b32_e64 v2, 0, v53, s12
	v_and_b32_e32 v5, 15, v77
	s_delay_alu instid0(VALU_DEP_3) | instskip(NEXT) | instid1(VALU_DEP_3)
	v_add3_u32 v3, v3, v62, v60
	v_add_nc_u32_e32 v2, v2, v55
	s_delay_alu instid0(VALU_DEP_2) | instskip(NEXT) | instid1(VALU_DEP_1)
	v_add3_u32 v3, v3, v58, v57
	v_add3_u32 v3, v3, v21, v56
	s_delay_alu instid0(VALU_DEP_1) | instskip(NEXT) | instid1(VALU_DEP_4)
	v_add3_u32 v3, v3, v59, v61
	v_cndmask_b32_e64 v2, 0, v2, s11
	s_delay_alu instid0(VALU_DEP_2) | instskip(NEXT) | instid1(VALU_DEP_2)
	v_mov_b32_dpp v6, v3 row_shr:1 row_mask:0xf bank_mask:0xf
	v_add_nc_u32_e32 v2, v2, v72
	s_delay_alu instid0(VALU_DEP_1) | instskip(NEXT) | instid1(VALU_DEP_1)
	v_cndmask_b32_e64 v2, 0, v2, s10
	v_add_nc_u32_e32 v2, v2, v74
	s_delay_alu instid0(VALU_DEP_1) | instskip(NEXT) | instid1(VALU_DEP_1)
	v_cndmask_b32_e64 v2, 0, v2, s9
	;; [unrolled: 3-line block ×10, first 2 shown]
	v_add_nc_u32_e32 v2, v2, v50
	s_delay_alu instid0(VALU_DEP_1) | instskip(SKIP_1) | instid1(VALU_DEP_2)
	v_cndmask_b32_e32 v2, 0, v2, vcc_lo
	v_cmp_eq_u32_e32 vcc_lo, 0, v3
	v_add_nc_u32_e32 v2, v2, v76
	s_delay_alu instid0(VALU_DEP_1) | instskip(NEXT) | instid1(VALU_DEP_1)
	v_mov_b32_dpp v4, v2 row_shr:1 row_mask:0xf bank_mask:0xf
	v_cndmask_b32_e32 v4, 0, v4, vcc_lo
	v_cmp_eq_u32_e32 vcc_lo, 0, v5
	v_cndmask_b32_e64 v6, v6, 0, vcc_lo
	s_delay_alu instid0(VALU_DEP_3) | instskip(SKIP_1) | instid1(VALU_DEP_2)
	v_cndmask_b32_e64 v4, v4, 0, vcc_lo
	v_cmp_lt_u32_e32 vcc_lo, 1, v5
	v_dual_add_nc_u32 v3, v6, v3 :: v_dual_add_nc_u32 v2, v4, v2
	s_delay_alu instid0(VALU_DEP_1) | instskip(SKIP_1) | instid1(VALU_DEP_3)
	v_mov_b32_dpp v4, v3 row_shr:2 row_mask:0xf bank_mask:0xf
	v_cmp_eq_u32_e64 s13, 0, v3
	v_mov_b32_dpp v6, v2 row_shr:2 row_mask:0xf bank_mask:0xf
	s_delay_alu instid0(VALU_DEP_3) | instskip(SKIP_1) | instid1(VALU_DEP_2)
	v_cndmask_b32_e32 v4, 0, v4, vcc_lo
	s_and_b32 vcc_lo, vcc_lo, s13
	v_cndmask_b32_e32 v6, 0, v6, vcc_lo
	v_cmp_lt_u32_e32 vcc_lo, 3, v5
	s_delay_alu instid0(VALU_DEP_2) | instskip(NEXT) | instid1(VALU_DEP_1)
	v_dual_add_nc_u32 v3, v3, v4 :: v_dual_add_nc_u32 v2, v6, v2
	v_mov_b32_dpp v4, v3 row_shr:4 row_mask:0xf bank_mask:0xf
	v_cmp_eq_u32_e64 s13, 0, v3
	s_delay_alu instid0(VALU_DEP_3) | instskip(NEXT) | instid1(VALU_DEP_3)
	v_mov_b32_dpp v6, v2 row_shr:4 row_mask:0xf bank_mask:0xf
	v_cndmask_b32_e32 v4, 0, v4, vcc_lo
	s_and_b32 vcc_lo, vcc_lo, s13
	s_delay_alu instid0(VALU_DEP_2) | instskip(SKIP_1) | instid1(VALU_DEP_2)
	v_cndmask_b32_e32 v6, 0, v6, vcc_lo
	v_cmp_lt_u32_e32 vcc_lo, 7, v5
	v_dual_add_nc_u32 v3, v4, v3 :: v_dual_add_nc_u32 v2, v2, v6
	v_bfe_i32 v6, v77, 4, 1
	s_delay_alu instid0(VALU_DEP_2) | instskip(SKIP_1) | instid1(VALU_DEP_4)
	v_mov_b32_dpp v4, v3 row_shr:8 row_mask:0xf bank_mask:0xf
	v_cmp_eq_u32_e64 s13, 0, v3
	v_mov_b32_dpp v5, v2 row_shr:8 row_mask:0xf bank_mask:0xf
	s_delay_alu instid0(VALU_DEP_3) | instskip(SKIP_2) | instid1(VALU_DEP_2)
	v_cndmask_b32_e32 v4, 0, v4, vcc_lo
	s_and_b32 vcc_lo, vcc_lo, s13
	s_mov_b32 s13, exec_lo
	v_cndmask_b32_e32 v5, 0, v5, vcc_lo
	s_delay_alu instid0(VALU_DEP_1)
	v_dual_add_nc_u32 v5, v5, v2 :: v_dual_add_nc_u32 v2, v4, v3
	ds_swizzle_b32 v3, v5 offset:swizzle(BROADCAST,32,15)
	ds_swizzle_b32 v4, v2 offset:swizzle(BROADCAST,32,15)
	v_cmp_eq_u32_e32 vcc_lo, 0, v2
	s_wait_dscnt 0x0
	v_dual_cndmask_b32 v3, 0, v3, vcc_lo :: v_dual_bitop2_b32 v4, v6, v4 bitop3:0x40
	s_delay_alu instid0(VALU_DEP_1) | instskip(NEXT) | instid1(VALU_DEP_1)
	v_dual_add_nc_u32 v2, v4, v2 :: v_dual_bitop2_b32 v3, v6, v3 bitop3:0x40
	v_dual_lshlrev_b32 v4, 3, v78 :: v_dual_add_nc_u32 v3, v3, v5
	v_cmpx_eq_u32_e64 v0, v79
; %bb.62:
	ds_store_b64 v4, v[2:3] offset:528
; %bb.63:
	s_or_b32 exec_lo, exec_lo, s13
	s_delay_alu instid0(SALU_CYCLE_1)
	s_mov_b32 s14, exec_lo
	s_wait_dscnt 0x0
	s_barrier_signal -1
	s_barrier_wait -1
	v_cmpx_gt_u32_e32 8, v0
	s_cbranch_execz .LBB262_65
; %bb.64:
	v_dual_lshlrev_b32 v5, 3, v0 :: v_dual_bitop2_b32 v9, 7, v77 bitop3:0x40
	ds_load_b64 v[6:7], v5 offset:528
	s_wait_dscnt 0x0
	v_mov_b32_dpp v8, v7 row_shr:1 row_mask:0xf bank_mask:0xf
	v_cmp_eq_u32_e32 vcc_lo, 0, v6
	v_mov_b32_dpp v14, v6 row_shr:1 row_mask:0xf bank_mask:0xf
	s_delay_alu instid0(VALU_DEP_3) | instskip(SKIP_1) | instid1(VALU_DEP_3)
	v_cndmask_b32_e32 v8, 0, v8, vcc_lo
	v_cmp_eq_u32_e32 vcc_lo, 0, v9
	v_cndmask_b32_e64 v14, v14, 0, vcc_lo
	s_delay_alu instid0(VALU_DEP_1) | instskip(NEXT) | instid1(VALU_DEP_4)
	v_add_nc_u32_e32 v6, v14, v6
	v_cndmask_b32_e64 v8, v8, 0, vcc_lo
	v_cmp_lt_u32_e32 vcc_lo, 1, v9
	s_delay_alu instid0(VALU_DEP_3) | instskip(NEXT) | instid1(VALU_DEP_3)
	v_cmp_eq_u32_e64 s13, 0, v6
	v_add_nc_u32_e32 v7, v8, v7
	v_mov_b32_dpp v8, v6 row_shr:2 row_mask:0xf bank_mask:0xf
	s_delay_alu instid0(VALU_DEP_1) | instskip(NEXT) | instid1(VALU_DEP_3)
	v_cndmask_b32_e32 v8, 0, v8, vcc_lo
	v_mov_b32_dpp v14, v7 row_shr:2 row_mask:0xf bank_mask:0xf
	s_and_b32 vcc_lo, vcc_lo, s13
	s_delay_alu instid0(VALU_DEP_2) | instskip(NEXT) | instid1(VALU_DEP_1)
	v_add_nc_u32_e32 v6, v8, v6
	v_mov_b32_dpp v8, v6 row_shr:4 row_mask:0xf bank_mask:0xf
	s_delay_alu instid0(VALU_DEP_3) | instskip(SKIP_1) | instid1(VALU_DEP_2)
	v_cndmask_b32_e32 v14, 0, v14, vcc_lo
	v_cmp_lt_u32_e32 vcc_lo, 3, v9
	v_dual_cndmask_b32 v8, 0, v8 :: v_dual_add_nc_u32 v7, v14, v7
	v_cmp_eq_u32_e64 s13, 0, v6
	s_delay_alu instid0(VALU_DEP_2) | instskip(NEXT) | instid1(VALU_DEP_3)
	v_add_nc_u32_e32 v6, v8, v6
	v_mov_b32_dpp v9, v7 row_shr:4 row_mask:0xf bank_mask:0xf
	s_and_b32 vcc_lo, vcc_lo, s13
	s_delay_alu instid0(VALU_DEP_1) | instskip(NEXT) | instid1(VALU_DEP_1)
	v_cndmask_b32_e32 v9, 0, v9, vcc_lo
	v_add_nc_u32_e32 v7, v9, v7
	ds_store_b64 v5, v[6:7] offset:528
.LBB262_65:
	s_or_b32 exec_lo, exec_lo, s14
	v_dual_mov_b32 v14, 0 :: v_dual_mov_b32 v15, 0
	s_mov_b32 s14, exec_lo
	v_cmp_gt_u32_e32 vcc_lo, 32, v0
	s_wait_dscnt 0x0
	s_barrier_signal -1
	s_barrier_wait -1
	v_cmpx_lt_u32_e32 31, v0
	s_cbranch_execz .LBB262_67
; %bb.66:
	ds_load_b64 v[14:15], v4 offset:520
	v_cmp_eq_u32_e64 s13, 0, v2
	s_wait_dscnt 0x0
	s_delay_alu instid0(VALU_DEP_1) | instskip(NEXT) | instid1(VALU_DEP_1)
	v_dual_cndmask_b32 v4, 0, v15, s13 :: v_dual_add_nc_u32 v2, v14, v2
	v_add_nc_u32_e32 v3, v4, v3
.LBB262_67:
	s_or_b32 exec_lo, exec_lo, s14
	v_sub_co_u32 v4, s13, v77, 1
	s_delay_alu instid0(VALU_DEP_1) | instskip(NEXT) | instid1(VALU_DEP_1)
	v_cmp_gt_i32_e64 s14, 0, v4
	v_cndmask_b32_e64 v4, v4, v77, s14
	s_delay_alu instid0(VALU_DEP_1)
	v_lshlrev_b32_e32 v4, 2, v4
	ds_bpermute_b32 v20, v4, v2
	ds_bpermute_b32 v22, v4, v3
	s_and_saveexec_b32 s19, vcc_lo
	s_cbranch_execz .LBB262_86
; %bb.68:
	v_mov_b32_e32 v5, 0
	ds_load_b64 v[2:3], v5 offset:584
	s_and_saveexec_b32 s14, s13
	s_cbranch_execz .LBB262_70
; %bb.69:
	s_add_co_i32 s28, s20, 32
	s_mov_b32 s29, 0
	v_mov_b32_e32 v4, 1
	s_lshl_b64 s[28:29], s[28:29], 4
	s_delay_alu instid0(SALU_CYCLE_1) | instskip(NEXT) | instid1(SALU_CYCLE_1)
	s_add_nc_u64 s[28:29], s[16:17], s[28:29]
	v_mov_b64_e32 v[6:7], s[28:29]
	s_wait_dscnt 0x0
	;;#ASMSTART
	global_store_b128 v[6:7], v[2:5] off scope:SCOPE_DEV	
s_wait_storecnt 0x0
	;;#ASMEND
.LBB262_70:
	s_or_b32 exec_lo, exec_lo, s14
	v_xad_u32 v16, v77, -1, s20
	s_mov_b32 s15, 0
	s_mov_b32 s14, exec_lo
	s_delay_alu instid0(VALU_DEP_1) | instskip(NEXT) | instid1(VALU_DEP_1)
	v_add_nc_u32_e32 v4, 32, v16
	v_lshl_add_u64 v[4:5], v[4:5], 4, s[16:17]
	;;#ASMSTART
	global_load_b128 v[6:9], v[4:5] off scope:SCOPE_DEV	
s_wait_loadcnt 0x0
	;;#ASMEND
	v_and_b32_e32 v9, 0xff, v8
	s_delay_alu instid0(VALU_DEP_1)
	v_cmpx_eq_u16_e32 0, v9
	s_cbranch_execz .LBB262_73
.LBB262_71:                             ; =>This Inner Loop Header: Depth=1
	;;#ASMSTART
	global_load_b128 v[6:9], v[4:5] off scope:SCOPE_DEV	
s_wait_loadcnt 0x0
	;;#ASMEND
	v_and_b32_e32 v9, 0xff, v8
	s_delay_alu instid0(VALU_DEP_1) | instskip(SKIP_1) | instid1(SALU_CYCLE_1)
	v_cmp_ne_u16_e32 vcc_lo, 0, v9
	s_or_b32 s15, vcc_lo, s15
	s_and_not1_b32 exec_lo, exec_lo, s15
	s_cbranch_execnz .LBB262_71
; %bb.72:
	s_or_b32 exec_lo, exec_lo, s15
.LBB262_73:
	s_delay_alu instid0(SALU_CYCLE_1)
	s_or_b32 exec_lo, exec_lo, s14
	v_cmp_ne_u32_e32 vcc_lo, 31, v77
	v_lshlrev_b32_e64 v24, v77, -1
	v_cmp_gt_u32_e64 s15, 30, v77
	v_lshl_or_b32 v31, v77, 2, 64
	v_add_nc_u32_e32 v26, 2, v77
	v_add_co_ci_u32_e64 v4, null, 0, v77, vcc_lo
	s_delay_alu instid0(VALU_DEP_4) | instskip(SKIP_1) | instid1(VALU_DEP_3)
	v_cndmask_b32_e64 v17, 0, 2, s15
	v_dual_add_nc_u32 v28, 4, v77 :: v_dual_add_nc_u32 v30, 8, v77
	v_lshlrev_b32_e32 v23, 2, v4
	v_and_b32_e32 v4, 0xff, v8
	s_delay_alu instid0(VALU_DEP_4)
	v_add_lshl_u32 v25, v17, v77, 2
	v_add_nc_u32_e32 v32, 16, v77
	ds_bpermute_b32 v5, v23, v6
	v_cmp_eq_u16_e32 vcc_lo, 2, v4
	v_and_or_b32 v9, vcc_lo, v24, 0x80000000
	v_cmp_eq_u32_e32 vcc_lo, 0, v6
	s_delay_alu instid0(VALU_DEP_2) | instskip(NEXT) | instid1(VALU_DEP_1)
	v_ctz_i32_b32_e32 v9, v9
	v_cmp_lt_u32_e64 s14, v77, v9
	s_wait_dscnt 0x0
	s_delay_alu instid0(VALU_DEP_1) | instskip(SKIP_4) | instid1(VALU_DEP_1)
	v_cndmask_b32_e64 v5, 0, v5, s14
	ds_bpermute_b32 v4, v23, v7
	s_and_b32 vcc_lo, s14, vcc_lo
	s_wait_dscnt 0x0
	v_dual_cndmask_b32 v4, 0, v4 :: v_dual_add_nc_u32 v5, v5, v6
	v_cmp_eq_u32_e32 vcc_lo, 0, v5
	s_delay_alu instid0(VALU_DEP_2)
	v_add_nc_u32_e32 v4, v4, v7
	ds_bpermute_b32 v7, v25, v4
	s_wait_dscnt 0x0
	v_cndmask_b32_e32 v6, 0, v7, vcc_lo
	ds_bpermute_b32 v7, v25, v5
	v_cmp_gt_u32_e32 vcc_lo, 28, v77
	v_cndmask_b32_e64 v17, 0, 4, vcc_lo
	v_cmp_gt_u32_e32 vcc_lo, v26, v9
	s_delay_alu instid0(VALU_DEP_2) | instskip(SKIP_2) | instid1(VALU_DEP_1)
	v_add_lshl_u32 v27, v17, v77, 2
	s_wait_dscnt 0x0
	v_cndmask_b32_e64 v7, v7, 0, vcc_lo
	v_add_nc_u32_e32 v5, v5, v7
	v_cndmask_b32_e64 v6, v6, 0, vcc_lo
	ds_bpermute_b32 v7, v27, v5
	v_add_nc_u32_e32 v4, v6, v4
	v_cmp_eq_u32_e32 vcc_lo, 0, v5
	ds_bpermute_b32 v6, v27, v4
	s_wait_dscnt 0x0
	v_cndmask_b32_e32 v6, 0, v6, vcc_lo
	v_cmp_gt_u32_e32 vcc_lo, 24, v77
	v_cndmask_b32_e64 v17, 0, 8, vcc_lo
	v_cmp_gt_u32_e32 vcc_lo, v28, v9
	s_delay_alu instid0(VALU_DEP_2) | instskip(SKIP_1) | instid1(VALU_DEP_1)
	v_add_lshl_u32 v29, v17, v77, 2
	v_cndmask_b32_e64 v7, v7, 0, vcc_lo
	v_dual_mov_b32 v17, 0 :: v_dual_add_nc_u32 v5, v5, v7
	v_cndmask_b32_e64 v6, v6, 0, vcc_lo
	ds_bpermute_b32 v7, v29, v5
	v_add_nc_u32_e32 v4, v4, v6
	v_cmp_eq_u32_e32 vcc_lo, 0, v5
	ds_bpermute_b32 v6, v29, v4
	s_wait_dscnt 0x0
	v_cndmask_b32_e32 v6, 0, v6, vcc_lo
	v_cmp_gt_u32_e32 vcc_lo, v30, v9
	s_delay_alu instid0(VALU_DEP_2) | instskip(NEXT) | instid1(VALU_DEP_1)
	v_cndmask_b32_e64 v6, v6, 0, vcc_lo
	v_add_nc_u32_e32 v4, v4, v6
	v_cndmask_b32_e64 v6, v7, 0, vcc_lo
	s_delay_alu instid0(VALU_DEP_1)
	v_add_nc_u32_e32 v5, v5, v6
	ds_bpermute_b32 v7, v31, v4
	ds_bpermute_b32 v6, v31, v5
	v_cmp_eq_u32_e32 vcc_lo, 0, v5
	s_wait_dscnt 0x1
	v_cndmask_b32_e32 v7, 0, v7, vcc_lo
	v_cmp_gt_u32_e32 vcc_lo, v32, v9
	s_wait_dscnt 0x0
	v_cndmask_b32_e64 v6, v6, 0, vcc_lo
	s_delay_alu instid0(VALU_DEP_1) | instskip(SKIP_1) | instid1(VALU_DEP_1)
	v_add_nc_u32_e32 v6, v6, v5
	v_cndmask_b32_e64 v7, v7, 0, vcc_lo
	v_add_nc_u32_e32 v7, v7, v4
	s_branch .LBB262_77
.LBB262_74:                             ;   in Loop: Header=BB262_77 Depth=1
	s_or_b32 exec_lo, exec_lo, s15
.LBB262_75:                             ;   in Loop: Header=BB262_77 Depth=1
	s_delay_alu instid0(SALU_CYCLE_1)
	s_or_b32 exec_lo, exec_lo, s14
	v_and_b32_e32 v9, 0xff, v8
	ds_bpermute_b32 v18, v23, v6
	v_subrev_nc_u32_e32 v16, 32, v16
	v_cmp_eq_u16_e32 vcc_lo, 2, v9
	ds_bpermute_b32 v9, v23, v7
	v_and_or_b32 v19, vcc_lo, v24, 0x80000000
	v_cmp_eq_u32_e32 vcc_lo, 0, v6
	s_delay_alu instid0(VALU_DEP_2) | instskip(NEXT) | instid1(VALU_DEP_1)
	v_ctz_i32_b32_e32 v19, v19
	v_cmp_lt_u32_e64 s14, v77, v19
	s_and_b32 vcc_lo, s14, vcc_lo
	s_wait_dscnt 0x0
	v_dual_cndmask_b32 v18, 0, v18, s14 :: v_dual_cndmask_b32 v9, 0, v9, vcc_lo
	s_mov_b32 s14, 0
	s_delay_alu instid0(VALU_DEP_1)
	v_dual_add_nc_u32 v6, v18, v6 :: v_dual_add_nc_u32 v7, v9, v7
	ds_bpermute_b32 v18, v25, v6
	ds_bpermute_b32 v9, v25, v7
	v_cmp_eq_u32_e32 vcc_lo, 0, v6
	s_wait_dscnt 0x0
	v_cndmask_b32_e32 v9, 0, v9, vcc_lo
	v_cmp_gt_u32_e32 vcc_lo, v26, v19
	v_cndmask_b32_e64 v18, v18, 0, vcc_lo
	s_delay_alu instid0(VALU_DEP_1) | instskip(NEXT) | instid1(VALU_DEP_4)
	v_add_nc_u32_e32 v6, v6, v18
	v_cndmask_b32_e64 v9, v9, 0, vcc_lo
	s_delay_alu instid0(VALU_DEP_2) | instskip(NEXT) | instid1(VALU_DEP_2)
	v_cmp_eq_u32_e32 vcc_lo, 0, v6
	v_add_nc_u32_e32 v7, v9, v7
	ds_bpermute_b32 v18, v27, v6
	ds_bpermute_b32 v9, v27, v7
	s_wait_dscnt 0x0
	v_cndmask_b32_e32 v9, 0, v9, vcc_lo
	v_cmp_gt_u32_e32 vcc_lo, v28, v19
	s_delay_alu instid0(VALU_DEP_2) | instskip(SKIP_1) | instid1(VALU_DEP_1)
	v_cndmask_b32_e64 v9, v9, 0, vcc_lo
	v_cndmask_b32_e64 v18, v18, 0, vcc_lo
	v_dual_add_nc_u32 v7, v7, v9 :: v_dual_add_nc_u32 v6, v6, v18
	ds_bpermute_b32 v9, v29, v7
	ds_bpermute_b32 v18, v29, v6
	v_cmp_eq_u32_e32 vcc_lo, 0, v6
	s_wait_dscnt 0x1
	v_cndmask_b32_e32 v9, 0, v9, vcc_lo
	v_cmp_gt_u32_e32 vcc_lo, v30, v19
	s_wait_dscnt 0x0
	v_cndmask_b32_e64 v18, v18, 0, vcc_lo
	s_delay_alu instid0(VALU_DEP_1) | instskip(SKIP_1) | instid1(VALU_DEP_2)
	v_add_nc_u32_e32 v6, v6, v18
	v_cndmask_b32_e64 v9, v9, 0, vcc_lo
	v_cmp_eq_u32_e32 vcc_lo, 0, v6
	s_delay_alu instid0(VALU_DEP_2)
	v_add_nc_u32_e32 v7, v7, v9
	ds_bpermute_b32 v18, v31, v6
	ds_bpermute_b32 v9, v31, v7
	s_wait_dscnt 0x0
	v_cndmask_b32_e32 v9, 0, v9, vcc_lo
	v_cmp_gt_u32_e32 vcc_lo, v32, v19
	s_delay_alu instid0(VALU_DEP_2) | instskip(NEXT) | instid1(VALU_DEP_1)
	v_cndmask_b32_e64 v9, v9, 0, vcc_lo
	v_add_nc_u32_e32 v7, v9, v7
	v_cndmask_b32_e64 v9, v18, 0, vcc_lo
	v_cmp_eq_u32_e32 vcc_lo, 0, v4
	s_delay_alu instid0(VALU_DEP_2) | instskip(NEXT) | instid1(VALU_DEP_4)
	v_add3_u32 v6, v6, v4, v9
	v_cndmask_b32_e32 v7, 0, v7, vcc_lo
	s_delay_alu instid0(VALU_DEP_1)
	v_add_nc_u32_e32 v7, v7, v5
.LBB262_76:                             ;   in Loop: Header=BB262_77 Depth=1
	s_and_b32 vcc_lo, exec_lo, s14
	s_cbranch_vccnz .LBB262_82
.LBB262_77:                             ; =>This Loop Header: Depth=1
                                        ;     Child Loop BB262_80 Depth 2
	v_and_b32_e32 v4, 0xff, v8
	s_delay_alu instid0(VALU_DEP_2) | instskip(SKIP_1) | instid1(VALU_DEP_2)
	v_mov_b32_e32 v5, v7
	s_mov_b32 s14, -1
                                        ; implicit-def: $vgpr7
                                        ; implicit-def: $vgpr8
	v_cmp_ne_u16_e32 vcc_lo, 2, v4
	v_mov_b32_e32 v4, v6
                                        ; implicit-def: $vgpr6
	s_cmp_lg_u32 vcc_lo, exec_lo
	s_cbranch_scc1 .LBB262_76
; %bb.78:                               ;   in Loop: Header=BB262_77 Depth=1
	v_lshl_add_u64 v[18:19], v[16:17], 4, s[16:17]
	;;#ASMSTART
	global_load_b128 v[6:9], v[18:19] off scope:SCOPE_DEV	
s_wait_loadcnt 0x0
	;;#ASMEND
	v_and_b32_e32 v9, 0xff, v8
	s_mov_b32 s14, exec_lo
	s_delay_alu instid0(VALU_DEP_1)
	v_cmpx_eq_u16_e32 0, v9
	s_cbranch_execz .LBB262_75
; %bb.79:                               ;   in Loop: Header=BB262_77 Depth=1
	s_mov_b32 s15, 0
.LBB262_80:                             ;   Parent Loop BB262_77 Depth=1
                                        ; =>  This Inner Loop Header: Depth=2
	;;#ASMSTART
	global_load_b128 v[6:9], v[18:19] off scope:SCOPE_DEV	
s_wait_loadcnt 0x0
	;;#ASMEND
	v_and_b32_e32 v9, 0xff, v8
	s_delay_alu instid0(VALU_DEP_1) | instskip(SKIP_1) | instid1(SALU_CYCLE_1)
	v_cmp_ne_u16_e32 vcc_lo, 0, v9
	s_or_b32 s15, vcc_lo, s15
	s_and_not1_b32 exec_lo, exec_lo, s15
	s_cbranch_execnz .LBB262_80
	s_branch .LBB262_74
.LBB262_81:
                                        ; implicit-def: $vgpr16
                                        ; implicit-def: $vgpr20
                                        ; implicit-def: $vgpr22_vgpr23
                                        ; implicit-def: $vgpr28_vgpr29
                                        ; implicit-def: $vgpr36_vgpr37
                                        ; implicit-def: $vgpr30_vgpr31
                                        ; implicit-def: $vgpr44_vgpr45
                                        ; implicit-def: $vgpr48_vgpr49
                                        ; implicit-def: $vgpr46_vgpr47
                                        ; implicit-def: $vgpr42_vgpr43
                                        ; implicit-def: $vgpr38_vgpr39
                                        ; implicit-def: $vgpr32_vgpr33
                                        ; implicit-def: $vgpr34_vgpr35
                                        ; implicit-def: $vgpr40_vgpr41
                                        ; implicit-def: $vgpr24_vgpr25
                                        ; implicit-def: $vgpr26_vgpr27
	s_cbranch_execnz .LBB262_87
	s_branch .LBB262_98
.LBB262_82:
	s_and_saveexec_b32 s14, s13
	s_cbranch_execz .LBB262_84
; %bb.83:
	v_cmp_eq_u32_e32 vcc_lo, 0, v2
	s_mov_b32 s29, 0
	s_add_co_i32 s28, s20, 32
	v_mov_b32_e32 v9, 0
	s_lshl_b64 s[28:29], s[28:29], 4
	v_dual_cndmask_b32 v7, 0, v5 :: v_dual_add_nc_u32 v6, v4, v2
	s_add_nc_u64 s[28:29], s[16:17], s[28:29]
	v_mov_b32_e32 v8, 2
	v_mov_b64_e32 v[16:17], s[28:29]
	s_delay_alu instid0(VALU_DEP_3)
	v_add_nc_u32_e32 v7, v7, v3
	;;#ASMSTART
	global_store_b128 v[16:17], v[6:9] off scope:SCOPE_DEV	
s_wait_storecnt 0x0
	;;#ASMEND
	ds_store_b128 v9, v[2:5] offset:512
.LBB262_84:
	s_or_b32 exec_lo, exec_lo, s14
	s_delay_alu instid0(SALU_CYCLE_1)
	s_and_b32 exec_lo, exec_lo, s2
; %bb.85:
	v_mov_b32_e32 v2, 0
	ds_store_b64 v2, v[4:5] offset:584
.LBB262_86:
	s_or_b32 exec_lo, exec_lo, s19
	s_wait_dscnt 0x1
	v_dual_mov_b32 v4, 0 :: v_dual_cndmask_b32 v5, v20, v14, s13
	s_wait_dscnt 0x0
	s_barrier_signal -1
	s_barrier_wait -1
	ds_load_b64 v[2:3], v4 offset:584
	v_cmp_eq_u32_e32 vcc_lo, 0, v5
	v_cndmask_b32_e64 v5, v5, 0, s2
	s_wait_dscnt 0x0
	s_barrier_signal -1
	s_barrier_wait -1
	ds_load_b128 v[16:19], v4 offset:512
	v_cndmask_b32_e32 v7, 0, v3, vcc_lo
	v_cmp_eq_u32_e32 vcc_lo, 0, v68
	v_cndmask_b32_e64 v6, v22, v15, s13
	s_delay_alu instid0(VALU_DEP_1) | instskip(NEXT) | instid1(VALU_DEP_1)
	v_dual_add_nc_u32 v44, v2, v5 :: v_dual_add_nc_u32 v6, v7, v6
	v_dual_add_nc_u32 v48, v44, v68 :: v_dual_cndmask_b32 v45, v6, v3, s2
	s_delay_alu instid0(VALU_DEP_1) | instskip(SKIP_2) | instid1(VALU_DEP_2)
	v_dual_cndmask_b32 v3, 0, v45 :: v_dual_add_nc_u32 v46, v48, v67
	s_wait_dscnt 0x0
	v_cmp_eq_u32_e32 vcc_lo, 0, v16
	v_add_nc_u32_e32 v49, v3, v53
	s_delay_alu instid0(VALU_DEP_1) | instskip(NEXT) | instid1(VALU_DEP_1)
	v_cndmask_b32_e64 v3, 0, v49, s12
	v_add_nc_u32_e32 v47, v3, v55
	s_delay_alu instid0(VALU_DEP_1) | instskip(NEXT) | instid1(VALU_DEP_1)
	v_cndmask_b32_e64 v3, 0, v47, s11
	;; [unrolled: 3-line block ×5, first 2 shown]
	v_add_nc_u32_e32 v35, v3, v71
	v_cndmask_b32_e32 v3, 0, v19, vcc_lo
	s_delay_alu instid0(VALU_DEP_1) | instskip(NEXT) | instid1(VALU_DEP_1)
	v_dual_cndmask_b32 v2, 0, v35, s7 :: v_dual_add_nc_u32 v20, v3, v17
	v_add_nc_u32_e32 v41, v2, v75
	s_delay_alu instid0(VALU_DEP_1) | instskip(NEXT) | instid1(VALU_DEP_1)
	v_cndmask_b32_e64 v2, 0, v41, s6
	v_add_nc_u32_e32 v25, v2, v73
	s_delay_alu instid0(VALU_DEP_1) | instskip(NEXT) | instid1(VALU_DEP_1)
	v_dual_add_nc_u32 v42, v46, v66 :: v_dual_cndmask_b32 v2, 0, v25, s5
	v_add_nc_u32_e32 v38, v42, v65
	s_delay_alu instid0(VALU_DEP_1) | instskip(NEXT) | instid1(VALU_DEP_1)
	v_add_nc_u32_e32 v32, v38, v63
	v_dual_add_nc_u32 v27, v2, v69 :: v_dual_add_nc_u32 v34, v32, v64
	s_delay_alu instid0(VALU_DEP_1) | instskip(NEXT) | instid1(VALU_DEP_1)
	v_dual_cndmask_b32 v2, 0, v27, s4 :: v_dual_add_nc_u32 v40, v34, v62
	v_dual_add_nc_u32 v31, v2, v54 :: v_dual_add_nc_u32 v24, v40, v60
	s_delay_alu instid0(VALU_DEP_1) | instskip(NEXT) | instid1(VALU_DEP_1)
	v_dual_cndmask_b32 v2, 0, v31, s3 :: v_dual_add_nc_u32 v26, v24, v58
	v_add_nc_u32_e32 v37, v2, v52
	s_delay_alu instid0(VALU_DEP_2) | instskip(NEXT) | instid1(VALU_DEP_2)
	v_add_nc_u32_e32 v30, v26, v57
	v_cndmask_b32_e64 v2, 0, v37, s1
	s_delay_alu instid0(VALU_DEP_2) | instskip(NEXT) | instid1(VALU_DEP_1)
	v_add_nc_u32_e32 v36, v30, v21
	v_dual_add_nc_u32 v29, v2, v51 :: v_dual_add_nc_u32 v28, v36, v56
	s_delay_alu instid0(VALU_DEP_1) | instskip(NEXT) | instid1(VALU_DEP_1)
	v_cndmask_b32_e64 v2, 0, v29, s0
	v_dual_add_nc_u32 v22, v28, v59 :: v_dual_add_nc_u32 v23, v2, v50
	s_branch .LBB262_98
.LBB262_87:
	s_cmp_eq_u64 s[36:37], 0
	v_mov_b32_e32 v6, v53
	s_cselect_b32 s0, -1, 0
	s_delay_alu instid0(SALU_CYCLE_1) | instskip(NEXT) | instid1(SALU_CYCLE_1)
	s_or_b32 s0, s18, s0
	s_and_b32 vcc_lo, exec_lo, s0
	s_cbranch_vccnz .LBB262_89
; %bb.88:
	v_mov_b32_e32 v2, 0
	global_load_b32 v6, v2, s[36:37]
.LBB262_89:
	v_add3_u32 v3, v80, v63, v64
	v_cmp_eq_u32_e64 s6, 0, v67
	v_cmp_eq_u32_e64 s7, 0, v66
	;; [unrolled: 1-line block ×4, first 2 shown]
	v_add3_u32 v3, v3, v62, v60
	s_wait_xcnt 0x0
	v_cndmask_b32_e64 v2, 0, v53, s6
	v_cmp_eq_u32_e64 s11, 0, v64
	v_cmp_eq_u32_e64 s10, 0, v62
	;; [unrolled: 1-line block ×3, first 2 shown]
	v_add3_u32 v3, v3, v58, v57
	v_dual_add_nc_u32 v2, v2, v55 :: v_dual_bitop2_b32 v5, 15, v77 bitop3:0x40
	v_cmp_eq_u32_e64 s4, 0, v58
	v_cmp_eq_u32_e64 s3, 0, v57
	s_delay_alu instid0(VALU_DEP_4)
	v_add3_u32 v3, v3, v21, v56
	v_cmp_eq_u32_e64 s1, 0, v21
	v_cmp_eq_u32_e32 vcc_lo, 0, v56
	v_cmp_eq_u32_e64 s0, 0, v59
	v_cmp_eq_u32_e64 s12, 0, v61
	v_add3_u32 v3, v3, v59, v61
	v_cndmask_b32_e64 v2, 0, v2, s7
	s_delay_alu instid0(VALU_DEP_2) | instskip(NEXT) | instid1(VALU_DEP_2)
	v_mov_b32_dpp v7, v3 row_shr:1 row_mask:0xf bank_mask:0xf
	v_add_nc_u32_e32 v2, v2, v72
	s_delay_alu instid0(VALU_DEP_1) | instskip(NEXT) | instid1(VALU_DEP_1)
	v_cndmask_b32_e64 v2, 0, v2, s8
	v_add_nc_u32_e32 v2, v2, v74
	s_delay_alu instid0(VALU_DEP_1) | instskip(NEXT) | instid1(VALU_DEP_1)
	v_cndmask_b32_e64 v2, 0, v2, s9
	;; [unrolled: 3-line block ×8, first 2 shown]
	v_add_nc_u32_e32 v2, v2, v52
	s_delay_alu instid0(VALU_DEP_1) | instskip(NEXT) | instid1(VALU_DEP_1)
	v_cndmask_b32_e32 v2, 0, v2, vcc_lo
	v_add_nc_u32_e32 v2, v2, v51
	s_delay_alu instid0(VALU_DEP_1) | instskip(NEXT) | instid1(VALU_DEP_1)
	v_cndmask_b32_e64 v2, 0, v2, s0
	v_add_nc_u32_e32 v2, v2, v50
	s_delay_alu instid0(VALU_DEP_1) | instskip(SKIP_1) | instid1(VALU_DEP_2)
	v_cndmask_b32_e64 v2, 0, v2, s12
	v_cmp_eq_u32_e64 s12, 0, v3
	v_add_nc_u32_e32 v2, v2, v76
	s_delay_alu instid0(VALU_DEP_1) | instskip(NEXT) | instid1(VALU_DEP_1)
	v_mov_b32_dpp v4, v2 row_shr:1 row_mask:0xf bank_mask:0xf
	v_cndmask_b32_e64 v4, 0, v4, s12
	v_cmp_eq_u32_e64 s12, 0, v5
	s_delay_alu instid0(VALU_DEP_1) | instskip(NEXT) | instid1(VALU_DEP_3)
	v_cndmask_b32_e64 v7, v7, 0, s12
	v_cndmask_b32_e64 v4, v4, 0, s12
	v_cmp_lt_u32_e64 s12, 1, v5
	s_delay_alu instid0(VALU_DEP_2) | instskip(NEXT) | instid1(VALU_DEP_1)
	v_dual_add_nc_u32 v3, v7, v3 :: v_dual_add_nc_u32 v2, v4, v2
	v_mov_b32_dpp v4, v3 row_shr:2 row_mask:0xf bank_mask:0xf
	v_cmp_eq_u32_e64 s13, 0, v3
	s_delay_alu instid0(VALU_DEP_3) | instskip(NEXT) | instid1(VALU_DEP_3)
	v_mov_b32_dpp v7, v2 row_shr:2 row_mask:0xf bank_mask:0xf
	v_cndmask_b32_e64 v4, 0, v4, s12
	s_and_b32 s12, s12, s13
	s_delay_alu instid0(VALU_DEP_2) | instid1(SALU_CYCLE_1)
	v_cndmask_b32_e64 v7, 0, v7, s12
	v_cmp_lt_u32_e64 s12, 3, v5
	s_delay_alu instid0(VALU_DEP_3) | instskip(NEXT) | instid1(VALU_DEP_3)
	v_add_nc_u32_e32 v3, v3, v4
	v_add_nc_u32_e32 v2, v7, v2
	s_delay_alu instid0(VALU_DEP_2) | instskip(SKIP_1) | instid1(VALU_DEP_3)
	v_mov_b32_dpp v4, v3 row_shr:4 row_mask:0xf bank_mask:0xf
	v_cmp_eq_u32_e64 s13, 0, v3
	v_mov_b32_dpp v7, v2 row_shr:4 row_mask:0xf bank_mask:0xf
	s_delay_alu instid0(VALU_DEP_3)
	v_cndmask_b32_e64 v4, 0, v4, s12
	s_and_b32 s12, s12, s13
	s_delay_alu instid0(VALU_DEP_2) | instid1(SALU_CYCLE_1)
	v_cndmask_b32_e64 v7, 0, v7, s12
	v_cmp_lt_u32_e64 s12, 7, v5
	s_delay_alu instid0(VALU_DEP_3) | instskip(NEXT) | instid1(VALU_DEP_3)
	v_add_nc_u32_e32 v3, v4, v3
	v_add_nc_u32_e32 v2, v2, v7
	v_bfe_i32 v7, v77, 4, 1
	s_delay_alu instid0(VALU_DEP_3) | instskip(SKIP_1) | instid1(VALU_DEP_4)
	v_mov_b32_dpp v4, v3 row_shr:8 row_mask:0xf bank_mask:0xf
	v_cmp_eq_u32_e64 s13, 0, v3
	v_mov_b32_dpp v5, v2 row_shr:8 row_mask:0xf bank_mask:0xf
	s_delay_alu instid0(VALU_DEP_3) | instskip(SKIP_2) | instid1(VALU_DEP_2)
	v_cndmask_b32_e64 v4, 0, v4, s12
	s_and_b32 s12, s12, s13
	s_mov_b32 s13, exec_lo
	v_cndmask_b32_e64 v5, 0, v5, s12
	s_delay_alu instid0(VALU_DEP_1) | instskip(SKIP_4) | instid1(VALU_DEP_1)
	v_dual_add_nc_u32 v5, v5, v2 :: v_dual_add_nc_u32 v2, v4, v3
	ds_swizzle_b32 v3, v5 offset:swizzle(BROADCAST,32,15)
	ds_swizzle_b32 v4, v2 offset:swizzle(BROADCAST,32,15)
	v_cmp_eq_u32_e64 s12, 0, v2
	s_wait_dscnt 0x0
	v_dual_cndmask_b32 v3, 0, v3, s12 :: v_dual_bitop2_b32 v4, v7, v4 bitop3:0x40
	s_delay_alu instid0(VALU_DEP_1) | instskip(NEXT) | instid1(VALU_DEP_1)
	v_dual_add_nc_u32 v2, v4, v2 :: v_dual_bitop2_b32 v3, v7, v3 bitop3:0x40
	v_dual_add_nc_u32 v3, v3, v5 :: v_dual_lshlrev_b32 v5, 3, v78
	v_cmpx_eq_u32_e64 v0, v79
; %bb.90:
	ds_store_b64 v5, v[2:3] offset:528
; %bb.91:
	s_or_b32 exec_lo, exec_lo, s13
	s_delay_alu instid0(SALU_CYCLE_1)
	s_mov_b32 s14, exec_lo
	s_wait_loadcnt_dscnt 0x0
	s_barrier_signal -1
	s_barrier_wait -1
	v_cmpx_gt_u32_e32 8, v0
	s_cbranch_execz .LBB262_93
; %bb.92:
	v_dual_lshlrev_b32 v4, 3, v0 :: v_dual_bitop2_b32 v14, 7, v77 bitop3:0x40
	ds_load_b64 v[8:9], v4 offset:528
	s_wait_dscnt 0x0
	v_mov_b32_dpp v7, v9 row_shr:1 row_mask:0xf bank_mask:0xf
	v_cmp_eq_u32_e64 s12, 0, v8
	v_mov_b32_dpp v15, v8 row_shr:1 row_mask:0xf bank_mask:0xf
	s_delay_alu instid0(VALU_DEP_2) | instskip(SKIP_1) | instid1(VALU_DEP_1)
	v_cndmask_b32_e64 v7, 0, v7, s12
	v_cmp_eq_u32_e64 s12, 0, v14
	v_cndmask_b32_e64 v15, v15, 0, s12
	s_delay_alu instid0(VALU_DEP_1) | instskip(NEXT) | instid1(VALU_DEP_4)
	v_add_nc_u32_e32 v8, v15, v8
	v_cndmask_b32_e64 v7, v7, 0, s12
	v_cmp_lt_u32_e64 s12, 1, v14
	s_delay_alu instid0(VALU_DEP_3) | instskip(NEXT) | instid1(VALU_DEP_3)
	v_cmp_eq_u32_e64 s13, 0, v8
	v_add_nc_u32_e32 v7, v7, v9
	v_mov_b32_dpp v9, v8 row_shr:2 row_mask:0xf bank_mask:0xf
	s_delay_alu instid0(VALU_DEP_1) | instskip(NEXT) | instid1(VALU_DEP_3)
	v_cndmask_b32_e64 v9, 0, v9, s12
	v_mov_b32_dpp v15, v7 row_shr:2 row_mask:0xf bank_mask:0xf
	s_and_b32 s12, s12, s13
	s_delay_alu instid0(VALU_DEP_1) | instid1(SALU_CYCLE_1)
	v_dual_add_nc_u32 v8, v9, v8 :: v_dual_cndmask_b32 v15, 0, v15, s12
	v_cmp_lt_u32_e64 s12, 3, v14
	s_delay_alu instid0(VALU_DEP_2) | instskip(NEXT) | instid1(VALU_DEP_3)
	v_mov_b32_dpp v9, v8 row_shr:4 row_mask:0xf bank_mask:0xf
	v_add_nc_u32_e32 v7, v15, v7
	v_cmp_eq_u32_e64 s13, 0, v8
	s_delay_alu instid0(VALU_DEP_3) | instskip(NEXT) | instid1(VALU_DEP_3)
	v_cndmask_b32_e64 v9, 0, v9, s12
	v_mov_b32_dpp v14, v7 row_shr:4 row_mask:0xf bank_mask:0xf
	s_and_b32 s12, s12, s13
	s_delay_alu instid0(VALU_DEP_1) | instid1(SALU_CYCLE_1)
	v_dual_add_nc_u32 v8, v9, v8 :: v_dual_cndmask_b32 v14, 0, v14, s12
	s_delay_alu instid0(VALU_DEP_1)
	v_add_nc_u32_e32 v9, v14, v7
	ds_store_b64 v4, v[8:9] offset:528
.LBB262_93:
	s_or_b32 exec_lo, exec_lo, s14
	v_dual_mov_b32 v7, 0 :: v_dual_mov_b32 v4, 0
	v_mov_b32_e32 v8, v6
	s_mov_b32 s13, exec_lo
	s_wait_dscnt 0x0
	s_barrier_signal -1
	s_barrier_wait -1
	v_cmpx_lt_u32_e32 31, v0
	s_cbranch_execz .LBB262_95
; %bb.94:
	ds_load_b64 v[4:5], v5 offset:520
	s_wait_dscnt 0x0
	v_cmp_eq_u32_e64 s12, 0, v4
	s_delay_alu instid0(VALU_DEP_1) | instskip(NEXT) | instid1(VALU_DEP_1)
	v_cndmask_b32_e64 v8, 0, v6, s12
	v_add_nc_u32_e32 v8, v8, v5
.LBB262_95:
	s_or_b32 exec_lo, exec_lo, s13
	v_sub_co_u32 v5, s12, v77, 1
	ds_load_b64 v[16:17], v7 offset:584
	v_cmp_gt_i32_e64 s13, 0, v5
	s_delay_alu instid0(VALU_DEP_1) | instskip(SKIP_1) | instid1(VALU_DEP_1)
	v_cndmask_b32_e64 v5, v5, v77, s13
	v_cmp_eq_u32_e64 s13, 0, v2
	v_dual_cndmask_b32 v9, 0, v8, s13 :: v_dual_add_nc_u32 v2, v4, v2
	s_delay_alu instid0(VALU_DEP_3)
	v_lshlrev_b32_e32 v5, 2, v5
	ds_bpermute_b32 v2, v5, v2
	s_wait_dscnt 0x0
	v_dual_add_nc_u32 v3, v9, v3 :: v_dual_cndmask_b32 v2, v2, v4, s12
	ds_bpermute_b32 v3, v5, v3
	v_cndmask_b32_e64 v44, v2, 0, s2
	s_delay_alu instid0(VALU_DEP_1) | instskip(NEXT) | instid1(VALU_DEP_1)
	v_add_nc_u32_e32 v48, v44, v68
	v_add_nc_u32_e32 v46, v48, v67
	s_wait_dscnt 0x0
	s_delay_alu instid0(VALU_DEP_1) | instskip(SKIP_1) | instid1(VALU_DEP_2)
	v_dual_add_nc_u32 v42, v46, v66 :: v_dual_cndmask_b32 v3, v3, v8, s12
	v_cmp_eq_u32_e64 s12, 0, v68
	v_dual_add_nc_u32 v38, v42, v65 :: v_dual_cndmask_b32 v45, v3, v6, s2
	s_delay_alu instid0(VALU_DEP_1) | instskip(NEXT) | instid1(VALU_DEP_1)
	v_dual_add_nc_u32 v32, v38, v63 :: v_dual_cndmask_b32 v3, 0, v45, s12
	v_dual_add_nc_u32 v34, v32, v64 :: v_dual_add_nc_u32 v49, v3, v53
	s_delay_alu instid0(VALU_DEP_1) | instskip(NEXT) | instid1(VALU_DEP_1)
	v_dual_add_nc_u32 v40, v34, v62 :: v_dual_cndmask_b32 v3, 0, v49, s6
	v_dual_add_nc_u32 v24, v40, v60 :: v_dual_add_nc_u32 v47, v3, v55
	s_delay_alu instid0(VALU_DEP_1) | instskip(NEXT) | instid1(VALU_DEP_1)
	v_dual_add_nc_u32 v26, v24, v58 :: v_dual_cndmask_b32 v3, 0, v47, s7
	v_dual_add_nc_u32 v30, v26, v57 :: v_dual_add_nc_u32 v43, v3, v72
	s_delay_alu instid0(VALU_DEP_1) | instskip(NEXT) | instid1(VALU_DEP_1)
	v_dual_add_nc_u32 v36, v30, v21 :: v_dual_cndmask_b32 v3, 0, v43, s8
	v_dual_add_nc_u32 v28, v36, v56 :: v_dual_add_nc_u32 v39, v3, v74
	s_delay_alu instid0(VALU_DEP_1) | instskip(NEXT) | instid1(VALU_DEP_2)
	v_add_nc_u32_e32 v22, v28, v59
	v_cndmask_b32_e64 v3, 0, v39, s9
	s_delay_alu instid0(VALU_DEP_1) | instskip(NEXT) | instid1(VALU_DEP_1)
	v_add_nc_u32_e32 v33, v3, v70
	v_cndmask_b32_e64 v3, 0, v33, s11
	s_delay_alu instid0(VALU_DEP_1) | instskip(NEXT) | instid1(VALU_DEP_1)
	;; [unrolled: 3-line block ×7, first 2 shown]
	v_add_nc_u32_e32 v37, v2, v52
	v_cndmask_b32_e32 v2, 0, v37, vcc_lo
	v_cmp_eq_u32_e32 vcc_lo, 0, v16
	s_delay_alu instid0(VALU_DEP_2) | instskip(NEXT) | instid1(VALU_DEP_1)
	v_dual_cndmask_b32 v3, 0, v6, vcc_lo :: v_dual_add_nc_u32 v29, v2, v51
	v_add_nc_u32_e32 v20, v3, v17
	s_delay_alu instid0(VALU_DEP_2) | instskip(NEXT) | instid1(VALU_DEP_1)
	v_cndmask_b32_e64 v2, 0, v29, s0
	v_add_nc_u32_e32 v23, v2, v50
	s_and_saveexec_b32 s0, s2
	s_cbranch_execz .LBB262_97
; %bb.96:
	s_add_nc_u64 s[4:5], s[16:17], 0x200
	v_dual_mov_b32 v18, 2 :: v_dual_mov_b32 v19, 0
	v_mov_b32_e32 v17, v20
	v_mov_b64_e32 v[2:3], s[4:5]
	;;#ASMSTART
	global_store_b128 v[2:3], v[16:19] off scope:SCOPE_DEV	
s_wait_storecnt 0x0
	;;#ASMEND
.LBB262_97:
	s_or_b32 exec_lo, exec_lo, s0
	v_mov_b32_e32 v18, 0
.LBB262_98:
	s_cmp_eq_u64 s[30:31], 0
	v_mov_b64_e32 v[50:51], 0
	s_cselect_b32 s0, -1, 0
	s_delay_alu instid0(SALU_CYCLE_1)
	s_or_b32 s0, s18, s0
	s_barrier_signal -1
	s_and_b32 vcc_lo, exec_lo, s0
	s_barrier_wait -1
	s_cbranch_vccnz .LBB262_100
; %bb.99:
	v_mov_b32_e32 v2, 0
	global_load_b64 v[50:51], v2, s[30:31]
.LBB262_100:
	v_cmp_eq_u32_e32 vcc_lo, 0, v68
	v_cmp_ne_u32_e64 s14, 0, v68
	v_cmp_ne_u32_e64 s13, 0, v67
	;; [unrolled: 1-line block ×4, first 2 shown]
	s_wait_xcnt 0x0
	v_cndmask_b32_e64 v2, 1, 2, vcc_lo
	v_cmp_eq_u32_e32 vcc_lo, 0, v67
	v_cmp_ne_u32_e64 s10, 0, v63
	v_cmp_ne_u32_e64 s9, 0, v64
	;; [unrolled: 1-line block ×4, first 2 shown]
	v_cndmask_b32_e64 v3, 1, 2, vcc_lo
	v_cmp_eq_u32_e32 vcc_lo, 0, v66
	v_cmp_ne_u32_e64 s6, 0, v58
	v_cmp_ne_u32_e64 s5, 0, v57
	s_delay_alu instid0(VALU_DEP_4)
	v_dual_mov_b32 v19, 0 :: v_dual_bitop2_b32 v2, v3, v2 bitop3:0x40
	v_cndmask_b32_e64 v3, 1, 2, vcc_lo
	v_cmp_eq_u32_e32 vcc_lo, 0, v65
	v_cmp_ne_u32_e64 s4, 0, v21
	v_cmp_ne_u32_e64 s3, 0, v56
	;; [unrolled: 1-line block ×4, first 2 shown]
	v_cndmask_b32_e64 v4, 1, 2, vcc_lo
	v_cmp_eq_u32_e32 vcc_lo, 0, v63
	s_mov_b32 s16, -1
	s_delay_alu instid0(VALU_DEP_2) | instskip(SKIP_4) | instid1(VALU_DEP_2)
	v_bitop3_b16 v2, v2, v4, v3 bitop3:0x80
	v_cndmask_b32_e64 v5, 1, 2, vcc_lo
	v_cmp_eq_u32_e32 vcc_lo, 0, v64
	v_cndmask_b32_e64 v6, 1, 2, vcc_lo
	v_cmp_eq_u32_e32 vcc_lo, 0, v62
	v_bitop3_b16 v4, v2, v6, v5 bitop3:0x80
	v_cndmask_b32_e64 v5, 1, 2, vcc_lo
	v_cmp_eq_u32_e32 vcc_lo, 0, v60
	s_wait_loadcnt 0x0
	v_add_nc_u64_e32 v[2:3], s[24:25], v[50:51]
	v_cndmask_b32_e64 v6, 1, 2, vcc_lo
	v_cmp_eq_u32_e32 vcc_lo, 0, v58
	s_delay_alu instid0(VALU_DEP_3) | instskip(NEXT) | instid1(VALU_DEP_3)
	v_add_nc_u64_e32 v[52:53], v[2:3], v[18:19]
	v_bitop3_b16 v4, v4, v6, v5 bitop3:0x80
	v_cndmask_b32_e64 v5, 1, 2, vcc_lo
	v_cmp_eq_u32_e32 vcc_lo, 0, v57
	v_cndmask_b32_e64 v6, 1, 2, vcc_lo
	v_cmp_eq_u32_e32 vcc_lo, 0, v21
	s_delay_alu instid0(VALU_DEP_2) | instskip(SKIP_4) | instid1(VALU_DEP_2)
	v_bitop3_b16 v2, v4, v6, v5 bitop3:0x80
	v_cndmask_b32_e64 v3, 1, 2, vcc_lo
	v_cmp_eq_u32_e32 vcc_lo, 0, v56
	v_cndmask_b32_e64 v4, 1, 2, vcc_lo
	v_cmp_eq_u32_e32 vcc_lo, 0, v59
	v_bitop3_b16 v2, v2, v4, v3 bitop3:0x80
	v_cndmask_b32_e64 v3, 1, 2, vcc_lo
	v_cmp_eq_u32_e32 vcc_lo, 0, v61
	v_cndmask_b32_e64 v4, 1, 2, vcc_lo
	v_cmp_gt_u32_e32 vcc_lo, 0x100, v16
	s_delay_alu instid0(VALU_DEP_2) | instskip(NEXT) | instid1(VALU_DEP_1)
	v_bitop3_b16 v2, v2, v4, v3 bitop3:0x80
	v_cmp_gt_i16_e64 s15, 2, v2
	s_cbranch_vccz .LBB262_107
; %bb.101:
	s_and_saveexec_b32 s16, s15
	s_cbranch_execz .LBB262_106
; %bb.102:
	s_mov_b32 s17, 0
	s_mov_b32 s15, exec_lo
	v_cmpx_ne_u16_e32 1, v2
	s_xor_b32 s15, exec_lo, s15
	s_cbranch_execnz .LBB262_149
; %bb.103:
	s_and_not1_saveexec_b32 s15, s15
	s_cbranch_execnz .LBB262_164
.LBB262_104:
	s_or_b32 exec_lo, exec_lo, s15
	s_delay_alu instid0(SALU_CYCLE_1)
	s_and_b32 exec_lo, exec_lo, s17
	s_cbranch_execz .LBB262_106
.LBB262_105:
	v_dual_sub_nc_u32 v3, v22, v18 :: v_dual_lshrrev_b32 v4, 24, v12
	v_readfirstlane_b32 s18, v52
	v_readfirstlane_b32 s19, v53
	global_store_b8 v3, v4, s[18:19]
.LBB262_106:
	s_wait_xcnt 0x0
	s_or_b32 exec_lo, exec_lo, s16
	s_mov_b32 s16, 0
.LBB262_107:
	s_delay_alu instid0(SALU_CYCLE_1)
	s_and_b32 vcc_lo, exec_lo, s16
	s_cbranch_vccz .LBB262_128
; %bb.108:
	s_mov_b32 s15, exec_lo
	v_cmpx_gt_i16_e32 2, v2
	s_cbranch_execz .LBB262_113
; %bb.109:
	s_mov_b32 s17, 0
	s_mov_b32 s16, exec_lo
	v_cmpx_ne_u16_e32 1, v2
	s_xor_b32 s16, exec_lo, s16
	s_cbranch_execnz .LBB262_165
; %bb.110:
	s_and_not1_saveexec_b32 s0, s16
	s_cbranch_execnz .LBB262_180
.LBB262_111:
	s_or_b32 exec_lo, exec_lo, s0
	s_delay_alu instid0(SALU_CYCLE_1)
	s_and_b32 exec_lo, exec_lo, s17
.LBB262_112:
	v_dual_sub_nc_u32 v1, v22, v18 :: v_dual_lshrrev_b32 v2, 24, v12
	ds_store_b8 v1, v2
.LBB262_113:
	s_or_b32 exec_lo, exec_lo, s15
	s_delay_alu instid0(SALU_CYCLE_1)
	s_mov_b32 s0, exec_lo
	s_wait_storecnt_dscnt 0x0
	s_barrier_signal -1
	s_barrier_wait -1
	v_cmpx_lt_u32_e64 v0, v16
	s_cbranch_execz .LBB262_127
; %bb.114:
	v_xad_u32 v2, v0, -1, v16
	v_mov_b32_e32 v1, v0
	s_mov_b32 s5, -1
	s_mov_b32 s3, exec_lo
	s_delay_alu instid0(VALU_DEP_2)
	v_cmp_gt_u32_e64 s1, 0x1f00, v2
	v_cmpx_lt_u32_e32 0x1eff, v2
	s_cbranch_execz .LBB262_124
; %bb.115:
	v_sub_nc_u32_e32 v1, v0, v16
	s_delay_alu instid0(VALU_DEP_1) | instskip(NEXT) | instid1(VALU_DEP_1)
	v_or_b32_e32 v1, 0xff, v1
	v_cmp_ge_u32_e32 vcc_lo, v1, v0
	v_mov_b32_e32 v1, v0
	s_and_saveexec_b32 s4, vcc_lo
	s_cbranch_execz .LBB262_123
; %bb.116:
	v_or_b32_e32 v7, 0x700, v0
	v_or_b32_e32 v6, 0x600, v0
	v_dual_mov_b32 v54, 0 :: v_dual_lshrrev_b32 v17, 8, v2
	v_or_b32_e32 v5, 0x500, v0
	v_or_b32_e32 v4, 0x400, v0
	;; [unrolled: 1-line block ×5, first 2 shown]
	v_mov_b64_e32 v[14:15], v[6:7]
	v_mov_b64_e32 v[12:13], v[4:5]
	v_add_nc_u32_e32 v69, -7, v17
	v_mov_b64_e32 v[10:11], v[2:3]
	v_mov_b64_e32 v[8:9], v[0:1]
	s_mov_b32 s5, exec_lo
	s_delay_alu instid0(VALU_DEP_3)
	v_cmpx_lt_u32_e32 7, v69
	s_cbranch_execz .LBB262_120
; %bb.117:
	v_dual_mov_b32 v55, 0 :: v_dual_lshrrev_b32 v8, 3, v69
	s_mov_b32 s6, 0
	s_mov_b32 s7, 0
	s_delay_alu instid0(VALU_DEP_1) | instskip(NEXT) | instid1(VALU_DEP_1)
	v_dual_mov_b32 v70, v0 :: v_dual_add_nc_u32 v8, 1, v8
	v_and_b32_e32 v71, 0x3ffffffe, v8
	v_mov_b64_e32 v[14:15], v[6:7]
	v_mov_b64_e32 v[12:13], v[4:5]
	v_mov_b64_e32 v[10:11], v[2:3]
	v_mov_b64_e32 v[8:9], v[0:1]
.LBB262_118:                            ; =>This Inner Loop Header: Depth=1
	s_delay_alu instid0(VALU_DEP_1)
	v_dual_mov_b32 v54, v8 :: v_dual_mov_b32 v79, v55
	v_add_nc_u32_e32 v71, -2, v71
	s_add_co_i32 s7, s7, 16
	s_delay_alu instid0(VALU_DEP_3) | instid1(SALU_CYCLE_1)
	v_dual_mov_b32 v1, s7 :: v_dual_add_nc_u32 v78, 0x800, v9
	s_delay_alu instid0(VALU_DEP_3)
	v_add_nc_u64_e32 v[80:81], v[52:53], v[54:55]
	v_dual_mov_b32 v54, v9 :: v_dual_add_nc_u32 v9, 0x1000, v9
	ds_load_u8 v88, v70
	ds_load_u8 v89, v70 offset:256
	ds_load_u8 v90, v70 offset:512
	;; [unrolled: 1-line block ×7, first 2 shown]
	v_dual_mov_b32 v5, v55 :: v_dual_add_nc_u32 v74, 0x800, v11
	v_add_nc_u64_e32 v[82:83], v[52:53], v[54:55]
	v_mov_b32_e32 v54, v10
	ds_load_u8 v96, v70 offset:2048
	ds_load_u8 v97, v70 offset:2304
	;; [unrolled: 1-line block ×8, first 2 shown]
	v_dual_mov_b32 v77, v55 :: v_dual_add_nc_u32 v2, 0x800, v15
	s_wait_dscnt 0xf
	global_store_b8 v[80:81], v88, off
	s_wait_dscnt 0xe
	global_store_b8 v[82:83], v89, off
	v_add_nc_u64_e32 v[84:85], v[52:53], v[54:55]
	v_dual_mov_b32 v54, v11 :: v_dual_add_nc_u32 v11, 0x1000, v11
	v_dual_mov_b32 v3, v55 :: v_dual_add_nc_u32 v76, 0x800, v10
	;; [unrolled: 1-line block ×3, first 2 shown]
	s_delay_alu instid0(VALU_DEP_3)
	v_add_nc_u64_e32 v[86:87], v[52:53], v[54:55]
	v_mov_b32_e32 v54, v12
	s_wait_dscnt 0xd
	global_store_b8 v[84:85], v90, off
	v_dual_mov_b32 v73, v55 :: v_dual_add_nc_u32 v6, 0x800, v13
	v_dual_mov_b32 v7, v55 :: v_dual_add_nc_u32 v72, 0x800, v12
	s_wait_xcnt 0x2
	v_add_nc_u64_e32 v[80:81], v[52:53], v[54:55]
	v_mov_b32_e32 v54, v13
	s_wait_dscnt 0xc
	global_store_b8 v[86:87], v91, off
	v_cmp_eq_u32_e32 vcc_lo, 0, v71
	v_add_nc_u32_e32 v70, 0x1000, v70
	v_add_nc_u64_e32 v[78:79], v[52:53], v[78:79]
	s_wait_xcnt 0x2
	v_add_nc_u64_e32 v[82:83], v[52:53], v[54:55]
	v_mov_b32_e32 v54, v14
	s_wait_dscnt 0xb
	global_store_b8 v[80:81], v92, off
	v_add_nc_u32_e32 v10, 0x1000, v10
	v_add_nc_u32_e32 v12, 0x1000, v12
	;; [unrolled: 1-line block ×3, first 2 shown]
	s_wait_xcnt 0x0
	v_add_nc_u64_e32 v[80:81], v[52:53], v[54:55]
	v_mov_b32_e32 v54, v15
	s_wait_dscnt 0xa
	global_store_b8 v[82:83], v93, off
	v_add_nc_u32_e32 v14, 0x1000, v14
	v_add_nc_u32_e32 v15, 0x1000, v15
	v_add_nc_u64_e32 v[76:77], v[52:53], v[76:77]
	s_wait_xcnt 0x0
	v_add_nc_u64_e32 v[82:83], v[52:53], v[54:55]
	v_add_nc_u32_e32 v54, 0x800, v8
	s_wait_dscnt 0x9
	global_store_b8 v[80:81], v94, off
	v_add_nc_u32_e32 v8, 0x1000, v8
	v_add_nc_u64_e32 v[74:75], v[52:53], v[74:75]
	v_add_nc_u64_e32 v[72:73], v[52:53], v[72:73]
	s_wait_xcnt 0x0
	v_add_nc_u64_e32 v[80:81], v[52:53], v[54:55]
	s_or_b32 s6, vcc_lo, s6
	v_add_nc_u64_e32 v[6:7], v[52:53], v[6:7]
	v_add_nc_u64_e32 v[4:5], v[52:53], v[4:5]
	;; [unrolled: 1-line block ×3, first 2 shown]
	s_wait_dscnt 0x8
	global_store_b8 v[82:83], v95, off
	s_wait_dscnt 0x7
	global_store_b8 v[80:81], v96, off
	;; [unrolled: 2-line block ×9, first 2 shown]
	s_wait_xcnt 0x0
	s_and_not1_b32 exec_lo, exec_lo, s6
	s_cbranch_execnz .LBB262_118
; %bb.119:
	s_or_b32 exec_lo, exec_lo, s6
	v_lshlrev_b32_e32 v54, 8, v1
.LBB262_120:
	s_or_b32 exec_lo, exec_lo, s5
	v_and_b32_e32 v1, 8, v69
	s_mov_b32 s5, exec_lo
	s_delay_alu instid0(VALU_DEP_1)
	v_cmpx_eq_u32_e32 0, v1
	s_cbranch_execz .LBB262_122
; %bb.121:
	v_dual_mov_b32 v3, 0 :: v_dual_mov_b32 v2, v8
	v_or_b32_e32 v1, v0, v54
	ds_load_u8 v69, v1
	ds_load_u8 v72, v1 offset:256
	ds_load_u8 v73, v1 offset:512
	;; [unrolled: 1-line block ×7, first 2 shown]
	v_add_nc_u64_e32 v[4:5], v[52:53], v[2:3]
	v_mov_b32_e32 v2, v9
	s_delay_alu instid0(VALU_DEP_1) | instskip(SKIP_1) | instid1(VALU_DEP_1)
	v_add_nc_u64_e32 v[6:7], v[52:53], v[2:3]
	v_mov_b32_e32 v2, v10
	v_add_nc_u64_e32 v[8:9], v[52:53], v[2:3]
	v_mov_b32_e32 v2, v11
	s_delay_alu instid0(VALU_DEP_1) | instskip(SKIP_1) | instid1(VALU_DEP_1)
	v_add_nc_u64_e32 v[10:11], v[52:53], v[2:3]
	v_mov_b32_e32 v2, v12
	v_add_nc_u64_e32 v[54:55], v[52:53], v[2:3]
	v_mov_b32_e32 v2, v13
	s_delay_alu instid0(VALU_DEP_1) | instskip(SKIP_1) | instid1(VALU_DEP_1)
	v_add_nc_u64_e32 v[12:13], v[52:53], v[2:3]
	v_mov_b32_e32 v2, v14
	v_add_nc_u64_e32 v[70:71], v[52:53], v[2:3]
	v_mov_b32_e32 v2, v15
	s_delay_alu instid0(VALU_DEP_1)
	v_add_nc_u64_e32 v[2:3], v[52:53], v[2:3]
	s_wait_dscnt 0x7
	global_store_b8 v[4:5], v69, off
	s_wait_dscnt 0x6
	global_store_b8 v[6:7], v72, off
	;; [unrolled: 2-line block ×8, first 2 shown]
.LBB262_122:
	s_wait_xcnt 0x0
	s_or_b32 exec_lo, exec_lo, s5
	v_add_nc_u32_e32 v1, 1, v17
	s_delay_alu instid0(VALU_DEP_1) | instskip(NEXT) | instid1(VALU_DEP_1)
	v_and_b32_e32 v2, 0x1fffff8, v1
	v_cmp_ne_u32_e32 vcc_lo, v1, v2
	v_lshl_or_b32 v1, v2, 8, v0
	s_or_not1_b32 s5, vcc_lo, exec_lo
.LBB262_123:
	s_or_b32 exec_lo, exec_lo, s4
	s_delay_alu instid0(SALU_CYCLE_1) | instskip(SKIP_1) | instid1(SALU_CYCLE_1)
	s_and_not1_b32 s1, s1, exec_lo
	s_and_b32 s4, s5, exec_lo
	s_or_b32 s1, s1, s4
.LBB262_124:
	s_or_b32 exec_lo, exec_lo, s3
	s_delay_alu instid0(SALU_CYCLE_1)
	s_and_b32 exec_lo, exec_lo, s1
	s_cbranch_execz .LBB262_127
; %bb.125:
	s_mov_b32 s1, 0
.LBB262_126:                            ; =>This Inner Loop Header: Depth=1
	ds_load_u8 v2, v1
	v_readfirstlane_b32 s4, v52
	v_readfirstlane_b32 s5, v53
	s_wait_dscnt 0x0
	global_store_b8 v1, v2, s[4:5]
	s_wait_xcnt 0x0
	v_add_nc_u32_e32 v1, 0x100, v1
	s_delay_alu instid0(VALU_DEP_1) | instskip(SKIP_1) | instid1(SALU_CYCLE_1)
	v_cmp_ge_u32_e32 vcc_lo, v1, v16
	s_or_b32 s1, vcc_lo, s1
	s_and_not1_b32 exec_lo, exec_lo, s1
	s_cbranch_execnz .LBB262_126
.LBB262_127:
	s_or_b32 exec_lo, exec_lo, s0
.LBB262_128:
	s_cmp_lg_u32 s23, 0xe00
	v_cndmask_b32_e64 v6, 0, 1, s21
	s_cselect_b32 s0, -1, 0
	s_lshr_b32 s1, s23, 1
	s_and_b32 s0, s0, s22
	v_mad_i32_i24 v3, v0, -14, s23
	v_cndmask_b32_e64 v2, 0, 1, s0
	s_mul_hi_u32 s0, s1, 0x92492493
	s_and_b32 s1, s2, s21
	s_lshr_b32 s0, s0, 2
	v_cndmask_b32_e64 v4, v68, 0, s1
	v_cmp_eq_u32_e32 vcc_lo, s0, v0
	v_cmp_ne_u32_e64 s0, 0, v3
	v_sub_nc_u32_e32 v1, v16, v6
	s_mov_b32 s15, -1
	s_wait_storecnt 0x0
	s_and_b32 vcc_lo, vcc_lo, s22
	s_barrier_signal -1
	v_dual_add_nc_u32 v1, v1, v2 :: v_dual_cndmask_b32 v2, 1, v4, s0
	v_cmp_ne_u32_e64 s0, 1, v3
	s_barrier_wait -1
	s_delay_alu instid0(VALU_DEP_1) | instskip(SKIP_1) | instid1(VALU_DEP_2)
	v_dual_cndmask_b32 v54, v4, v2, vcc_lo :: v_dual_cndmask_b32 v5, 1, v67, s0
	v_cmp_ne_u32_e64 s0, 2, v3
	v_cmp_ne_u32_e64 s13, 0, v54
	s_delay_alu instid0(VALU_DEP_2) | instskip(SKIP_1) | instid1(VALU_DEP_1)
	v_cndmask_b32_e64 v7, 1, v66, s0
	v_cmp_ne_u32_e64 s0, 3, v3
	v_cndmask_b32_e64 v8, 1, v65, s0
	v_cmp_ne_u32_e64 s0, 4, v3
	s_delay_alu instid0(VALU_DEP_4) | instskip(SKIP_1) | instid1(VALU_DEP_3)
	v_dual_cndmask_b32 v55, v67, v5, vcc_lo :: v_dual_cndmask_b32 v7, v66, v7, vcc_lo
	v_lshlrev_b64_e32 v[4:5], 3, v[18:19]
	v_cndmask_b32_e64 v9, 1, v63, s0
	v_cmp_ne_u32_e64 s0, 5, v3
	s_delay_alu instid0(VALU_DEP_4) | instskip(SKIP_1) | instid1(VALU_DEP_3)
	v_cmp_ne_u32_e64 s11, 0, v7
	v_cmp_ne_u32_e64 s12, 0, v55
	v_cndmask_b32_e64 v10, 1, v64, s0
	v_cmp_ne_u32_e64 s0, 6, v3
	v_dual_cndmask_b32 v8, v65, v8 :: v_dual_cndmask_b32 v9, v63, v9
	s_delay_alu instid0(VALU_DEP_3) | instskip(NEXT) | instid1(VALU_DEP_3)
	v_cndmask_b32_e32 v10, v64, v10, vcc_lo
	v_cndmask_b32_e64 v11, 1, v62, s0
	v_cmp_ne_u32_e64 s0, 7, v3
	s_delay_alu instid0(VALU_DEP_4) | instskip(SKIP_2) | instid1(VALU_DEP_4)
	v_cmp_ne_u32_e64 s10, 0, v8
	v_cmp_ne_u32_e64 s9, 0, v9
	v_cmp_ne_u32_e64 s8, 0, v10
	v_cndmask_b32_e64 v12, 1, v60, s0
	v_cmp_ne_u32_e64 s0, 8, v3
	s_delay_alu instid0(VALU_DEP_1) | instskip(SKIP_1) | instid1(VALU_DEP_2)
	v_dual_cndmask_b32 v11, v62, v11, vcc_lo :: v_dual_cndmask_b32 v13, 1, v58, s0
	v_cmp_ne_u32_e64 s0, 9, v3
	v_cmp_ne_u32_e64 s7, 0, v11
	s_delay_alu instid0(VALU_DEP_2) | instskip(SKIP_2) | instid1(VALU_DEP_2)
	v_cndmask_b32_e64 v14, 1, v57, s0
	v_cmp_ne_u32_e64 s0, 10, v3
	v_dual_cndmask_b32 v12, v60, v12 :: v_dual_cndmask_b32 v13, v58, v13
	v_dual_cndmask_b32 v14, v57, v14, vcc_lo :: v_dual_cndmask_b32 v15, 1, v21, s0
	v_cmp_ne_u32_e64 s0, 13, v3
	s_delay_alu instid0(VALU_DEP_3) | instskip(NEXT) | instid1(VALU_DEP_4)
	v_cmp_ne_u32_e64 s6, 0, v12
	v_cmp_ne_u32_e64 s5, 0, v13
	s_delay_alu instid0(VALU_DEP_4) | instskip(NEXT) | instid1(VALU_DEP_4)
	v_cmp_ne_u32_e64 s4, 0, v14
	v_cndmask_b32_e64 v17, 1, v61, s0
	v_cmp_ne_u32_e64 s0, 12, v3
	s_delay_alu instid0(VALU_DEP_1) | instskip(SKIP_2) | instid1(VALU_DEP_3)
	v_cndmask_b32_e64 v52, 1, v59, s0
	v_cmp_ne_u32_e64 s0, 11, v3
	v_lshlrev_b64_e32 v[2:3], 3, v[50:51]
	v_dual_cndmask_b32 v15, v21, v15 :: v_dual_cndmask_b32 v52, v59, v52
	s_delay_alu instid0(VALU_DEP_3) | instskip(SKIP_1) | instid1(VALU_DEP_4)
	v_dual_cndmask_b32 v53, 1, v56, s0 :: v_dual_cndmask_b32 v17, v61, v17, vcc_lo
	v_cmp_eq_u32_e64 s0, 0, v54
	v_add_nc_u64_e32 v[2:3], s[26:27], v[2:3]
	s_delay_alu instid0(VALU_DEP_4) | instskip(NEXT) | instid1(VALU_DEP_4)
	v_cmp_ne_u32_e64 s3, 0, v15
	v_cndmask_b32_e32 v53, v56, v53, vcc_lo
	v_cmp_eq_u32_e32 vcc_lo, 0, v13
	v_cndmask_b32_e64 v59, 1, 2, s0
	v_cmp_eq_u32_e64 s0, 0, v55
	v_cmp_ne_u32_e64 s1, 0, v52
	v_add_nc_u64_e32 v[2:3], v[2:3], v[4:5]
	v_dual_mov_b32 v5, 0 :: v_dual_lshlrev_b32 v4, 3, v6
	s_delay_alu instid0(VALU_DEP_4)
	v_cndmask_b32_e64 v61, 1, 2, s0
	v_cmp_eq_u32_e64 s0, 0, v7
	v_add_nc_u32_e32 v6, v18, v6
	v_cmp_ne_u32_e64 s2, 0, v53
	v_add_nc_u64_e32 v[4:5], v[2:3], v[4:5]
	v_and_b32_e32 v59, v61, v59
	v_cndmask_b32_e64 v61, 1, 2, s0
	v_cmp_eq_u32_e64 s0, 0, v8
	s_delay_alu instid0(VALU_DEP_4) | instskip(NEXT) | instid1(VALU_DEP_2)
	v_add_nc_u64_e32 v[4:5], -8, v[4:5]
	v_cndmask_b32_e64 v64, 1, 2, s0
	v_cmp_eq_u32_e64 s0, 0, v9
	s_delay_alu instid0(VALU_DEP_2) | instskip(NEXT) | instid1(VALU_DEP_2)
	v_bitop3_b16 v59, v59, v64, v61 bitop3:0x80
	v_cndmask_b32_e64 v61, 1, 2, s0
	v_cmp_eq_u32_e64 s0, 0, v10
	s_delay_alu instid0(VALU_DEP_1) | instskip(SKIP_1) | instid1(VALU_DEP_2)
	v_cndmask_b32_e64 v63, 1, 2, s0
	v_cmp_eq_u32_e64 s0, 0, v11
	v_bitop3_b16 v56, v59, v63, v61 bitop3:0x80
	s_delay_alu instid0(VALU_DEP_2) | instskip(SKIP_1) | instid1(VALU_DEP_1)
	v_cndmask_b32_e64 v59, 1, 2, s0
	v_cmp_eq_u32_e64 s0, 0, v12
	v_cndmask_b32_e64 v60, 1, 2, s0
	v_cmp_ne_u32_e64 s0, 0, v17
	s_delay_alu instid0(VALU_DEP_2) | instskip(SKIP_4) | instid1(VALU_DEP_2)
	v_bitop3_b16 v21, v56, v60, v59 bitop3:0x80
	v_cndmask_b32_e64 v56, 1, 2, vcc_lo
	v_cmp_eq_u32_e32 vcc_lo, 0, v14
	v_cndmask_b32_e64 v57, 1, 2, vcc_lo
	v_cmp_eq_u32_e32 vcc_lo, 0, v15
	v_bitop3_b16 v7, v21, v57, v56 bitop3:0x80
	v_cndmask_b32_e64 v21, 1, 2, vcc_lo
	v_cmp_eq_u32_e32 vcc_lo, 0, v53
	v_cndmask_b32_e64 v54, 1, 2, vcc_lo
	v_cmp_eq_u32_e32 vcc_lo, 0, v52
	s_delay_alu instid0(VALU_DEP_2) | instskip(SKIP_4) | instid1(VALU_DEP_2)
	v_bitop3_b16 v7, v7, v54, v21 bitop3:0x80
	v_cndmask_b32_e64 v8, 1, 2, vcc_lo
	v_cmp_eq_u32_e32 vcc_lo, 0, v17
	v_cndmask_b32_e64 v9, 1, 2, vcc_lo
	v_cmp_gt_u32_e32 vcc_lo, 0x100, v1
	v_bitop3_b16 v7, v7, v9, v8 bitop3:0x80
	s_delay_alu instid0(VALU_DEP_1)
	v_cmp_gt_i16_e64 s14, 2, v7
	s_cbranch_vccnz .LBB262_132
; %bb.129:
	s_and_b32 vcc_lo, exec_lo, s15
	s_cbranch_vccnz .LBB262_138
.LBB262_130:
	v_cmp_eq_u32_e32 vcc_lo, 0xff, v0
	s_and_b32 s0, vcc_lo, s22
	s_delay_alu instid0(SALU_CYCLE_1)
	s_and_saveexec_b32 s1, s0
	s_cbranch_execnz .LBB262_147
.LBB262_131:
	s_sendmsg sendmsg(MSG_DEALLOC_VGPRS)
	s_endpgm
.LBB262_132:
	s_and_saveexec_b32 s15, s14
	s_cbranch_execz .LBB262_137
; %bb.133:
	s_mov_b32 s16, 0
	s_mov_b32 s14, exec_lo
	v_cmpx_ne_u16_e32 1, v7
	s_xor_b32 s14, exec_lo, s14
	s_cbranch_execnz .LBB262_181
; %bb.134:
	s_and_not1_saveexec_b32 s14, s14
	s_cbranch_execnz .LBB262_196
.LBB262_135:
	s_or_b32 exec_lo, exec_lo, s14
	s_delay_alu instid0(SALU_CYCLE_1)
	s_and_b32 exec_lo, exec_lo, s16
	s_cbranch_execz .LBB262_137
.LBB262_136:
	v_dual_mov_b32 v9, 0 :: v_dual_mov_b32 v8, v23
	v_sub_nc_u32_e32 v10, v22, v6
	v_readfirstlane_b32 s16, v4
	v_readfirstlane_b32 s17, v5
	global_store_b64 v10, v[8:9], s[16:17] scale_offset
.LBB262_137:
	s_wait_xcnt 0x0
	s_or_b32 exec_lo, exec_lo, s15
	s_branch .LBB262_130
.LBB262_138:
	s_mov_b32 s14, exec_lo
	v_cmpx_gt_i16_e32 2, v7
	s_cbranch_execz .LBB262_143
; %bb.139:
	s_mov_b32 s16, 0
	s_mov_b32 s15, exec_lo
	v_cmpx_ne_u16_e32 1, v7
	s_xor_b32 s15, exec_lo, s15
	s_cbranch_execnz .LBB262_197
; %bb.140:
	s_and_not1_saveexec_b32 s0, s15
	s_cbranch_execnz .LBB262_212
.LBB262_141:
	s_or_b32 exec_lo, exec_lo, s0
	s_delay_alu instid0(SALU_CYCLE_1)
	s_and_b32 exec_lo, exec_lo, s16
.LBB262_142:
	v_sub_nc_u32_e32 v6, v22, v6
	s_delay_alu instid0(VALU_DEP_1)
	v_lshlrev_b32_e32 v6, 2, v6
	ds_store_b32 v6, v23
.LBB262_143:
	s_or_b32 exec_lo, exec_lo, s14
	s_delay_alu instid0(SALU_CYCLE_1)
	s_mov_b32 s0, exec_lo
	s_wait_storecnt_dscnt 0x0
	s_barrier_signal -1
	s_barrier_wait -1
	v_cmpx_lt_u32_e64 v0, v1
	s_cbranch_execz .LBB262_146
; %bb.144:
	v_dual_mov_b32 v7, 0 :: v_dual_lshlrev_b32 v8, 2, v0
	v_mov_b32_e32 v9, v0
	s_mov_b32 s1, 0
.LBB262_145:                            ; =>This Inner Loop Header: Depth=1
	ds_load_b32 v6, v8
	v_readfirstlane_b32 s2, v4
	v_readfirstlane_b32 s3, v5
	v_add_nc_u32_e32 v8, 0x400, v8
	s_wait_dscnt 0x0
	global_store_b64 v9, v[6:7], s[2:3] scale_offset
	s_wait_xcnt 0x0
	v_add_nc_u32_e32 v9, 0x100, v9
	s_delay_alu instid0(VALU_DEP_1) | instskip(SKIP_1) | instid1(SALU_CYCLE_1)
	v_cmp_ge_u32_e32 vcc_lo, v9, v1
	s_or_b32 s1, vcc_lo, s1
	s_and_not1_b32 exec_lo, exec_lo, s1
	s_cbranch_execnz .LBB262_145
.LBB262_146:
	s_or_b32 exec_lo, exec_lo, s0
	v_cmp_eq_u32_e32 vcc_lo, 0xff, v0
	s_and_b32 s0, vcc_lo, s22
	s_delay_alu instid0(SALU_CYCLE_1)
	s_and_saveexec_b32 s1, s0
	s_cbranch_execz .LBB262_131
.LBB262_147:
	v_mov_b32_e32 v17, 0
	s_cmp_lg_u32 s23, 0xe00
	s_delay_alu instid0(VALU_DEP_1) | instskip(NEXT) | instid1(VALU_DEP_1)
	v_add_nc_u64_e32 v[0:1], v[16:17], v[18:19]
	v_add_nc_u64_e32 v[0:1], v[0:1], v[50:51]
	global_store_b64 v17, v[0:1], s[34:35]
	s_cbranch_scc1 .LBB262_131
; %bb.148:
	s_wait_xcnt 0x0
	v_lshlrev_b64_e32 v[0:1], 3, v[16:17]
	v_mov_b32_e32 v21, v17
	s_delay_alu instid0(VALU_DEP_2)
	v_add_nc_u64_e32 v[0:1], v[2:3], v[0:1]
	global_store_b64 v[0:1], v[20:21], off offset:-8
	s_sendmsg sendmsg(MSG_DEALLOC_VGPRS)
	s_endpgm
.LBB262_149:
	s_and_saveexec_b32 s17, s14
	s_cbranch_execnz .LBB262_213
; %bb.150:
	s_or_b32 exec_lo, exec_lo, s17
	s_and_saveexec_b32 s17, s13
	s_cbranch_execnz .LBB262_214
.LBB262_151:
	s_or_b32 exec_lo, exec_lo, s17
	s_and_saveexec_b32 s17, s12
	s_cbranch_execnz .LBB262_215
.LBB262_152:
	s_or_b32 exec_lo, exec_lo, s17
	s_and_saveexec_b32 s17, s11
	s_cbranch_execnz .LBB262_216
.LBB262_153:
	s_or_b32 exec_lo, exec_lo, s17
	s_and_saveexec_b32 s17, s10
	s_cbranch_execnz .LBB262_217
.LBB262_154:
	s_or_b32 exec_lo, exec_lo, s17
	s_and_saveexec_b32 s17, s9
	s_cbranch_execnz .LBB262_218
.LBB262_155:
	s_or_b32 exec_lo, exec_lo, s17
	s_and_saveexec_b32 s17, s8
	s_cbranch_execnz .LBB262_219
.LBB262_156:
	s_or_b32 exec_lo, exec_lo, s17
	s_and_saveexec_b32 s17, s7
	s_cbranch_execnz .LBB262_220
.LBB262_157:
	s_or_b32 exec_lo, exec_lo, s17
	s_and_saveexec_b32 s17, s6
	s_cbranch_execnz .LBB262_221
.LBB262_158:
	s_or_b32 exec_lo, exec_lo, s17
	s_and_saveexec_b32 s17, s5
	s_cbranch_execnz .LBB262_222
.LBB262_159:
	s_or_b32 exec_lo, exec_lo, s17
	s_and_saveexec_b32 s17, s4
	s_cbranch_execnz .LBB262_223
.LBB262_160:
	s_or_b32 exec_lo, exec_lo, s17
	s_and_saveexec_b32 s17, s3
	s_cbranch_execnz .LBB262_224
.LBB262_161:
	s_or_b32 exec_lo, exec_lo, s17
	s_and_saveexec_b32 s17, s1
	s_cbranch_execz .LBB262_163
.LBB262_162:
	v_sub_nc_u32_e32 v3, v28, v18
	v_readfirstlane_b32 s18, v52
	v_readfirstlane_b32 s19, v53
	global_store_d16_hi_b8 v3, v12, s[18:19]
.LBB262_163:
	s_wait_xcnt 0x0
	s_or_b32 exec_lo, exec_lo, s17
	s_delay_alu instid0(SALU_CYCLE_1)
	s_and_b32 s17, s0, exec_lo
	s_and_not1_saveexec_b32 s15, s15
	s_cbranch_execz .LBB262_104
.LBB262_164:
	v_dual_sub_nc_u32 v3, v44, v18 :: v_dual_sub_nc_u32 v5, v46, v18
	v_readfirstlane_b32 s18, v52
	v_readfirstlane_b32 s19, v53
	v_sub_nc_u32_e32 v4, v48, v18
	s_clause 0x2
	global_store_b8 v3, v1, s[18:19]
	global_store_b8 v4, v13, s[18:19]
	;; [unrolled: 1-line block ×3, first 2 shown]
	s_wait_xcnt 0x2
	v_sub_nc_u32_e32 v3, v42, v18
	s_wait_xcnt 0x1
	v_dual_lshrrev_b32 v4, 8, v10 :: v_dual_lshrrev_b32 v7, 24, v10
	s_wait_xcnt 0x0
	v_dual_sub_nc_u32 v5, v38, v18 :: v_dual_sub_nc_u32 v6, v32, v18
	v_dual_sub_nc_u32 v8, v34, v18 :: v_dual_sub_nc_u32 v9, v40, v18
	v_lshrrev_b32_e32 v14, 8, v11
	s_clause 0x4
	global_store_b8 v3, v4, s[18:19]
	global_store_d16_hi_b8 v5, v10, s[18:19]
	global_store_b8 v6, v7, s[18:19]
	global_store_b8 v8, v11, s[18:19]
	;; [unrolled: 1-line block ×3, first 2 shown]
	s_wait_xcnt 0x4
	v_dual_sub_nc_u32 v3, v24, v18 :: v_dual_sub_nc_u32 v4, v26, v18
	s_wait_xcnt 0x1
	v_dual_lshrrev_b32 v5, 24, v11 :: v_dual_lshrrev_b32 v8, 8, v12
	v_dual_sub_nc_u32 v6, v30, v18 :: v_dual_sub_nc_u32 v7, v36, v18
	global_store_d16_hi_b8 v3, v11, s[18:19]
	s_wait_xcnt 0x0
	v_sub_nc_u32_e32 v3, v28, v18
	s_or_b32 s17, s17, exec_lo
	s_clause 0x3
	global_store_b8 v4, v5, s[18:19]
	global_store_b8 v6, v12, s[18:19]
	;; [unrolled: 1-line block ×3, first 2 shown]
	global_store_d16_hi_b8 v3, v12, s[18:19]
	s_wait_xcnt 0x0
	s_or_b32 exec_lo, exec_lo, s15
	s_delay_alu instid0(SALU_CYCLE_1)
	s_and_b32 exec_lo, exec_lo, s17
	s_cbranch_execnz .LBB262_105
	s_branch .LBB262_106
.LBB262_165:
	s_and_saveexec_b32 s17, s14
	s_cbranch_execnz .LBB262_225
; %bb.166:
	s_or_b32 exec_lo, exec_lo, s17
	s_and_saveexec_b32 s14, s13
	s_cbranch_execnz .LBB262_226
.LBB262_167:
	s_or_b32 exec_lo, exec_lo, s14
	s_and_saveexec_b32 s13, s12
	s_cbranch_execnz .LBB262_227
.LBB262_168:
	s_or_b32 exec_lo, exec_lo, s13
	s_and_saveexec_b32 s12, s11
	s_cbranch_execnz .LBB262_228
.LBB262_169:
	s_or_b32 exec_lo, exec_lo, s12
	s_and_saveexec_b32 s11, s10
	s_cbranch_execnz .LBB262_229
.LBB262_170:
	s_or_b32 exec_lo, exec_lo, s11
	s_and_saveexec_b32 s10, s9
	s_cbranch_execnz .LBB262_230
.LBB262_171:
	s_or_b32 exec_lo, exec_lo, s10
	s_and_saveexec_b32 s9, s8
	s_cbranch_execnz .LBB262_231
.LBB262_172:
	s_or_b32 exec_lo, exec_lo, s9
	s_and_saveexec_b32 s8, s7
	s_cbranch_execnz .LBB262_232
.LBB262_173:
	s_or_b32 exec_lo, exec_lo, s8
	s_and_saveexec_b32 s7, s6
	s_cbranch_execnz .LBB262_233
.LBB262_174:
	s_or_b32 exec_lo, exec_lo, s7
	s_and_saveexec_b32 s6, s5
	s_cbranch_execnz .LBB262_234
.LBB262_175:
	s_or_b32 exec_lo, exec_lo, s6
	s_and_saveexec_b32 s5, s4
	s_cbranch_execnz .LBB262_235
.LBB262_176:
	s_or_b32 exec_lo, exec_lo, s5
	s_and_saveexec_b32 s4, s3
	s_cbranch_execnz .LBB262_236
.LBB262_177:
	s_or_b32 exec_lo, exec_lo, s4
	s_and_saveexec_b32 s3, s1
.LBB262_178:
	v_sub_nc_u32_e32 v1, v28, v18
	ds_store_b8_d16_hi v1, v12
.LBB262_179:
	s_or_b32 exec_lo, exec_lo, s3
	s_delay_alu instid0(SALU_CYCLE_1)
	s_and_b32 s17, s0, exec_lo
                                        ; implicit-def: $vgpr1
                                        ; implicit-def: $vgpr13
	s_and_not1_saveexec_b32 s0, s16
	s_cbranch_execz .LBB262_111
.LBB262_180:
	v_dual_sub_nc_u32 v2, v44, v18 :: v_dual_sub_nc_u32 v4, v46, v18
	v_dual_sub_nc_u32 v3, v48, v18 :: v_dual_sub_nc_u32 v6, v34, v18
	v_sub_nc_u32_e32 v7, v40, v18
	ds_store_b8 v2, v1
	ds_store_b8 v3, v13
	;; [unrolled: 1-line block ×3, first 2 shown]
	v_sub_nc_u32_e32 v1, v42, v18
	v_dual_lshrrev_b32 v2, 8, v10 :: v_dual_lshrrev_b32 v5, 24, v10
	v_dual_sub_nc_u32 v3, v38, v18 :: v_dual_sub_nc_u32 v4, v32, v18
	v_lshrrev_b32_e32 v8, 8, v11
	ds_store_b8 v1, v2
	ds_store_b8_d16_hi v3, v10
	ds_store_b8 v4, v5
	ds_store_b8 v6, v11
	;; [unrolled: 1-line block ×3, first 2 shown]
	v_dual_sub_nc_u32 v1, v24, v18 :: v_dual_sub_nc_u32 v2, v26, v18
	v_dual_lshrrev_b32 v3, 24, v11 :: v_dual_lshrrev_b32 v6, 8, v12
	v_dual_sub_nc_u32 v4, v30, v18 :: v_dual_sub_nc_u32 v5, v36, v18
	ds_store_b8_d16_hi v1, v11
	v_sub_nc_u32_e32 v1, v28, v18
	s_or_b32 s17, s17, exec_lo
	ds_store_b8 v2, v3
	ds_store_b8 v4, v12
	;; [unrolled: 1-line block ×3, first 2 shown]
	ds_store_b8_d16_hi v1, v12
	s_or_b32 exec_lo, exec_lo, s0
	s_delay_alu instid0(SALU_CYCLE_1)
	s_and_b32 exec_lo, exec_lo, s17
	s_cbranch_execnz .LBB262_112
	s_branch .LBB262_113
.LBB262_181:
	s_and_saveexec_b32 s16, s13
	s_cbranch_execnz .LBB262_237
; %bb.182:
	s_or_b32 exec_lo, exec_lo, s16
	s_and_saveexec_b32 s16, s12
	s_cbranch_execnz .LBB262_238
.LBB262_183:
	s_or_b32 exec_lo, exec_lo, s16
	s_and_saveexec_b32 s16, s11
	s_cbranch_execnz .LBB262_239
.LBB262_184:
	s_or_b32 exec_lo, exec_lo, s16
	s_and_saveexec_b32 s16, s10
	s_cbranch_execnz .LBB262_240
.LBB262_185:
	s_or_b32 exec_lo, exec_lo, s16
	s_and_saveexec_b32 s16, s9
	s_cbranch_execnz .LBB262_241
.LBB262_186:
	s_or_b32 exec_lo, exec_lo, s16
	s_and_saveexec_b32 s16, s8
	s_cbranch_execnz .LBB262_242
.LBB262_187:
	s_or_b32 exec_lo, exec_lo, s16
	s_and_saveexec_b32 s16, s7
	s_cbranch_execnz .LBB262_243
.LBB262_188:
	s_or_b32 exec_lo, exec_lo, s16
	s_and_saveexec_b32 s16, s6
	s_cbranch_execnz .LBB262_244
.LBB262_189:
	s_or_b32 exec_lo, exec_lo, s16
	s_and_saveexec_b32 s16, s5
	s_cbranch_execnz .LBB262_245
.LBB262_190:
	s_or_b32 exec_lo, exec_lo, s16
	s_and_saveexec_b32 s16, s4
	s_cbranch_execnz .LBB262_246
.LBB262_191:
	s_or_b32 exec_lo, exec_lo, s16
	s_and_saveexec_b32 s16, s3
	s_cbranch_execnz .LBB262_247
.LBB262_192:
	s_or_b32 exec_lo, exec_lo, s16
	s_and_saveexec_b32 s16, s2
	s_cbranch_execnz .LBB262_248
.LBB262_193:
	s_or_b32 exec_lo, exec_lo, s16
	s_and_saveexec_b32 s16, s1
	s_cbranch_execz .LBB262_195
.LBB262_194:
	v_dual_mov_b32 v9, 0 :: v_dual_sub_nc_u32 v10, v28, v6
	v_mov_b32_e32 v8, v29
	v_readfirstlane_b32 s18, v4
	v_readfirstlane_b32 s19, v5
	global_store_b64 v10, v[8:9], s[18:19] scale_offset
.LBB262_195:
	s_wait_xcnt 0x0
	s_or_b32 exec_lo, exec_lo, s16
	s_delay_alu instid0(SALU_CYCLE_1)
	s_and_b32 s16, s0, exec_lo
	s_and_not1_saveexec_b32 s14, s14
	s_cbranch_execz .LBB262_135
.LBB262_196:
	v_dual_mov_b32 v9, 0 :: v_dual_mov_b32 v8, v45
	v_sub_nc_u32_e32 v10, v44, v6
	v_readfirstlane_b32 s18, v4
	v_readfirstlane_b32 s19, v5
	v_sub_nc_u32_e32 v11, v46, v6
	s_or_b32 s16, s16, exec_lo
	global_store_b64 v10, v[8:9], s[18:19] scale_offset
	s_wait_xcnt 0x0
	v_dual_sub_nc_u32 v10, v48, v6 :: v_dual_mov_b32 v8, v49
	global_store_b64 v10, v[8:9], s[18:19] scale_offset
	s_wait_xcnt 0x0
	v_dual_mov_b32 v8, v47 :: v_dual_sub_nc_u32 v10, v42, v6
	global_store_b64 v11, v[8:9], s[18:19] scale_offset
	s_wait_xcnt 0x0
	v_dual_mov_b32 v8, v43 :: v_dual_sub_nc_u32 v11, v38, v6
	;; [unrolled: 3-line block ×9, first 2 shown]
	global_store_b64 v11, v[8:9], s[18:19] scale_offset
	s_wait_xcnt 0x0
	v_mov_b32_e32 v8, v37
	global_store_b64 v10, v[8:9], s[18:19] scale_offset
	s_wait_xcnt 0x0
	v_dual_mov_b32 v8, v29 :: v_dual_sub_nc_u32 v10, v28, v6
	global_store_b64 v10, v[8:9], s[18:19] scale_offset
	s_wait_xcnt 0x0
	s_or_b32 exec_lo, exec_lo, s14
	s_delay_alu instid0(SALU_CYCLE_1)
	s_and_b32 exec_lo, exec_lo, s16
	s_cbranch_execnz .LBB262_136
	s_branch .LBB262_137
.LBB262_197:
	s_and_saveexec_b32 s16, s13
	s_cbranch_execnz .LBB262_249
; %bb.198:
	s_or_b32 exec_lo, exec_lo, s16
	s_and_saveexec_b32 s13, s12
	s_cbranch_execnz .LBB262_250
.LBB262_199:
	s_or_b32 exec_lo, exec_lo, s13
	s_and_saveexec_b32 s12, s11
	s_cbranch_execnz .LBB262_251
.LBB262_200:
	s_or_b32 exec_lo, exec_lo, s12
	s_and_saveexec_b32 s11, s10
	s_cbranch_execnz .LBB262_252
.LBB262_201:
	s_or_b32 exec_lo, exec_lo, s11
	s_and_saveexec_b32 s10, s9
	s_cbranch_execnz .LBB262_253
.LBB262_202:
	s_or_b32 exec_lo, exec_lo, s10
	s_and_saveexec_b32 s9, s8
	s_cbranch_execnz .LBB262_254
.LBB262_203:
	s_or_b32 exec_lo, exec_lo, s9
	s_and_saveexec_b32 s8, s7
	s_cbranch_execnz .LBB262_255
.LBB262_204:
	s_or_b32 exec_lo, exec_lo, s8
	s_and_saveexec_b32 s7, s6
	s_cbranch_execnz .LBB262_256
.LBB262_205:
	s_or_b32 exec_lo, exec_lo, s7
	s_and_saveexec_b32 s6, s5
	s_cbranch_execnz .LBB262_257
.LBB262_206:
	s_or_b32 exec_lo, exec_lo, s6
	s_and_saveexec_b32 s5, s4
	s_cbranch_execnz .LBB262_258
.LBB262_207:
	s_or_b32 exec_lo, exec_lo, s5
	s_and_saveexec_b32 s4, s3
	s_cbranch_execnz .LBB262_259
.LBB262_208:
	s_or_b32 exec_lo, exec_lo, s4
	s_and_saveexec_b32 s3, s2
	s_cbranch_execnz .LBB262_260
.LBB262_209:
	s_or_b32 exec_lo, exec_lo, s3
	s_and_saveexec_b32 s2, s1
.LBB262_210:
	v_sub_nc_u32_e32 v7, v28, v6
	s_delay_alu instid0(VALU_DEP_1)
	v_lshlrev_b32_e32 v7, 2, v7
	ds_store_b32 v7, v29
.LBB262_211:
	s_or_b32 exec_lo, exec_lo, s2
	s_delay_alu instid0(SALU_CYCLE_1)
	s_and_b32 s16, s0, exec_lo
                                        ; implicit-def: $vgpr28_vgpr29
                                        ; implicit-def: $vgpr36_vgpr37
                                        ; implicit-def: $vgpr30_vgpr31
                                        ; implicit-def: $vgpr44_vgpr45
                                        ; implicit-def: $vgpr48_vgpr49
                                        ; implicit-def: $vgpr46_vgpr47
                                        ; implicit-def: $vgpr42_vgpr43
                                        ; implicit-def: $vgpr38_vgpr39
                                        ; implicit-def: $vgpr32_vgpr33
                                        ; implicit-def: $vgpr34_vgpr35
                                        ; implicit-def: $vgpr40_vgpr41
                                        ; implicit-def: $vgpr24_vgpr25
                                        ; implicit-def: $vgpr26_vgpr27
	s_and_not1_saveexec_b32 s0, s15
	s_cbranch_execz .LBB262_141
.LBB262_212:
	v_dual_sub_nc_u32 v7, v44, v6 :: v_dual_sub_nc_u32 v9, v46, v6
	v_dual_sub_nc_u32 v8, v48, v6 :: v_dual_sub_nc_u32 v10, v42, v6
	s_delay_alu instid0(VALU_DEP_2) | instskip(NEXT) | instid1(VALU_DEP_2)
	v_dual_sub_nc_u32 v11, v38, v6 :: v_dual_lshlrev_b32 v7, 2, v7
	v_dual_lshlrev_b32 v9, 2, v9 :: v_dual_lshlrev_b32 v8, 2, v8
	s_or_b32 s16, s16, exec_lo
	ds_store_b32 v7, v45
	ds_store_b32 v8, v49
	ds_store_b32 v9, v47
	v_sub_nc_u32_e32 v7, v32, v6
	v_lshlrev_b32_e32 v9, 2, v10
	v_dual_sub_nc_u32 v10, v40, v6 :: v_dual_sub_nc_u32 v8, v34, v6
	v_lshlrev_b32_e32 v11, 2, v11
	s_delay_alu instid0(VALU_DEP_4)
	v_lshlrev_b32_e32 v7, 2, v7
	ds_store_b32 v9, v43
	v_dual_lshlrev_b32 v9, 2, v10 :: v_dual_lshlrev_b32 v8, 2, v8
	ds_store_b32 v11, v39
	ds_store_b32 v7, v33
	;; [unrolled: 1-line block ×3, first 2 shown]
	v_dual_sub_nc_u32 v7, v24, v6 :: v_dual_sub_nc_u32 v8, v26, v6
	ds_store_b32 v9, v41
	v_dual_sub_nc_u32 v9, v30, v6 :: v_dual_sub_nc_u32 v10, v36, v6
	v_dual_lshlrev_b32 v7, 2, v7 :: v_dual_sub_nc_u32 v11, v28, v6
	s_delay_alu instid0(VALU_DEP_2) | instskip(NEXT) | instid1(VALU_DEP_3)
	v_dual_lshlrev_b32 v8, 2, v8 :: v_dual_lshlrev_b32 v9, 2, v9
	v_lshlrev_b32_e32 v10, 2, v10
	ds_store_b32 v7, v25
	v_lshlrev_b32_e32 v7, 2, v11
	ds_store_b32 v8, v27
	ds_store_b32 v9, v31
	;; [unrolled: 1-line block ×4, first 2 shown]
	s_or_b32 exec_lo, exec_lo, s0
	s_delay_alu instid0(SALU_CYCLE_1)
	s_and_b32 exec_lo, exec_lo, s16
	s_cbranch_execnz .LBB262_142
	s_branch .LBB262_143
.LBB262_213:
	v_sub_nc_u32_e32 v3, v44, v18
	v_readfirstlane_b32 s18, v52
	v_readfirstlane_b32 s19, v53
	global_store_b8 v3, v1, s[18:19]
	s_wait_xcnt 0x0
	s_or_b32 exec_lo, exec_lo, s17
	s_and_saveexec_b32 s17, s13
	s_cbranch_execz .LBB262_151
.LBB262_214:
	v_sub_nc_u32_e32 v3, v48, v18
	v_readfirstlane_b32 s18, v52
	v_readfirstlane_b32 s19, v53
	global_store_b8 v3, v13, s[18:19]
	s_wait_xcnt 0x0
	s_or_b32 exec_lo, exec_lo, s17
	s_and_saveexec_b32 s17, s12
	s_cbranch_execz .LBB262_152
.LBB262_215:
	v_sub_nc_u32_e32 v3, v46, v18
	v_readfirstlane_b32 s18, v52
	v_readfirstlane_b32 s19, v53
	global_store_b8 v3, v10, s[18:19]
	s_wait_xcnt 0x0
	s_or_b32 exec_lo, exec_lo, s17
	s_and_saveexec_b32 s17, s11
	s_cbranch_execz .LBB262_153
.LBB262_216:
	v_sub_nc_u32_e32 v3, v42, v18
	v_lshrrev_b32_e32 v4, 8, v10
	v_readfirstlane_b32 s18, v52
	v_readfirstlane_b32 s19, v53
	global_store_b8 v3, v4, s[18:19]
	s_wait_xcnt 0x0
	s_or_b32 exec_lo, exec_lo, s17
	s_and_saveexec_b32 s17, s10
	s_cbranch_execz .LBB262_154
.LBB262_217:
	v_sub_nc_u32_e32 v3, v38, v18
	v_readfirstlane_b32 s18, v52
	v_readfirstlane_b32 s19, v53
	global_store_d16_hi_b8 v3, v10, s[18:19]
	s_wait_xcnt 0x0
	s_or_b32 exec_lo, exec_lo, s17
	s_and_saveexec_b32 s17, s9
	s_cbranch_execz .LBB262_155
.LBB262_218:
	v_sub_nc_u32_e32 v3, v32, v18
	v_lshrrev_b32_e32 v4, 24, v10
	v_readfirstlane_b32 s18, v52
	v_readfirstlane_b32 s19, v53
	global_store_b8 v3, v4, s[18:19]
	s_wait_xcnt 0x0
	s_or_b32 exec_lo, exec_lo, s17
	s_and_saveexec_b32 s17, s8
	s_cbranch_execz .LBB262_156
.LBB262_219:
	v_sub_nc_u32_e32 v3, v34, v18
	v_readfirstlane_b32 s18, v52
	v_readfirstlane_b32 s19, v53
	global_store_b8 v3, v11, s[18:19]
	s_wait_xcnt 0x0
	s_or_b32 exec_lo, exec_lo, s17
	s_and_saveexec_b32 s17, s7
	s_cbranch_execz .LBB262_157
.LBB262_220:
	v_dual_sub_nc_u32 v3, v40, v18 :: v_dual_lshrrev_b32 v4, 8, v11
	v_readfirstlane_b32 s18, v52
	v_readfirstlane_b32 s19, v53
	global_store_b8 v3, v4, s[18:19]
	s_wait_xcnt 0x0
	s_or_b32 exec_lo, exec_lo, s17
	s_and_saveexec_b32 s17, s6
	s_cbranch_execz .LBB262_158
.LBB262_221:
	v_sub_nc_u32_e32 v3, v24, v18
	v_readfirstlane_b32 s18, v52
	v_readfirstlane_b32 s19, v53
	global_store_d16_hi_b8 v3, v11, s[18:19]
	s_wait_xcnt 0x0
	s_or_b32 exec_lo, exec_lo, s17
	s_and_saveexec_b32 s17, s5
	s_cbranch_execz .LBB262_159
.LBB262_222:
	v_dual_sub_nc_u32 v3, v26, v18 :: v_dual_lshrrev_b32 v4, 24, v11
	v_readfirstlane_b32 s18, v52
	v_readfirstlane_b32 s19, v53
	global_store_b8 v3, v4, s[18:19]
	s_wait_xcnt 0x0
	s_or_b32 exec_lo, exec_lo, s17
	s_and_saveexec_b32 s17, s4
	s_cbranch_execz .LBB262_160
.LBB262_223:
	v_sub_nc_u32_e32 v3, v30, v18
	v_readfirstlane_b32 s18, v52
	v_readfirstlane_b32 s19, v53
	global_store_b8 v3, v12, s[18:19]
	s_wait_xcnt 0x0
	s_or_b32 exec_lo, exec_lo, s17
	s_and_saveexec_b32 s17, s3
	s_cbranch_execz .LBB262_161
.LBB262_224:
	v_dual_sub_nc_u32 v3, v36, v18 :: v_dual_lshrrev_b32 v4, 8, v12
	v_readfirstlane_b32 s18, v52
	v_readfirstlane_b32 s19, v53
	global_store_b8 v3, v4, s[18:19]
	s_wait_xcnt 0x0
	s_or_b32 exec_lo, exec_lo, s17
	s_and_saveexec_b32 s17, s1
	s_cbranch_execnz .LBB262_162
	s_branch .LBB262_163
.LBB262_225:
	v_sub_nc_u32_e32 v2, v44, v18
	ds_store_b8 v2, v1
	s_or_b32 exec_lo, exec_lo, s17
	s_and_saveexec_b32 s14, s13
	s_cbranch_execz .LBB262_167
.LBB262_226:
	v_sub_nc_u32_e32 v1, v48, v18
	ds_store_b8 v1, v13
	s_or_b32 exec_lo, exec_lo, s14
	s_and_saveexec_b32 s13, s12
	s_cbranch_execz .LBB262_168
.LBB262_227:
	v_sub_nc_u32_e32 v1, v46, v18
	ds_store_b8 v1, v10
	s_or_b32 exec_lo, exec_lo, s13
	s_and_saveexec_b32 s12, s11
	s_cbranch_execz .LBB262_169
.LBB262_228:
	v_sub_nc_u32_e32 v1, v42, v18
	v_lshrrev_b32_e32 v2, 8, v10
	ds_store_b8 v1, v2
	s_or_b32 exec_lo, exec_lo, s12
	s_and_saveexec_b32 s11, s10
	s_cbranch_execz .LBB262_170
.LBB262_229:
	v_sub_nc_u32_e32 v1, v38, v18
	ds_store_b8_d16_hi v1, v10
	s_or_b32 exec_lo, exec_lo, s11
	s_and_saveexec_b32 s10, s9
	s_cbranch_execz .LBB262_171
.LBB262_230:
	v_sub_nc_u32_e32 v1, v32, v18
	v_lshrrev_b32_e32 v2, 24, v10
	ds_store_b8 v1, v2
	s_or_b32 exec_lo, exec_lo, s10
	s_and_saveexec_b32 s9, s8
	s_cbranch_execz .LBB262_172
.LBB262_231:
	v_sub_nc_u32_e32 v1, v34, v18
	ds_store_b8 v1, v11
	s_or_b32 exec_lo, exec_lo, s9
	s_and_saveexec_b32 s8, s7
	s_cbranch_execz .LBB262_173
.LBB262_232:
	v_dual_sub_nc_u32 v1, v40, v18 :: v_dual_lshrrev_b32 v2, 8, v11
	ds_store_b8 v1, v2
	s_or_b32 exec_lo, exec_lo, s8
	s_and_saveexec_b32 s7, s6
	s_cbranch_execz .LBB262_174
.LBB262_233:
	v_sub_nc_u32_e32 v1, v24, v18
	ds_store_b8_d16_hi v1, v11
	s_or_b32 exec_lo, exec_lo, s7
	s_and_saveexec_b32 s6, s5
	s_cbranch_execz .LBB262_175
.LBB262_234:
	v_dual_sub_nc_u32 v1, v26, v18 :: v_dual_lshrrev_b32 v2, 24, v11
	ds_store_b8 v1, v2
	s_or_b32 exec_lo, exec_lo, s6
	s_and_saveexec_b32 s5, s4
	s_cbranch_execz .LBB262_176
.LBB262_235:
	v_sub_nc_u32_e32 v1, v30, v18
	ds_store_b8 v1, v12
	s_or_b32 exec_lo, exec_lo, s5
	s_and_saveexec_b32 s4, s3
	s_cbranch_execz .LBB262_177
.LBB262_236:
	v_dual_sub_nc_u32 v1, v36, v18 :: v_dual_lshrrev_b32 v2, 8, v12
	ds_store_b8 v1, v2
	s_or_b32 exec_lo, exec_lo, s4
	s_and_saveexec_b32 s3, s1
	s_cbranch_execnz .LBB262_178
	s_branch .LBB262_179
.LBB262_237:
	v_dual_mov_b32 v9, 0 :: v_dual_sub_nc_u32 v10, v44, v6
	v_mov_b32_e32 v8, v45
	v_readfirstlane_b32 s18, v4
	v_readfirstlane_b32 s19, v5
	global_store_b64 v10, v[8:9], s[18:19] scale_offset
	s_wait_xcnt 0x0
	s_or_b32 exec_lo, exec_lo, s16
	s_and_saveexec_b32 s16, s12
	s_cbranch_execz .LBB262_183
.LBB262_238:
	v_dual_mov_b32 v9, 0 :: v_dual_sub_nc_u32 v10, v48, v6
	v_mov_b32_e32 v8, v49
	v_readfirstlane_b32 s18, v4
	v_readfirstlane_b32 s19, v5
	global_store_b64 v10, v[8:9], s[18:19] scale_offset
	s_wait_xcnt 0x0
	s_or_b32 exec_lo, exec_lo, s16
	s_and_saveexec_b32 s16, s11
	s_cbranch_execz .LBB262_184
.LBB262_239:
	v_dual_mov_b32 v9, 0 :: v_dual_sub_nc_u32 v10, v46, v6
	v_mov_b32_e32 v8, v47
	v_readfirstlane_b32 s18, v4
	v_readfirstlane_b32 s19, v5
	global_store_b64 v10, v[8:9], s[18:19] scale_offset
	s_wait_xcnt 0x0
	s_or_b32 exec_lo, exec_lo, s16
	s_and_saveexec_b32 s16, s10
	s_cbranch_execz .LBB262_185
.LBB262_240:
	v_dual_mov_b32 v9, 0 :: v_dual_sub_nc_u32 v10, v42, v6
	v_mov_b32_e32 v8, v43
	v_readfirstlane_b32 s18, v4
	v_readfirstlane_b32 s19, v5
	global_store_b64 v10, v[8:9], s[18:19] scale_offset
	s_wait_xcnt 0x0
	s_or_b32 exec_lo, exec_lo, s16
	s_and_saveexec_b32 s16, s9
	s_cbranch_execz .LBB262_186
.LBB262_241:
	v_dual_mov_b32 v9, 0 :: v_dual_sub_nc_u32 v10, v38, v6
	v_mov_b32_e32 v8, v39
	v_readfirstlane_b32 s18, v4
	v_readfirstlane_b32 s19, v5
	global_store_b64 v10, v[8:9], s[18:19] scale_offset
	s_wait_xcnt 0x0
	s_or_b32 exec_lo, exec_lo, s16
	s_and_saveexec_b32 s16, s8
	s_cbranch_execz .LBB262_187
.LBB262_242:
	v_dual_mov_b32 v9, 0 :: v_dual_sub_nc_u32 v10, v32, v6
	v_mov_b32_e32 v8, v33
	v_readfirstlane_b32 s18, v4
	v_readfirstlane_b32 s19, v5
	global_store_b64 v10, v[8:9], s[18:19] scale_offset
	s_wait_xcnt 0x0
	s_or_b32 exec_lo, exec_lo, s16
	s_and_saveexec_b32 s16, s7
	s_cbranch_execz .LBB262_188
.LBB262_243:
	v_dual_mov_b32 v9, 0 :: v_dual_sub_nc_u32 v10, v34, v6
	v_mov_b32_e32 v8, v35
	v_readfirstlane_b32 s18, v4
	v_readfirstlane_b32 s19, v5
	global_store_b64 v10, v[8:9], s[18:19] scale_offset
	s_wait_xcnt 0x0
	s_or_b32 exec_lo, exec_lo, s16
	s_and_saveexec_b32 s16, s6
	s_cbranch_execz .LBB262_189
.LBB262_244:
	v_dual_mov_b32 v9, 0 :: v_dual_sub_nc_u32 v10, v40, v6
	v_mov_b32_e32 v8, v41
	v_readfirstlane_b32 s18, v4
	v_readfirstlane_b32 s19, v5
	global_store_b64 v10, v[8:9], s[18:19] scale_offset
	s_wait_xcnt 0x0
	s_or_b32 exec_lo, exec_lo, s16
	s_and_saveexec_b32 s16, s5
	s_cbranch_execz .LBB262_190
.LBB262_245:
	v_dual_mov_b32 v9, 0 :: v_dual_sub_nc_u32 v10, v24, v6
	v_mov_b32_e32 v8, v25
	v_readfirstlane_b32 s18, v4
	v_readfirstlane_b32 s19, v5
	global_store_b64 v10, v[8:9], s[18:19] scale_offset
	s_wait_xcnt 0x0
	s_or_b32 exec_lo, exec_lo, s16
	s_and_saveexec_b32 s16, s4
	s_cbranch_execz .LBB262_191
.LBB262_246:
	v_dual_mov_b32 v9, 0 :: v_dual_sub_nc_u32 v10, v26, v6
	v_mov_b32_e32 v8, v27
	v_readfirstlane_b32 s18, v4
	v_readfirstlane_b32 s19, v5
	global_store_b64 v10, v[8:9], s[18:19] scale_offset
	s_wait_xcnt 0x0
	s_or_b32 exec_lo, exec_lo, s16
	s_and_saveexec_b32 s16, s3
	s_cbranch_execz .LBB262_192
.LBB262_247:
	v_dual_mov_b32 v9, 0 :: v_dual_sub_nc_u32 v10, v30, v6
	v_mov_b32_e32 v8, v31
	v_readfirstlane_b32 s18, v4
	v_readfirstlane_b32 s19, v5
	global_store_b64 v10, v[8:9], s[18:19] scale_offset
	s_wait_xcnt 0x0
	s_or_b32 exec_lo, exec_lo, s16
	s_and_saveexec_b32 s16, s2
	s_cbranch_execz .LBB262_193
.LBB262_248:
	v_dual_mov_b32 v9, 0 :: v_dual_sub_nc_u32 v10, v36, v6
	v_mov_b32_e32 v8, v37
	v_readfirstlane_b32 s18, v4
	v_readfirstlane_b32 s19, v5
	global_store_b64 v10, v[8:9], s[18:19] scale_offset
	s_wait_xcnt 0x0
	s_or_b32 exec_lo, exec_lo, s16
	s_and_saveexec_b32 s16, s1
	s_cbranch_execnz .LBB262_194
	s_branch .LBB262_195
.LBB262_249:
	v_sub_nc_u32_e32 v7, v44, v6
	s_delay_alu instid0(VALU_DEP_1)
	v_lshlrev_b32_e32 v7, 2, v7
	ds_store_b32 v7, v45
	s_or_b32 exec_lo, exec_lo, s16
	s_and_saveexec_b32 s13, s12
	s_cbranch_execz .LBB262_199
.LBB262_250:
	v_sub_nc_u32_e32 v7, v48, v6
	s_delay_alu instid0(VALU_DEP_1)
	v_lshlrev_b32_e32 v7, 2, v7
	ds_store_b32 v7, v49
	s_or_b32 exec_lo, exec_lo, s13
	s_and_saveexec_b32 s12, s11
	s_cbranch_execz .LBB262_200
.LBB262_251:
	v_sub_nc_u32_e32 v7, v46, v6
	s_delay_alu instid0(VALU_DEP_1)
	v_lshlrev_b32_e32 v7, 2, v7
	ds_store_b32 v7, v47
	s_or_b32 exec_lo, exec_lo, s12
	s_and_saveexec_b32 s11, s10
	s_cbranch_execz .LBB262_201
.LBB262_252:
	v_sub_nc_u32_e32 v7, v42, v6
	s_delay_alu instid0(VALU_DEP_1)
	v_lshlrev_b32_e32 v7, 2, v7
	ds_store_b32 v7, v43
	s_or_b32 exec_lo, exec_lo, s11
	s_and_saveexec_b32 s10, s9
	s_cbranch_execz .LBB262_202
.LBB262_253:
	v_sub_nc_u32_e32 v7, v38, v6
	s_delay_alu instid0(VALU_DEP_1)
	v_lshlrev_b32_e32 v7, 2, v7
	ds_store_b32 v7, v39
	s_or_b32 exec_lo, exec_lo, s10
	s_and_saveexec_b32 s9, s8
	s_cbranch_execz .LBB262_203
.LBB262_254:
	v_sub_nc_u32_e32 v7, v32, v6
	s_delay_alu instid0(VALU_DEP_1)
	v_lshlrev_b32_e32 v7, 2, v7
	ds_store_b32 v7, v33
	s_or_b32 exec_lo, exec_lo, s9
	s_and_saveexec_b32 s8, s7
	s_cbranch_execz .LBB262_204
.LBB262_255:
	v_sub_nc_u32_e32 v7, v34, v6
	s_delay_alu instid0(VALU_DEP_1)
	v_lshlrev_b32_e32 v7, 2, v7
	ds_store_b32 v7, v35
	s_or_b32 exec_lo, exec_lo, s8
	s_and_saveexec_b32 s7, s6
	s_cbranch_execz .LBB262_205
.LBB262_256:
	v_sub_nc_u32_e32 v7, v40, v6
	s_delay_alu instid0(VALU_DEP_1)
	v_lshlrev_b32_e32 v7, 2, v7
	ds_store_b32 v7, v41
	s_or_b32 exec_lo, exec_lo, s7
	s_and_saveexec_b32 s6, s5
	s_cbranch_execz .LBB262_206
.LBB262_257:
	v_sub_nc_u32_e32 v7, v24, v6
	s_delay_alu instid0(VALU_DEP_1)
	v_lshlrev_b32_e32 v7, 2, v7
	ds_store_b32 v7, v25
	s_or_b32 exec_lo, exec_lo, s6
	s_and_saveexec_b32 s5, s4
	s_cbranch_execz .LBB262_207
.LBB262_258:
	v_sub_nc_u32_e32 v7, v26, v6
	s_delay_alu instid0(VALU_DEP_1)
	v_lshlrev_b32_e32 v7, 2, v7
	ds_store_b32 v7, v27
	s_or_b32 exec_lo, exec_lo, s5
	s_and_saveexec_b32 s4, s3
	s_cbranch_execz .LBB262_208
.LBB262_259:
	v_sub_nc_u32_e32 v7, v30, v6
	s_delay_alu instid0(VALU_DEP_1)
	v_lshlrev_b32_e32 v7, 2, v7
	ds_store_b32 v7, v31
	s_or_b32 exec_lo, exec_lo, s4
	s_and_saveexec_b32 s3, s2
	s_cbranch_execz .LBB262_209
.LBB262_260:
	v_sub_nc_u32_e32 v7, v36, v6
	s_delay_alu instid0(VALU_DEP_1)
	v_lshlrev_b32_e32 v7, 2, v7
	ds_store_b32 v7, v37
	s_or_b32 exec_lo, exec_lo, s3
	s_and_saveexec_b32 s2, s1
	s_cbranch_execnz .LBB262_210
	s_branch .LBB262_211
	.section	.rodata,"a",@progbits
	.p2align	6, 0x0
	.amdhsa_kernel _ZN7rocprim17ROCPRIM_400000_NS6detail17trampoline_kernelINS0_14default_configENS1_33run_length_encode_config_selectorIajNS0_4plusIjEEEEZZNS1_33reduce_by_key_impl_wrapped_configILNS1_25lookback_scan_determinismE0ES3_S7_PKaNS0_17constant_iteratorIjlEEPaPlSF_S6_NS0_8equal_toIaEEEE10hipError_tPvRmT2_T3_mT4_T5_T6_T7_T8_P12ihipStream_tbENKUlT_T0_E_clISt17integral_constantIbLb0EESY_IbLb1EEEEDaSU_SV_EUlSU_E_NS1_11comp_targetILNS1_3genE0ELNS1_11target_archE4294967295ELNS1_3gpuE0ELNS1_3repE0EEENS1_30default_config_static_selectorELNS0_4arch9wavefront6targetE0EEEvT1_
		.amdhsa_group_segment_fixed_size 14336
		.amdhsa_private_segment_fixed_size 0
		.amdhsa_kernarg_size 128
		.amdhsa_user_sgpr_count 2
		.amdhsa_user_sgpr_dispatch_ptr 0
		.amdhsa_user_sgpr_queue_ptr 0
		.amdhsa_user_sgpr_kernarg_segment_ptr 1
		.amdhsa_user_sgpr_dispatch_id 0
		.amdhsa_user_sgpr_kernarg_preload_length 0
		.amdhsa_user_sgpr_kernarg_preload_offset 0
		.amdhsa_user_sgpr_private_segment_size 0
		.amdhsa_wavefront_size32 1
		.amdhsa_uses_dynamic_stack 0
		.amdhsa_enable_private_segment 0
		.amdhsa_system_sgpr_workgroup_id_x 1
		.amdhsa_system_sgpr_workgroup_id_y 0
		.amdhsa_system_sgpr_workgroup_id_z 0
		.amdhsa_system_sgpr_workgroup_info 0
		.amdhsa_system_vgpr_workitem_id 0
		.amdhsa_next_free_vgpr 104
		.amdhsa_next_free_sgpr 43
		.amdhsa_named_barrier_count 0
		.amdhsa_reserve_vcc 1
		.amdhsa_float_round_mode_32 0
		.amdhsa_float_round_mode_16_64 0
		.amdhsa_float_denorm_mode_32 3
		.amdhsa_float_denorm_mode_16_64 3
		.amdhsa_fp16_overflow 0
		.amdhsa_memory_ordered 1
		.amdhsa_forward_progress 1
		.amdhsa_inst_pref_size 125
		.amdhsa_round_robin_scheduling 0
		.amdhsa_exception_fp_ieee_invalid_op 0
		.amdhsa_exception_fp_denorm_src 0
		.amdhsa_exception_fp_ieee_div_zero 0
		.amdhsa_exception_fp_ieee_overflow 0
		.amdhsa_exception_fp_ieee_underflow 0
		.amdhsa_exception_fp_ieee_inexact 0
		.amdhsa_exception_int_div_zero 0
	.end_amdhsa_kernel
	.section	.text._ZN7rocprim17ROCPRIM_400000_NS6detail17trampoline_kernelINS0_14default_configENS1_33run_length_encode_config_selectorIajNS0_4plusIjEEEEZZNS1_33reduce_by_key_impl_wrapped_configILNS1_25lookback_scan_determinismE0ES3_S7_PKaNS0_17constant_iteratorIjlEEPaPlSF_S6_NS0_8equal_toIaEEEE10hipError_tPvRmT2_T3_mT4_T5_T6_T7_T8_P12ihipStream_tbENKUlT_T0_E_clISt17integral_constantIbLb0EESY_IbLb1EEEEDaSU_SV_EUlSU_E_NS1_11comp_targetILNS1_3genE0ELNS1_11target_archE4294967295ELNS1_3gpuE0ELNS1_3repE0EEENS1_30default_config_static_selectorELNS0_4arch9wavefront6targetE0EEEvT1_,"axG",@progbits,_ZN7rocprim17ROCPRIM_400000_NS6detail17trampoline_kernelINS0_14default_configENS1_33run_length_encode_config_selectorIajNS0_4plusIjEEEEZZNS1_33reduce_by_key_impl_wrapped_configILNS1_25lookback_scan_determinismE0ES3_S7_PKaNS0_17constant_iteratorIjlEEPaPlSF_S6_NS0_8equal_toIaEEEE10hipError_tPvRmT2_T3_mT4_T5_T6_T7_T8_P12ihipStream_tbENKUlT_T0_E_clISt17integral_constantIbLb0EESY_IbLb1EEEEDaSU_SV_EUlSU_E_NS1_11comp_targetILNS1_3genE0ELNS1_11target_archE4294967295ELNS1_3gpuE0ELNS1_3repE0EEENS1_30default_config_static_selectorELNS0_4arch9wavefront6targetE0EEEvT1_,comdat
.Lfunc_end262:
	.size	_ZN7rocprim17ROCPRIM_400000_NS6detail17trampoline_kernelINS0_14default_configENS1_33run_length_encode_config_selectorIajNS0_4plusIjEEEEZZNS1_33reduce_by_key_impl_wrapped_configILNS1_25lookback_scan_determinismE0ES3_S7_PKaNS0_17constant_iteratorIjlEEPaPlSF_S6_NS0_8equal_toIaEEEE10hipError_tPvRmT2_T3_mT4_T5_T6_T7_T8_P12ihipStream_tbENKUlT_T0_E_clISt17integral_constantIbLb0EESY_IbLb1EEEEDaSU_SV_EUlSU_E_NS1_11comp_targetILNS1_3genE0ELNS1_11target_archE4294967295ELNS1_3gpuE0ELNS1_3repE0EEENS1_30default_config_static_selectorELNS0_4arch9wavefront6targetE0EEEvT1_, .Lfunc_end262-_ZN7rocprim17ROCPRIM_400000_NS6detail17trampoline_kernelINS0_14default_configENS1_33run_length_encode_config_selectorIajNS0_4plusIjEEEEZZNS1_33reduce_by_key_impl_wrapped_configILNS1_25lookback_scan_determinismE0ES3_S7_PKaNS0_17constant_iteratorIjlEEPaPlSF_S6_NS0_8equal_toIaEEEE10hipError_tPvRmT2_T3_mT4_T5_T6_T7_T8_P12ihipStream_tbENKUlT_T0_E_clISt17integral_constantIbLb0EESY_IbLb1EEEEDaSU_SV_EUlSU_E_NS1_11comp_targetILNS1_3genE0ELNS1_11target_archE4294967295ELNS1_3gpuE0ELNS1_3repE0EEENS1_30default_config_static_selectorELNS0_4arch9wavefront6targetE0EEEvT1_
                                        ; -- End function
	.set _ZN7rocprim17ROCPRIM_400000_NS6detail17trampoline_kernelINS0_14default_configENS1_33run_length_encode_config_selectorIajNS0_4plusIjEEEEZZNS1_33reduce_by_key_impl_wrapped_configILNS1_25lookback_scan_determinismE0ES3_S7_PKaNS0_17constant_iteratorIjlEEPaPlSF_S6_NS0_8equal_toIaEEEE10hipError_tPvRmT2_T3_mT4_T5_T6_T7_T8_P12ihipStream_tbENKUlT_T0_E_clISt17integral_constantIbLb0EESY_IbLb1EEEEDaSU_SV_EUlSU_E_NS1_11comp_targetILNS1_3genE0ELNS1_11target_archE4294967295ELNS1_3gpuE0ELNS1_3repE0EEENS1_30default_config_static_selectorELNS0_4arch9wavefront6targetE0EEEvT1_.num_vgpr, 104
	.set _ZN7rocprim17ROCPRIM_400000_NS6detail17trampoline_kernelINS0_14default_configENS1_33run_length_encode_config_selectorIajNS0_4plusIjEEEEZZNS1_33reduce_by_key_impl_wrapped_configILNS1_25lookback_scan_determinismE0ES3_S7_PKaNS0_17constant_iteratorIjlEEPaPlSF_S6_NS0_8equal_toIaEEEE10hipError_tPvRmT2_T3_mT4_T5_T6_T7_T8_P12ihipStream_tbENKUlT_T0_E_clISt17integral_constantIbLb0EESY_IbLb1EEEEDaSU_SV_EUlSU_E_NS1_11comp_targetILNS1_3genE0ELNS1_11target_archE4294967295ELNS1_3gpuE0ELNS1_3repE0EEENS1_30default_config_static_selectorELNS0_4arch9wavefront6targetE0EEEvT1_.num_agpr, 0
	.set _ZN7rocprim17ROCPRIM_400000_NS6detail17trampoline_kernelINS0_14default_configENS1_33run_length_encode_config_selectorIajNS0_4plusIjEEEEZZNS1_33reduce_by_key_impl_wrapped_configILNS1_25lookback_scan_determinismE0ES3_S7_PKaNS0_17constant_iteratorIjlEEPaPlSF_S6_NS0_8equal_toIaEEEE10hipError_tPvRmT2_T3_mT4_T5_T6_T7_T8_P12ihipStream_tbENKUlT_T0_E_clISt17integral_constantIbLb0EESY_IbLb1EEEEDaSU_SV_EUlSU_E_NS1_11comp_targetILNS1_3genE0ELNS1_11target_archE4294967295ELNS1_3gpuE0ELNS1_3repE0EEENS1_30default_config_static_selectorELNS0_4arch9wavefront6targetE0EEEvT1_.numbered_sgpr, 43
	.set _ZN7rocprim17ROCPRIM_400000_NS6detail17trampoline_kernelINS0_14default_configENS1_33run_length_encode_config_selectorIajNS0_4plusIjEEEEZZNS1_33reduce_by_key_impl_wrapped_configILNS1_25lookback_scan_determinismE0ES3_S7_PKaNS0_17constant_iteratorIjlEEPaPlSF_S6_NS0_8equal_toIaEEEE10hipError_tPvRmT2_T3_mT4_T5_T6_T7_T8_P12ihipStream_tbENKUlT_T0_E_clISt17integral_constantIbLb0EESY_IbLb1EEEEDaSU_SV_EUlSU_E_NS1_11comp_targetILNS1_3genE0ELNS1_11target_archE4294967295ELNS1_3gpuE0ELNS1_3repE0EEENS1_30default_config_static_selectorELNS0_4arch9wavefront6targetE0EEEvT1_.num_named_barrier, 0
	.set _ZN7rocprim17ROCPRIM_400000_NS6detail17trampoline_kernelINS0_14default_configENS1_33run_length_encode_config_selectorIajNS0_4plusIjEEEEZZNS1_33reduce_by_key_impl_wrapped_configILNS1_25lookback_scan_determinismE0ES3_S7_PKaNS0_17constant_iteratorIjlEEPaPlSF_S6_NS0_8equal_toIaEEEE10hipError_tPvRmT2_T3_mT4_T5_T6_T7_T8_P12ihipStream_tbENKUlT_T0_E_clISt17integral_constantIbLb0EESY_IbLb1EEEEDaSU_SV_EUlSU_E_NS1_11comp_targetILNS1_3genE0ELNS1_11target_archE4294967295ELNS1_3gpuE0ELNS1_3repE0EEENS1_30default_config_static_selectorELNS0_4arch9wavefront6targetE0EEEvT1_.private_seg_size, 0
	.set _ZN7rocprim17ROCPRIM_400000_NS6detail17trampoline_kernelINS0_14default_configENS1_33run_length_encode_config_selectorIajNS0_4plusIjEEEEZZNS1_33reduce_by_key_impl_wrapped_configILNS1_25lookback_scan_determinismE0ES3_S7_PKaNS0_17constant_iteratorIjlEEPaPlSF_S6_NS0_8equal_toIaEEEE10hipError_tPvRmT2_T3_mT4_T5_T6_T7_T8_P12ihipStream_tbENKUlT_T0_E_clISt17integral_constantIbLb0EESY_IbLb1EEEEDaSU_SV_EUlSU_E_NS1_11comp_targetILNS1_3genE0ELNS1_11target_archE4294967295ELNS1_3gpuE0ELNS1_3repE0EEENS1_30default_config_static_selectorELNS0_4arch9wavefront6targetE0EEEvT1_.uses_vcc, 1
	.set _ZN7rocprim17ROCPRIM_400000_NS6detail17trampoline_kernelINS0_14default_configENS1_33run_length_encode_config_selectorIajNS0_4plusIjEEEEZZNS1_33reduce_by_key_impl_wrapped_configILNS1_25lookback_scan_determinismE0ES3_S7_PKaNS0_17constant_iteratorIjlEEPaPlSF_S6_NS0_8equal_toIaEEEE10hipError_tPvRmT2_T3_mT4_T5_T6_T7_T8_P12ihipStream_tbENKUlT_T0_E_clISt17integral_constantIbLb0EESY_IbLb1EEEEDaSU_SV_EUlSU_E_NS1_11comp_targetILNS1_3genE0ELNS1_11target_archE4294967295ELNS1_3gpuE0ELNS1_3repE0EEENS1_30default_config_static_selectorELNS0_4arch9wavefront6targetE0EEEvT1_.uses_flat_scratch, 0
	.set _ZN7rocprim17ROCPRIM_400000_NS6detail17trampoline_kernelINS0_14default_configENS1_33run_length_encode_config_selectorIajNS0_4plusIjEEEEZZNS1_33reduce_by_key_impl_wrapped_configILNS1_25lookback_scan_determinismE0ES3_S7_PKaNS0_17constant_iteratorIjlEEPaPlSF_S6_NS0_8equal_toIaEEEE10hipError_tPvRmT2_T3_mT4_T5_T6_T7_T8_P12ihipStream_tbENKUlT_T0_E_clISt17integral_constantIbLb0EESY_IbLb1EEEEDaSU_SV_EUlSU_E_NS1_11comp_targetILNS1_3genE0ELNS1_11target_archE4294967295ELNS1_3gpuE0ELNS1_3repE0EEENS1_30default_config_static_selectorELNS0_4arch9wavefront6targetE0EEEvT1_.has_dyn_sized_stack, 0
	.set _ZN7rocprim17ROCPRIM_400000_NS6detail17trampoline_kernelINS0_14default_configENS1_33run_length_encode_config_selectorIajNS0_4plusIjEEEEZZNS1_33reduce_by_key_impl_wrapped_configILNS1_25lookback_scan_determinismE0ES3_S7_PKaNS0_17constant_iteratorIjlEEPaPlSF_S6_NS0_8equal_toIaEEEE10hipError_tPvRmT2_T3_mT4_T5_T6_T7_T8_P12ihipStream_tbENKUlT_T0_E_clISt17integral_constantIbLb0EESY_IbLb1EEEEDaSU_SV_EUlSU_E_NS1_11comp_targetILNS1_3genE0ELNS1_11target_archE4294967295ELNS1_3gpuE0ELNS1_3repE0EEENS1_30default_config_static_selectorELNS0_4arch9wavefront6targetE0EEEvT1_.has_recursion, 0
	.set _ZN7rocprim17ROCPRIM_400000_NS6detail17trampoline_kernelINS0_14default_configENS1_33run_length_encode_config_selectorIajNS0_4plusIjEEEEZZNS1_33reduce_by_key_impl_wrapped_configILNS1_25lookback_scan_determinismE0ES3_S7_PKaNS0_17constant_iteratorIjlEEPaPlSF_S6_NS0_8equal_toIaEEEE10hipError_tPvRmT2_T3_mT4_T5_T6_T7_T8_P12ihipStream_tbENKUlT_T0_E_clISt17integral_constantIbLb0EESY_IbLb1EEEEDaSU_SV_EUlSU_E_NS1_11comp_targetILNS1_3genE0ELNS1_11target_archE4294967295ELNS1_3gpuE0ELNS1_3repE0EEENS1_30default_config_static_selectorELNS0_4arch9wavefront6targetE0EEEvT1_.has_indirect_call, 0
	.section	.AMDGPU.csdata,"",@progbits
; Kernel info:
; codeLenInByte = 15920
; TotalNumSgprs: 45
; NumVgprs: 104
; ScratchSize: 0
; MemoryBound: 0
; FloatMode: 240
; IeeeMode: 1
; LDSByteSize: 14336 bytes/workgroup (compile time only)
; SGPRBlocks: 0
; VGPRBlocks: 6
; NumSGPRsForWavesPerEU: 45
; NumVGPRsForWavesPerEU: 104
; NamedBarCnt: 0
; Occupancy: 9
; WaveLimiterHint : 1
; COMPUTE_PGM_RSRC2:SCRATCH_EN: 0
; COMPUTE_PGM_RSRC2:USER_SGPR: 2
; COMPUTE_PGM_RSRC2:TRAP_HANDLER: 0
; COMPUTE_PGM_RSRC2:TGID_X_EN: 1
; COMPUTE_PGM_RSRC2:TGID_Y_EN: 0
; COMPUTE_PGM_RSRC2:TGID_Z_EN: 0
; COMPUTE_PGM_RSRC2:TIDIG_COMP_CNT: 0
	.section	.text._ZN7rocprim17ROCPRIM_400000_NS6detail17trampoline_kernelINS0_14default_configENS1_33run_length_encode_config_selectorIajNS0_4plusIjEEEEZZNS1_33reduce_by_key_impl_wrapped_configILNS1_25lookback_scan_determinismE0ES3_S7_PKaNS0_17constant_iteratorIjlEEPaPlSF_S6_NS0_8equal_toIaEEEE10hipError_tPvRmT2_T3_mT4_T5_T6_T7_T8_P12ihipStream_tbENKUlT_T0_E_clISt17integral_constantIbLb0EESY_IbLb1EEEEDaSU_SV_EUlSU_E_NS1_11comp_targetILNS1_3genE5ELNS1_11target_archE942ELNS1_3gpuE9ELNS1_3repE0EEENS1_30default_config_static_selectorELNS0_4arch9wavefront6targetE0EEEvT1_,"axG",@progbits,_ZN7rocprim17ROCPRIM_400000_NS6detail17trampoline_kernelINS0_14default_configENS1_33run_length_encode_config_selectorIajNS0_4plusIjEEEEZZNS1_33reduce_by_key_impl_wrapped_configILNS1_25lookback_scan_determinismE0ES3_S7_PKaNS0_17constant_iteratorIjlEEPaPlSF_S6_NS0_8equal_toIaEEEE10hipError_tPvRmT2_T3_mT4_T5_T6_T7_T8_P12ihipStream_tbENKUlT_T0_E_clISt17integral_constantIbLb0EESY_IbLb1EEEEDaSU_SV_EUlSU_E_NS1_11comp_targetILNS1_3genE5ELNS1_11target_archE942ELNS1_3gpuE9ELNS1_3repE0EEENS1_30default_config_static_selectorELNS0_4arch9wavefront6targetE0EEEvT1_,comdat
	.protected	_ZN7rocprim17ROCPRIM_400000_NS6detail17trampoline_kernelINS0_14default_configENS1_33run_length_encode_config_selectorIajNS0_4plusIjEEEEZZNS1_33reduce_by_key_impl_wrapped_configILNS1_25lookback_scan_determinismE0ES3_S7_PKaNS0_17constant_iteratorIjlEEPaPlSF_S6_NS0_8equal_toIaEEEE10hipError_tPvRmT2_T3_mT4_T5_T6_T7_T8_P12ihipStream_tbENKUlT_T0_E_clISt17integral_constantIbLb0EESY_IbLb1EEEEDaSU_SV_EUlSU_E_NS1_11comp_targetILNS1_3genE5ELNS1_11target_archE942ELNS1_3gpuE9ELNS1_3repE0EEENS1_30default_config_static_selectorELNS0_4arch9wavefront6targetE0EEEvT1_ ; -- Begin function _ZN7rocprim17ROCPRIM_400000_NS6detail17trampoline_kernelINS0_14default_configENS1_33run_length_encode_config_selectorIajNS0_4plusIjEEEEZZNS1_33reduce_by_key_impl_wrapped_configILNS1_25lookback_scan_determinismE0ES3_S7_PKaNS0_17constant_iteratorIjlEEPaPlSF_S6_NS0_8equal_toIaEEEE10hipError_tPvRmT2_T3_mT4_T5_T6_T7_T8_P12ihipStream_tbENKUlT_T0_E_clISt17integral_constantIbLb0EESY_IbLb1EEEEDaSU_SV_EUlSU_E_NS1_11comp_targetILNS1_3genE5ELNS1_11target_archE942ELNS1_3gpuE9ELNS1_3repE0EEENS1_30default_config_static_selectorELNS0_4arch9wavefront6targetE0EEEvT1_
	.globl	_ZN7rocprim17ROCPRIM_400000_NS6detail17trampoline_kernelINS0_14default_configENS1_33run_length_encode_config_selectorIajNS0_4plusIjEEEEZZNS1_33reduce_by_key_impl_wrapped_configILNS1_25lookback_scan_determinismE0ES3_S7_PKaNS0_17constant_iteratorIjlEEPaPlSF_S6_NS0_8equal_toIaEEEE10hipError_tPvRmT2_T3_mT4_T5_T6_T7_T8_P12ihipStream_tbENKUlT_T0_E_clISt17integral_constantIbLb0EESY_IbLb1EEEEDaSU_SV_EUlSU_E_NS1_11comp_targetILNS1_3genE5ELNS1_11target_archE942ELNS1_3gpuE9ELNS1_3repE0EEENS1_30default_config_static_selectorELNS0_4arch9wavefront6targetE0EEEvT1_
	.p2align	8
	.type	_ZN7rocprim17ROCPRIM_400000_NS6detail17trampoline_kernelINS0_14default_configENS1_33run_length_encode_config_selectorIajNS0_4plusIjEEEEZZNS1_33reduce_by_key_impl_wrapped_configILNS1_25lookback_scan_determinismE0ES3_S7_PKaNS0_17constant_iteratorIjlEEPaPlSF_S6_NS0_8equal_toIaEEEE10hipError_tPvRmT2_T3_mT4_T5_T6_T7_T8_P12ihipStream_tbENKUlT_T0_E_clISt17integral_constantIbLb0EESY_IbLb1EEEEDaSU_SV_EUlSU_E_NS1_11comp_targetILNS1_3genE5ELNS1_11target_archE942ELNS1_3gpuE9ELNS1_3repE0EEENS1_30default_config_static_selectorELNS0_4arch9wavefront6targetE0EEEvT1_,@function
_ZN7rocprim17ROCPRIM_400000_NS6detail17trampoline_kernelINS0_14default_configENS1_33run_length_encode_config_selectorIajNS0_4plusIjEEEEZZNS1_33reduce_by_key_impl_wrapped_configILNS1_25lookback_scan_determinismE0ES3_S7_PKaNS0_17constant_iteratorIjlEEPaPlSF_S6_NS0_8equal_toIaEEEE10hipError_tPvRmT2_T3_mT4_T5_T6_T7_T8_P12ihipStream_tbENKUlT_T0_E_clISt17integral_constantIbLb0EESY_IbLb1EEEEDaSU_SV_EUlSU_E_NS1_11comp_targetILNS1_3genE5ELNS1_11target_archE942ELNS1_3gpuE9ELNS1_3repE0EEENS1_30default_config_static_selectorELNS0_4arch9wavefront6targetE0EEEvT1_: ; @_ZN7rocprim17ROCPRIM_400000_NS6detail17trampoline_kernelINS0_14default_configENS1_33run_length_encode_config_selectorIajNS0_4plusIjEEEEZZNS1_33reduce_by_key_impl_wrapped_configILNS1_25lookback_scan_determinismE0ES3_S7_PKaNS0_17constant_iteratorIjlEEPaPlSF_S6_NS0_8equal_toIaEEEE10hipError_tPvRmT2_T3_mT4_T5_T6_T7_T8_P12ihipStream_tbENKUlT_T0_E_clISt17integral_constantIbLb0EESY_IbLb1EEEEDaSU_SV_EUlSU_E_NS1_11comp_targetILNS1_3genE5ELNS1_11target_archE942ELNS1_3gpuE9ELNS1_3repE0EEENS1_30default_config_static_selectorELNS0_4arch9wavefront6targetE0EEEvT1_
; %bb.0:
	.section	.rodata,"a",@progbits
	.p2align	6, 0x0
	.amdhsa_kernel _ZN7rocprim17ROCPRIM_400000_NS6detail17trampoline_kernelINS0_14default_configENS1_33run_length_encode_config_selectorIajNS0_4plusIjEEEEZZNS1_33reduce_by_key_impl_wrapped_configILNS1_25lookback_scan_determinismE0ES3_S7_PKaNS0_17constant_iteratorIjlEEPaPlSF_S6_NS0_8equal_toIaEEEE10hipError_tPvRmT2_T3_mT4_T5_T6_T7_T8_P12ihipStream_tbENKUlT_T0_E_clISt17integral_constantIbLb0EESY_IbLb1EEEEDaSU_SV_EUlSU_E_NS1_11comp_targetILNS1_3genE5ELNS1_11target_archE942ELNS1_3gpuE9ELNS1_3repE0EEENS1_30default_config_static_selectorELNS0_4arch9wavefront6targetE0EEEvT1_
		.amdhsa_group_segment_fixed_size 0
		.amdhsa_private_segment_fixed_size 0
		.amdhsa_kernarg_size 128
		.amdhsa_user_sgpr_count 2
		.amdhsa_user_sgpr_dispatch_ptr 0
		.amdhsa_user_sgpr_queue_ptr 0
		.amdhsa_user_sgpr_kernarg_segment_ptr 1
		.amdhsa_user_sgpr_dispatch_id 0
		.amdhsa_user_sgpr_kernarg_preload_length 0
		.amdhsa_user_sgpr_kernarg_preload_offset 0
		.amdhsa_user_sgpr_private_segment_size 0
		.amdhsa_wavefront_size32 1
		.amdhsa_uses_dynamic_stack 0
		.amdhsa_enable_private_segment 0
		.amdhsa_system_sgpr_workgroup_id_x 1
		.amdhsa_system_sgpr_workgroup_id_y 0
		.amdhsa_system_sgpr_workgroup_id_z 0
		.amdhsa_system_sgpr_workgroup_info 0
		.amdhsa_system_vgpr_workitem_id 0
		.amdhsa_next_free_vgpr 1
		.amdhsa_next_free_sgpr 1
		.amdhsa_named_barrier_count 0
		.amdhsa_reserve_vcc 0
		.amdhsa_float_round_mode_32 0
		.amdhsa_float_round_mode_16_64 0
		.amdhsa_float_denorm_mode_32 3
		.amdhsa_float_denorm_mode_16_64 3
		.amdhsa_fp16_overflow 0
		.amdhsa_memory_ordered 1
		.amdhsa_forward_progress 1
		.amdhsa_inst_pref_size 0
		.amdhsa_round_robin_scheduling 0
		.amdhsa_exception_fp_ieee_invalid_op 0
		.amdhsa_exception_fp_denorm_src 0
		.amdhsa_exception_fp_ieee_div_zero 0
		.amdhsa_exception_fp_ieee_overflow 0
		.amdhsa_exception_fp_ieee_underflow 0
		.amdhsa_exception_fp_ieee_inexact 0
		.amdhsa_exception_int_div_zero 0
	.end_amdhsa_kernel
	.section	.text._ZN7rocprim17ROCPRIM_400000_NS6detail17trampoline_kernelINS0_14default_configENS1_33run_length_encode_config_selectorIajNS0_4plusIjEEEEZZNS1_33reduce_by_key_impl_wrapped_configILNS1_25lookback_scan_determinismE0ES3_S7_PKaNS0_17constant_iteratorIjlEEPaPlSF_S6_NS0_8equal_toIaEEEE10hipError_tPvRmT2_T3_mT4_T5_T6_T7_T8_P12ihipStream_tbENKUlT_T0_E_clISt17integral_constantIbLb0EESY_IbLb1EEEEDaSU_SV_EUlSU_E_NS1_11comp_targetILNS1_3genE5ELNS1_11target_archE942ELNS1_3gpuE9ELNS1_3repE0EEENS1_30default_config_static_selectorELNS0_4arch9wavefront6targetE0EEEvT1_,"axG",@progbits,_ZN7rocprim17ROCPRIM_400000_NS6detail17trampoline_kernelINS0_14default_configENS1_33run_length_encode_config_selectorIajNS0_4plusIjEEEEZZNS1_33reduce_by_key_impl_wrapped_configILNS1_25lookback_scan_determinismE0ES3_S7_PKaNS0_17constant_iteratorIjlEEPaPlSF_S6_NS0_8equal_toIaEEEE10hipError_tPvRmT2_T3_mT4_T5_T6_T7_T8_P12ihipStream_tbENKUlT_T0_E_clISt17integral_constantIbLb0EESY_IbLb1EEEEDaSU_SV_EUlSU_E_NS1_11comp_targetILNS1_3genE5ELNS1_11target_archE942ELNS1_3gpuE9ELNS1_3repE0EEENS1_30default_config_static_selectorELNS0_4arch9wavefront6targetE0EEEvT1_,comdat
.Lfunc_end263:
	.size	_ZN7rocprim17ROCPRIM_400000_NS6detail17trampoline_kernelINS0_14default_configENS1_33run_length_encode_config_selectorIajNS0_4plusIjEEEEZZNS1_33reduce_by_key_impl_wrapped_configILNS1_25lookback_scan_determinismE0ES3_S7_PKaNS0_17constant_iteratorIjlEEPaPlSF_S6_NS0_8equal_toIaEEEE10hipError_tPvRmT2_T3_mT4_T5_T6_T7_T8_P12ihipStream_tbENKUlT_T0_E_clISt17integral_constantIbLb0EESY_IbLb1EEEEDaSU_SV_EUlSU_E_NS1_11comp_targetILNS1_3genE5ELNS1_11target_archE942ELNS1_3gpuE9ELNS1_3repE0EEENS1_30default_config_static_selectorELNS0_4arch9wavefront6targetE0EEEvT1_, .Lfunc_end263-_ZN7rocprim17ROCPRIM_400000_NS6detail17trampoline_kernelINS0_14default_configENS1_33run_length_encode_config_selectorIajNS0_4plusIjEEEEZZNS1_33reduce_by_key_impl_wrapped_configILNS1_25lookback_scan_determinismE0ES3_S7_PKaNS0_17constant_iteratorIjlEEPaPlSF_S6_NS0_8equal_toIaEEEE10hipError_tPvRmT2_T3_mT4_T5_T6_T7_T8_P12ihipStream_tbENKUlT_T0_E_clISt17integral_constantIbLb0EESY_IbLb1EEEEDaSU_SV_EUlSU_E_NS1_11comp_targetILNS1_3genE5ELNS1_11target_archE942ELNS1_3gpuE9ELNS1_3repE0EEENS1_30default_config_static_selectorELNS0_4arch9wavefront6targetE0EEEvT1_
                                        ; -- End function
	.set _ZN7rocprim17ROCPRIM_400000_NS6detail17trampoline_kernelINS0_14default_configENS1_33run_length_encode_config_selectorIajNS0_4plusIjEEEEZZNS1_33reduce_by_key_impl_wrapped_configILNS1_25lookback_scan_determinismE0ES3_S7_PKaNS0_17constant_iteratorIjlEEPaPlSF_S6_NS0_8equal_toIaEEEE10hipError_tPvRmT2_T3_mT4_T5_T6_T7_T8_P12ihipStream_tbENKUlT_T0_E_clISt17integral_constantIbLb0EESY_IbLb1EEEEDaSU_SV_EUlSU_E_NS1_11comp_targetILNS1_3genE5ELNS1_11target_archE942ELNS1_3gpuE9ELNS1_3repE0EEENS1_30default_config_static_selectorELNS0_4arch9wavefront6targetE0EEEvT1_.num_vgpr, 0
	.set _ZN7rocprim17ROCPRIM_400000_NS6detail17trampoline_kernelINS0_14default_configENS1_33run_length_encode_config_selectorIajNS0_4plusIjEEEEZZNS1_33reduce_by_key_impl_wrapped_configILNS1_25lookback_scan_determinismE0ES3_S7_PKaNS0_17constant_iteratorIjlEEPaPlSF_S6_NS0_8equal_toIaEEEE10hipError_tPvRmT2_T3_mT4_T5_T6_T7_T8_P12ihipStream_tbENKUlT_T0_E_clISt17integral_constantIbLb0EESY_IbLb1EEEEDaSU_SV_EUlSU_E_NS1_11comp_targetILNS1_3genE5ELNS1_11target_archE942ELNS1_3gpuE9ELNS1_3repE0EEENS1_30default_config_static_selectorELNS0_4arch9wavefront6targetE0EEEvT1_.num_agpr, 0
	.set _ZN7rocprim17ROCPRIM_400000_NS6detail17trampoline_kernelINS0_14default_configENS1_33run_length_encode_config_selectorIajNS0_4plusIjEEEEZZNS1_33reduce_by_key_impl_wrapped_configILNS1_25lookback_scan_determinismE0ES3_S7_PKaNS0_17constant_iteratorIjlEEPaPlSF_S6_NS0_8equal_toIaEEEE10hipError_tPvRmT2_T3_mT4_T5_T6_T7_T8_P12ihipStream_tbENKUlT_T0_E_clISt17integral_constantIbLb0EESY_IbLb1EEEEDaSU_SV_EUlSU_E_NS1_11comp_targetILNS1_3genE5ELNS1_11target_archE942ELNS1_3gpuE9ELNS1_3repE0EEENS1_30default_config_static_selectorELNS0_4arch9wavefront6targetE0EEEvT1_.numbered_sgpr, 0
	.set _ZN7rocprim17ROCPRIM_400000_NS6detail17trampoline_kernelINS0_14default_configENS1_33run_length_encode_config_selectorIajNS0_4plusIjEEEEZZNS1_33reduce_by_key_impl_wrapped_configILNS1_25lookback_scan_determinismE0ES3_S7_PKaNS0_17constant_iteratorIjlEEPaPlSF_S6_NS0_8equal_toIaEEEE10hipError_tPvRmT2_T3_mT4_T5_T6_T7_T8_P12ihipStream_tbENKUlT_T0_E_clISt17integral_constantIbLb0EESY_IbLb1EEEEDaSU_SV_EUlSU_E_NS1_11comp_targetILNS1_3genE5ELNS1_11target_archE942ELNS1_3gpuE9ELNS1_3repE0EEENS1_30default_config_static_selectorELNS0_4arch9wavefront6targetE0EEEvT1_.num_named_barrier, 0
	.set _ZN7rocprim17ROCPRIM_400000_NS6detail17trampoline_kernelINS0_14default_configENS1_33run_length_encode_config_selectorIajNS0_4plusIjEEEEZZNS1_33reduce_by_key_impl_wrapped_configILNS1_25lookback_scan_determinismE0ES3_S7_PKaNS0_17constant_iteratorIjlEEPaPlSF_S6_NS0_8equal_toIaEEEE10hipError_tPvRmT2_T3_mT4_T5_T6_T7_T8_P12ihipStream_tbENKUlT_T0_E_clISt17integral_constantIbLb0EESY_IbLb1EEEEDaSU_SV_EUlSU_E_NS1_11comp_targetILNS1_3genE5ELNS1_11target_archE942ELNS1_3gpuE9ELNS1_3repE0EEENS1_30default_config_static_selectorELNS0_4arch9wavefront6targetE0EEEvT1_.private_seg_size, 0
	.set _ZN7rocprim17ROCPRIM_400000_NS6detail17trampoline_kernelINS0_14default_configENS1_33run_length_encode_config_selectorIajNS0_4plusIjEEEEZZNS1_33reduce_by_key_impl_wrapped_configILNS1_25lookback_scan_determinismE0ES3_S7_PKaNS0_17constant_iteratorIjlEEPaPlSF_S6_NS0_8equal_toIaEEEE10hipError_tPvRmT2_T3_mT4_T5_T6_T7_T8_P12ihipStream_tbENKUlT_T0_E_clISt17integral_constantIbLb0EESY_IbLb1EEEEDaSU_SV_EUlSU_E_NS1_11comp_targetILNS1_3genE5ELNS1_11target_archE942ELNS1_3gpuE9ELNS1_3repE0EEENS1_30default_config_static_selectorELNS0_4arch9wavefront6targetE0EEEvT1_.uses_vcc, 0
	.set _ZN7rocprim17ROCPRIM_400000_NS6detail17trampoline_kernelINS0_14default_configENS1_33run_length_encode_config_selectorIajNS0_4plusIjEEEEZZNS1_33reduce_by_key_impl_wrapped_configILNS1_25lookback_scan_determinismE0ES3_S7_PKaNS0_17constant_iteratorIjlEEPaPlSF_S6_NS0_8equal_toIaEEEE10hipError_tPvRmT2_T3_mT4_T5_T6_T7_T8_P12ihipStream_tbENKUlT_T0_E_clISt17integral_constantIbLb0EESY_IbLb1EEEEDaSU_SV_EUlSU_E_NS1_11comp_targetILNS1_3genE5ELNS1_11target_archE942ELNS1_3gpuE9ELNS1_3repE0EEENS1_30default_config_static_selectorELNS0_4arch9wavefront6targetE0EEEvT1_.uses_flat_scratch, 0
	.set _ZN7rocprim17ROCPRIM_400000_NS6detail17trampoline_kernelINS0_14default_configENS1_33run_length_encode_config_selectorIajNS0_4plusIjEEEEZZNS1_33reduce_by_key_impl_wrapped_configILNS1_25lookback_scan_determinismE0ES3_S7_PKaNS0_17constant_iteratorIjlEEPaPlSF_S6_NS0_8equal_toIaEEEE10hipError_tPvRmT2_T3_mT4_T5_T6_T7_T8_P12ihipStream_tbENKUlT_T0_E_clISt17integral_constantIbLb0EESY_IbLb1EEEEDaSU_SV_EUlSU_E_NS1_11comp_targetILNS1_3genE5ELNS1_11target_archE942ELNS1_3gpuE9ELNS1_3repE0EEENS1_30default_config_static_selectorELNS0_4arch9wavefront6targetE0EEEvT1_.has_dyn_sized_stack, 0
	.set _ZN7rocprim17ROCPRIM_400000_NS6detail17trampoline_kernelINS0_14default_configENS1_33run_length_encode_config_selectorIajNS0_4plusIjEEEEZZNS1_33reduce_by_key_impl_wrapped_configILNS1_25lookback_scan_determinismE0ES3_S7_PKaNS0_17constant_iteratorIjlEEPaPlSF_S6_NS0_8equal_toIaEEEE10hipError_tPvRmT2_T3_mT4_T5_T6_T7_T8_P12ihipStream_tbENKUlT_T0_E_clISt17integral_constantIbLb0EESY_IbLb1EEEEDaSU_SV_EUlSU_E_NS1_11comp_targetILNS1_3genE5ELNS1_11target_archE942ELNS1_3gpuE9ELNS1_3repE0EEENS1_30default_config_static_selectorELNS0_4arch9wavefront6targetE0EEEvT1_.has_recursion, 0
	.set _ZN7rocprim17ROCPRIM_400000_NS6detail17trampoline_kernelINS0_14default_configENS1_33run_length_encode_config_selectorIajNS0_4plusIjEEEEZZNS1_33reduce_by_key_impl_wrapped_configILNS1_25lookback_scan_determinismE0ES3_S7_PKaNS0_17constant_iteratorIjlEEPaPlSF_S6_NS0_8equal_toIaEEEE10hipError_tPvRmT2_T3_mT4_T5_T6_T7_T8_P12ihipStream_tbENKUlT_T0_E_clISt17integral_constantIbLb0EESY_IbLb1EEEEDaSU_SV_EUlSU_E_NS1_11comp_targetILNS1_3genE5ELNS1_11target_archE942ELNS1_3gpuE9ELNS1_3repE0EEENS1_30default_config_static_selectorELNS0_4arch9wavefront6targetE0EEEvT1_.has_indirect_call, 0
	.section	.AMDGPU.csdata,"",@progbits
; Kernel info:
; codeLenInByte = 0
; TotalNumSgprs: 0
; NumVgprs: 0
; ScratchSize: 0
; MemoryBound: 0
; FloatMode: 240
; IeeeMode: 1
; LDSByteSize: 0 bytes/workgroup (compile time only)
; SGPRBlocks: 0
; VGPRBlocks: 0
; NumSGPRsForWavesPerEU: 1
; NumVGPRsForWavesPerEU: 1
; NamedBarCnt: 0
; Occupancy: 16
; WaveLimiterHint : 0
; COMPUTE_PGM_RSRC2:SCRATCH_EN: 0
; COMPUTE_PGM_RSRC2:USER_SGPR: 2
; COMPUTE_PGM_RSRC2:TRAP_HANDLER: 0
; COMPUTE_PGM_RSRC2:TGID_X_EN: 1
; COMPUTE_PGM_RSRC2:TGID_Y_EN: 0
; COMPUTE_PGM_RSRC2:TGID_Z_EN: 0
; COMPUTE_PGM_RSRC2:TIDIG_COMP_CNT: 0
	.section	.text._ZN7rocprim17ROCPRIM_400000_NS6detail17trampoline_kernelINS0_14default_configENS1_33run_length_encode_config_selectorIajNS0_4plusIjEEEEZZNS1_33reduce_by_key_impl_wrapped_configILNS1_25lookback_scan_determinismE0ES3_S7_PKaNS0_17constant_iteratorIjlEEPaPlSF_S6_NS0_8equal_toIaEEEE10hipError_tPvRmT2_T3_mT4_T5_T6_T7_T8_P12ihipStream_tbENKUlT_T0_E_clISt17integral_constantIbLb0EESY_IbLb1EEEEDaSU_SV_EUlSU_E_NS1_11comp_targetILNS1_3genE4ELNS1_11target_archE910ELNS1_3gpuE8ELNS1_3repE0EEENS1_30default_config_static_selectorELNS0_4arch9wavefront6targetE0EEEvT1_,"axG",@progbits,_ZN7rocprim17ROCPRIM_400000_NS6detail17trampoline_kernelINS0_14default_configENS1_33run_length_encode_config_selectorIajNS0_4plusIjEEEEZZNS1_33reduce_by_key_impl_wrapped_configILNS1_25lookback_scan_determinismE0ES3_S7_PKaNS0_17constant_iteratorIjlEEPaPlSF_S6_NS0_8equal_toIaEEEE10hipError_tPvRmT2_T3_mT4_T5_T6_T7_T8_P12ihipStream_tbENKUlT_T0_E_clISt17integral_constantIbLb0EESY_IbLb1EEEEDaSU_SV_EUlSU_E_NS1_11comp_targetILNS1_3genE4ELNS1_11target_archE910ELNS1_3gpuE8ELNS1_3repE0EEENS1_30default_config_static_selectorELNS0_4arch9wavefront6targetE0EEEvT1_,comdat
	.protected	_ZN7rocprim17ROCPRIM_400000_NS6detail17trampoline_kernelINS0_14default_configENS1_33run_length_encode_config_selectorIajNS0_4plusIjEEEEZZNS1_33reduce_by_key_impl_wrapped_configILNS1_25lookback_scan_determinismE0ES3_S7_PKaNS0_17constant_iteratorIjlEEPaPlSF_S6_NS0_8equal_toIaEEEE10hipError_tPvRmT2_T3_mT4_T5_T6_T7_T8_P12ihipStream_tbENKUlT_T0_E_clISt17integral_constantIbLb0EESY_IbLb1EEEEDaSU_SV_EUlSU_E_NS1_11comp_targetILNS1_3genE4ELNS1_11target_archE910ELNS1_3gpuE8ELNS1_3repE0EEENS1_30default_config_static_selectorELNS0_4arch9wavefront6targetE0EEEvT1_ ; -- Begin function _ZN7rocprim17ROCPRIM_400000_NS6detail17trampoline_kernelINS0_14default_configENS1_33run_length_encode_config_selectorIajNS0_4plusIjEEEEZZNS1_33reduce_by_key_impl_wrapped_configILNS1_25lookback_scan_determinismE0ES3_S7_PKaNS0_17constant_iteratorIjlEEPaPlSF_S6_NS0_8equal_toIaEEEE10hipError_tPvRmT2_T3_mT4_T5_T6_T7_T8_P12ihipStream_tbENKUlT_T0_E_clISt17integral_constantIbLb0EESY_IbLb1EEEEDaSU_SV_EUlSU_E_NS1_11comp_targetILNS1_3genE4ELNS1_11target_archE910ELNS1_3gpuE8ELNS1_3repE0EEENS1_30default_config_static_selectorELNS0_4arch9wavefront6targetE0EEEvT1_
	.globl	_ZN7rocprim17ROCPRIM_400000_NS6detail17trampoline_kernelINS0_14default_configENS1_33run_length_encode_config_selectorIajNS0_4plusIjEEEEZZNS1_33reduce_by_key_impl_wrapped_configILNS1_25lookback_scan_determinismE0ES3_S7_PKaNS0_17constant_iteratorIjlEEPaPlSF_S6_NS0_8equal_toIaEEEE10hipError_tPvRmT2_T3_mT4_T5_T6_T7_T8_P12ihipStream_tbENKUlT_T0_E_clISt17integral_constantIbLb0EESY_IbLb1EEEEDaSU_SV_EUlSU_E_NS1_11comp_targetILNS1_3genE4ELNS1_11target_archE910ELNS1_3gpuE8ELNS1_3repE0EEENS1_30default_config_static_selectorELNS0_4arch9wavefront6targetE0EEEvT1_
	.p2align	8
	.type	_ZN7rocprim17ROCPRIM_400000_NS6detail17trampoline_kernelINS0_14default_configENS1_33run_length_encode_config_selectorIajNS0_4plusIjEEEEZZNS1_33reduce_by_key_impl_wrapped_configILNS1_25lookback_scan_determinismE0ES3_S7_PKaNS0_17constant_iteratorIjlEEPaPlSF_S6_NS0_8equal_toIaEEEE10hipError_tPvRmT2_T3_mT4_T5_T6_T7_T8_P12ihipStream_tbENKUlT_T0_E_clISt17integral_constantIbLb0EESY_IbLb1EEEEDaSU_SV_EUlSU_E_NS1_11comp_targetILNS1_3genE4ELNS1_11target_archE910ELNS1_3gpuE8ELNS1_3repE0EEENS1_30default_config_static_selectorELNS0_4arch9wavefront6targetE0EEEvT1_,@function
_ZN7rocprim17ROCPRIM_400000_NS6detail17trampoline_kernelINS0_14default_configENS1_33run_length_encode_config_selectorIajNS0_4plusIjEEEEZZNS1_33reduce_by_key_impl_wrapped_configILNS1_25lookback_scan_determinismE0ES3_S7_PKaNS0_17constant_iteratorIjlEEPaPlSF_S6_NS0_8equal_toIaEEEE10hipError_tPvRmT2_T3_mT4_T5_T6_T7_T8_P12ihipStream_tbENKUlT_T0_E_clISt17integral_constantIbLb0EESY_IbLb1EEEEDaSU_SV_EUlSU_E_NS1_11comp_targetILNS1_3genE4ELNS1_11target_archE910ELNS1_3gpuE8ELNS1_3repE0EEENS1_30default_config_static_selectorELNS0_4arch9wavefront6targetE0EEEvT1_: ; @_ZN7rocprim17ROCPRIM_400000_NS6detail17trampoline_kernelINS0_14default_configENS1_33run_length_encode_config_selectorIajNS0_4plusIjEEEEZZNS1_33reduce_by_key_impl_wrapped_configILNS1_25lookback_scan_determinismE0ES3_S7_PKaNS0_17constant_iteratorIjlEEPaPlSF_S6_NS0_8equal_toIaEEEE10hipError_tPvRmT2_T3_mT4_T5_T6_T7_T8_P12ihipStream_tbENKUlT_T0_E_clISt17integral_constantIbLb0EESY_IbLb1EEEEDaSU_SV_EUlSU_E_NS1_11comp_targetILNS1_3genE4ELNS1_11target_archE910ELNS1_3gpuE8ELNS1_3repE0EEENS1_30default_config_static_selectorELNS0_4arch9wavefront6targetE0EEEvT1_
; %bb.0:
	.section	.rodata,"a",@progbits
	.p2align	6, 0x0
	.amdhsa_kernel _ZN7rocprim17ROCPRIM_400000_NS6detail17trampoline_kernelINS0_14default_configENS1_33run_length_encode_config_selectorIajNS0_4plusIjEEEEZZNS1_33reduce_by_key_impl_wrapped_configILNS1_25lookback_scan_determinismE0ES3_S7_PKaNS0_17constant_iteratorIjlEEPaPlSF_S6_NS0_8equal_toIaEEEE10hipError_tPvRmT2_T3_mT4_T5_T6_T7_T8_P12ihipStream_tbENKUlT_T0_E_clISt17integral_constantIbLb0EESY_IbLb1EEEEDaSU_SV_EUlSU_E_NS1_11comp_targetILNS1_3genE4ELNS1_11target_archE910ELNS1_3gpuE8ELNS1_3repE0EEENS1_30default_config_static_selectorELNS0_4arch9wavefront6targetE0EEEvT1_
		.amdhsa_group_segment_fixed_size 0
		.amdhsa_private_segment_fixed_size 0
		.amdhsa_kernarg_size 128
		.amdhsa_user_sgpr_count 2
		.amdhsa_user_sgpr_dispatch_ptr 0
		.amdhsa_user_sgpr_queue_ptr 0
		.amdhsa_user_sgpr_kernarg_segment_ptr 1
		.amdhsa_user_sgpr_dispatch_id 0
		.amdhsa_user_sgpr_kernarg_preload_length 0
		.amdhsa_user_sgpr_kernarg_preload_offset 0
		.amdhsa_user_sgpr_private_segment_size 0
		.amdhsa_wavefront_size32 1
		.amdhsa_uses_dynamic_stack 0
		.amdhsa_enable_private_segment 0
		.amdhsa_system_sgpr_workgroup_id_x 1
		.amdhsa_system_sgpr_workgroup_id_y 0
		.amdhsa_system_sgpr_workgroup_id_z 0
		.amdhsa_system_sgpr_workgroup_info 0
		.amdhsa_system_vgpr_workitem_id 0
		.amdhsa_next_free_vgpr 1
		.amdhsa_next_free_sgpr 1
		.amdhsa_named_barrier_count 0
		.amdhsa_reserve_vcc 0
		.amdhsa_float_round_mode_32 0
		.amdhsa_float_round_mode_16_64 0
		.amdhsa_float_denorm_mode_32 3
		.amdhsa_float_denorm_mode_16_64 3
		.amdhsa_fp16_overflow 0
		.amdhsa_memory_ordered 1
		.amdhsa_forward_progress 1
		.amdhsa_inst_pref_size 0
		.amdhsa_round_robin_scheduling 0
		.amdhsa_exception_fp_ieee_invalid_op 0
		.amdhsa_exception_fp_denorm_src 0
		.amdhsa_exception_fp_ieee_div_zero 0
		.amdhsa_exception_fp_ieee_overflow 0
		.amdhsa_exception_fp_ieee_underflow 0
		.amdhsa_exception_fp_ieee_inexact 0
		.amdhsa_exception_int_div_zero 0
	.end_amdhsa_kernel
	.section	.text._ZN7rocprim17ROCPRIM_400000_NS6detail17trampoline_kernelINS0_14default_configENS1_33run_length_encode_config_selectorIajNS0_4plusIjEEEEZZNS1_33reduce_by_key_impl_wrapped_configILNS1_25lookback_scan_determinismE0ES3_S7_PKaNS0_17constant_iteratorIjlEEPaPlSF_S6_NS0_8equal_toIaEEEE10hipError_tPvRmT2_T3_mT4_T5_T6_T7_T8_P12ihipStream_tbENKUlT_T0_E_clISt17integral_constantIbLb0EESY_IbLb1EEEEDaSU_SV_EUlSU_E_NS1_11comp_targetILNS1_3genE4ELNS1_11target_archE910ELNS1_3gpuE8ELNS1_3repE0EEENS1_30default_config_static_selectorELNS0_4arch9wavefront6targetE0EEEvT1_,"axG",@progbits,_ZN7rocprim17ROCPRIM_400000_NS6detail17trampoline_kernelINS0_14default_configENS1_33run_length_encode_config_selectorIajNS0_4plusIjEEEEZZNS1_33reduce_by_key_impl_wrapped_configILNS1_25lookback_scan_determinismE0ES3_S7_PKaNS0_17constant_iteratorIjlEEPaPlSF_S6_NS0_8equal_toIaEEEE10hipError_tPvRmT2_T3_mT4_T5_T6_T7_T8_P12ihipStream_tbENKUlT_T0_E_clISt17integral_constantIbLb0EESY_IbLb1EEEEDaSU_SV_EUlSU_E_NS1_11comp_targetILNS1_3genE4ELNS1_11target_archE910ELNS1_3gpuE8ELNS1_3repE0EEENS1_30default_config_static_selectorELNS0_4arch9wavefront6targetE0EEEvT1_,comdat
.Lfunc_end264:
	.size	_ZN7rocprim17ROCPRIM_400000_NS6detail17trampoline_kernelINS0_14default_configENS1_33run_length_encode_config_selectorIajNS0_4plusIjEEEEZZNS1_33reduce_by_key_impl_wrapped_configILNS1_25lookback_scan_determinismE0ES3_S7_PKaNS0_17constant_iteratorIjlEEPaPlSF_S6_NS0_8equal_toIaEEEE10hipError_tPvRmT2_T3_mT4_T5_T6_T7_T8_P12ihipStream_tbENKUlT_T0_E_clISt17integral_constantIbLb0EESY_IbLb1EEEEDaSU_SV_EUlSU_E_NS1_11comp_targetILNS1_3genE4ELNS1_11target_archE910ELNS1_3gpuE8ELNS1_3repE0EEENS1_30default_config_static_selectorELNS0_4arch9wavefront6targetE0EEEvT1_, .Lfunc_end264-_ZN7rocprim17ROCPRIM_400000_NS6detail17trampoline_kernelINS0_14default_configENS1_33run_length_encode_config_selectorIajNS0_4plusIjEEEEZZNS1_33reduce_by_key_impl_wrapped_configILNS1_25lookback_scan_determinismE0ES3_S7_PKaNS0_17constant_iteratorIjlEEPaPlSF_S6_NS0_8equal_toIaEEEE10hipError_tPvRmT2_T3_mT4_T5_T6_T7_T8_P12ihipStream_tbENKUlT_T0_E_clISt17integral_constantIbLb0EESY_IbLb1EEEEDaSU_SV_EUlSU_E_NS1_11comp_targetILNS1_3genE4ELNS1_11target_archE910ELNS1_3gpuE8ELNS1_3repE0EEENS1_30default_config_static_selectorELNS0_4arch9wavefront6targetE0EEEvT1_
                                        ; -- End function
	.set _ZN7rocprim17ROCPRIM_400000_NS6detail17trampoline_kernelINS0_14default_configENS1_33run_length_encode_config_selectorIajNS0_4plusIjEEEEZZNS1_33reduce_by_key_impl_wrapped_configILNS1_25lookback_scan_determinismE0ES3_S7_PKaNS0_17constant_iteratorIjlEEPaPlSF_S6_NS0_8equal_toIaEEEE10hipError_tPvRmT2_T3_mT4_T5_T6_T7_T8_P12ihipStream_tbENKUlT_T0_E_clISt17integral_constantIbLb0EESY_IbLb1EEEEDaSU_SV_EUlSU_E_NS1_11comp_targetILNS1_3genE4ELNS1_11target_archE910ELNS1_3gpuE8ELNS1_3repE0EEENS1_30default_config_static_selectorELNS0_4arch9wavefront6targetE0EEEvT1_.num_vgpr, 0
	.set _ZN7rocprim17ROCPRIM_400000_NS6detail17trampoline_kernelINS0_14default_configENS1_33run_length_encode_config_selectorIajNS0_4plusIjEEEEZZNS1_33reduce_by_key_impl_wrapped_configILNS1_25lookback_scan_determinismE0ES3_S7_PKaNS0_17constant_iteratorIjlEEPaPlSF_S6_NS0_8equal_toIaEEEE10hipError_tPvRmT2_T3_mT4_T5_T6_T7_T8_P12ihipStream_tbENKUlT_T0_E_clISt17integral_constantIbLb0EESY_IbLb1EEEEDaSU_SV_EUlSU_E_NS1_11comp_targetILNS1_3genE4ELNS1_11target_archE910ELNS1_3gpuE8ELNS1_3repE0EEENS1_30default_config_static_selectorELNS0_4arch9wavefront6targetE0EEEvT1_.num_agpr, 0
	.set _ZN7rocprim17ROCPRIM_400000_NS6detail17trampoline_kernelINS0_14default_configENS1_33run_length_encode_config_selectorIajNS0_4plusIjEEEEZZNS1_33reduce_by_key_impl_wrapped_configILNS1_25lookback_scan_determinismE0ES3_S7_PKaNS0_17constant_iteratorIjlEEPaPlSF_S6_NS0_8equal_toIaEEEE10hipError_tPvRmT2_T3_mT4_T5_T6_T7_T8_P12ihipStream_tbENKUlT_T0_E_clISt17integral_constantIbLb0EESY_IbLb1EEEEDaSU_SV_EUlSU_E_NS1_11comp_targetILNS1_3genE4ELNS1_11target_archE910ELNS1_3gpuE8ELNS1_3repE0EEENS1_30default_config_static_selectorELNS0_4arch9wavefront6targetE0EEEvT1_.numbered_sgpr, 0
	.set _ZN7rocprim17ROCPRIM_400000_NS6detail17trampoline_kernelINS0_14default_configENS1_33run_length_encode_config_selectorIajNS0_4plusIjEEEEZZNS1_33reduce_by_key_impl_wrapped_configILNS1_25lookback_scan_determinismE0ES3_S7_PKaNS0_17constant_iteratorIjlEEPaPlSF_S6_NS0_8equal_toIaEEEE10hipError_tPvRmT2_T3_mT4_T5_T6_T7_T8_P12ihipStream_tbENKUlT_T0_E_clISt17integral_constantIbLb0EESY_IbLb1EEEEDaSU_SV_EUlSU_E_NS1_11comp_targetILNS1_3genE4ELNS1_11target_archE910ELNS1_3gpuE8ELNS1_3repE0EEENS1_30default_config_static_selectorELNS0_4arch9wavefront6targetE0EEEvT1_.num_named_barrier, 0
	.set _ZN7rocprim17ROCPRIM_400000_NS6detail17trampoline_kernelINS0_14default_configENS1_33run_length_encode_config_selectorIajNS0_4plusIjEEEEZZNS1_33reduce_by_key_impl_wrapped_configILNS1_25lookback_scan_determinismE0ES3_S7_PKaNS0_17constant_iteratorIjlEEPaPlSF_S6_NS0_8equal_toIaEEEE10hipError_tPvRmT2_T3_mT4_T5_T6_T7_T8_P12ihipStream_tbENKUlT_T0_E_clISt17integral_constantIbLb0EESY_IbLb1EEEEDaSU_SV_EUlSU_E_NS1_11comp_targetILNS1_3genE4ELNS1_11target_archE910ELNS1_3gpuE8ELNS1_3repE0EEENS1_30default_config_static_selectorELNS0_4arch9wavefront6targetE0EEEvT1_.private_seg_size, 0
	.set _ZN7rocprim17ROCPRIM_400000_NS6detail17trampoline_kernelINS0_14default_configENS1_33run_length_encode_config_selectorIajNS0_4plusIjEEEEZZNS1_33reduce_by_key_impl_wrapped_configILNS1_25lookback_scan_determinismE0ES3_S7_PKaNS0_17constant_iteratorIjlEEPaPlSF_S6_NS0_8equal_toIaEEEE10hipError_tPvRmT2_T3_mT4_T5_T6_T7_T8_P12ihipStream_tbENKUlT_T0_E_clISt17integral_constantIbLb0EESY_IbLb1EEEEDaSU_SV_EUlSU_E_NS1_11comp_targetILNS1_3genE4ELNS1_11target_archE910ELNS1_3gpuE8ELNS1_3repE0EEENS1_30default_config_static_selectorELNS0_4arch9wavefront6targetE0EEEvT1_.uses_vcc, 0
	.set _ZN7rocprim17ROCPRIM_400000_NS6detail17trampoline_kernelINS0_14default_configENS1_33run_length_encode_config_selectorIajNS0_4plusIjEEEEZZNS1_33reduce_by_key_impl_wrapped_configILNS1_25lookback_scan_determinismE0ES3_S7_PKaNS0_17constant_iteratorIjlEEPaPlSF_S6_NS0_8equal_toIaEEEE10hipError_tPvRmT2_T3_mT4_T5_T6_T7_T8_P12ihipStream_tbENKUlT_T0_E_clISt17integral_constantIbLb0EESY_IbLb1EEEEDaSU_SV_EUlSU_E_NS1_11comp_targetILNS1_3genE4ELNS1_11target_archE910ELNS1_3gpuE8ELNS1_3repE0EEENS1_30default_config_static_selectorELNS0_4arch9wavefront6targetE0EEEvT1_.uses_flat_scratch, 0
	.set _ZN7rocprim17ROCPRIM_400000_NS6detail17trampoline_kernelINS0_14default_configENS1_33run_length_encode_config_selectorIajNS0_4plusIjEEEEZZNS1_33reduce_by_key_impl_wrapped_configILNS1_25lookback_scan_determinismE0ES3_S7_PKaNS0_17constant_iteratorIjlEEPaPlSF_S6_NS0_8equal_toIaEEEE10hipError_tPvRmT2_T3_mT4_T5_T6_T7_T8_P12ihipStream_tbENKUlT_T0_E_clISt17integral_constantIbLb0EESY_IbLb1EEEEDaSU_SV_EUlSU_E_NS1_11comp_targetILNS1_3genE4ELNS1_11target_archE910ELNS1_3gpuE8ELNS1_3repE0EEENS1_30default_config_static_selectorELNS0_4arch9wavefront6targetE0EEEvT1_.has_dyn_sized_stack, 0
	.set _ZN7rocprim17ROCPRIM_400000_NS6detail17trampoline_kernelINS0_14default_configENS1_33run_length_encode_config_selectorIajNS0_4plusIjEEEEZZNS1_33reduce_by_key_impl_wrapped_configILNS1_25lookback_scan_determinismE0ES3_S7_PKaNS0_17constant_iteratorIjlEEPaPlSF_S6_NS0_8equal_toIaEEEE10hipError_tPvRmT2_T3_mT4_T5_T6_T7_T8_P12ihipStream_tbENKUlT_T0_E_clISt17integral_constantIbLb0EESY_IbLb1EEEEDaSU_SV_EUlSU_E_NS1_11comp_targetILNS1_3genE4ELNS1_11target_archE910ELNS1_3gpuE8ELNS1_3repE0EEENS1_30default_config_static_selectorELNS0_4arch9wavefront6targetE0EEEvT1_.has_recursion, 0
	.set _ZN7rocprim17ROCPRIM_400000_NS6detail17trampoline_kernelINS0_14default_configENS1_33run_length_encode_config_selectorIajNS0_4plusIjEEEEZZNS1_33reduce_by_key_impl_wrapped_configILNS1_25lookback_scan_determinismE0ES3_S7_PKaNS0_17constant_iteratorIjlEEPaPlSF_S6_NS0_8equal_toIaEEEE10hipError_tPvRmT2_T3_mT4_T5_T6_T7_T8_P12ihipStream_tbENKUlT_T0_E_clISt17integral_constantIbLb0EESY_IbLb1EEEEDaSU_SV_EUlSU_E_NS1_11comp_targetILNS1_3genE4ELNS1_11target_archE910ELNS1_3gpuE8ELNS1_3repE0EEENS1_30default_config_static_selectorELNS0_4arch9wavefront6targetE0EEEvT1_.has_indirect_call, 0
	.section	.AMDGPU.csdata,"",@progbits
; Kernel info:
; codeLenInByte = 0
; TotalNumSgprs: 0
; NumVgprs: 0
; ScratchSize: 0
; MemoryBound: 0
; FloatMode: 240
; IeeeMode: 1
; LDSByteSize: 0 bytes/workgroup (compile time only)
; SGPRBlocks: 0
; VGPRBlocks: 0
; NumSGPRsForWavesPerEU: 1
; NumVGPRsForWavesPerEU: 1
; NamedBarCnt: 0
; Occupancy: 16
; WaveLimiterHint : 0
; COMPUTE_PGM_RSRC2:SCRATCH_EN: 0
; COMPUTE_PGM_RSRC2:USER_SGPR: 2
; COMPUTE_PGM_RSRC2:TRAP_HANDLER: 0
; COMPUTE_PGM_RSRC2:TGID_X_EN: 1
; COMPUTE_PGM_RSRC2:TGID_Y_EN: 0
; COMPUTE_PGM_RSRC2:TGID_Z_EN: 0
; COMPUTE_PGM_RSRC2:TIDIG_COMP_CNT: 0
	.section	.text._ZN7rocprim17ROCPRIM_400000_NS6detail17trampoline_kernelINS0_14default_configENS1_33run_length_encode_config_selectorIajNS0_4plusIjEEEEZZNS1_33reduce_by_key_impl_wrapped_configILNS1_25lookback_scan_determinismE0ES3_S7_PKaNS0_17constant_iteratorIjlEEPaPlSF_S6_NS0_8equal_toIaEEEE10hipError_tPvRmT2_T3_mT4_T5_T6_T7_T8_P12ihipStream_tbENKUlT_T0_E_clISt17integral_constantIbLb0EESY_IbLb1EEEEDaSU_SV_EUlSU_E_NS1_11comp_targetILNS1_3genE3ELNS1_11target_archE908ELNS1_3gpuE7ELNS1_3repE0EEENS1_30default_config_static_selectorELNS0_4arch9wavefront6targetE0EEEvT1_,"axG",@progbits,_ZN7rocprim17ROCPRIM_400000_NS6detail17trampoline_kernelINS0_14default_configENS1_33run_length_encode_config_selectorIajNS0_4plusIjEEEEZZNS1_33reduce_by_key_impl_wrapped_configILNS1_25lookback_scan_determinismE0ES3_S7_PKaNS0_17constant_iteratorIjlEEPaPlSF_S6_NS0_8equal_toIaEEEE10hipError_tPvRmT2_T3_mT4_T5_T6_T7_T8_P12ihipStream_tbENKUlT_T0_E_clISt17integral_constantIbLb0EESY_IbLb1EEEEDaSU_SV_EUlSU_E_NS1_11comp_targetILNS1_3genE3ELNS1_11target_archE908ELNS1_3gpuE7ELNS1_3repE0EEENS1_30default_config_static_selectorELNS0_4arch9wavefront6targetE0EEEvT1_,comdat
	.protected	_ZN7rocprim17ROCPRIM_400000_NS6detail17trampoline_kernelINS0_14default_configENS1_33run_length_encode_config_selectorIajNS0_4plusIjEEEEZZNS1_33reduce_by_key_impl_wrapped_configILNS1_25lookback_scan_determinismE0ES3_S7_PKaNS0_17constant_iteratorIjlEEPaPlSF_S6_NS0_8equal_toIaEEEE10hipError_tPvRmT2_T3_mT4_T5_T6_T7_T8_P12ihipStream_tbENKUlT_T0_E_clISt17integral_constantIbLb0EESY_IbLb1EEEEDaSU_SV_EUlSU_E_NS1_11comp_targetILNS1_3genE3ELNS1_11target_archE908ELNS1_3gpuE7ELNS1_3repE0EEENS1_30default_config_static_selectorELNS0_4arch9wavefront6targetE0EEEvT1_ ; -- Begin function _ZN7rocprim17ROCPRIM_400000_NS6detail17trampoline_kernelINS0_14default_configENS1_33run_length_encode_config_selectorIajNS0_4plusIjEEEEZZNS1_33reduce_by_key_impl_wrapped_configILNS1_25lookback_scan_determinismE0ES3_S7_PKaNS0_17constant_iteratorIjlEEPaPlSF_S6_NS0_8equal_toIaEEEE10hipError_tPvRmT2_T3_mT4_T5_T6_T7_T8_P12ihipStream_tbENKUlT_T0_E_clISt17integral_constantIbLb0EESY_IbLb1EEEEDaSU_SV_EUlSU_E_NS1_11comp_targetILNS1_3genE3ELNS1_11target_archE908ELNS1_3gpuE7ELNS1_3repE0EEENS1_30default_config_static_selectorELNS0_4arch9wavefront6targetE0EEEvT1_
	.globl	_ZN7rocprim17ROCPRIM_400000_NS6detail17trampoline_kernelINS0_14default_configENS1_33run_length_encode_config_selectorIajNS0_4plusIjEEEEZZNS1_33reduce_by_key_impl_wrapped_configILNS1_25lookback_scan_determinismE0ES3_S7_PKaNS0_17constant_iteratorIjlEEPaPlSF_S6_NS0_8equal_toIaEEEE10hipError_tPvRmT2_T3_mT4_T5_T6_T7_T8_P12ihipStream_tbENKUlT_T0_E_clISt17integral_constantIbLb0EESY_IbLb1EEEEDaSU_SV_EUlSU_E_NS1_11comp_targetILNS1_3genE3ELNS1_11target_archE908ELNS1_3gpuE7ELNS1_3repE0EEENS1_30default_config_static_selectorELNS0_4arch9wavefront6targetE0EEEvT1_
	.p2align	8
	.type	_ZN7rocprim17ROCPRIM_400000_NS6detail17trampoline_kernelINS0_14default_configENS1_33run_length_encode_config_selectorIajNS0_4plusIjEEEEZZNS1_33reduce_by_key_impl_wrapped_configILNS1_25lookback_scan_determinismE0ES3_S7_PKaNS0_17constant_iteratorIjlEEPaPlSF_S6_NS0_8equal_toIaEEEE10hipError_tPvRmT2_T3_mT4_T5_T6_T7_T8_P12ihipStream_tbENKUlT_T0_E_clISt17integral_constantIbLb0EESY_IbLb1EEEEDaSU_SV_EUlSU_E_NS1_11comp_targetILNS1_3genE3ELNS1_11target_archE908ELNS1_3gpuE7ELNS1_3repE0EEENS1_30default_config_static_selectorELNS0_4arch9wavefront6targetE0EEEvT1_,@function
_ZN7rocprim17ROCPRIM_400000_NS6detail17trampoline_kernelINS0_14default_configENS1_33run_length_encode_config_selectorIajNS0_4plusIjEEEEZZNS1_33reduce_by_key_impl_wrapped_configILNS1_25lookback_scan_determinismE0ES3_S7_PKaNS0_17constant_iteratorIjlEEPaPlSF_S6_NS0_8equal_toIaEEEE10hipError_tPvRmT2_T3_mT4_T5_T6_T7_T8_P12ihipStream_tbENKUlT_T0_E_clISt17integral_constantIbLb0EESY_IbLb1EEEEDaSU_SV_EUlSU_E_NS1_11comp_targetILNS1_3genE3ELNS1_11target_archE908ELNS1_3gpuE7ELNS1_3repE0EEENS1_30default_config_static_selectorELNS0_4arch9wavefront6targetE0EEEvT1_: ; @_ZN7rocprim17ROCPRIM_400000_NS6detail17trampoline_kernelINS0_14default_configENS1_33run_length_encode_config_selectorIajNS0_4plusIjEEEEZZNS1_33reduce_by_key_impl_wrapped_configILNS1_25lookback_scan_determinismE0ES3_S7_PKaNS0_17constant_iteratorIjlEEPaPlSF_S6_NS0_8equal_toIaEEEE10hipError_tPvRmT2_T3_mT4_T5_T6_T7_T8_P12ihipStream_tbENKUlT_T0_E_clISt17integral_constantIbLb0EESY_IbLb1EEEEDaSU_SV_EUlSU_E_NS1_11comp_targetILNS1_3genE3ELNS1_11target_archE908ELNS1_3gpuE7ELNS1_3repE0EEENS1_30default_config_static_selectorELNS0_4arch9wavefront6targetE0EEEvT1_
; %bb.0:
	.section	.rodata,"a",@progbits
	.p2align	6, 0x0
	.amdhsa_kernel _ZN7rocprim17ROCPRIM_400000_NS6detail17trampoline_kernelINS0_14default_configENS1_33run_length_encode_config_selectorIajNS0_4plusIjEEEEZZNS1_33reduce_by_key_impl_wrapped_configILNS1_25lookback_scan_determinismE0ES3_S7_PKaNS0_17constant_iteratorIjlEEPaPlSF_S6_NS0_8equal_toIaEEEE10hipError_tPvRmT2_T3_mT4_T5_T6_T7_T8_P12ihipStream_tbENKUlT_T0_E_clISt17integral_constantIbLb0EESY_IbLb1EEEEDaSU_SV_EUlSU_E_NS1_11comp_targetILNS1_3genE3ELNS1_11target_archE908ELNS1_3gpuE7ELNS1_3repE0EEENS1_30default_config_static_selectorELNS0_4arch9wavefront6targetE0EEEvT1_
		.amdhsa_group_segment_fixed_size 0
		.amdhsa_private_segment_fixed_size 0
		.amdhsa_kernarg_size 128
		.amdhsa_user_sgpr_count 2
		.amdhsa_user_sgpr_dispatch_ptr 0
		.amdhsa_user_sgpr_queue_ptr 0
		.amdhsa_user_sgpr_kernarg_segment_ptr 1
		.amdhsa_user_sgpr_dispatch_id 0
		.amdhsa_user_sgpr_kernarg_preload_length 0
		.amdhsa_user_sgpr_kernarg_preload_offset 0
		.amdhsa_user_sgpr_private_segment_size 0
		.amdhsa_wavefront_size32 1
		.amdhsa_uses_dynamic_stack 0
		.amdhsa_enable_private_segment 0
		.amdhsa_system_sgpr_workgroup_id_x 1
		.amdhsa_system_sgpr_workgroup_id_y 0
		.amdhsa_system_sgpr_workgroup_id_z 0
		.amdhsa_system_sgpr_workgroup_info 0
		.amdhsa_system_vgpr_workitem_id 0
		.amdhsa_next_free_vgpr 1
		.amdhsa_next_free_sgpr 1
		.amdhsa_named_barrier_count 0
		.amdhsa_reserve_vcc 0
		.amdhsa_float_round_mode_32 0
		.amdhsa_float_round_mode_16_64 0
		.amdhsa_float_denorm_mode_32 3
		.amdhsa_float_denorm_mode_16_64 3
		.amdhsa_fp16_overflow 0
		.amdhsa_memory_ordered 1
		.amdhsa_forward_progress 1
		.amdhsa_inst_pref_size 0
		.amdhsa_round_robin_scheduling 0
		.amdhsa_exception_fp_ieee_invalid_op 0
		.amdhsa_exception_fp_denorm_src 0
		.amdhsa_exception_fp_ieee_div_zero 0
		.amdhsa_exception_fp_ieee_overflow 0
		.amdhsa_exception_fp_ieee_underflow 0
		.amdhsa_exception_fp_ieee_inexact 0
		.amdhsa_exception_int_div_zero 0
	.end_amdhsa_kernel
	.section	.text._ZN7rocprim17ROCPRIM_400000_NS6detail17trampoline_kernelINS0_14default_configENS1_33run_length_encode_config_selectorIajNS0_4plusIjEEEEZZNS1_33reduce_by_key_impl_wrapped_configILNS1_25lookback_scan_determinismE0ES3_S7_PKaNS0_17constant_iteratorIjlEEPaPlSF_S6_NS0_8equal_toIaEEEE10hipError_tPvRmT2_T3_mT4_T5_T6_T7_T8_P12ihipStream_tbENKUlT_T0_E_clISt17integral_constantIbLb0EESY_IbLb1EEEEDaSU_SV_EUlSU_E_NS1_11comp_targetILNS1_3genE3ELNS1_11target_archE908ELNS1_3gpuE7ELNS1_3repE0EEENS1_30default_config_static_selectorELNS0_4arch9wavefront6targetE0EEEvT1_,"axG",@progbits,_ZN7rocprim17ROCPRIM_400000_NS6detail17trampoline_kernelINS0_14default_configENS1_33run_length_encode_config_selectorIajNS0_4plusIjEEEEZZNS1_33reduce_by_key_impl_wrapped_configILNS1_25lookback_scan_determinismE0ES3_S7_PKaNS0_17constant_iteratorIjlEEPaPlSF_S6_NS0_8equal_toIaEEEE10hipError_tPvRmT2_T3_mT4_T5_T6_T7_T8_P12ihipStream_tbENKUlT_T0_E_clISt17integral_constantIbLb0EESY_IbLb1EEEEDaSU_SV_EUlSU_E_NS1_11comp_targetILNS1_3genE3ELNS1_11target_archE908ELNS1_3gpuE7ELNS1_3repE0EEENS1_30default_config_static_selectorELNS0_4arch9wavefront6targetE0EEEvT1_,comdat
.Lfunc_end265:
	.size	_ZN7rocprim17ROCPRIM_400000_NS6detail17trampoline_kernelINS0_14default_configENS1_33run_length_encode_config_selectorIajNS0_4plusIjEEEEZZNS1_33reduce_by_key_impl_wrapped_configILNS1_25lookback_scan_determinismE0ES3_S7_PKaNS0_17constant_iteratorIjlEEPaPlSF_S6_NS0_8equal_toIaEEEE10hipError_tPvRmT2_T3_mT4_T5_T6_T7_T8_P12ihipStream_tbENKUlT_T0_E_clISt17integral_constantIbLb0EESY_IbLb1EEEEDaSU_SV_EUlSU_E_NS1_11comp_targetILNS1_3genE3ELNS1_11target_archE908ELNS1_3gpuE7ELNS1_3repE0EEENS1_30default_config_static_selectorELNS0_4arch9wavefront6targetE0EEEvT1_, .Lfunc_end265-_ZN7rocprim17ROCPRIM_400000_NS6detail17trampoline_kernelINS0_14default_configENS1_33run_length_encode_config_selectorIajNS0_4plusIjEEEEZZNS1_33reduce_by_key_impl_wrapped_configILNS1_25lookback_scan_determinismE0ES3_S7_PKaNS0_17constant_iteratorIjlEEPaPlSF_S6_NS0_8equal_toIaEEEE10hipError_tPvRmT2_T3_mT4_T5_T6_T7_T8_P12ihipStream_tbENKUlT_T0_E_clISt17integral_constantIbLb0EESY_IbLb1EEEEDaSU_SV_EUlSU_E_NS1_11comp_targetILNS1_3genE3ELNS1_11target_archE908ELNS1_3gpuE7ELNS1_3repE0EEENS1_30default_config_static_selectorELNS0_4arch9wavefront6targetE0EEEvT1_
                                        ; -- End function
	.set _ZN7rocprim17ROCPRIM_400000_NS6detail17trampoline_kernelINS0_14default_configENS1_33run_length_encode_config_selectorIajNS0_4plusIjEEEEZZNS1_33reduce_by_key_impl_wrapped_configILNS1_25lookback_scan_determinismE0ES3_S7_PKaNS0_17constant_iteratorIjlEEPaPlSF_S6_NS0_8equal_toIaEEEE10hipError_tPvRmT2_T3_mT4_T5_T6_T7_T8_P12ihipStream_tbENKUlT_T0_E_clISt17integral_constantIbLb0EESY_IbLb1EEEEDaSU_SV_EUlSU_E_NS1_11comp_targetILNS1_3genE3ELNS1_11target_archE908ELNS1_3gpuE7ELNS1_3repE0EEENS1_30default_config_static_selectorELNS0_4arch9wavefront6targetE0EEEvT1_.num_vgpr, 0
	.set _ZN7rocprim17ROCPRIM_400000_NS6detail17trampoline_kernelINS0_14default_configENS1_33run_length_encode_config_selectorIajNS0_4plusIjEEEEZZNS1_33reduce_by_key_impl_wrapped_configILNS1_25lookback_scan_determinismE0ES3_S7_PKaNS0_17constant_iteratorIjlEEPaPlSF_S6_NS0_8equal_toIaEEEE10hipError_tPvRmT2_T3_mT4_T5_T6_T7_T8_P12ihipStream_tbENKUlT_T0_E_clISt17integral_constantIbLb0EESY_IbLb1EEEEDaSU_SV_EUlSU_E_NS1_11comp_targetILNS1_3genE3ELNS1_11target_archE908ELNS1_3gpuE7ELNS1_3repE0EEENS1_30default_config_static_selectorELNS0_4arch9wavefront6targetE0EEEvT1_.num_agpr, 0
	.set _ZN7rocprim17ROCPRIM_400000_NS6detail17trampoline_kernelINS0_14default_configENS1_33run_length_encode_config_selectorIajNS0_4plusIjEEEEZZNS1_33reduce_by_key_impl_wrapped_configILNS1_25lookback_scan_determinismE0ES3_S7_PKaNS0_17constant_iteratorIjlEEPaPlSF_S6_NS0_8equal_toIaEEEE10hipError_tPvRmT2_T3_mT4_T5_T6_T7_T8_P12ihipStream_tbENKUlT_T0_E_clISt17integral_constantIbLb0EESY_IbLb1EEEEDaSU_SV_EUlSU_E_NS1_11comp_targetILNS1_3genE3ELNS1_11target_archE908ELNS1_3gpuE7ELNS1_3repE0EEENS1_30default_config_static_selectorELNS0_4arch9wavefront6targetE0EEEvT1_.numbered_sgpr, 0
	.set _ZN7rocprim17ROCPRIM_400000_NS6detail17trampoline_kernelINS0_14default_configENS1_33run_length_encode_config_selectorIajNS0_4plusIjEEEEZZNS1_33reduce_by_key_impl_wrapped_configILNS1_25lookback_scan_determinismE0ES3_S7_PKaNS0_17constant_iteratorIjlEEPaPlSF_S6_NS0_8equal_toIaEEEE10hipError_tPvRmT2_T3_mT4_T5_T6_T7_T8_P12ihipStream_tbENKUlT_T0_E_clISt17integral_constantIbLb0EESY_IbLb1EEEEDaSU_SV_EUlSU_E_NS1_11comp_targetILNS1_3genE3ELNS1_11target_archE908ELNS1_3gpuE7ELNS1_3repE0EEENS1_30default_config_static_selectorELNS0_4arch9wavefront6targetE0EEEvT1_.num_named_barrier, 0
	.set _ZN7rocprim17ROCPRIM_400000_NS6detail17trampoline_kernelINS0_14default_configENS1_33run_length_encode_config_selectorIajNS0_4plusIjEEEEZZNS1_33reduce_by_key_impl_wrapped_configILNS1_25lookback_scan_determinismE0ES3_S7_PKaNS0_17constant_iteratorIjlEEPaPlSF_S6_NS0_8equal_toIaEEEE10hipError_tPvRmT2_T3_mT4_T5_T6_T7_T8_P12ihipStream_tbENKUlT_T0_E_clISt17integral_constantIbLb0EESY_IbLb1EEEEDaSU_SV_EUlSU_E_NS1_11comp_targetILNS1_3genE3ELNS1_11target_archE908ELNS1_3gpuE7ELNS1_3repE0EEENS1_30default_config_static_selectorELNS0_4arch9wavefront6targetE0EEEvT1_.private_seg_size, 0
	.set _ZN7rocprim17ROCPRIM_400000_NS6detail17trampoline_kernelINS0_14default_configENS1_33run_length_encode_config_selectorIajNS0_4plusIjEEEEZZNS1_33reduce_by_key_impl_wrapped_configILNS1_25lookback_scan_determinismE0ES3_S7_PKaNS0_17constant_iteratorIjlEEPaPlSF_S6_NS0_8equal_toIaEEEE10hipError_tPvRmT2_T3_mT4_T5_T6_T7_T8_P12ihipStream_tbENKUlT_T0_E_clISt17integral_constantIbLb0EESY_IbLb1EEEEDaSU_SV_EUlSU_E_NS1_11comp_targetILNS1_3genE3ELNS1_11target_archE908ELNS1_3gpuE7ELNS1_3repE0EEENS1_30default_config_static_selectorELNS0_4arch9wavefront6targetE0EEEvT1_.uses_vcc, 0
	.set _ZN7rocprim17ROCPRIM_400000_NS6detail17trampoline_kernelINS0_14default_configENS1_33run_length_encode_config_selectorIajNS0_4plusIjEEEEZZNS1_33reduce_by_key_impl_wrapped_configILNS1_25lookback_scan_determinismE0ES3_S7_PKaNS0_17constant_iteratorIjlEEPaPlSF_S6_NS0_8equal_toIaEEEE10hipError_tPvRmT2_T3_mT4_T5_T6_T7_T8_P12ihipStream_tbENKUlT_T0_E_clISt17integral_constantIbLb0EESY_IbLb1EEEEDaSU_SV_EUlSU_E_NS1_11comp_targetILNS1_3genE3ELNS1_11target_archE908ELNS1_3gpuE7ELNS1_3repE0EEENS1_30default_config_static_selectorELNS0_4arch9wavefront6targetE0EEEvT1_.uses_flat_scratch, 0
	.set _ZN7rocprim17ROCPRIM_400000_NS6detail17trampoline_kernelINS0_14default_configENS1_33run_length_encode_config_selectorIajNS0_4plusIjEEEEZZNS1_33reduce_by_key_impl_wrapped_configILNS1_25lookback_scan_determinismE0ES3_S7_PKaNS0_17constant_iteratorIjlEEPaPlSF_S6_NS0_8equal_toIaEEEE10hipError_tPvRmT2_T3_mT4_T5_T6_T7_T8_P12ihipStream_tbENKUlT_T0_E_clISt17integral_constantIbLb0EESY_IbLb1EEEEDaSU_SV_EUlSU_E_NS1_11comp_targetILNS1_3genE3ELNS1_11target_archE908ELNS1_3gpuE7ELNS1_3repE0EEENS1_30default_config_static_selectorELNS0_4arch9wavefront6targetE0EEEvT1_.has_dyn_sized_stack, 0
	.set _ZN7rocprim17ROCPRIM_400000_NS6detail17trampoline_kernelINS0_14default_configENS1_33run_length_encode_config_selectorIajNS0_4plusIjEEEEZZNS1_33reduce_by_key_impl_wrapped_configILNS1_25lookback_scan_determinismE0ES3_S7_PKaNS0_17constant_iteratorIjlEEPaPlSF_S6_NS0_8equal_toIaEEEE10hipError_tPvRmT2_T3_mT4_T5_T6_T7_T8_P12ihipStream_tbENKUlT_T0_E_clISt17integral_constantIbLb0EESY_IbLb1EEEEDaSU_SV_EUlSU_E_NS1_11comp_targetILNS1_3genE3ELNS1_11target_archE908ELNS1_3gpuE7ELNS1_3repE0EEENS1_30default_config_static_selectorELNS0_4arch9wavefront6targetE0EEEvT1_.has_recursion, 0
	.set _ZN7rocprim17ROCPRIM_400000_NS6detail17trampoline_kernelINS0_14default_configENS1_33run_length_encode_config_selectorIajNS0_4plusIjEEEEZZNS1_33reduce_by_key_impl_wrapped_configILNS1_25lookback_scan_determinismE0ES3_S7_PKaNS0_17constant_iteratorIjlEEPaPlSF_S6_NS0_8equal_toIaEEEE10hipError_tPvRmT2_T3_mT4_T5_T6_T7_T8_P12ihipStream_tbENKUlT_T0_E_clISt17integral_constantIbLb0EESY_IbLb1EEEEDaSU_SV_EUlSU_E_NS1_11comp_targetILNS1_3genE3ELNS1_11target_archE908ELNS1_3gpuE7ELNS1_3repE0EEENS1_30default_config_static_selectorELNS0_4arch9wavefront6targetE0EEEvT1_.has_indirect_call, 0
	.section	.AMDGPU.csdata,"",@progbits
; Kernel info:
; codeLenInByte = 0
; TotalNumSgprs: 0
; NumVgprs: 0
; ScratchSize: 0
; MemoryBound: 0
; FloatMode: 240
; IeeeMode: 1
; LDSByteSize: 0 bytes/workgroup (compile time only)
; SGPRBlocks: 0
; VGPRBlocks: 0
; NumSGPRsForWavesPerEU: 1
; NumVGPRsForWavesPerEU: 1
; NamedBarCnt: 0
; Occupancy: 16
; WaveLimiterHint : 0
; COMPUTE_PGM_RSRC2:SCRATCH_EN: 0
; COMPUTE_PGM_RSRC2:USER_SGPR: 2
; COMPUTE_PGM_RSRC2:TRAP_HANDLER: 0
; COMPUTE_PGM_RSRC2:TGID_X_EN: 1
; COMPUTE_PGM_RSRC2:TGID_Y_EN: 0
; COMPUTE_PGM_RSRC2:TGID_Z_EN: 0
; COMPUTE_PGM_RSRC2:TIDIG_COMP_CNT: 0
	.section	.text._ZN7rocprim17ROCPRIM_400000_NS6detail17trampoline_kernelINS0_14default_configENS1_33run_length_encode_config_selectorIajNS0_4plusIjEEEEZZNS1_33reduce_by_key_impl_wrapped_configILNS1_25lookback_scan_determinismE0ES3_S7_PKaNS0_17constant_iteratorIjlEEPaPlSF_S6_NS0_8equal_toIaEEEE10hipError_tPvRmT2_T3_mT4_T5_T6_T7_T8_P12ihipStream_tbENKUlT_T0_E_clISt17integral_constantIbLb0EESY_IbLb1EEEEDaSU_SV_EUlSU_E_NS1_11comp_targetILNS1_3genE2ELNS1_11target_archE906ELNS1_3gpuE6ELNS1_3repE0EEENS1_30default_config_static_selectorELNS0_4arch9wavefront6targetE0EEEvT1_,"axG",@progbits,_ZN7rocprim17ROCPRIM_400000_NS6detail17trampoline_kernelINS0_14default_configENS1_33run_length_encode_config_selectorIajNS0_4plusIjEEEEZZNS1_33reduce_by_key_impl_wrapped_configILNS1_25lookback_scan_determinismE0ES3_S7_PKaNS0_17constant_iteratorIjlEEPaPlSF_S6_NS0_8equal_toIaEEEE10hipError_tPvRmT2_T3_mT4_T5_T6_T7_T8_P12ihipStream_tbENKUlT_T0_E_clISt17integral_constantIbLb0EESY_IbLb1EEEEDaSU_SV_EUlSU_E_NS1_11comp_targetILNS1_3genE2ELNS1_11target_archE906ELNS1_3gpuE6ELNS1_3repE0EEENS1_30default_config_static_selectorELNS0_4arch9wavefront6targetE0EEEvT1_,comdat
	.protected	_ZN7rocprim17ROCPRIM_400000_NS6detail17trampoline_kernelINS0_14default_configENS1_33run_length_encode_config_selectorIajNS0_4plusIjEEEEZZNS1_33reduce_by_key_impl_wrapped_configILNS1_25lookback_scan_determinismE0ES3_S7_PKaNS0_17constant_iteratorIjlEEPaPlSF_S6_NS0_8equal_toIaEEEE10hipError_tPvRmT2_T3_mT4_T5_T6_T7_T8_P12ihipStream_tbENKUlT_T0_E_clISt17integral_constantIbLb0EESY_IbLb1EEEEDaSU_SV_EUlSU_E_NS1_11comp_targetILNS1_3genE2ELNS1_11target_archE906ELNS1_3gpuE6ELNS1_3repE0EEENS1_30default_config_static_selectorELNS0_4arch9wavefront6targetE0EEEvT1_ ; -- Begin function _ZN7rocprim17ROCPRIM_400000_NS6detail17trampoline_kernelINS0_14default_configENS1_33run_length_encode_config_selectorIajNS0_4plusIjEEEEZZNS1_33reduce_by_key_impl_wrapped_configILNS1_25lookback_scan_determinismE0ES3_S7_PKaNS0_17constant_iteratorIjlEEPaPlSF_S6_NS0_8equal_toIaEEEE10hipError_tPvRmT2_T3_mT4_T5_T6_T7_T8_P12ihipStream_tbENKUlT_T0_E_clISt17integral_constantIbLb0EESY_IbLb1EEEEDaSU_SV_EUlSU_E_NS1_11comp_targetILNS1_3genE2ELNS1_11target_archE906ELNS1_3gpuE6ELNS1_3repE0EEENS1_30default_config_static_selectorELNS0_4arch9wavefront6targetE0EEEvT1_
	.globl	_ZN7rocprim17ROCPRIM_400000_NS6detail17trampoline_kernelINS0_14default_configENS1_33run_length_encode_config_selectorIajNS0_4plusIjEEEEZZNS1_33reduce_by_key_impl_wrapped_configILNS1_25lookback_scan_determinismE0ES3_S7_PKaNS0_17constant_iteratorIjlEEPaPlSF_S6_NS0_8equal_toIaEEEE10hipError_tPvRmT2_T3_mT4_T5_T6_T7_T8_P12ihipStream_tbENKUlT_T0_E_clISt17integral_constantIbLb0EESY_IbLb1EEEEDaSU_SV_EUlSU_E_NS1_11comp_targetILNS1_3genE2ELNS1_11target_archE906ELNS1_3gpuE6ELNS1_3repE0EEENS1_30default_config_static_selectorELNS0_4arch9wavefront6targetE0EEEvT1_
	.p2align	8
	.type	_ZN7rocprim17ROCPRIM_400000_NS6detail17trampoline_kernelINS0_14default_configENS1_33run_length_encode_config_selectorIajNS0_4plusIjEEEEZZNS1_33reduce_by_key_impl_wrapped_configILNS1_25lookback_scan_determinismE0ES3_S7_PKaNS0_17constant_iteratorIjlEEPaPlSF_S6_NS0_8equal_toIaEEEE10hipError_tPvRmT2_T3_mT4_T5_T6_T7_T8_P12ihipStream_tbENKUlT_T0_E_clISt17integral_constantIbLb0EESY_IbLb1EEEEDaSU_SV_EUlSU_E_NS1_11comp_targetILNS1_3genE2ELNS1_11target_archE906ELNS1_3gpuE6ELNS1_3repE0EEENS1_30default_config_static_selectorELNS0_4arch9wavefront6targetE0EEEvT1_,@function
_ZN7rocprim17ROCPRIM_400000_NS6detail17trampoline_kernelINS0_14default_configENS1_33run_length_encode_config_selectorIajNS0_4plusIjEEEEZZNS1_33reduce_by_key_impl_wrapped_configILNS1_25lookback_scan_determinismE0ES3_S7_PKaNS0_17constant_iteratorIjlEEPaPlSF_S6_NS0_8equal_toIaEEEE10hipError_tPvRmT2_T3_mT4_T5_T6_T7_T8_P12ihipStream_tbENKUlT_T0_E_clISt17integral_constantIbLb0EESY_IbLb1EEEEDaSU_SV_EUlSU_E_NS1_11comp_targetILNS1_3genE2ELNS1_11target_archE906ELNS1_3gpuE6ELNS1_3repE0EEENS1_30default_config_static_selectorELNS0_4arch9wavefront6targetE0EEEvT1_: ; @_ZN7rocprim17ROCPRIM_400000_NS6detail17trampoline_kernelINS0_14default_configENS1_33run_length_encode_config_selectorIajNS0_4plusIjEEEEZZNS1_33reduce_by_key_impl_wrapped_configILNS1_25lookback_scan_determinismE0ES3_S7_PKaNS0_17constant_iteratorIjlEEPaPlSF_S6_NS0_8equal_toIaEEEE10hipError_tPvRmT2_T3_mT4_T5_T6_T7_T8_P12ihipStream_tbENKUlT_T0_E_clISt17integral_constantIbLb0EESY_IbLb1EEEEDaSU_SV_EUlSU_E_NS1_11comp_targetILNS1_3genE2ELNS1_11target_archE906ELNS1_3gpuE6ELNS1_3repE0EEENS1_30default_config_static_selectorELNS0_4arch9wavefront6targetE0EEEvT1_
; %bb.0:
	.section	.rodata,"a",@progbits
	.p2align	6, 0x0
	.amdhsa_kernel _ZN7rocprim17ROCPRIM_400000_NS6detail17trampoline_kernelINS0_14default_configENS1_33run_length_encode_config_selectorIajNS0_4plusIjEEEEZZNS1_33reduce_by_key_impl_wrapped_configILNS1_25lookback_scan_determinismE0ES3_S7_PKaNS0_17constant_iteratorIjlEEPaPlSF_S6_NS0_8equal_toIaEEEE10hipError_tPvRmT2_T3_mT4_T5_T6_T7_T8_P12ihipStream_tbENKUlT_T0_E_clISt17integral_constantIbLb0EESY_IbLb1EEEEDaSU_SV_EUlSU_E_NS1_11comp_targetILNS1_3genE2ELNS1_11target_archE906ELNS1_3gpuE6ELNS1_3repE0EEENS1_30default_config_static_selectorELNS0_4arch9wavefront6targetE0EEEvT1_
		.amdhsa_group_segment_fixed_size 0
		.amdhsa_private_segment_fixed_size 0
		.amdhsa_kernarg_size 128
		.amdhsa_user_sgpr_count 2
		.amdhsa_user_sgpr_dispatch_ptr 0
		.amdhsa_user_sgpr_queue_ptr 0
		.amdhsa_user_sgpr_kernarg_segment_ptr 1
		.amdhsa_user_sgpr_dispatch_id 0
		.amdhsa_user_sgpr_kernarg_preload_length 0
		.amdhsa_user_sgpr_kernarg_preload_offset 0
		.amdhsa_user_sgpr_private_segment_size 0
		.amdhsa_wavefront_size32 1
		.amdhsa_uses_dynamic_stack 0
		.amdhsa_enable_private_segment 0
		.amdhsa_system_sgpr_workgroup_id_x 1
		.amdhsa_system_sgpr_workgroup_id_y 0
		.amdhsa_system_sgpr_workgroup_id_z 0
		.amdhsa_system_sgpr_workgroup_info 0
		.amdhsa_system_vgpr_workitem_id 0
		.amdhsa_next_free_vgpr 1
		.amdhsa_next_free_sgpr 1
		.amdhsa_named_barrier_count 0
		.amdhsa_reserve_vcc 0
		.amdhsa_float_round_mode_32 0
		.amdhsa_float_round_mode_16_64 0
		.amdhsa_float_denorm_mode_32 3
		.amdhsa_float_denorm_mode_16_64 3
		.amdhsa_fp16_overflow 0
		.amdhsa_memory_ordered 1
		.amdhsa_forward_progress 1
		.amdhsa_inst_pref_size 0
		.amdhsa_round_robin_scheduling 0
		.amdhsa_exception_fp_ieee_invalid_op 0
		.amdhsa_exception_fp_denorm_src 0
		.amdhsa_exception_fp_ieee_div_zero 0
		.amdhsa_exception_fp_ieee_overflow 0
		.amdhsa_exception_fp_ieee_underflow 0
		.amdhsa_exception_fp_ieee_inexact 0
		.amdhsa_exception_int_div_zero 0
	.end_amdhsa_kernel
	.section	.text._ZN7rocprim17ROCPRIM_400000_NS6detail17trampoline_kernelINS0_14default_configENS1_33run_length_encode_config_selectorIajNS0_4plusIjEEEEZZNS1_33reduce_by_key_impl_wrapped_configILNS1_25lookback_scan_determinismE0ES3_S7_PKaNS0_17constant_iteratorIjlEEPaPlSF_S6_NS0_8equal_toIaEEEE10hipError_tPvRmT2_T3_mT4_T5_T6_T7_T8_P12ihipStream_tbENKUlT_T0_E_clISt17integral_constantIbLb0EESY_IbLb1EEEEDaSU_SV_EUlSU_E_NS1_11comp_targetILNS1_3genE2ELNS1_11target_archE906ELNS1_3gpuE6ELNS1_3repE0EEENS1_30default_config_static_selectorELNS0_4arch9wavefront6targetE0EEEvT1_,"axG",@progbits,_ZN7rocprim17ROCPRIM_400000_NS6detail17trampoline_kernelINS0_14default_configENS1_33run_length_encode_config_selectorIajNS0_4plusIjEEEEZZNS1_33reduce_by_key_impl_wrapped_configILNS1_25lookback_scan_determinismE0ES3_S7_PKaNS0_17constant_iteratorIjlEEPaPlSF_S6_NS0_8equal_toIaEEEE10hipError_tPvRmT2_T3_mT4_T5_T6_T7_T8_P12ihipStream_tbENKUlT_T0_E_clISt17integral_constantIbLb0EESY_IbLb1EEEEDaSU_SV_EUlSU_E_NS1_11comp_targetILNS1_3genE2ELNS1_11target_archE906ELNS1_3gpuE6ELNS1_3repE0EEENS1_30default_config_static_selectorELNS0_4arch9wavefront6targetE0EEEvT1_,comdat
.Lfunc_end266:
	.size	_ZN7rocprim17ROCPRIM_400000_NS6detail17trampoline_kernelINS0_14default_configENS1_33run_length_encode_config_selectorIajNS0_4plusIjEEEEZZNS1_33reduce_by_key_impl_wrapped_configILNS1_25lookback_scan_determinismE0ES3_S7_PKaNS0_17constant_iteratorIjlEEPaPlSF_S6_NS0_8equal_toIaEEEE10hipError_tPvRmT2_T3_mT4_T5_T6_T7_T8_P12ihipStream_tbENKUlT_T0_E_clISt17integral_constantIbLb0EESY_IbLb1EEEEDaSU_SV_EUlSU_E_NS1_11comp_targetILNS1_3genE2ELNS1_11target_archE906ELNS1_3gpuE6ELNS1_3repE0EEENS1_30default_config_static_selectorELNS0_4arch9wavefront6targetE0EEEvT1_, .Lfunc_end266-_ZN7rocprim17ROCPRIM_400000_NS6detail17trampoline_kernelINS0_14default_configENS1_33run_length_encode_config_selectorIajNS0_4plusIjEEEEZZNS1_33reduce_by_key_impl_wrapped_configILNS1_25lookback_scan_determinismE0ES3_S7_PKaNS0_17constant_iteratorIjlEEPaPlSF_S6_NS0_8equal_toIaEEEE10hipError_tPvRmT2_T3_mT4_T5_T6_T7_T8_P12ihipStream_tbENKUlT_T0_E_clISt17integral_constantIbLb0EESY_IbLb1EEEEDaSU_SV_EUlSU_E_NS1_11comp_targetILNS1_3genE2ELNS1_11target_archE906ELNS1_3gpuE6ELNS1_3repE0EEENS1_30default_config_static_selectorELNS0_4arch9wavefront6targetE0EEEvT1_
                                        ; -- End function
	.set _ZN7rocprim17ROCPRIM_400000_NS6detail17trampoline_kernelINS0_14default_configENS1_33run_length_encode_config_selectorIajNS0_4plusIjEEEEZZNS1_33reduce_by_key_impl_wrapped_configILNS1_25lookback_scan_determinismE0ES3_S7_PKaNS0_17constant_iteratorIjlEEPaPlSF_S6_NS0_8equal_toIaEEEE10hipError_tPvRmT2_T3_mT4_T5_T6_T7_T8_P12ihipStream_tbENKUlT_T0_E_clISt17integral_constantIbLb0EESY_IbLb1EEEEDaSU_SV_EUlSU_E_NS1_11comp_targetILNS1_3genE2ELNS1_11target_archE906ELNS1_3gpuE6ELNS1_3repE0EEENS1_30default_config_static_selectorELNS0_4arch9wavefront6targetE0EEEvT1_.num_vgpr, 0
	.set _ZN7rocprim17ROCPRIM_400000_NS6detail17trampoline_kernelINS0_14default_configENS1_33run_length_encode_config_selectorIajNS0_4plusIjEEEEZZNS1_33reduce_by_key_impl_wrapped_configILNS1_25lookback_scan_determinismE0ES3_S7_PKaNS0_17constant_iteratorIjlEEPaPlSF_S6_NS0_8equal_toIaEEEE10hipError_tPvRmT2_T3_mT4_T5_T6_T7_T8_P12ihipStream_tbENKUlT_T0_E_clISt17integral_constantIbLb0EESY_IbLb1EEEEDaSU_SV_EUlSU_E_NS1_11comp_targetILNS1_3genE2ELNS1_11target_archE906ELNS1_3gpuE6ELNS1_3repE0EEENS1_30default_config_static_selectorELNS0_4arch9wavefront6targetE0EEEvT1_.num_agpr, 0
	.set _ZN7rocprim17ROCPRIM_400000_NS6detail17trampoline_kernelINS0_14default_configENS1_33run_length_encode_config_selectorIajNS0_4plusIjEEEEZZNS1_33reduce_by_key_impl_wrapped_configILNS1_25lookback_scan_determinismE0ES3_S7_PKaNS0_17constant_iteratorIjlEEPaPlSF_S6_NS0_8equal_toIaEEEE10hipError_tPvRmT2_T3_mT4_T5_T6_T7_T8_P12ihipStream_tbENKUlT_T0_E_clISt17integral_constantIbLb0EESY_IbLb1EEEEDaSU_SV_EUlSU_E_NS1_11comp_targetILNS1_3genE2ELNS1_11target_archE906ELNS1_3gpuE6ELNS1_3repE0EEENS1_30default_config_static_selectorELNS0_4arch9wavefront6targetE0EEEvT1_.numbered_sgpr, 0
	.set _ZN7rocprim17ROCPRIM_400000_NS6detail17trampoline_kernelINS0_14default_configENS1_33run_length_encode_config_selectorIajNS0_4plusIjEEEEZZNS1_33reduce_by_key_impl_wrapped_configILNS1_25lookback_scan_determinismE0ES3_S7_PKaNS0_17constant_iteratorIjlEEPaPlSF_S6_NS0_8equal_toIaEEEE10hipError_tPvRmT2_T3_mT4_T5_T6_T7_T8_P12ihipStream_tbENKUlT_T0_E_clISt17integral_constantIbLb0EESY_IbLb1EEEEDaSU_SV_EUlSU_E_NS1_11comp_targetILNS1_3genE2ELNS1_11target_archE906ELNS1_3gpuE6ELNS1_3repE0EEENS1_30default_config_static_selectorELNS0_4arch9wavefront6targetE0EEEvT1_.num_named_barrier, 0
	.set _ZN7rocprim17ROCPRIM_400000_NS6detail17trampoline_kernelINS0_14default_configENS1_33run_length_encode_config_selectorIajNS0_4plusIjEEEEZZNS1_33reduce_by_key_impl_wrapped_configILNS1_25lookback_scan_determinismE0ES3_S7_PKaNS0_17constant_iteratorIjlEEPaPlSF_S6_NS0_8equal_toIaEEEE10hipError_tPvRmT2_T3_mT4_T5_T6_T7_T8_P12ihipStream_tbENKUlT_T0_E_clISt17integral_constantIbLb0EESY_IbLb1EEEEDaSU_SV_EUlSU_E_NS1_11comp_targetILNS1_3genE2ELNS1_11target_archE906ELNS1_3gpuE6ELNS1_3repE0EEENS1_30default_config_static_selectorELNS0_4arch9wavefront6targetE0EEEvT1_.private_seg_size, 0
	.set _ZN7rocprim17ROCPRIM_400000_NS6detail17trampoline_kernelINS0_14default_configENS1_33run_length_encode_config_selectorIajNS0_4plusIjEEEEZZNS1_33reduce_by_key_impl_wrapped_configILNS1_25lookback_scan_determinismE0ES3_S7_PKaNS0_17constant_iteratorIjlEEPaPlSF_S6_NS0_8equal_toIaEEEE10hipError_tPvRmT2_T3_mT4_T5_T6_T7_T8_P12ihipStream_tbENKUlT_T0_E_clISt17integral_constantIbLb0EESY_IbLb1EEEEDaSU_SV_EUlSU_E_NS1_11comp_targetILNS1_3genE2ELNS1_11target_archE906ELNS1_3gpuE6ELNS1_3repE0EEENS1_30default_config_static_selectorELNS0_4arch9wavefront6targetE0EEEvT1_.uses_vcc, 0
	.set _ZN7rocprim17ROCPRIM_400000_NS6detail17trampoline_kernelINS0_14default_configENS1_33run_length_encode_config_selectorIajNS0_4plusIjEEEEZZNS1_33reduce_by_key_impl_wrapped_configILNS1_25lookback_scan_determinismE0ES3_S7_PKaNS0_17constant_iteratorIjlEEPaPlSF_S6_NS0_8equal_toIaEEEE10hipError_tPvRmT2_T3_mT4_T5_T6_T7_T8_P12ihipStream_tbENKUlT_T0_E_clISt17integral_constantIbLb0EESY_IbLb1EEEEDaSU_SV_EUlSU_E_NS1_11comp_targetILNS1_3genE2ELNS1_11target_archE906ELNS1_3gpuE6ELNS1_3repE0EEENS1_30default_config_static_selectorELNS0_4arch9wavefront6targetE0EEEvT1_.uses_flat_scratch, 0
	.set _ZN7rocprim17ROCPRIM_400000_NS6detail17trampoline_kernelINS0_14default_configENS1_33run_length_encode_config_selectorIajNS0_4plusIjEEEEZZNS1_33reduce_by_key_impl_wrapped_configILNS1_25lookback_scan_determinismE0ES3_S7_PKaNS0_17constant_iteratorIjlEEPaPlSF_S6_NS0_8equal_toIaEEEE10hipError_tPvRmT2_T3_mT4_T5_T6_T7_T8_P12ihipStream_tbENKUlT_T0_E_clISt17integral_constantIbLb0EESY_IbLb1EEEEDaSU_SV_EUlSU_E_NS1_11comp_targetILNS1_3genE2ELNS1_11target_archE906ELNS1_3gpuE6ELNS1_3repE0EEENS1_30default_config_static_selectorELNS0_4arch9wavefront6targetE0EEEvT1_.has_dyn_sized_stack, 0
	.set _ZN7rocprim17ROCPRIM_400000_NS6detail17trampoline_kernelINS0_14default_configENS1_33run_length_encode_config_selectorIajNS0_4plusIjEEEEZZNS1_33reduce_by_key_impl_wrapped_configILNS1_25lookback_scan_determinismE0ES3_S7_PKaNS0_17constant_iteratorIjlEEPaPlSF_S6_NS0_8equal_toIaEEEE10hipError_tPvRmT2_T3_mT4_T5_T6_T7_T8_P12ihipStream_tbENKUlT_T0_E_clISt17integral_constantIbLb0EESY_IbLb1EEEEDaSU_SV_EUlSU_E_NS1_11comp_targetILNS1_3genE2ELNS1_11target_archE906ELNS1_3gpuE6ELNS1_3repE0EEENS1_30default_config_static_selectorELNS0_4arch9wavefront6targetE0EEEvT1_.has_recursion, 0
	.set _ZN7rocprim17ROCPRIM_400000_NS6detail17trampoline_kernelINS0_14default_configENS1_33run_length_encode_config_selectorIajNS0_4plusIjEEEEZZNS1_33reduce_by_key_impl_wrapped_configILNS1_25lookback_scan_determinismE0ES3_S7_PKaNS0_17constant_iteratorIjlEEPaPlSF_S6_NS0_8equal_toIaEEEE10hipError_tPvRmT2_T3_mT4_T5_T6_T7_T8_P12ihipStream_tbENKUlT_T0_E_clISt17integral_constantIbLb0EESY_IbLb1EEEEDaSU_SV_EUlSU_E_NS1_11comp_targetILNS1_3genE2ELNS1_11target_archE906ELNS1_3gpuE6ELNS1_3repE0EEENS1_30default_config_static_selectorELNS0_4arch9wavefront6targetE0EEEvT1_.has_indirect_call, 0
	.section	.AMDGPU.csdata,"",@progbits
; Kernel info:
; codeLenInByte = 0
; TotalNumSgprs: 0
; NumVgprs: 0
; ScratchSize: 0
; MemoryBound: 0
; FloatMode: 240
; IeeeMode: 1
; LDSByteSize: 0 bytes/workgroup (compile time only)
; SGPRBlocks: 0
; VGPRBlocks: 0
; NumSGPRsForWavesPerEU: 1
; NumVGPRsForWavesPerEU: 1
; NamedBarCnt: 0
; Occupancy: 16
; WaveLimiterHint : 0
; COMPUTE_PGM_RSRC2:SCRATCH_EN: 0
; COMPUTE_PGM_RSRC2:USER_SGPR: 2
; COMPUTE_PGM_RSRC2:TRAP_HANDLER: 0
; COMPUTE_PGM_RSRC2:TGID_X_EN: 1
; COMPUTE_PGM_RSRC2:TGID_Y_EN: 0
; COMPUTE_PGM_RSRC2:TGID_Z_EN: 0
; COMPUTE_PGM_RSRC2:TIDIG_COMP_CNT: 0
	.section	.text._ZN7rocprim17ROCPRIM_400000_NS6detail17trampoline_kernelINS0_14default_configENS1_33run_length_encode_config_selectorIajNS0_4plusIjEEEEZZNS1_33reduce_by_key_impl_wrapped_configILNS1_25lookback_scan_determinismE0ES3_S7_PKaNS0_17constant_iteratorIjlEEPaPlSF_S6_NS0_8equal_toIaEEEE10hipError_tPvRmT2_T3_mT4_T5_T6_T7_T8_P12ihipStream_tbENKUlT_T0_E_clISt17integral_constantIbLb0EESY_IbLb1EEEEDaSU_SV_EUlSU_E_NS1_11comp_targetILNS1_3genE10ELNS1_11target_archE1201ELNS1_3gpuE5ELNS1_3repE0EEENS1_30default_config_static_selectorELNS0_4arch9wavefront6targetE0EEEvT1_,"axG",@progbits,_ZN7rocprim17ROCPRIM_400000_NS6detail17trampoline_kernelINS0_14default_configENS1_33run_length_encode_config_selectorIajNS0_4plusIjEEEEZZNS1_33reduce_by_key_impl_wrapped_configILNS1_25lookback_scan_determinismE0ES3_S7_PKaNS0_17constant_iteratorIjlEEPaPlSF_S6_NS0_8equal_toIaEEEE10hipError_tPvRmT2_T3_mT4_T5_T6_T7_T8_P12ihipStream_tbENKUlT_T0_E_clISt17integral_constantIbLb0EESY_IbLb1EEEEDaSU_SV_EUlSU_E_NS1_11comp_targetILNS1_3genE10ELNS1_11target_archE1201ELNS1_3gpuE5ELNS1_3repE0EEENS1_30default_config_static_selectorELNS0_4arch9wavefront6targetE0EEEvT1_,comdat
	.protected	_ZN7rocprim17ROCPRIM_400000_NS6detail17trampoline_kernelINS0_14default_configENS1_33run_length_encode_config_selectorIajNS0_4plusIjEEEEZZNS1_33reduce_by_key_impl_wrapped_configILNS1_25lookback_scan_determinismE0ES3_S7_PKaNS0_17constant_iteratorIjlEEPaPlSF_S6_NS0_8equal_toIaEEEE10hipError_tPvRmT2_T3_mT4_T5_T6_T7_T8_P12ihipStream_tbENKUlT_T0_E_clISt17integral_constantIbLb0EESY_IbLb1EEEEDaSU_SV_EUlSU_E_NS1_11comp_targetILNS1_3genE10ELNS1_11target_archE1201ELNS1_3gpuE5ELNS1_3repE0EEENS1_30default_config_static_selectorELNS0_4arch9wavefront6targetE0EEEvT1_ ; -- Begin function _ZN7rocprim17ROCPRIM_400000_NS6detail17trampoline_kernelINS0_14default_configENS1_33run_length_encode_config_selectorIajNS0_4plusIjEEEEZZNS1_33reduce_by_key_impl_wrapped_configILNS1_25lookback_scan_determinismE0ES3_S7_PKaNS0_17constant_iteratorIjlEEPaPlSF_S6_NS0_8equal_toIaEEEE10hipError_tPvRmT2_T3_mT4_T5_T6_T7_T8_P12ihipStream_tbENKUlT_T0_E_clISt17integral_constantIbLb0EESY_IbLb1EEEEDaSU_SV_EUlSU_E_NS1_11comp_targetILNS1_3genE10ELNS1_11target_archE1201ELNS1_3gpuE5ELNS1_3repE0EEENS1_30default_config_static_selectorELNS0_4arch9wavefront6targetE0EEEvT1_
	.globl	_ZN7rocprim17ROCPRIM_400000_NS6detail17trampoline_kernelINS0_14default_configENS1_33run_length_encode_config_selectorIajNS0_4plusIjEEEEZZNS1_33reduce_by_key_impl_wrapped_configILNS1_25lookback_scan_determinismE0ES3_S7_PKaNS0_17constant_iteratorIjlEEPaPlSF_S6_NS0_8equal_toIaEEEE10hipError_tPvRmT2_T3_mT4_T5_T6_T7_T8_P12ihipStream_tbENKUlT_T0_E_clISt17integral_constantIbLb0EESY_IbLb1EEEEDaSU_SV_EUlSU_E_NS1_11comp_targetILNS1_3genE10ELNS1_11target_archE1201ELNS1_3gpuE5ELNS1_3repE0EEENS1_30default_config_static_selectorELNS0_4arch9wavefront6targetE0EEEvT1_
	.p2align	8
	.type	_ZN7rocprim17ROCPRIM_400000_NS6detail17trampoline_kernelINS0_14default_configENS1_33run_length_encode_config_selectorIajNS0_4plusIjEEEEZZNS1_33reduce_by_key_impl_wrapped_configILNS1_25lookback_scan_determinismE0ES3_S7_PKaNS0_17constant_iteratorIjlEEPaPlSF_S6_NS0_8equal_toIaEEEE10hipError_tPvRmT2_T3_mT4_T5_T6_T7_T8_P12ihipStream_tbENKUlT_T0_E_clISt17integral_constantIbLb0EESY_IbLb1EEEEDaSU_SV_EUlSU_E_NS1_11comp_targetILNS1_3genE10ELNS1_11target_archE1201ELNS1_3gpuE5ELNS1_3repE0EEENS1_30default_config_static_selectorELNS0_4arch9wavefront6targetE0EEEvT1_,@function
_ZN7rocprim17ROCPRIM_400000_NS6detail17trampoline_kernelINS0_14default_configENS1_33run_length_encode_config_selectorIajNS0_4plusIjEEEEZZNS1_33reduce_by_key_impl_wrapped_configILNS1_25lookback_scan_determinismE0ES3_S7_PKaNS0_17constant_iteratorIjlEEPaPlSF_S6_NS0_8equal_toIaEEEE10hipError_tPvRmT2_T3_mT4_T5_T6_T7_T8_P12ihipStream_tbENKUlT_T0_E_clISt17integral_constantIbLb0EESY_IbLb1EEEEDaSU_SV_EUlSU_E_NS1_11comp_targetILNS1_3genE10ELNS1_11target_archE1201ELNS1_3gpuE5ELNS1_3repE0EEENS1_30default_config_static_selectorELNS0_4arch9wavefront6targetE0EEEvT1_: ; @_ZN7rocprim17ROCPRIM_400000_NS6detail17trampoline_kernelINS0_14default_configENS1_33run_length_encode_config_selectorIajNS0_4plusIjEEEEZZNS1_33reduce_by_key_impl_wrapped_configILNS1_25lookback_scan_determinismE0ES3_S7_PKaNS0_17constant_iteratorIjlEEPaPlSF_S6_NS0_8equal_toIaEEEE10hipError_tPvRmT2_T3_mT4_T5_T6_T7_T8_P12ihipStream_tbENKUlT_T0_E_clISt17integral_constantIbLb0EESY_IbLb1EEEEDaSU_SV_EUlSU_E_NS1_11comp_targetILNS1_3genE10ELNS1_11target_archE1201ELNS1_3gpuE5ELNS1_3repE0EEENS1_30default_config_static_selectorELNS0_4arch9wavefront6targetE0EEEvT1_
; %bb.0:
	.section	.rodata,"a",@progbits
	.p2align	6, 0x0
	.amdhsa_kernel _ZN7rocprim17ROCPRIM_400000_NS6detail17trampoline_kernelINS0_14default_configENS1_33run_length_encode_config_selectorIajNS0_4plusIjEEEEZZNS1_33reduce_by_key_impl_wrapped_configILNS1_25lookback_scan_determinismE0ES3_S7_PKaNS0_17constant_iteratorIjlEEPaPlSF_S6_NS0_8equal_toIaEEEE10hipError_tPvRmT2_T3_mT4_T5_T6_T7_T8_P12ihipStream_tbENKUlT_T0_E_clISt17integral_constantIbLb0EESY_IbLb1EEEEDaSU_SV_EUlSU_E_NS1_11comp_targetILNS1_3genE10ELNS1_11target_archE1201ELNS1_3gpuE5ELNS1_3repE0EEENS1_30default_config_static_selectorELNS0_4arch9wavefront6targetE0EEEvT1_
		.amdhsa_group_segment_fixed_size 0
		.amdhsa_private_segment_fixed_size 0
		.amdhsa_kernarg_size 128
		.amdhsa_user_sgpr_count 2
		.amdhsa_user_sgpr_dispatch_ptr 0
		.amdhsa_user_sgpr_queue_ptr 0
		.amdhsa_user_sgpr_kernarg_segment_ptr 1
		.amdhsa_user_sgpr_dispatch_id 0
		.amdhsa_user_sgpr_kernarg_preload_length 0
		.amdhsa_user_sgpr_kernarg_preload_offset 0
		.amdhsa_user_sgpr_private_segment_size 0
		.amdhsa_wavefront_size32 1
		.amdhsa_uses_dynamic_stack 0
		.amdhsa_enable_private_segment 0
		.amdhsa_system_sgpr_workgroup_id_x 1
		.amdhsa_system_sgpr_workgroup_id_y 0
		.amdhsa_system_sgpr_workgroup_id_z 0
		.amdhsa_system_sgpr_workgroup_info 0
		.amdhsa_system_vgpr_workitem_id 0
		.amdhsa_next_free_vgpr 1
		.amdhsa_next_free_sgpr 1
		.amdhsa_named_barrier_count 0
		.amdhsa_reserve_vcc 0
		.amdhsa_float_round_mode_32 0
		.amdhsa_float_round_mode_16_64 0
		.amdhsa_float_denorm_mode_32 3
		.amdhsa_float_denorm_mode_16_64 3
		.amdhsa_fp16_overflow 0
		.amdhsa_memory_ordered 1
		.amdhsa_forward_progress 1
		.amdhsa_inst_pref_size 0
		.amdhsa_round_robin_scheduling 0
		.amdhsa_exception_fp_ieee_invalid_op 0
		.amdhsa_exception_fp_denorm_src 0
		.amdhsa_exception_fp_ieee_div_zero 0
		.amdhsa_exception_fp_ieee_overflow 0
		.amdhsa_exception_fp_ieee_underflow 0
		.amdhsa_exception_fp_ieee_inexact 0
		.amdhsa_exception_int_div_zero 0
	.end_amdhsa_kernel
	.section	.text._ZN7rocprim17ROCPRIM_400000_NS6detail17trampoline_kernelINS0_14default_configENS1_33run_length_encode_config_selectorIajNS0_4plusIjEEEEZZNS1_33reduce_by_key_impl_wrapped_configILNS1_25lookback_scan_determinismE0ES3_S7_PKaNS0_17constant_iteratorIjlEEPaPlSF_S6_NS0_8equal_toIaEEEE10hipError_tPvRmT2_T3_mT4_T5_T6_T7_T8_P12ihipStream_tbENKUlT_T0_E_clISt17integral_constantIbLb0EESY_IbLb1EEEEDaSU_SV_EUlSU_E_NS1_11comp_targetILNS1_3genE10ELNS1_11target_archE1201ELNS1_3gpuE5ELNS1_3repE0EEENS1_30default_config_static_selectorELNS0_4arch9wavefront6targetE0EEEvT1_,"axG",@progbits,_ZN7rocprim17ROCPRIM_400000_NS6detail17trampoline_kernelINS0_14default_configENS1_33run_length_encode_config_selectorIajNS0_4plusIjEEEEZZNS1_33reduce_by_key_impl_wrapped_configILNS1_25lookback_scan_determinismE0ES3_S7_PKaNS0_17constant_iteratorIjlEEPaPlSF_S6_NS0_8equal_toIaEEEE10hipError_tPvRmT2_T3_mT4_T5_T6_T7_T8_P12ihipStream_tbENKUlT_T0_E_clISt17integral_constantIbLb0EESY_IbLb1EEEEDaSU_SV_EUlSU_E_NS1_11comp_targetILNS1_3genE10ELNS1_11target_archE1201ELNS1_3gpuE5ELNS1_3repE0EEENS1_30default_config_static_selectorELNS0_4arch9wavefront6targetE0EEEvT1_,comdat
.Lfunc_end267:
	.size	_ZN7rocprim17ROCPRIM_400000_NS6detail17trampoline_kernelINS0_14default_configENS1_33run_length_encode_config_selectorIajNS0_4plusIjEEEEZZNS1_33reduce_by_key_impl_wrapped_configILNS1_25lookback_scan_determinismE0ES3_S7_PKaNS0_17constant_iteratorIjlEEPaPlSF_S6_NS0_8equal_toIaEEEE10hipError_tPvRmT2_T3_mT4_T5_T6_T7_T8_P12ihipStream_tbENKUlT_T0_E_clISt17integral_constantIbLb0EESY_IbLb1EEEEDaSU_SV_EUlSU_E_NS1_11comp_targetILNS1_3genE10ELNS1_11target_archE1201ELNS1_3gpuE5ELNS1_3repE0EEENS1_30default_config_static_selectorELNS0_4arch9wavefront6targetE0EEEvT1_, .Lfunc_end267-_ZN7rocprim17ROCPRIM_400000_NS6detail17trampoline_kernelINS0_14default_configENS1_33run_length_encode_config_selectorIajNS0_4plusIjEEEEZZNS1_33reduce_by_key_impl_wrapped_configILNS1_25lookback_scan_determinismE0ES3_S7_PKaNS0_17constant_iteratorIjlEEPaPlSF_S6_NS0_8equal_toIaEEEE10hipError_tPvRmT2_T3_mT4_T5_T6_T7_T8_P12ihipStream_tbENKUlT_T0_E_clISt17integral_constantIbLb0EESY_IbLb1EEEEDaSU_SV_EUlSU_E_NS1_11comp_targetILNS1_3genE10ELNS1_11target_archE1201ELNS1_3gpuE5ELNS1_3repE0EEENS1_30default_config_static_selectorELNS0_4arch9wavefront6targetE0EEEvT1_
                                        ; -- End function
	.set _ZN7rocprim17ROCPRIM_400000_NS6detail17trampoline_kernelINS0_14default_configENS1_33run_length_encode_config_selectorIajNS0_4plusIjEEEEZZNS1_33reduce_by_key_impl_wrapped_configILNS1_25lookback_scan_determinismE0ES3_S7_PKaNS0_17constant_iteratorIjlEEPaPlSF_S6_NS0_8equal_toIaEEEE10hipError_tPvRmT2_T3_mT4_T5_T6_T7_T8_P12ihipStream_tbENKUlT_T0_E_clISt17integral_constantIbLb0EESY_IbLb1EEEEDaSU_SV_EUlSU_E_NS1_11comp_targetILNS1_3genE10ELNS1_11target_archE1201ELNS1_3gpuE5ELNS1_3repE0EEENS1_30default_config_static_selectorELNS0_4arch9wavefront6targetE0EEEvT1_.num_vgpr, 0
	.set _ZN7rocprim17ROCPRIM_400000_NS6detail17trampoline_kernelINS0_14default_configENS1_33run_length_encode_config_selectorIajNS0_4plusIjEEEEZZNS1_33reduce_by_key_impl_wrapped_configILNS1_25lookback_scan_determinismE0ES3_S7_PKaNS0_17constant_iteratorIjlEEPaPlSF_S6_NS0_8equal_toIaEEEE10hipError_tPvRmT2_T3_mT4_T5_T6_T7_T8_P12ihipStream_tbENKUlT_T0_E_clISt17integral_constantIbLb0EESY_IbLb1EEEEDaSU_SV_EUlSU_E_NS1_11comp_targetILNS1_3genE10ELNS1_11target_archE1201ELNS1_3gpuE5ELNS1_3repE0EEENS1_30default_config_static_selectorELNS0_4arch9wavefront6targetE0EEEvT1_.num_agpr, 0
	.set _ZN7rocprim17ROCPRIM_400000_NS6detail17trampoline_kernelINS0_14default_configENS1_33run_length_encode_config_selectorIajNS0_4plusIjEEEEZZNS1_33reduce_by_key_impl_wrapped_configILNS1_25lookback_scan_determinismE0ES3_S7_PKaNS0_17constant_iteratorIjlEEPaPlSF_S6_NS0_8equal_toIaEEEE10hipError_tPvRmT2_T3_mT4_T5_T6_T7_T8_P12ihipStream_tbENKUlT_T0_E_clISt17integral_constantIbLb0EESY_IbLb1EEEEDaSU_SV_EUlSU_E_NS1_11comp_targetILNS1_3genE10ELNS1_11target_archE1201ELNS1_3gpuE5ELNS1_3repE0EEENS1_30default_config_static_selectorELNS0_4arch9wavefront6targetE0EEEvT1_.numbered_sgpr, 0
	.set _ZN7rocprim17ROCPRIM_400000_NS6detail17trampoline_kernelINS0_14default_configENS1_33run_length_encode_config_selectorIajNS0_4plusIjEEEEZZNS1_33reduce_by_key_impl_wrapped_configILNS1_25lookback_scan_determinismE0ES3_S7_PKaNS0_17constant_iteratorIjlEEPaPlSF_S6_NS0_8equal_toIaEEEE10hipError_tPvRmT2_T3_mT4_T5_T6_T7_T8_P12ihipStream_tbENKUlT_T0_E_clISt17integral_constantIbLb0EESY_IbLb1EEEEDaSU_SV_EUlSU_E_NS1_11comp_targetILNS1_3genE10ELNS1_11target_archE1201ELNS1_3gpuE5ELNS1_3repE0EEENS1_30default_config_static_selectorELNS0_4arch9wavefront6targetE0EEEvT1_.num_named_barrier, 0
	.set _ZN7rocprim17ROCPRIM_400000_NS6detail17trampoline_kernelINS0_14default_configENS1_33run_length_encode_config_selectorIajNS0_4plusIjEEEEZZNS1_33reduce_by_key_impl_wrapped_configILNS1_25lookback_scan_determinismE0ES3_S7_PKaNS0_17constant_iteratorIjlEEPaPlSF_S6_NS0_8equal_toIaEEEE10hipError_tPvRmT2_T3_mT4_T5_T6_T7_T8_P12ihipStream_tbENKUlT_T0_E_clISt17integral_constantIbLb0EESY_IbLb1EEEEDaSU_SV_EUlSU_E_NS1_11comp_targetILNS1_3genE10ELNS1_11target_archE1201ELNS1_3gpuE5ELNS1_3repE0EEENS1_30default_config_static_selectorELNS0_4arch9wavefront6targetE0EEEvT1_.private_seg_size, 0
	.set _ZN7rocprim17ROCPRIM_400000_NS6detail17trampoline_kernelINS0_14default_configENS1_33run_length_encode_config_selectorIajNS0_4plusIjEEEEZZNS1_33reduce_by_key_impl_wrapped_configILNS1_25lookback_scan_determinismE0ES3_S7_PKaNS0_17constant_iteratorIjlEEPaPlSF_S6_NS0_8equal_toIaEEEE10hipError_tPvRmT2_T3_mT4_T5_T6_T7_T8_P12ihipStream_tbENKUlT_T0_E_clISt17integral_constantIbLb0EESY_IbLb1EEEEDaSU_SV_EUlSU_E_NS1_11comp_targetILNS1_3genE10ELNS1_11target_archE1201ELNS1_3gpuE5ELNS1_3repE0EEENS1_30default_config_static_selectorELNS0_4arch9wavefront6targetE0EEEvT1_.uses_vcc, 0
	.set _ZN7rocprim17ROCPRIM_400000_NS6detail17trampoline_kernelINS0_14default_configENS1_33run_length_encode_config_selectorIajNS0_4plusIjEEEEZZNS1_33reduce_by_key_impl_wrapped_configILNS1_25lookback_scan_determinismE0ES3_S7_PKaNS0_17constant_iteratorIjlEEPaPlSF_S6_NS0_8equal_toIaEEEE10hipError_tPvRmT2_T3_mT4_T5_T6_T7_T8_P12ihipStream_tbENKUlT_T0_E_clISt17integral_constantIbLb0EESY_IbLb1EEEEDaSU_SV_EUlSU_E_NS1_11comp_targetILNS1_3genE10ELNS1_11target_archE1201ELNS1_3gpuE5ELNS1_3repE0EEENS1_30default_config_static_selectorELNS0_4arch9wavefront6targetE0EEEvT1_.uses_flat_scratch, 0
	.set _ZN7rocprim17ROCPRIM_400000_NS6detail17trampoline_kernelINS0_14default_configENS1_33run_length_encode_config_selectorIajNS0_4plusIjEEEEZZNS1_33reduce_by_key_impl_wrapped_configILNS1_25lookback_scan_determinismE0ES3_S7_PKaNS0_17constant_iteratorIjlEEPaPlSF_S6_NS0_8equal_toIaEEEE10hipError_tPvRmT2_T3_mT4_T5_T6_T7_T8_P12ihipStream_tbENKUlT_T0_E_clISt17integral_constantIbLb0EESY_IbLb1EEEEDaSU_SV_EUlSU_E_NS1_11comp_targetILNS1_3genE10ELNS1_11target_archE1201ELNS1_3gpuE5ELNS1_3repE0EEENS1_30default_config_static_selectorELNS0_4arch9wavefront6targetE0EEEvT1_.has_dyn_sized_stack, 0
	.set _ZN7rocprim17ROCPRIM_400000_NS6detail17trampoline_kernelINS0_14default_configENS1_33run_length_encode_config_selectorIajNS0_4plusIjEEEEZZNS1_33reduce_by_key_impl_wrapped_configILNS1_25lookback_scan_determinismE0ES3_S7_PKaNS0_17constant_iteratorIjlEEPaPlSF_S6_NS0_8equal_toIaEEEE10hipError_tPvRmT2_T3_mT4_T5_T6_T7_T8_P12ihipStream_tbENKUlT_T0_E_clISt17integral_constantIbLb0EESY_IbLb1EEEEDaSU_SV_EUlSU_E_NS1_11comp_targetILNS1_3genE10ELNS1_11target_archE1201ELNS1_3gpuE5ELNS1_3repE0EEENS1_30default_config_static_selectorELNS0_4arch9wavefront6targetE0EEEvT1_.has_recursion, 0
	.set _ZN7rocprim17ROCPRIM_400000_NS6detail17trampoline_kernelINS0_14default_configENS1_33run_length_encode_config_selectorIajNS0_4plusIjEEEEZZNS1_33reduce_by_key_impl_wrapped_configILNS1_25lookback_scan_determinismE0ES3_S7_PKaNS0_17constant_iteratorIjlEEPaPlSF_S6_NS0_8equal_toIaEEEE10hipError_tPvRmT2_T3_mT4_T5_T6_T7_T8_P12ihipStream_tbENKUlT_T0_E_clISt17integral_constantIbLb0EESY_IbLb1EEEEDaSU_SV_EUlSU_E_NS1_11comp_targetILNS1_3genE10ELNS1_11target_archE1201ELNS1_3gpuE5ELNS1_3repE0EEENS1_30default_config_static_selectorELNS0_4arch9wavefront6targetE0EEEvT1_.has_indirect_call, 0
	.section	.AMDGPU.csdata,"",@progbits
; Kernel info:
; codeLenInByte = 0
; TotalNumSgprs: 0
; NumVgprs: 0
; ScratchSize: 0
; MemoryBound: 0
; FloatMode: 240
; IeeeMode: 1
; LDSByteSize: 0 bytes/workgroup (compile time only)
; SGPRBlocks: 0
; VGPRBlocks: 0
; NumSGPRsForWavesPerEU: 1
; NumVGPRsForWavesPerEU: 1
; NamedBarCnt: 0
; Occupancy: 16
; WaveLimiterHint : 0
; COMPUTE_PGM_RSRC2:SCRATCH_EN: 0
; COMPUTE_PGM_RSRC2:USER_SGPR: 2
; COMPUTE_PGM_RSRC2:TRAP_HANDLER: 0
; COMPUTE_PGM_RSRC2:TGID_X_EN: 1
; COMPUTE_PGM_RSRC2:TGID_Y_EN: 0
; COMPUTE_PGM_RSRC2:TGID_Z_EN: 0
; COMPUTE_PGM_RSRC2:TIDIG_COMP_CNT: 0
	.section	.text._ZN7rocprim17ROCPRIM_400000_NS6detail17trampoline_kernelINS0_14default_configENS1_33run_length_encode_config_selectorIajNS0_4plusIjEEEEZZNS1_33reduce_by_key_impl_wrapped_configILNS1_25lookback_scan_determinismE0ES3_S7_PKaNS0_17constant_iteratorIjlEEPaPlSF_S6_NS0_8equal_toIaEEEE10hipError_tPvRmT2_T3_mT4_T5_T6_T7_T8_P12ihipStream_tbENKUlT_T0_E_clISt17integral_constantIbLb0EESY_IbLb1EEEEDaSU_SV_EUlSU_E_NS1_11comp_targetILNS1_3genE10ELNS1_11target_archE1200ELNS1_3gpuE4ELNS1_3repE0EEENS1_30default_config_static_selectorELNS0_4arch9wavefront6targetE0EEEvT1_,"axG",@progbits,_ZN7rocprim17ROCPRIM_400000_NS6detail17trampoline_kernelINS0_14default_configENS1_33run_length_encode_config_selectorIajNS0_4plusIjEEEEZZNS1_33reduce_by_key_impl_wrapped_configILNS1_25lookback_scan_determinismE0ES3_S7_PKaNS0_17constant_iteratorIjlEEPaPlSF_S6_NS0_8equal_toIaEEEE10hipError_tPvRmT2_T3_mT4_T5_T6_T7_T8_P12ihipStream_tbENKUlT_T0_E_clISt17integral_constantIbLb0EESY_IbLb1EEEEDaSU_SV_EUlSU_E_NS1_11comp_targetILNS1_3genE10ELNS1_11target_archE1200ELNS1_3gpuE4ELNS1_3repE0EEENS1_30default_config_static_selectorELNS0_4arch9wavefront6targetE0EEEvT1_,comdat
	.protected	_ZN7rocprim17ROCPRIM_400000_NS6detail17trampoline_kernelINS0_14default_configENS1_33run_length_encode_config_selectorIajNS0_4plusIjEEEEZZNS1_33reduce_by_key_impl_wrapped_configILNS1_25lookback_scan_determinismE0ES3_S7_PKaNS0_17constant_iteratorIjlEEPaPlSF_S6_NS0_8equal_toIaEEEE10hipError_tPvRmT2_T3_mT4_T5_T6_T7_T8_P12ihipStream_tbENKUlT_T0_E_clISt17integral_constantIbLb0EESY_IbLb1EEEEDaSU_SV_EUlSU_E_NS1_11comp_targetILNS1_3genE10ELNS1_11target_archE1200ELNS1_3gpuE4ELNS1_3repE0EEENS1_30default_config_static_selectorELNS0_4arch9wavefront6targetE0EEEvT1_ ; -- Begin function _ZN7rocprim17ROCPRIM_400000_NS6detail17trampoline_kernelINS0_14default_configENS1_33run_length_encode_config_selectorIajNS0_4plusIjEEEEZZNS1_33reduce_by_key_impl_wrapped_configILNS1_25lookback_scan_determinismE0ES3_S7_PKaNS0_17constant_iteratorIjlEEPaPlSF_S6_NS0_8equal_toIaEEEE10hipError_tPvRmT2_T3_mT4_T5_T6_T7_T8_P12ihipStream_tbENKUlT_T0_E_clISt17integral_constantIbLb0EESY_IbLb1EEEEDaSU_SV_EUlSU_E_NS1_11comp_targetILNS1_3genE10ELNS1_11target_archE1200ELNS1_3gpuE4ELNS1_3repE0EEENS1_30default_config_static_selectorELNS0_4arch9wavefront6targetE0EEEvT1_
	.globl	_ZN7rocprim17ROCPRIM_400000_NS6detail17trampoline_kernelINS0_14default_configENS1_33run_length_encode_config_selectorIajNS0_4plusIjEEEEZZNS1_33reduce_by_key_impl_wrapped_configILNS1_25lookback_scan_determinismE0ES3_S7_PKaNS0_17constant_iteratorIjlEEPaPlSF_S6_NS0_8equal_toIaEEEE10hipError_tPvRmT2_T3_mT4_T5_T6_T7_T8_P12ihipStream_tbENKUlT_T0_E_clISt17integral_constantIbLb0EESY_IbLb1EEEEDaSU_SV_EUlSU_E_NS1_11comp_targetILNS1_3genE10ELNS1_11target_archE1200ELNS1_3gpuE4ELNS1_3repE0EEENS1_30default_config_static_selectorELNS0_4arch9wavefront6targetE0EEEvT1_
	.p2align	8
	.type	_ZN7rocprim17ROCPRIM_400000_NS6detail17trampoline_kernelINS0_14default_configENS1_33run_length_encode_config_selectorIajNS0_4plusIjEEEEZZNS1_33reduce_by_key_impl_wrapped_configILNS1_25lookback_scan_determinismE0ES3_S7_PKaNS0_17constant_iteratorIjlEEPaPlSF_S6_NS0_8equal_toIaEEEE10hipError_tPvRmT2_T3_mT4_T5_T6_T7_T8_P12ihipStream_tbENKUlT_T0_E_clISt17integral_constantIbLb0EESY_IbLb1EEEEDaSU_SV_EUlSU_E_NS1_11comp_targetILNS1_3genE10ELNS1_11target_archE1200ELNS1_3gpuE4ELNS1_3repE0EEENS1_30default_config_static_selectorELNS0_4arch9wavefront6targetE0EEEvT1_,@function
_ZN7rocprim17ROCPRIM_400000_NS6detail17trampoline_kernelINS0_14default_configENS1_33run_length_encode_config_selectorIajNS0_4plusIjEEEEZZNS1_33reduce_by_key_impl_wrapped_configILNS1_25lookback_scan_determinismE0ES3_S7_PKaNS0_17constant_iteratorIjlEEPaPlSF_S6_NS0_8equal_toIaEEEE10hipError_tPvRmT2_T3_mT4_T5_T6_T7_T8_P12ihipStream_tbENKUlT_T0_E_clISt17integral_constantIbLb0EESY_IbLb1EEEEDaSU_SV_EUlSU_E_NS1_11comp_targetILNS1_3genE10ELNS1_11target_archE1200ELNS1_3gpuE4ELNS1_3repE0EEENS1_30default_config_static_selectorELNS0_4arch9wavefront6targetE0EEEvT1_: ; @_ZN7rocprim17ROCPRIM_400000_NS6detail17trampoline_kernelINS0_14default_configENS1_33run_length_encode_config_selectorIajNS0_4plusIjEEEEZZNS1_33reduce_by_key_impl_wrapped_configILNS1_25lookback_scan_determinismE0ES3_S7_PKaNS0_17constant_iteratorIjlEEPaPlSF_S6_NS0_8equal_toIaEEEE10hipError_tPvRmT2_T3_mT4_T5_T6_T7_T8_P12ihipStream_tbENKUlT_T0_E_clISt17integral_constantIbLb0EESY_IbLb1EEEEDaSU_SV_EUlSU_E_NS1_11comp_targetILNS1_3genE10ELNS1_11target_archE1200ELNS1_3gpuE4ELNS1_3repE0EEENS1_30default_config_static_selectorELNS0_4arch9wavefront6targetE0EEEvT1_
; %bb.0:
	.section	.rodata,"a",@progbits
	.p2align	6, 0x0
	.amdhsa_kernel _ZN7rocprim17ROCPRIM_400000_NS6detail17trampoline_kernelINS0_14default_configENS1_33run_length_encode_config_selectorIajNS0_4plusIjEEEEZZNS1_33reduce_by_key_impl_wrapped_configILNS1_25lookback_scan_determinismE0ES3_S7_PKaNS0_17constant_iteratorIjlEEPaPlSF_S6_NS0_8equal_toIaEEEE10hipError_tPvRmT2_T3_mT4_T5_T6_T7_T8_P12ihipStream_tbENKUlT_T0_E_clISt17integral_constantIbLb0EESY_IbLb1EEEEDaSU_SV_EUlSU_E_NS1_11comp_targetILNS1_3genE10ELNS1_11target_archE1200ELNS1_3gpuE4ELNS1_3repE0EEENS1_30default_config_static_selectorELNS0_4arch9wavefront6targetE0EEEvT1_
		.amdhsa_group_segment_fixed_size 0
		.amdhsa_private_segment_fixed_size 0
		.amdhsa_kernarg_size 128
		.amdhsa_user_sgpr_count 2
		.amdhsa_user_sgpr_dispatch_ptr 0
		.amdhsa_user_sgpr_queue_ptr 0
		.amdhsa_user_sgpr_kernarg_segment_ptr 1
		.amdhsa_user_sgpr_dispatch_id 0
		.amdhsa_user_sgpr_kernarg_preload_length 0
		.amdhsa_user_sgpr_kernarg_preload_offset 0
		.amdhsa_user_sgpr_private_segment_size 0
		.amdhsa_wavefront_size32 1
		.amdhsa_uses_dynamic_stack 0
		.amdhsa_enable_private_segment 0
		.amdhsa_system_sgpr_workgroup_id_x 1
		.amdhsa_system_sgpr_workgroup_id_y 0
		.amdhsa_system_sgpr_workgroup_id_z 0
		.amdhsa_system_sgpr_workgroup_info 0
		.amdhsa_system_vgpr_workitem_id 0
		.amdhsa_next_free_vgpr 1
		.amdhsa_next_free_sgpr 1
		.amdhsa_named_barrier_count 0
		.amdhsa_reserve_vcc 0
		.amdhsa_float_round_mode_32 0
		.amdhsa_float_round_mode_16_64 0
		.amdhsa_float_denorm_mode_32 3
		.amdhsa_float_denorm_mode_16_64 3
		.amdhsa_fp16_overflow 0
		.amdhsa_memory_ordered 1
		.amdhsa_forward_progress 1
		.amdhsa_inst_pref_size 0
		.amdhsa_round_robin_scheduling 0
		.amdhsa_exception_fp_ieee_invalid_op 0
		.amdhsa_exception_fp_denorm_src 0
		.amdhsa_exception_fp_ieee_div_zero 0
		.amdhsa_exception_fp_ieee_overflow 0
		.amdhsa_exception_fp_ieee_underflow 0
		.amdhsa_exception_fp_ieee_inexact 0
		.amdhsa_exception_int_div_zero 0
	.end_amdhsa_kernel
	.section	.text._ZN7rocprim17ROCPRIM_400000_NS6detail17trampoline_kernelINS0_14default_configENS1_33run_length_encode_config_selectorIajNS0_4plusIjEEEEZZNS1_33reduce_by_key_impl_wrapped_configILNS1_25lookback_scan_determinismE0ES3_S7_PKaNS0_17constant_iteratorIjlEEPaPlSF_S6_NS0_8equal_toIaEEEE10hipError_tPvRmT2_T3_mT4_T5_T6_T7_T8_P12ihipStream_tbENKUlT_T0_E_clISt17integral_constantIbLb0EESY_IbLb1EEEEDaSU_SV_EUlSU_E_NS1_11comp_targetILNS1_3genE10ELNS1_11target_archE1200ELNS1_3gpuE4ELNS1_3repE0EEENS1_30default_config_static_selectorELNS0_4arch9wavefront6targetE0EEEvT1_,"axG",@progbits,_ZN7rocprim17ROCPRIM_400000_NS6detail17trampoline_kernelINS0_14default_configENS1_33run_length_encode_config_selectorIajNS0_4plusIjEEEEZZNS1_33reduce_by_key_impl_wrapped_configILNS1_25lookback_scan_determinismE0ES3_S7_PKaNS0_17constant_iteratorIjlEEPaPlSF_S6_NS0_8equal_toIaEEEE10hipError_tPvRmT2_T3_mT4_T5_T6_T7_T8_P12ihipStream_tbENKUlT_T0_E_clISt17integral_constantIbLb0EESY_IbLb1EEEEDaSU_SV_EUlSU_E_NS1_11comp_targetILNS1_3genE10ELNS1_11target_archE1200ELNS1_3gpuE4ELNS1_3repE0EEENS1_30default_config_static_selectorELNS0_4arch9wavefront6targetE0EEEvT1_,comdat
.Lfunc_end268:
	.size	_ZN7rocprim17ROCPRIM_400000_NS6detail17trampoline_kernelINS0_14default_configENS1_33run_length_encode_config_selectorIajNS0_4plusIjEEEEZZNS1_33reduce_by_key_impl_wrapped_configILNS1_25lookback_scan_determinismE0ES3_S7_PKaNS0_17constant_iteratorIjlEEPaPlSF_S6_NS0_8equal_toIaEEEE10hipError_tPvRmT2_T3_mT4_T5_T6_T7_T8_P12ihipStream_tbENKUlT_T0_E_clISt17integral_constantIbLb0EESY_IbLb1EEEEDaSU_SV_EUlSU_E_NS1_11comp_targetILNS1_3genE10ELNS1_11target_archE1200ELNS1_3gpuE4ELNS1_3repE0EEENS1_30default_config_static_selectorELNS0_4arch9wavefront6targetE0EEEvT1_, .Lfunc_end268-_ZN7rocprim17ROCPRIM_400000_NS6detail17trampoline_kernelINS0_14default_configENS1_33run_length_encode_config_selectorIajNS0_4plusIjEEEEZZNS1_33reduce_by_key_impl_wrapped_configILNS1_25lookback_scan_determinismE0ES3_S7_PKaNS0_17constant_iteratorIjlEEPaPlSF_S6_NS0_8equal_toIaEEEE10hipError_tPvRmT2_T3_mT4_T5_T6_T7_T8_P12ihipStream_tbENKUlT_T0_E_clISt17integral_constantIbLb0EESY_IbLb1EEEEDaSU_SV_EUlSU_E_NS1_11comp_targetILNS1_3genE10ELNS1_11target_archE1200ELNS1_3gpuE4ELNS1_3repE0EEENS1_30default_config_static_selectorELNS0_4arch9wavefront6targetE0EEEvT1_
                                        ; -- End function
	.set _ZN7rocprim17ROCPRIM_400000_NS6detail17trampoline_kernelINS0_14default_configENS1_33run_length_encode_config_selectorIajNS0_4plusIjEEEEZZNS1_33reduce_by_key_impl_wrapped_configILNS1_25lookback_scan_determinismE0ES3_S7_PKaNS0_17constant_iteratorIjlEEPaPlSF_S6_NS0_8equal_toIaEEEE10hipError_tPvRmT2_T3_mT4_T5_T6_T7_T8_P12ihipStream_tbENKUlT_T0_E_clISt17integral_constantIbLb0EESY_IbLb1EEEEDaSU_SV_EUlSU_E_NS1_11comp_targetILNS1_3genE10ELNS1_11target_archE1200ELNS1_3gpuE4ELNS1_3repE0EEENS1_30default_config_static_selectorELNS0_4arch9wavefront6targetE0EEEvT1_.num_vgpr, 0
	.set _ZN7rocprim17ROCPRIM_400000_NS6detail17trampoline_kernelINS0_14default_configENS1_33run_length_encode_config_selectorIajNS0_4plusIjEEEEZZNS1_33reduce_by_key_impl_wrapped_configILNS1_25lookback_scan_determinismE0ES3_S7_PKaNS0_17constant_iteratorIjlEEPaPlSF_S6_NS0_8equal_toIaEEEE10hipError_tPvRmT2_T3_mT4_T5_T6_T7_T8_P12ihipStream_tbENKUlT_T0_E_clISt17integral_constantIbLb0EESY_IbLb1EEEEDaSU_SV_EUlSU_E_NS1_11comp_targetILNS1_3genE10ELNS1_11target_archE1200ELNS1_3gpuE4ELNS1_3repE0EEENS1_30default_config_static_selectorELNS0_4arch9wavefront6targetE0EEEvT1_.num_agpr, 0
	.set _ZN7rocprim17ROCPRIM_400000_NS6detail17trampoline_kernelINS0_14default_configENS1_33run_length_encode_config_selectorIajNS0_4plusIjEEEEZZNS1_33reduce_by_key_impl_wrapped_configILNS1_25lookback_scan_determinismE0ES3_S7_PKaNS0_17constant_iteratorIjlEEPaPlSF_S6_NS0_8equal_toIaEEEE10hipError_tPvRmT2_T3_mT4_T5_T6_T7_T8_P12ihipStream_tbENKUlT_T0_E_clISt17integral_constantIbLb0EESY_IbLb1EEEEDaSU_SV_EUlSU_E_NS1_11comp_targetILNS1_3genE10ELNS1_11target_archE1200ELNS1_3gpuE4ELNS1_3repE0EEENS1_30default_config_static_selectorELNS0_4arch9wavefront6targetE0EEEvT1_.numbered_sgpr, 0
	.set _ZN7rocprim17ROCPRIM_400000_NS6detail17trampoline_kernelINS0_14default_configENS1_33run_length_encode_config_selectorIajNS0_4plusIjEEEEZZNS1_33reduce_by_key_impl_wrapped_configILNS1_25lookback_scan_determinismE0ES3_S7_PKaNS0_17constant_iteratorIjlEEPaPlSF_S6_NS0_8equal_toIaEEEE10hipError_tPvRmT2_T3_mT4_T5_T6_T7_T8_P12ihipStream_tbENKUlT_T0_E_clISt17integral_constantIbLb0EESY_IbLb1EEEEDaSU_SV_EUlSU_E_NS1_11comp_targetILNS1_3genE10ELNS1_11target_archE1200ELNS1_3gpuE4ELNS1_3repE0EEENS1_30default_config_static_selectorELNS0_4arch9wavefront6targetE0EEEvT1_.num_named_barrier, 0
	.set _ZN7rocprim17ROCPRIM_400000_NS6detail17trampoline_kernelINS0_14default_configENS1_33run_length_encode_config_selectorIajNS0_4plusIjEEEEZZNS1_33reduce_by_key_impl_wrapped_configILNS1_25lookback_scan_determinismE0ES3_S7_PKaNS0_17constant_iteratorIjlEEPaPlSF_S6_NS0_8equal_toIaEEEE10hipError_tPvRmT2_T3_mT4_T5_T6_T7_T8_P12ihipStream_tbENKUlT_T0_E_clISt17integral_constantIbLb0EESY_IbLb1EEEEDaSU_SV_EUlSU_E_NS1_11comp_targetILNS1_3genE10ELNS1_11target_archE1200ELNS1_3gpuE4ELNS1_3repE0EEENS1_30default_config_static_selectorELNS0_4arch9wavefront6targetE0EEEvT1_.private_seg_size, 0
	.set _ZN7rocprim17ROCPRIM_400000_NS6detail17trampoline_kernelINS0_14default_configENS1_33run_length_encode_config_selectorIajNS0_4plusIjEEEEZZNS1_33reduce_by_key_impl_wrapped_configILNS1_25lookback_scan_determinismE0ES3_S7_PKaNS0_17constant_iteratorIjlEEPaPlSF_S6_NS0_8equal_toIaEEEE10hipError_tPvRmT2_T3_mT4_T5_T6_T7_T8_P12ihipStream_tbENKUlT_T0_E_clISt17integral_constantIbLb0EESY_IbLb1EEEEDaSU_SV_EUlSU_E_NS1_11comp_targetILNS1_3genE10ELNS1_11target_archE1200ELNS1_3gpuE4ELNS1_3repE0EEENS1_30default_config_static_selectorELNS0_4arch9wavefront6targetE0EEEvT1_.uses_vcc, 0
	.set _ZN7rocprim17ROCPRIM_400000_NS6detail17trampoline_kernelINS0_14default_configENS1_33run_length_encode_config_selectorIajNS0_4plusIjEEEEZZNS1_33reduce_by_key_impl_wrapped_configILNS1_25lookback_scan_determinismE0ES3_S7_PKaNS0_17constant_iteratorIjlEEPaPlSF_S6_NS0_8equal_toIaEEEE10hipError_tPvRmT2_T3_mT4_T5_T6_T7_T8_P12ihipStream_tbENKUlT_T0_E_clISt17integral_constantIbLb0EESY_IbLb1EEEEDaSU_SV_EUlSU_E_NS1_11comp_targetILNS1_3genE10ELNS1_11target_archE1200ELNS1_3gpuE4ELNS1_3repE0EEENS1_30default_config_static_selectorELNS0_4arch9wavefront6targetE0EEEvT1_.uses_flat_scratch, 0
	.set _ZN7rocprim17ROCPRIM_400000_NS6detail17trampoline_kernelINS0_14default_configENS1_33run_length_encode_config_selectorIajNS0_4plusIjEEEEZZNS1_33reduce_by_key_impl_wrapped_configILNS1_25lookback_scan_determinismE0ES3_S7_PKaNS0_17constant_iteratorIjlEEPaPlSF_S6_NS0_8equal_toIaEEEE10hipError_tPvRmT2_T3_mT4_T5_T6_T7_T8_P12ihipStream_tbENKUlT_T0_E_clISt17integral_constantIbLb0EESY_IbLb1EEEEDaSU_SV_EUlSU_E_NS1_11comp_targetILNS1_3genE10ELNS1_11target_archE1200ELNS1_3gpuE4ELNS1_3repE0EEENS1_30default_config_static_selectorELNS0_4arch9wavefront6targetE0EEEvT1_.has_dyn_sized_stack, 0
	.set _ZN7rocprim17ROCPRIM_400000_NS6detail17trampoline_kernelINS0_14default_configENS1_33run_length_encode_config_selectorIajNS0_4plusIjEEEEZZNS1_33reduce_by_key_impl_wrapped_configILNS1_25lookback_scan_determinismE0ES3_S7_PKaNS0_17constant_iteratorIjlEEPaPlSF_S6_NS0_8equal_toIaEEEE10hipError_tPvRmT2_T3_mT4_T5_T6_T7_T8_P12ihipStream_tbENKUlT_T0_E_clISt17integral_constantIbLb0EESY_IbLb1EEEEDaSU_SV_EUlSU_E_NS1_11comp_targetILNS1_3genE10ELNS1_11target_archE1200ELNS1_3gpuE4ELNS1_3repE0EEENS1_30default_config_static_selectorELNS0_4arch9wavefront6targetE0EEEvT1_.has_recursion, 0
	.set _ZN7rocprim17ROCPRIM_400000_NS6detail17trampoline_kernelINS0_14default_configENS1_33run_length_encode_config_selectorIajNS0_4plusIjEEEEZZNS1_33reduce_by_key_impl_wrapped_configILNS1_25lookback_scan_determinismE0ES3_S7_PKaNS0_17constant_iteratorIjlEEPaPlSF_S6_NS0_8equal_toIaEEEE10hipError_tPvRmT2_T3_mT4_T5_T6_T7_T8_P12ihipStream_tbENKUlT_T0_E_clISt17integral_constantIbLb0EESY_IbLb1EEEEDaSU_SV_EUlSU_E_NS1_11comp_targetILNS1_3genE10ELNS1_11target_archE1200ELNS1_3gpuE4ELNS1_3repE0EEENS1_30default_config_static_selectorELNS0_4arch9wavefront6targetE0EEEvT1_.has_indirect_call, 0
	.section	.AMDGPU.csdata,"",@progbits
; Kernel info:
; codeLenInByte = 0
; TotalNumSgprs: 0
; NumVgprs: 0
; ScratchSize: 0
; MemoryBound: 0
; FloatMode: 240
; IeeeMode: 1
; LDSByteSize: 0 bytes/workgroup (compile time only)
; SGPRBlocks: 0
; VGPRBlocks: 0
; NumSGPRsForWavesPerEU: 1
; NumVGPRsForWavesPerEU: 1
; NamedBarCnt: 0
; Occupancy: 16
; WaveLimiterHint : 0
; COMPUTE_PGM_RSRC2:SCRATCH_EN: 0
; COMPUTE_PGM_RSRC2:USER_SGPR: 2
; COMPUTE_PGM_RSRC2:TRAP_HANDLER: 0
; COMPUTE_PGM_RSRC2:TGID_X_EN: 1
; COMPUTE_PGM_RSRC2:TGID_Y_EN: 0
; COMPUTE_PGM_RSRC2:TGID_Z_EN: 0
; COMPUTE_PGM_RSRC2:TIDIG_COMP_CNT: 0
	.section	.text._ZN7rocprim17ROCPRIM_400000_NS6detail17trampoline_kernelINS0_14default_configENS1_33run_length_encode_config_selectorIajNS0_4plusIjEEEEZZNS1_33reduce_by_key_impl_wrapped_configILNS1_25lookback_scan_determinismE0ES3_S7_PKaNS0_17constant_iteratorIjlEEPaPlSF_S6_NS0_8equal_toIaEEEE10hipError_tPvRmT2_T3_mT4_T5_T6_T7_T8_P12ihipStream_tbENKUlT_T0_E_clISt17integral_constantIbLb0EESY_IbLb1EEEEDaSU_SV_EUlSU_E_NS1_11comp_targetILNS1_3genE9ELNS1_11target_archE1100ELNS1_3gpuE3ELNS1_3repE0EEENS1_30default_config_static_selectorELNS0_4arch9wavefront6targetE0EEEvT1_,"axG",@progbits,_ZN7rocprim17ROCPRIM_400000_NS6detail17trampoline_kernelINS0_14default_configENS1_33run_length_encode_config_selectorIajNS0_4plusIjEEEEZZNS1_33reduce_by_key_impl_wrapped_configILNS1_25lookback_scan_determinismE0ES3_S7_PKaNS0_17constant_iteratorIjlEEPaPlSF_S6_NS0_8equal_toIaEEEE10hipError_tPvRmT2_T3_mT4_T5_T6_T7_T8_P12ihipStream_tbENKUlT_T0_E_clISt17integral_constantIbLb0EESY_IbLb1EEEEDaSU_SV_EUlSU_E_NS1_11comp_targetILNS1_3genE9ELNS1_11target_archE1100ELNS1_3gpuE3ELNS1_3repE0EEENS1_30default_config_static_selectorELNS0_4arch9wavefront6targetE0EEEvT1_,comdat
	.protected	_ZN7rocprim17ROCPRIM_400000_NS6detail17trampoline_kernelINS0_14default_configENS1_33run_length_encode_config_selectorIajNS0_4plusIjEEEEZZNS1_33reduce_by_key_impl_wrapped_configILNS1_25lookback_scan_determinismE0ES3_S7_PKaNS0_17constant_iteratorIjlEEPaPlSF_S6_NS0_8equal_toIaEEEE10hipError_tPvRmT2_T3_mT4_T5_T6_T7_T8_P12ihipStream_tbENKUlT_T0_E_clISt17integral_constantIbLb0EESY_IbLb1EEEEDaSU_SV_EUlSU_E_NS1_11comp_targetILNS1_3genE9ELNS1_11target_archE1100ELNS1_3gpuE3ELNS1_3repE0EEENS1_30default_config_static_selectorELNS0_4arch9wavefront6targetE0EEEvT1_ ; -- Begin function _ZN7rocprim17ROCPRIM_400000_NS6detail17trampoline_kernelINS0_14default_configENS1_33run_length_encode_config_selectorIajNS0_4plusIjEEEEZZNS1_33reduce_by_key_impl_wrapped_configILNS1_25lookback_scan_determinismE0ES3_S7_PKaNS0_17constant_iteratorIjlEEPaPlSF_S6_NS0_8equal_toIaEEEE10hipError_tPvRmT2_T3_mT4_T5_T6_T7_T8_P12ihipStream_tbENKUlT_T0_E_clISt17integral_constantIbLb0EESY_IbLb1EEEEDaSU_SV_EUlSU_E_NS1_11comp_targetILNS1_3genE9ELNS1_11target_archE1100ELNS1_3gpuE3ELNS1_3repE0EEENS1_30default_config_static_selectorELNS0_4arch9wavefront6targetE0EEEvT1_
	.globl	_ZN7rocprim17ROCPRIM_400000_NS6detail17trampoline_kernelINS0_14default_configENS1_33run_length_encode_config_selectorIajNS0_4plusIjEEEEZZNS1_33reduce_by_key_impl_wrapped_configILNS1_25lookback_scan_determinismE0ES3_S7_PKaNS0_17constant_iteratorIjlEEPaPlSF_S6_NS0_8equal_toIaEEEE10hipError_tPvRmT2_T3_mT4_T5_T6_T7_T8_P12ihipStream_tbENKUlT_T0_E_clISt17integral_constantIbLb0EESY_IbLb1EEEEDaSU_SV_EUlSU_E_NS1_11comp_targetILNS1_3genE9ELNS1_11target_archE1100ELNS1_3gpuE3ELNS1_3repE0EEENS1_30default_config_static_selectorELNS0_4arch9wavefront6targetE0EEEvT1_
	.p2align	8
	.type	_ZN7rocprim17ROCPRIM_400000_NS6detail17trampoline_kernelINS0_14default_configENS1_33run_length_encode_config_selectorIajNS0_4plusIjEEEEZZNS1_33reduce_by_key_impl_wrapped_configILNS1_25lookback_scan_determinismE0ES3_S7_PKaNS0_17constant_iteratorIjlEEPaPlSF_S6_NS0_8equal_toIaEEEE10hipError_tPvRmT2_T3_mT4_T5_T6_T7_T8_P12ihipStream_tbENKUlT_T0_E_clISt17integral_constantIbLb0EESY_IbLb1EEEEDaSU_SV_EUlSU_E_NS1_11comp_targetILNS1_3genE9ELNS1_11target_archE1100ELNS1_3gpuE3ELNS1_3repE0EEENS1_30default_config_static_selectorELNS0_4arch9wavefront6targetE0EEEvT1_,@function
_ZN7rocprim17ROCPRIM_400000_NS6detail17trampoline_kernelINS0_14default_configENS1_33run_length_encode_config_selectorIajNS0_4plusIjEEEEZZNS1_33reduce_by_key_impl_wrapped_configILNS1_25lookback_scan_determinismE0ES3_S7_PKaNS0_17constant_iteratorIjlEEPaPlSF_S6_NS0_8equal_toIaEEEE10hipError_tPvRmT2_T3_mT4_T5_T6_T7_T8_P12ihipStream_tbENKUlT_T0_E_clISt17integral_constantIbLb0EESY_IbLb1EEEEDaSU_SV_EUlSU_E_NS1_11comp_targetILNS1_3genE9ELNS1_11target_archE1100ELNS1_3gpuE3ELNS1_3repE0EEENS1_30default_config_static_selectorELNS0_4arch9wavefront6targetE0EEEvT1_: ; @_ZN7rocprim17ROCPRIM_400000_NS6detail17trampoline_kernelINS0_14default_configENS1_33run_length_encode_config_selectorIajNS0_4plusIjEEEEZZNS1_33reduce_by_key_impl_wrapped_configILNS1_25lookback_scan_determinismE0ES3_S7_PKaNS0_17constant_iteratorIjlEEPaPlSF_S6_NS0_8equal_toIaEEEE10hipError_tPvRmT2_T3_mT4_T5_T6_T7_T8_P12ihipStream_tbENKUlT_T0_E_clISt17integral_constantIbLb0EESY_IbLb1EEEEDaSU_SV_EUlSU_E_NS1_11comp_targetILNS1_3genE9ELNS1_11target_archE1100ELNS1_3gpuE3ELNS1_3repE0EEENS1_30default_config_static_selectorELNS0_4arch9wavefront6targetE0EEEvT1_
; %bb.0:
	.section	.rodata,"a",@progbits
	.p2align	6, 0x0
	.amdhsa_kernel _ZN7rocprim17ROCPRIM_400000_NS6detail17trampoline_kernelINS0_14default_configENS1_33run_length_encode_config_selectorIajNS0_4plusIjEEEEZZNS1_33reduce_by_key_impl_wrapped_configILNS1_25lookback_scan_determinismE0ES3_S7_PKaNS0_17constant_iteratorIjlEEPaPlSF_S6_NS0_8equal_toIaEEEE10hipError_tPvRmT2_T3_mT4_T5_T6_T7_T8_P12ihipStream_tbENKUlT_T0_E_clISt17integral_constantIbLb0EESY_IbLb1EEEEDaSU_SV_EUlSU_E_NS1_11comp_targetILNS1_3genE9ELNS1_11target_archE1100ELNS1_3gpuE3ELNS1_3repE0EEENS1_30default_config_static_selectorELNS0_4arch9wavefront6targetE0EEEvT1_
		.amdhsa_group_segment_fixed_size 0
		.amdhsa_private_segment_fixed_size 0
		.amdhsa_kernarg_size 128
		.amdhsa_user_sgpr_count 2
		.amdhsa_user_sgpr_dispatch_ptr 0
		.amdhsa_user_sgpr_queue_ptr 0
		.amdhsa_user_sgpr_kernarg_segment_ptr 1
		.amdhsa_user_sgpr_dispatch_id 0
		.amdhsa_user_sgpr_kernarg_preload_length 0
		.amdhsa_user_sgpr_kernarg_preload_offset 0
		.amdhsa_user_sgpr_private_segment_size 0
		.amdhsa_wavefront_size32 1
		.amdhsa_uses_dynamic_stack 0
		.amdhsa_enable_private_segment 0
		.amdhsa_system_sgpr_workgroup_id_x 1
		.amdhsa_system_sgpr_workgroup_id_y 0
		.amdhsa_system_sgpr_workgroup_id_z 0
		.amdhsa_system_sgpr_workgroup_info 0
		.amdhsa_system_vgpr_workitem_id 0
		.amdhsa_next_free_vgpr 1
		.amdhsa_next_free_sgpr 1
		.amdhsa_named_barrier_count 0
		.amdhsa_reserve_vcc 0
		.amdhsa_float_round_mode_32 0
		.amdhsa_float_round_mode_16_64 0
		.amdhsa_float_denorm_mode_32 3
		.amdhsa_float_denorm_mode_16_64 3
		.amdhsa_fp16_overflow 0
		.amdhsa_memory_ordered 1
		.amdhsa_forward_progress 1
		.amdhsa_inst_pref_size 0
		.amdhsa_round_robin_scheduling 0
		.amdhsa_exception_fp_ieee_invalid_op 0
		.amdhsa_exception_fp_denorm_src 0
		.amdhsa_exception_fp_ieee_div_zero 0
		.amdhsa_exception_fp_ieee_overflow 0
		.amdhsa_exception_fp_ieee_underflow 0
		.amdhsa_exception_fp_ieee_inexact 0
		.amdhsa_exception_int_div_zero 0
	.end_amdhsa_kernel
	.section	.text._ZN7rocprim17ROCPRIM_400000_NS6detail17trampoline_kernelINS0_14default_configENS1_33run_length_encode_config_selectorIajNS0_4plusIjEEEEZZNS1_33reduce_by_key_impl_wrapped_configILNS1_25lookback_scan_determinismE0ES3_S7_PKaNS0_17constant_iteratorIjlEEPaPlSF_S6_NS0_8equal_toIaEEEE10hipError_tPvRmT2_T3_mT4_T5_T6_T7_T8_P12ihipStream_tbENKUlT_T0_E_clISt17integral_constantIbLb0EESY_IbLb1EEEEDaSU_SV_EUlSU_E_NS1_11comp_targetILNS1_3genE9ELNS1_11target_archE1100ELNS1_3gpuE3ELNS1_3repE0EEENS1_30default_config_static_selectorELNS0_4arch9wavefront6targetE0EEEvT1_,"axG",@progbits,_ZN7rocprim17ROCPRIM_400000_NS6detail17trampoline_kernelINS0_14default_configENS1_33run_length_encode_config_selectorIajNS0_4plusIjEEEEZZNS1_33reduce_by_key_impl_wrapped_configILNS1_25lookback_scan_determinismE0ES3_S7_PKaNS0_17constant_iteratorIjlEEPaPlSF_S6_NS0_8equal_toIaEEEE10hipError_tPvRmT2_T3_mT4_T5_T6_T7_T8_P12ihipStream_tbENKUlT_T0_E_clISt17integral_constantIbLb0EESY_IbLb1EEEEDaSU_SV_EUlSU_E_NS1_11comp_targetILNS1_3genE9ELNS1_11target_archE1100ELNS1_3gpuE3ELNS1_3repE0EEENS1_30default_config_static_selectorELNS0_4arch9wavefront6targetE0EEEvT1_,comdat
.Lfunc_end269:
	.size	_ZN7rocprim17ROCPRIM_400000_NS6detail17trampoline_kernelINS0_14default_configENS1_33run_length_encode_config_selectorIajNS0_4plusIjEEEEZZNS1_33reduce_by_key_impl_wrapped_configILNS1_25lookback_scan_determinismE0ES3_S7_PKaNS0_17constant_iteratorIjlEEPaPlSF_S6_NS0_8equal_toIaEEEE10hipError_tPvRmT2_T3_mT4_T5_T6_T7_T8_P12ihipStream_tbENKUlT_T0_E_clISt17integral_constantIbLb0EESY_IbLb1EEEEDaSU_SV_EUlSU_E_NS1_11comp_targetILNS1_3genE9ELNS1_11target_archE1100ELNS1_3gpuE3ELNS1_3repE0EEENS1_30default_config_static_selectorELNS0_4arch9wavefront6targetE0EEEvT1_, .Lfunc_end269-_ZN7rocprim17ROCPRIM_400000_NS6detail17trampoline_kernelINS0_14default_configENS1_33run_length_encode_config_selectorIajNS0_4plusIjEEEEZZNS1_33reduce_by_key_impl_wrapped_configILNS1_25lookback_scan_determinismE0ES3_S7_PKaNS0_17constant_iteratorIjlEEPaPlSF_S6_NS0_8equal_toIaEEEE10hipError_tPvRmT2_T3_mT4_T5_T6_T7_T8_P12ihipStream_tbENKUlT_T0_E_clISt17integral_constantIbLb0EESY_IbLb1EEEEDaSU_SV_EUlSU_E_NS1_11comp_targetILNS1_3genE9ELNS1_11target_archE1100ELNS1_3gpuE3ELNS1_3repE0EEENS1_30default_config_static_selectorELNS0_4arch9wavefront6targetE0EEEvT1_
                                        ; -- End function
	.set _ZN7rocprim17ROCPRIM_400000_NS6detail17trampoline_kernelINS0_14default_configENS1_33run_length_encode_config_selectorIajNS0_4plusIjEEEEZZNS1_33reduce_by_key_impl_wrapped_configILNS1_25lookback_scan_determinismE0ES3_S7_PKaNS0_17constant_iteratorIjlEEPaPlSF_S6_NS0_8equal_toIaEEEE10hipError_tPvRmT2_T3_mT4_T5_T6_T7_T8_P12ihipStream_tbENKUlT_T0_E_clISt17integral_constantIbLb0EESY_IbLb1EEEEDaSU_SV_EUlSU_E_NS1_11comp_targetILNS1_3genE9ELNS1_11target_archE1100ELNS1_3gpuE3ELNS1_3repE0EEENS1_30default_config_static_selectorELNS0_4arch9wavefront6targetE0EEEvT1_.num_vgpr, 0
	.set _ZN7rocprim17ROCPRIM_400000_NS6detail17trampoline_kernelINS0_14default_configENS1_33run_length_encode_config_selectorIajNS0_4plusIjEEEEZZNS1_33reduce_by_key_impl_wrapped_configILNS1_25lookback_scan_determinismE0ES3_S7_PKaNS0_17constant_iteratorIjlEEPaPlSF_S6_NS0_8equal_toIaEEEE10hipError_tPvRmT2_T3_mT4_T5_T6_T7_T8_P12ihipStream_tbENKUlT_T0_E_clISt17integral_constantIbLb0EESY_IbLb1EEEEDaSU_SV_EUlSU_E_NS1_11comp_targetILNS1_3genE9ELNS1_11target_archE1100ELNS1_3gpuE3ELNS1_3repE0EEENS1_30default_config_static_selectorELNS0_4arch9wavefront6targetE0EEEvT1_.num_agpr, 0
	.set _ZN7rocprim17ROCPRIM_400000_NS6detail17trampoline_kernelINS0_14default_configENS1_33run_length_encode_config_selectorIajNS0_4plusIjEEEEZZNS1_33reduce_by_key_impl_wrapped_configILNS1_25lookback_scan_determinismE0ES3_S7_PKaNS0_17constant_iteratorIjlEEPaPlSF_S6_NS0_8equal_toIaEEEE10hipError_tPvRmT2_T3_mT4_T5_T6_T7_T8_P12ihipStream_tbENKUlT_T0_E_clISt17integral_constantIbLb0EESY_IbLb1EEEEDaSU_SV_EUlSU_E_NS1_11comp_targetILNS1_3genE9ELNS1_11target_archE1100ELNS1_3gpuE3ELNS1_3repE0EEENS1_30default_config_static_selectorELNS0_4arch9wavefront6targetE0EEEvT1_.numbered_sgpr, 0
	.set _ZN7rocprim17ROCPRIM_400000_NS6detail17trampoline_kernelINS0_14default_configENS1_33run_length_encode_config_selectorIajNS0_4plusIjEEEEZZNS1_33reduce_by_key_impl_wrapped_configILNS1_25lookback_scan_determinismE0ES3_S7_PKaNS0_17constant_iteratorIjlEEPaPlSF_S6_NS0_8equal_toIaEEEE10hipError_tPvRmT2_T3_mT4_T5_T6_T7_T8_P12ihipStream_tbENKUlT_T0_E_clISt17integral_constantIbLb0EESY_IbLb1EEEEDaSU_SV_EUlSU_E_NS1_11comp_targetILNS1_3genE9ELNS1_11target_archE1100ELNS1_3gpuE3ELNS1_3repE0EEENS1_30default_config_static_selectorELNS0_4arch9wavefront6targetE0EEEvT1_.num_named_barrier, 0
	.set _ZN7rocprim17ROCPRIM_400000_NS6detail17trampoline_kernelINS0_14default_configENS1_33run_length_encode_config_selectorIajNS0_4plusIjEEEEZZNS1_33reduce_by_key_impl_wrapped_configILNS1_25lookback_scan_determinismE0ES3_S7_PKaNS0_17constant_iteratorIjlEEPaPlSF_S6_NS0_8equal_toIaEEEE10hipError_tPvRmT2_T3_mT4_T5_T6_T7_T8_P12ihipStream_tbENKUlT_T0_E_clISt17integral_constantIbLb0EESY_IbLb1EEEEDaSU_SV_EUlSU_E_NS1_11comp_targetILNS1_3genE9ELNS1_11target_archE1100ELNS1_3gpuE3ELNS1_3repE0EEENS1_30default_config_static_selectorELNS0_4arch9wavefront6targetE0EEEvT1_.private_seg_size, 0
	.set _ZN7rocprim17ROCPRIM_400000_NS6detail17trampoline_kernelINS0_14default_configENS1_33run_length_encode_config_selectorIajNS0_4plusIjEEEEZZNS1_33reduce_by_key_impl_wrapped_configILNS1_25lookback_scan_determinismE0ES3_S7_PKaNS0_17constant_iteratorIjlEEPaPlSF_S6_NS0_8equal_toIaEEEE10hipError_tPvRmT2_T3_mT4_T5_T6_T7_T8_P12ihipStream_tbENKUlT_T0_E_clISt17integral_constantIbLb0EESY_IbLb1EEEEDaSU_SV_EUlSU_E_NS1_11comp_targetILNS1_3genE9ELNS1_11target_archE1100ELNS1_3gpuE3ELNS1_3repE0EEENS1_30default_config_static_selectorELNS0_4arch9wavefront6targetE0EEEvT1_.uses_vcc, 0
	.set _ZN7rocprim17ROCPRIM_400000_NS6detail17trampoline_kernelINS0_14default_configENS1_33run_length_encode_config_selectorIajNS0_4plusIjEEEEZZNS1_33reduce_by_key_impl_wrapped_configILNS1_25lookback_scan_determinismE0ES3_S7_PKaNS0_17constant_iteratorIjlEEPaPlSF_S6_NS0_8equal_toIaEEEE10hipError_tPvRmT2_T3_mT4_T5_T6_T7_T8_P12ihipStream_tbENKUlT_T0_E_clISt17integral_constantIbLb0EESY_IbLb1EEEEDaSU_SV_EUlSU_E_NS1_11comp_targetILNS1_3genE9ELNS1_11target_archE1100ELNS1_3gpuE3ELNS1_3repE0EEENS1_30default_config_static_selectorELNS0_4arch9wavefront6targetE0EEEvT1_.uses_flat_scratch, 0
	.set _ZN7rocprim17ROCPRIM_400000_NS6detail17trampoline_kernelINS0_14default_configENS1_33run_length_encode_config_selectorIajNS0_4plusIjEEEEZZNS1_33reduce_by_key_impl_wrapped_configILNS1_25lookback_scan_determinismE0ES3_S7_PKaNS0_17constant_iteratorIjlEEPaPlSF_S6_NS0_8equal_toIaEEEE10hipError_tPvRmT2_T3_mT4_T5_T6_T7_T8_P12ihipStream_tbENKUlT_T0_E_clISt17integral_constantIbLb0EESY_IbLb1EEEEDaSU_SV_EUlSU_E_NS1_11comp_targetILNS1_3genE9ELNS1_11target_archE1100ELNS1_3gpuE3ELNS1_3repE0EEENS1_30default_config_static_selectorELNS0_4arch9wavefront6targetE0EEEvT1_.has_dyn_sized_stack, 0
	.set _ZN7rocprim17ROCPRIM_400000_NS6detail17trampoline_kernelINS0_14default_configENS1_33run_length_encode_config_selectorIajNS0_4plusIjEEEEZZNS1_33reduce_by_key_impl_wrapped_configILNS1_25lookback_scan_determinismE0ES3_S7_PKaNS0_17constant_iteratorIjlEEPaPlSF_S6_NS0_8equal_toIaEEEE10hipError_tPvRmT2_T3_mT4_T5_T6_T7_T8_P12ihipStream_tbENKUlT_T0_E_clISt17integral_constantIbLb0EESY_IbLb1EEEEDaSU_SV_EUlSU_E_NS1_11comp_targetILNS1_3genE9ELNS1_11target_archE1100ELNS1_3gpuE3ELNS1_3repE0EEENS1_30default_config_static_selectorELNS0_4arch9wavefront6targetE0EEEvT1_.has_recursion, 0
	.set _ZN7rocprim17ROCPRIM_400000_NS6detail17trampoline_kernelINS0_14default_configENS1_33run_length_encode_config_selectorIajNS0_4plusIjEEEEZZNS1_33reduce_by_key_impl_wrapped_configILNS1_25lookback_scan_determinismE0ES3_S7_PKaNS0_17constant_iteratorIjlEEPaPlSF_S6_NS0_8equal_toIaEEEE10hipError_tPvRmT2_T3_mT4_T5_T6_T7_T8_P12ihipStream_tbENKUlT_T0_E_clISt17integral_constantIbLb0EESY_IbLb1EEEEDaSU_SV_EUlSU_E_NS1_11comp_targetILNS1_3genE9ELNS1_11target_archE1100ELNS1_3gpuE3ELNS1_3repE0EEENS1_30default_config_static_selectorELNS0_4arch9wavefront6targetE0EEEvT1_.has_indirect_call, 0
	.section	.AMDGPU.csdata,"",@progbits
; Kernel info:
; codeLenInByte = 0
; TotalNumSgprs: 0
; NumVgprs: 0
; ScratchSize: 0
; MemoryBound: 0
; FloatMode: 240
; IeeeMode: 1
; LDSByteSize: 0 bytes/workgroup (compile time only)
; SGPRBlocks: 0
; VGPRBlocks: 0
; NumSGPRsForWavesPerEU: 1
; NumVGPRsForWavesPerEU: 1
; NamedBarCnt: 0
; Occupancy: 16
; WaveLimiterHint : 0
; COMPUTE_PGM_RSRC2:SCRATCH_EN: 0
; COMPUTE_PGM_RSRC2:USER_SGPR: 2
; COMPUTE_PGM_RSRC2:TRAP_HANDLER: 0
; COMPUTE_PGM_RSRC2:TGID_X_EN: 1
; COMPUTE_PGM_RSRC2:TGID_Y_EN: 0
; COMPUTE_PGM_RSRC2:TGID_Z_EN: 0
; COMPUTE_PGM_RSRC2:TIDIG_COMP_CNT: 0
	.section	.text._ZN7rocprim17ROCPRIM_400000_NS6detail17trampoline_kernelINS0_14default_configENS1_33run_length_encode_config_selectorIajNS0_4plusIjEEEEZZNS1_33reduce_by_key_impl_wrapped_configILNS1_25lookback_scan_determinismE0ES3_S7_PKaNS0_17constant_iteratorIjlEEPaPlSF_S6_NS0_8equal_toIaEEEE10hipError_tPvRmT2_T3_mT4_T5_T6_T7_T8_P12ihipStream_tbENKUlT_T0_E_clISt17integral_constantIbLb0EESY_IbLb1EEEEDaSU_SV_EUlSU_E_NS1_11comp_targetILNS1_3genE8ELNS1_11target_archE1030ELNS1_3gpuE2ELNS1_3repE0EEENS1_30default_config_static_selectorELNS0_4arch9wavefront6targetE0EEEvT1_,"axG",@progbits,_ZN7rocprim17ROCPRIM_400000_NS6detail17trampoline_kernelINS0_14default_configENS1_33run_length_encode_config_selectorIajNS0_4plusIjEEEEZZNS1_33reduce_by_key_impl_wrapped_configILNS1_25lookback_scan_determinismE0ES3_S7_PKaNS0_17constant_iteratorIjlEEPaPlSF_S6_NS0_8equal_toIaEEEE10hipError_tPvRmT2_T3_mT4_T5_T6_T7_T8_P12ihipStream_tbENKUlT_T0_E_clISt17integral_constantIbLb0EESY_IbLb1EEEEDaSU_SV_EUlSU_E_NS1_11comp_targetILNS1_3genE8ELNS1_11target_archE1030ELNS1_3gpuE2ELNS1_3repE0EEENS1_30default_config_static_selectorELNS0_4arch9wavefront6targetE0EEEvT1_,comdat
	.protected	_ZN7rocprim17ROCPRIM_400000_NS6detail17trampoline_kernelINS0_14default_configENS1_33run_length_encode_config_selectorIajNS0_4plusIjEEEEZZNS1_33reduce_by_key_impl_wrapped_configILNS1_25lookback_scan_determinismE0ES3_S7_PKaNS0_17constant_iteratorIjlEEPaPlSF_S6_NS0_8equal_toIaEEEE10hipError_tPvRmT2_T3_mT4_T5_T6_T7_T8_P12ihipStream_tbENKUlT_T0_E_clISt17integral_constantIbLb0EESY_IbLb1EEEEDaSU_SV_EUlSU_E_NS1_11comp_targetILNS1_3genE8ELNS1_11target_archE1030ELNS1_3gpuE2ELNS1_3repE0EEENS1_30default_config_static_selectorELNS0_4arch9wavefront6targetE0EEEvT1_ ; -- Begin function _ZN7rocprim17ROCPRIM_400000_NS6detail17trampoline_kernelINS0_14default_configENS1_33run_length_encode_config_selectorIajNS0_4plusIjEEEEZZNS1_33reduce_by_key_impl_wrapped_configILNS1_25lookback_scan_determinismE0ES3_S7_PKaNS0_17constant_iteratorIjlEEPaPlSF_S6_NS0_8equal_toIaEEEE10hipError_tPvRmT2_T3_mT4_T5_T6_T7_T8_P12ihipStream_tbENKUlT_T0_E_clISt17integral_constantIbLb0EESY_IbLb1EEEEDaSU_SV_EUlSU_E_NS1_11comp_targetILNS1_3genE8ELNS1_11target_archE1030ELNS1_3gpuE2ELNS1_3repE0EEENS1_30default_config_static_selectorELNS0_4arch9wavefront6targetE0EEEvT1_
	.globl	_ZN7rocprim17ROCPRIM_400000_NS6detail17trampoline_kernelINS0_14default_configENS1_33run_length_encode_config_selectorIajNS0_4plusIjEEEEZZNS1_33reduce_by_key_impl_wrapped_configILNS1_25lookback_scan_determinismE0ES3_S7_PKaNS0_17constant_iteratorIjlEEPaPlSF_S6_NS0_8equal_toIaEEEE10hipError_tPvRmT2_T3_mT4_T5_T6_T7_T8_P12ihipStream_tbENKUlT_T0_E_clISt17integral_constantIbLb0EESY_IbLb1EEEEDaSU_SV_EUlSU_E_NS1_11comp_targetILNS1_3genE8ELNS1_11target_archE1030ELNS1_3gpuE2ELNS1_3repE0EEENS1_30default_config_static_selectorELNS0_4arch9wavefront6targetE0EEEvT1_
	.p2align	8
	.type	_ZN7rocprim17ROCPRIM_400000_NS6detail17trampoline_kernelINS0_14default_configENS1_33run_length_encode_config_selectorIajNS0_4plusIjEEEEZZNS1_33reduce_by_key_impl_wrapped_configILNS1_25lookback_scan_determinismE0ES3_S7_PKaNS0_17constant_iteratorIjlEEPaPlSF_S6_NS0_8equal_toIaEEEE10hipError_tPvRmT2_T3_mT4_T5_T6_T7_T8_P12ihipStream_tbENKUlT_T0_E_clISt17integral_constantIbLb0EESY_IbLb1EEEEDaSU_SV_EUlSU_E_NS1_11comp_targetILNS1_3genE8ELNS1_11target_archE1030ELNS1_3gpuE2ELNS1_3repE0EEENS1_30default_config_static_selectorELNS0_4arch9wavefront6targetE0EEEvT1_,@function
_ZN7rocprim17ROCPRIM_400000_NS6detail17trampoline_kernelINS0_14default_configENS1_33run_length_encode_config_selectorIajNS0_4plusIjEEEEZZNS1_33reduce_by_key_impl_wrapped_configILNS1_25lookback_scan_determinismE0ES3_S7_PKaNS0_17constant_iteratorIjlEEPaPlSF_S6_NS0_8equal_toIaEEEE10hipError_tPvRmT2_T3_mT4_T5_T6_T7_T8_P12ihipStream_tbENKUlT_T0_E_clISt17integral_constantIbLb0EESY_IbLb1EEEEDaSU_SV_EUlSU_E_NS1_11comp_targetILNS1_3genE8ELNS1_11target_archE1030ELNS1_3gpuE2ELNS1_3repE0EEENS1_30default_config_static_selectorELNS0_4arch9wavefront6targetE0EEEvT1_: ; @_ZN7rocprim17ROCPRIM_400000_NS6detail17trampoline_kernelINS0_14default_configENS1_33run_length_encode_config_selectorIajNS0_4plusIjEEEEZZNS1_33reduce_by_key_impl_wrapped_configILNS1_25lookback_scan_determinismE0ES3_S7_PKaNS0_17constant_iteratorIjlEEPaPlSF_S6_NS0_8equal_toIaEEEE10hipError_tPvRmT2_T3_mT4_T5_T6_T7_T8_P12ihipStream_tbENKUlT_T0_E_clISt17integral_constantIbLb0EESY_IbLb1EEEEDaSU_SV_EUlSU_E_NS1_11comp_targetILNS1_3genE8ELNS1_11target_archE1030ELNS1_3gpuE2ELNS1_3repE0EEENS1_30default_config_static_selectorELNS0_4arch9wavefront6targetE0EEEvT1_
; %bb.0:
	.section	.rodata,"a",@progbits
	.p2align	6, 0x0
	.amdhsa_kernel _ZN7rocprim17ROCPRIM_400000_NS6detail17trampoline_kernelINS0_14default_configENS1_33run_length_encode_config_selectorIajNS0_4plusIjEEEEZZNS1_33reduce_by_key_impl_wrapped_configILNS1_25lookback_scan_determinismE0ES3_S7_PKaNS0_17constant_iteratorIjlEEPaPlSF_S6_NS0_8equal_toIaEEEE10hipError_tPvRmT2_T3_mT4_T5_T6_T7_T8_P12ihipStream_tbENKUlT_T0_E_clISt17integral_constantIbLb0EESY_IbLb1EEEEDaSU_SV_EUlSU_E_NS1_11comp_targetILNS1_3genE8ELNS1_11target_archE1030ELNS1_3gpuE2ELNS1_3repE0EEENS1_30default_config_static_selectorELNS0_4arch9wavefront6targetE0EEEvT1_
		.amdhsa_group_segment_fixed_size 0
		.amdhsa_private_segment_fixed_size 0
		.amdhsa_kernarg_size 128
		.amdhsa_user_sgpr_count 2
		.amdhsa_user_sgpr_dispatch_ptr 0
		.amdhsa_user_sgpr_queue_ptr 0
		.amdhsa_user_sgpr_kernarg_segment_ptr 1
		.amdhsa_user_sgpr_dispatch_id 0
		.amdhsa_user_sgpr_kernarg_preload_length 0
		.amdhsa_user_sgpr_kernarg_preload_offset 0
		.amdhsa_user_sgpr_private_segment_size 0
		.amdhsa_wavefront_size32 1
		.amdhsa_uses_dynamic_stack 0
		.amdhsa_enable_private_segment 0
		.amdhsa_system_sgpr_workgroup_id_x 1
		.amdhsa_system_sgpr_workgroup_id_y 0
		.amdhsa_system_sgpr_workgroup_id_z 0
		.amdhsa_system_sgpr_workgroup_info 0
		.amdhsa_system_vgpr_workitem_id 0
		.amdhsa_next_free_vgpr 1
		.amdhsa_next_free_sgpr 1
		.amdhsa_named_barrier_count 0
		.amdhsa_reserve_vcc 0
		.amdhsa_float_round_mode_32 0
		.amdhsa_float_round_mode_16_64 0
		.amdhsa_float_denorm_mode_32 3
		.amdhsa_float_denorm_mode_16_64 3
		.amdhsa_fp16_overflow 0
		.amdhsa_memory_ordered 1
		.amdhsa_forward_progress 1
		.amdhsa_inst_pref_size 0
		.amdhsa_round_robin_scheduling 0
		.amdhsa_exception_fp_ieee_invalid_op 0
		.amdhsa_exception_fp_denorm_src 0
		.amdhsa_exception_fp_ieee_div_zero 0
		.amdhsa_exception_fp_ieee_overflow 0
		.amdhsa_exception_fp_ieee_underflow 0
		.amdhsa_exception_fp_ieee_inexact 0
		.amdhsa_exception_int_div_zero 0
	.end_amdhsa_kernel
	.section	.text._ZN7rocprim17ROCPRIM_400000_NS6detail17trampoline_kernelINS0_14default_configENS1_33run_length_encode_config_selectorIajNS0_4plusIjEEEEZZNS1_33reduce_by_key_impl_wrapped_configILNS1_25lookback_scan_determinismE0ES3_S7_PKaNS0_17constant_iteratorIjlEEPaPlSF_S6_NS0_8equal_toIaEEEE10hipError_tPvRmT2_T3_mT4_T5_T6_T7_T8_P12ihipStream_tbENKUlT_T0_E_clISt17integral_constantIbLb0EESY_IbLb1EEEEDaSU_SV_EUlSU_E_NS1_11comp_targetILNS1_3genE8ELNS1_11target_archE1030ELNS1_3gpuE2ELNS1_3repE0EEENS1_30default_config_static_selectorELNS0_4arch9wavefront6targetE0EEEvT1_,"axG",@progbits,_ZN7rocprim17ROCPRIM_400000_NS6detail17trampoline_kernelINS0_14default_configENS1_33run_length_encode_config_selectorIajNS0_4plusIjEEEEZZNS1_33reduce_by_key_impl_wrapped_configILNS1_25lookback_scan_determinismE0ES3_S7_PKaNS0_17constant_iteratorIjlEEPaPlSF_S6_NS0_8equal_toIaEEEE10hipError_tPvRmT2_T3_mT4_T5_T6_T7_T8_P12ihipStream_tbENKUlT_T0_E_clISt17integral_constantIbLb0EESY_IbLb1EEEEDaSU_SV_EUlSU_E_NS1_11comp_targetILNS1_3genE8ELNS1_11target_archE1030ELNS1_3gpuE2ELNS1_3repE0EEENS1_30default_config_static_selectorELNS0_4arch9wavefront6targetE0EEEvT1_,comdat
.Lfunc_end270:
	.size	_ZN7rocprim17ROCPRIM_400000_NS6detail17trampoline_kernelINS0_14default_configENS1_33run_length_encode_config_selectorIajNS0_4plusIjEEEEZZNS1_33reduce_by_key_impl_wrapped_configILNS1_25lookback_scan_determinismE0ES3_S7_PKaNS0_17constant_iteratorIjlEEPaPlSF_S6_NS0_8equal_toIaEEEE10hipError_tPvRmT2_T3_mT4_T5_T6_T7_T8_P12ihipStream_tbENKUlT_T0_E_clISt17integral_constantIbLb0EESY_IbLb1EEEEDaSU_SV_EUlSU_E_NS1_11comp_targetILNS1_3genE8ELNS1_11target_archE1030ELNS1_3gpuE2ELNS1_3repE0EEENS1_30default_config_static_selectorELNS0_4arch9wavefront6targetE0EEEvT1_, .Lfunc_end270-_ZN7rocprim17ROCPRIM_400000_NS6detail17trampoline_kernelINS0_14default_configENS1_33run_length_encode_config_selectorIajNS0_4plusIjEEEEZZNS1_33reduce_by_key_impl_wrapped_configILNS1_25lookback_scan_determinismE0ES3_S7_PKaNS0_17constant_iteratorIjlEEPaPlSF_S6_NS0_8equal_toIaEEEE10hipError_tPvRmT2_T3_mT4_T5_T6_T7_T8_P12ihipStream_tbENKUlT_T0_E_clISt17integral_constantIbLb0EESY_IbLb1EEEEDaSU_SV_EUlSU_E_NS1_11comp_targetILNS1_3genE8ELNS1_11target_archE1030ELNS1_3gpuE2ELNS1_3repE0EEENS1_30default_config_static_selectorELNS0_4arch9wavefront6targetE0EEEvT1_
                                        ; -- End function
	.set _ZN7rocprim17ROCPRIM_400000_NS6detail17trampoline_kernelINS0_14default_configENS1_33run_length_encode_config_selectorIajNS0_4plusIjEEEEZZNS1_33reduce_by_key_impl_wrapped_configILNS1_25lookback_scan_determinismE0ES3_S7_PKaNS0_17constant_iteratorIjlEEPaPlSF_S6_NS0_8equal_toIaEEEE10hipError_tPvRmT2_T3_mT4_T5_T6_T7_T8_P12ihipStream_tbENKUlT_T0_E_clISt17integral_constantIbLb0EESY_IbLb1EEEEDaSU_SV_EUlSU_E_NS1_11comp_targetILNS1_3genE8ELNS1_11target_archE1030ELNS1_3gpuE2ELNS1_3repE0EEENS1_30default_config_static_selectorELNS0_4arch9wavefront6targetE0EEEvT1_.num_vgpr, 0
	.set _ZN7rocprim17ROCPRIM_400000_NS6detail17trampoline_kernelINS0_14default_configENS1_33run_length_encode_config_selectorIajNS0_4plusIjEEEEZZNS1_33reduce_by_key_impl_wrapped_configILNS1_25lookback_scan_determinismE0ES3_S7_PKaNS0_17constant_iteratorIjlEEPaPlSF_S6_NS0_8equal_toIaEEEE10hipError_tPvRmT2_T3_mT4_T5_T6_T7_T8_P12ihipStream_tbENKUlT_T0_E_clISt17integral_constantIbLb0EESY_IbLb1EEEEDaSU_SV_EUlSU_E_NS1_11comp_targetILNS1_3genE8ELNS1_11target_archE1030ELNS1_3gpuE2ELNS1_3repE0EEENS1_30default_config_static_selectorELNS0_4arch9wavefront6targetE0EEEvT1_.num_agpr, 0
	.set _ZN7rocprim17ROCPRIM_400000_NS6detail17trampoline_kernelINS0_14default_configENS1_33run_length_encode_config_selectorIajNS0_4plusIjEEEEZZNS1_33reduce_by_key_impl_wrapped_configILNS1_25lookback_scan_determinismE0ES3_S7_PKaNS0_17constant_iteratorIjlEEPaPlSF_S6_NS0_8equal_toIaEEEE10hipError_tPvRmT2_T3_mT4_T5_T6_T7_T8_P12ihipStream_tbENKUlT_T0_E_clISt17integral_constantIbLb0EESY_IbLb1EEEEDaSU_SV_EUlSU_E_NS1_11comp_targetILNS1_3genE8ELNS1_11target_archE1030ELNS1_3gpuE2ELNS1_3repE0EEENS1_30default_config_static_selectorELNS0_4arch9wavefront6targetE0EEEvT1_.numbered_sgpr, 0
	.set _ZN7rocprim17ROCPRIM_400000_NS6detail17trampoline_kernelINS0_14default_configENS1_33run_length_encode_config_selectorIajNS0_4plusIjEEEEZZNS1_33reduce_by_key_impl_wrapped_configILNS1_25lookback_scan_determinismE0ES3_S7_PKaNS0_17constant_iteratorIjlEEPaPlSF_S6_NS0_8equal_toIaEEEE10hipError_tPvRmT2_T3_mT4_T5_T6_T7_T8_P12ihipStream_tbENKUlT_T0_E_clISt17integral_constantIbLb0EESY_IbLb1EEEEDaSU_SV_EUlSU_E_NS1_11comp_targetILNS1_3genE8ELNS1_11target_archE1030ELNS1_3gpuE2ELNS1_3repE0EEENS1_30default_config_static_selectorELNS0_4arch9wavefront6targetE0EEEvT1_.num_named_barrier, 0
	.set _ZN7rocprim17ROCPRIM_400000_NS6detail17trampoline_kernelINS0_14default_configENS1_33run_length_encode_config_selectorIajNS0_4plusIjEEEEZZNS1_33reduce_by_key_impl_wrapped_configILNS1_25lookback_scan_determinismE0ES3_S7_PKaNS0_17constant_iteratorIjlEEPaPlSF_S6_NS0_8equal_toIaEEEE10hipError_tPvRmT2_T3_mT4_T5_T6_T7_T8_P12ihipStream_tbENKUlT_T0_E_clISt17integral_constantIbLb0EESY_IbLb1EEEEDaSU_SV_EUlSU_E_NS1_11comp_targetILNS1_3genE8ELNS1_11target_archE1030ELNS1_3gpuE2ELNS1_3repE0EEENS1_30default_config_static_selectorELNS0_4arch9wavefront6targetE0EEEvT1_.private_seg_size, 0
	.set _ZN7rocprim17ROCPRIM_400000_NS6detail17trampoline_kernelINS0_14default_configENS1_33run_length_encode_config_selectorIajNS0_4plusIjEEEEZZNS1_33reduce_by_key_impl_wrapped_configILNS1_25lookback_scan_determinismE0ES3_S7_PKaNS0_17constant_iteratorIjlEEPaPlSF_S6_NS0_8equal_toIaEEEE10hipError_tPvRmT2_T3_mT4_T5_T6_T7_T8_P12ihipStream_tbENKUlT_T0_E_clISt17integral_constantIbLb0EESY_IbLb1EEEEDaSU_SV_EUlSU_E_NS1_11comp_targetILNS1_3genE8ELNS1_11target_archE1030ELNS1_3gpuE2ELNS1_3repE0EEENS1_30default_config_static_selectorELNS0_4arch9wavefront6targetE0EEEvT1_.uses_vcc, 0
	.set _ZN7rocprim17ROCPRIM_400000_NS6detail17trampoline_kernelINS0_14default_configENS1_33run_length_encode_config_selectorIajNS0_4plusIjEEEEZZNS1_33reduce_by_key_impl_wrapped_configILNS1_25lookback_scan_determinismE0ES3_S7_PKaNS0_17constant_iteratorIjlEEPaPlSF_S6_NS0_8equal_toIaEEEE10hipError_tPvRmT2_T3_mT4_T5_T6_T7_T8_P12ihipStream_tbENKUlT_T0_E_clISt17integral_constantIbLb0EESY_IbLb1EEEEDaSU_SV_EUlSU_E_NS1_11comp_targetILNS1_3genE8ELNS1_11target_archE1030ELNS1_3gpuE2ELNS1_3repE0EEENS1_30default_config_static_selectorELNS0_4arch9wavefront6targetE0EEEvT1_.uses_flat_scratch, 0
	.set _ZN7rocprim17ROCPRIM_400000_NS6detail17trampoline_kernelINS0_14default_configENS1_33run_length_encode_config_selectorIajNS0_4plusIjEEEEZZNS1_33reduce_by_key_impl_wrapped_configILNS1_25lookback_scan_determinismE0ES3_S7_PKaNS0_17constant_iteratorIjlEEPaPlSF_S6_NS0_8equal_toIaEEEE10hipError_tPvRmT2_T3_mT4_T5_T6_T7_T8_P12ihipStream_tbENKUlT_T0_E_clISt17integral_constantIbLb0EESY_IbLb1EEEEDaSU_SV_EUlSU_E_NS1_11comp_targetILNS1_3genE8ELNS1_11target_archE1030ELNS1_3gpuE2ELNS1_3repE0EEENS1_30default_config_static_selectorELNS0_4arch9wavefront6targetE0EEEvT1_.has_dyn_sized_stack, 0
	.set _ZN7rocprim17ROCPRIM_400000_NS6detail17trampoline_kernelINS0_14default_configENS1_33run_length_encode_config_selectorIajNS0_4plusIjEEEEZZNS1_33reduce_by_key_impl_wrapped_configILNS1_25lookback_scan_determinismE0ES3_S7_PKaNS0_17constant_iteratorIjlEEPaPlSF_S6_NS0_8equal_toIaEEEE10hipError_tPvRmT2_T3_mT4_T5_T6_T7_T8_P12ihipStream_tbENKUlT_T0_E_clISt17integral_constantIbLb0EESY_IbLb1EEEEDaSU_SV_EUlSU_E_NS1_11comp_targetILNS1_3genE8ELNS1_11target_archE1030ELNS1_3gpuE2ELNS1_3repE0EEENS1_30default_config_static_selectorELNS0_4arch9wavefront6targetE0EEEvT1_.has_recursion, 0
	.set _ZN7rocprim17ROCPRIM_400000_NS6detail17trampoline_kernelINS0_14default_configENS1_33run_length_encode_config_selectorIajNS0_4plusIjEEEEZZNS1_33reduce_by_key_impl_wrapped_configILNS1_25lookback_scan_determinismE0ES3_S7_PKaNS0_17constant_iteratorIjlEEPaPlSF_S6_NS0_8equal_toIaEEEE10hipError_tPvRmT2_T3_mT4_T5_T6_T7_T8_P12ihipStream_tbENKUlT_T0_E_clISt17integral_constantIbLb0EESY_IbLb1EEEEDaSU_SV_EUlSU_E_NS1_11comp_targetILNS1_3genE8ELNS1_11target_archE1030ELNS1_3gpuE2ELNS1_3repE0EEENS1_30default_config_static_selectorELNS0_4arch9wavefront6targetE0EEEvT1_.has_indirect_call, 0
	.section	.AMDGPU.csdata,"",@progbits
; Kernel info:
; codeLenInByte = 0
; TotalNumSgprs: 0
; NumVgprs: 0
; ScratchSize: 0
; MemoryBound: 0
; FloatMode: 240
; IeeeMode: 1
; LDSByteSize: 0 bytes/workgroup (compile time only)
; SGPRBlocks: 0
; VGPRBlocks: 0
; NumSGPRsForWavesPerEU: 1
; NumVGPRsForWavesPerEU: 1
; NamedBarCnt: 0
; Occupancy: 16
; WaveLimiterHint : 0
; COMPUTE_PGM_RSRC2:SCRATCH_EN: 0
; COMPUTE_PGM_RSRC2:USER_SGPR: 2
; COMPUTE_PGM_RSRC2:TRAP_HANDLER: 0
; COMPUTE_PGM_RSRC2:TGID_X_EN: 1
; COMPUTE_PGM_RSRC2:TGID_Y_EN: 0
; COMPUTE_PGM_RSRC2:TGID_Z_EN: 0
; COMPUTE_PGM_RSRC2:TIDIG_COMP_CNT: 0
	.section	.text._ZN2at6native8internal12_GLOBAL__N_126adjacent_difference_kernelIPKdEEvlT_Pi,"axG",@progbits,_ZN2at6native8internal12_GLOBAL__N_126adjacent_difference_kernelIPKdEEvlT_Pi,comdat
	.globl	_ZN2at6native8internal12_GLOBAL__N_126adjacent_difference_kernelIPKdEEvlT_Pi ; -- Begin function _ZN2at6native8internal12_GLOBAL__N_126adjacent_difference_kernelIPKdEEvlT_Pi
	.p2align	8
	.type	_ZN2at6native8internal12_GLOBAL__N_126adjacent_difference_kernelIPKdEEvlT_Pi,@function
_ZN2at6native8internal12_GLOBAL__N_126adjacent_difference_kernelIPKdEEvlT_Pi: ; @_ZN2at6native8internal12_GLOBAL__N_126adjacent_difference_kernelIPKdEEvlT_Pi
; %bb.0:
	s_clause 0x1
	s_load_b32 s2, s[0:1], 0x24
	s_load_b128 s[4:7], s[0:1], 0x0
	s_bfe_u32 s9, ttmp6, 0x4000c
	s_and_b32 s8, ttmp6, 15
	s_add_co_i32 s9, s9, 1
	s_getreg_b32 s10, hwreg(HW_REG_IB_STS2, 6, 4)
	s_mul_i32 s9, ttmp9, s9
	s_mov_b32 s3, 0
	s_add_co_i32 s8, s8, s9
	s_cmp_eq_u32 s10, 0
	v_mov_b32_e32 v1, 0
	s_mov_b32 s15, s3
	s_cselect_b32 s14, ttmp9, s8
	s_mov_b32 s13, s3
	s_wait_kmcnt 0x0
	s_and_b32 s12, s2, 0xffff
	s_mov_b32 s2, exec_lo
	s_mul_u64 s[8:9], s[12:13], s[14:15]
	s_delay_alu instid0(SALU_CYCLE_1) | instskip(NEXT) | instid1(VALU_DEP_1)
	v_add_nc_u64_e32 v[4:5], s[8:9], v[0:1]
	v_cmpx_gt_i64_e64 s[4:5], v[4:5]
	s_cbranch_execz .LBB271_5
; %bb.1:
	s_add_nc_u64 s[16:17], s[0:1], 24
	v_dual_mov_b32 v2, v1 :: v_dual_mov_b32 v3, v4
	s_load_b32 s2, s[16:17], 0x0
	s_load_b64 s[10:11], s[0:1], 0x10
	v_mov_b64_e32 v[4:5], v[0:1]
	s_mul_i32 s13, s14, s12
	s_wait_xcnt 0x0
	s_mov_b32 s0, s3
	s_wait_kmcnt 0x0
	s_mul_i32 s2, s2, s12
	s_mov_b32 s12, s3
	s_mov_b32 s1, s2
	s_branch .LBB271_3
.LBB271_2:                              ;   in Loop: Header=BB271_3 Depth=1
	s_or_b32 exec_lo, exec_lo, s14
	v_add_nc_u64_e32 v[4:5], s[2:3], v[4:5]
	v_ashrrev_i64 v[8:9], 30, v[2:3]
	v_add_nc_u64_e32 v[2:3], s[0:1], v[2:3]
	s_delay_alu instid0(VALU_DEP_3) | instskip(NEXT) | instid1(VALU_DEP_1)
	v_add_nc_u64_e32 v[6:7], s[8:9], v[4:5]
	v_cmp_le_i64_e32 vcc_lo, s[4:5], v[6:7]
	s_delay_alu instid0(VALU_DEP_4)
	v_add_nc_u64_e32 v[6:7], s[10:11], v[8:9]
	s_or_b32 s12, vcc_lo, s12
	global_store_b32 v[6:7], v0, off
	s_wait_xcnt 0x0
	s_and_not1_b32 exec_lo, exec_lo, s12
	s_cbranch_execz .LBB271_5
.LBB271_3:                              ; =>This Inner Loop Header: Depth=1
	v_dual_add_nc_u32 v6, s13, v4 :: v_dual_mov_b32 v0, 0
	s_mov_b32 s14, exec_lo
	s_delay_alu instid0(VALU_DEP_1)
	v_cmpx_lt_i32_e32 0, v6
	s_cbranch_execz .LBB271_2
; %bb.4:                                ;   in Loop: Header=BB271_3 Depth=1
	v_add_nc_u32_e32 v8, s8, v4
	s_delay_alu instid0(VALU_DEP_1) | instskip(NEXT) | instid1(VALU_DEP_1)
	v_and_b32_e32 v0, 0x7fffffff, v8
	v_lshl_add_u64 v[6:7], v[0:1], 3, s[6:7]
	v_add_nc_u32_e32 v0, -1, v8
	s_clause 0x1
	global_load_b64 v[8:9], v[6:7], off
	global_load_b64 v[10:11], v0, s[6:7] scale_offset
	s_wait_loadcnt 0x0
	v_cmp_neq_f64_e32 vcc_lo, v[8:9], v[10:11]
	s_wait_xcnt 0x0
	v_cndmask_b32_e64 v0, 0, 1, vcc_lo
	s_branch .LBB271_2
.LBB271_5:
	s_endpgm
	.section	.rodata,"a",@progbits
	.p2align	6, 0x0
	.amdhsa_kernel _ZN2at6native8internal12_GLOBAL__N_126adjacent_difference_kernelIPKdEEvlT_Pi
		.amdhsa_group_segment_fixed_size 0
		.amdhsa_private_segment_fixed_size 0
		.amdhsa_kernarg_size 280
		.amdhsa_user_sgpr_count 2
		.amdhsa_user_sgpr_dispatch_ptr 0
		.amdhsa_user_sgpr_queue_ptr 0
		.amdhsa_user_sgpr_kernarg_segment_ptr 1
		.amdhsa_user_sgpr_dispatch_id 0
		.amdhsa_user_sgpr_kernarg_preload_length 0
		.amdhsa_user_sgpr_kernarg_preload_offset 0
		.amdhsa_user_sgpr_private_segment_size 0
		.amdhsa_wavefront_size32 1
		.amdhsa_uses_dynamic_stack 0
		.amdhsa_enable_private_segment 0
		.amdhsa_system_sgpr_workgroup_id_x 1
		.amdhsa_system_sgpr_workgroup_id_y 0
		.amdhsa_system_sgpr_workgroup_id_z 0
		.amdhsa_system_sgpr_workgroup_info 0
		.amdhsa_system_vgpr_workitem_id 0
		.amdhsa_next_free_vgpr 12
		.amdhsa_next_free_sgpr 18
		.amdhsa_named_barrier_count 0
		.amdhsa_reserve_vcc 1
		.amdhsa_float_round_mode_32 0
		.amdhsa_float_round_mode_16_64 0
		.amdhsa_float_denorm_mode_32 3
		.amdhsa_float_denorm_mode_16_64 3
		.amdhsa_fp16_overflow 0
		.amdhsa_memory_ordered 1
		.amdhsa_forward_progress 1
		.amdhsa_inst_pref_size 3
		.amdhsa_round_robin_scheduling 0
		.amdhsa_exception_fp_ieee_invalid_op 0
		.amdhsa_exception_fp_denorm_src 0
		.amdhsa_exception_fp_ieee_div_zero 0
		.amdhsa_exception_fp_ieee_overflow 0
		.amdhsa_exception_fp_ieee_underflow 0
		.amdhsa_exception_fp_ieee_inexact 0
		.amdhsa_exception_int_div_zero 0
	.end_amdhsa_kernel
	.section	.text._ZN2at6native8internal12_GLOBAL__N_126adjacent_difference_kernelIPKdEEvlT_Pi,"axG",@progbits,_ZN2at6native8internal12_GLOBAL__N_126adjacent_difference_kernelIPKdEEvlT_Pi,comdat
.Lfunc_end271:
	.size	_ZN2at6native8internal12_GLOBAL__N_126adjacent_difference_kernelIPKdEEvlT_Pi, .Lfunc_end271-_ZN2at6native8internal12_GLOBAL__N_126adjacent_difference_kernelIPKdEEvlT_Pi
                                        ; -- End function
	.set _ZN2at6native8internal12_GLOBAL__N_126adjacent_difference_kernelIPKdEEvlT_Pi.num_vgpr, 12
	.set _ZN2at6native8internal12_GLOBAL__N_126adjacent_difference_kernelIPKdEEvlT_Pi.num_agpr, 0
	.set _ZN2at6native8internal12_GLOBAL__N_126adjacent_difference_kernelIPKdEEvlT_Pi.numbered_sgpr, 18
	.set _ZN2at6native8internal12_GLOBAL__N_126adjacent_difference_kernelIPKdEEvlT_Pi.num_named_barrier, 0
	.set _ZN2at6native8internal12_GLOBAL__N_126adjacent_difference_kernelIPKdEEvlT_Pi.private_seg_size, 0
	.set _ZN2at6native8internal12_GLOBAL__N_126adjacent_difference_kernelIPKdEEvlT_Pi.uses_vcc, 1
	.set _ZN2at6native8internal12_GLOBAL__N_126adjacent_difference_kernelIPKdEEvlT_Pi.uses_flat_scratch, 0
	.set _ZN2at6native8internal12_GLOBAL__N_126adjacent_difference_kernelIPKdEEvlT_Pi.has_dyn_sized_stack, 0
	.set _ZN2at6native8internal12_GLOBAL__N_126adjacent_difference_kernelIPKdEEvlT_Pi.has_recursion, 0
	.set _ZN2at6native8internal12_GLOBAL__N_126adjacent_difference_kernelIPKdEEvlT_Pi.has_indirect_call, 0
	.section	.AMDGPU.csdata,"",@progbits
; Kernel info:
; codeLenInByte = 356
; TotalNumSgprs: 20
; NumVgprs: 12
; ScratchSize: 0
; MemoryBound: 0
; FloatMode: 240
; IeeeMode: 1
; LDSByteSize: 0 bytes/workgroup (compile time only)
; SGPRBlocks: 0
; VGPRBlocks: 0
; NumSGPRsForWavesPerEU: 20
; NumVGPRsForWavesPerEU: 12
; NamedBarCnt: 0
; Occupancy: 16
; WaveLimiterHint : 0
; COMPUTE_PGM_RSRC2:SCRATCH_EN: 0
; COMPUTE_PGM_RSRC2:USER_SGPR: 2
; COMPUTE_PGM_RSRC2:TRAP_HANDLER: 0
; COMPUTE_PGM_RSRC2:TGID_X_EN: 1
; COMPUTE_PGM_RSRC2:TGID_Y_EN: 0
; COMPUTE_PGM_RSRC2:TGID_Z_EN: 0
; COMPUTE_PGM_RSRC2:TIDIG_COMP_CNT: 0
	.section	.text._ZN7rocprim17ROCPRIM_400000_NS6detail17trampoline_kernelINS0_14default_configENS1_25partition_config_selectorILNS1_17partition_subalgoE8EdNS0_10empty_typeEbEEZZNS1_14partition_implILS5_8ELb0ES3_jPKdPS6_PKS6_NS0_5tupleIJPdS6_EEENSE_IJSB_SB_EEENS0_18inequality_wrapperIN6hipcub16HIPCUB_304000_NS8EqualityEEEPlJS6_EEE10hipError_tPvRmT3_T4_T5_T6_T7_T9_mT8_P12ihipStream_tbDpT10_ENKUlT_T0_E_clISt17integral_constantIbLb0EES17_EEDaS12_S13_EUlS12_E_NS1_11comp_targetILNS1_3genE0ELNS1_11target_archE4294967295ELNS1_3gpuE0ELNS1_3repE0EEENS1_30default_config_static_selectorELNS0_4arch9wavefront6targetE0EEEvT1_,"axG",@progbits,_ZN7rocprim17ROCPRIM_400000_NS6detail17trampoline_kernelINS0_14default_configENS1_25partition_config_selectorILNS1_17partition_subalgoE8EdNS0_10empty_typeEbEEZZNS1_14partition_implILS5_8ELb0ES3_jPKdPS6_PKS6_NS0_5tupleIJPdS6_EEENSE_IJSB_SB_EEENS0_18inequality_wrapperIN6hipcub16HIPCUB_304000_NS8EqualityEEEPlJS6_EEE10hipError_tPvRmT3_T4_T5_T6_T7_T9_mT8_P12ihipStream_tbDpT10_ENKUlT_T0_E_clISt17integral_constantIbLb0EES17_EEDaS12_S13_EUlS12_E_NS1_11comp_targetILNS1_3genE0ELNS1_11target_archE4294967295ELNS1_3gpuE0ELNS1_3repE0EEENS1_30default_config_static_selectorELNS0_4arch9wavefront6targetE0EEEvT1_,comdat
	.protected	_ZN7rocprim17ROCPRIM_400000_NS6detail17trampoline_kernelINS0_14default_configENS1_25partition_config_selectorILNS1_17partition_subalgoE8EdNS0_10empty_typeEbEEZZNS1_14partition_implILS5_8ELb0ES3_jPKdPS6_PKS6_NS0_5tupleIJPdS6_EEENSE_IJSB_SB_EEENS0_18inequality_wrapperIN6hipcub16HIPCUB_304000_NS8EqualityEEEPlJS6_EEE10hipError_tPvRmT3_T4_T5_T6_T7_T9_mT8_P12ihipStream_tbDpT10_ENKUlT_T0_E_clISt17integral_constantIbLb0EES17_EEDaS12_S13_EUlS12_E_NS1_11comp_targetILNS1_3genE0ELNS1_11target_archE4294967295ELNS1_3gpuE0ELNS1_3repE0EEENS1_30default_config_static_selectorELNS0_4arch9wavefront6targetE0EEEvT1_ ; -- Begin function _ZN7rocprim17ROCPRIM_400000_NS6detail17trampoline_kernelINS0_14default_configENS1_25partition_config_selectorILNS1_17partition_subalgoE8EdNS0_10empty_typeEbEEZZNS1_14partition_implILS5_8ELb0ES3_jPKdPS6_PKS6_NS0_5tupleIJPdS6_EEENSE_IJSB_SB_EEENS0_18inequality_wrapperIN6hipcub16HIPCUB_304000_NS8EqualityEEEPlJS6_EEE10hipError_tPvRmT3_T4_T5_T6_T7_T9_mT8_P12ihipStream_tbDpT10_ENKUlT_T0_E_clISt17integral_constantIbLb0EES17_EEDaS12_S13_EUlS12_E_NS1_11comp_targetILNS1_3genE0ELNS1_11target_archE4294967295ELNS1_3gpuE0ELNS1_3repE0EEENS1_30default_config_static_selectorELNS0_4arch9wavefront6targetE0EEEvT1_
	.globl	_ZN7rocprim17ROCPRIM_400000_NS6detail17trampoline_kernelINS0_14default_configENS1_25partition_config_selectorILNS1_17partition_subalgoE8EdNS0_10empty_typeEbEEZZNS1_14partition_implILS5_8ELb0ES3_jPKdPS6_PKS6_NS0_5tupleIJPdS6_EEENSE_IJSB_SB_EEENS0_18inequality_wrapperIN6hipcub16HIPCUB_304000_NS8EqualityEEEPlJS6_EEE10hipError_tPvRmT3_T4_T5_T6_T7_T9_mT8_P12ihipStream_tbDpT10_ENKUlT_T0_E_clISt17integral_constantIbLb0EES17_EEDaS12_S13_EUlS12_E_NS1_11comp_targetILNS1_3genE0ELNS1_11target_archE4294967295ELNS1_3gpuE0ELNS1_3repE0EEENS1_30default_config_static_selectorELNS0_4arch9wavefront6targetE0EEEvT1_
	.p2align	8
	.type	_ZN7rocprim17ROCPRIM_400000_NS6detail17trampoline_kernelINS0_14default_configENS1_25partition_config_selectorILNS1_17partition_subalgoE8EdNS0_10empty_typeEbEEZZNS1_14partition_implILS5_8ELb0ES3_jPKdPS6_PKS6_NS0_5tupleIJPdS6_EEENSE_IJSB_SB_EEENS0_18inequality_wrapperIN6hipcub16HIPCUB_304000_NS8EqualityEEEPlJS6_EEE10hipError_tPvRmT3_T4_T5_T6_T7_T9_mT8_P12ihipStream_tbDpT10_ENKUlT_T0_E_clISt17integral_constantIbLb0EES17_EEDaS12_S13_EUlS12_E_NS1_11comp_targetILNS1_3genE0ELNS1_11target_archE4294967295ELNS1_3gpuE0ELNS1_3repE0EEENS1_30default_config_static_selectorELNS0_4arch9wavefront6targetE0EEEvT1_,@function
_ZN7rocprim17ROCPRIM_400000_NS6detail17trampoline_kernelINS0_14default_configENS1_25partition_config_selectorILNS1_17partition_subalgoE8EdNS0_10empty_typeEbEEZZNS1_14partition_implILS5_8ELb0ES3_jPKdPS6_PKS6_NS0_5tupleIJPdS6_EEENSE_IJSB_SB_EEENS0_18inequality_wrapperIN6hipcub16HIPCUB_304000_NS8EqualityEEEPlJS6_EEE10hipError_tPvRmT3_T4_T5_T6_T7_T9_mT8_P12ihipStream_tbDpT10_ENKUlT_T0_E_clISt17integral_constantIbLb0EES17_EEDaS12_S13_EUlS12_E_NS1_11comp_targetILNS1_3genE0ELNS1_11target_archE4294967295ELNS1_3gpuE0ELNS1_3repE0EEENS1_30default_config_static_selectorELNS0_4arch9wavefront6targetE0EEEvT1_: ; @_ZN7rocprim17ROCPRIM_400000_NS6detail17trampoline_kernelINS0_14default_configENS1_25partition_config_selectorILNS1_17partition_subalgoE8EdNS0_10empty_typeEbEEZZNS1_14partition_implILS5_8ELb0ES3_jPKdPS6_PKS6_NS0_5tupleIJPdS6_EEENSE_IJSB_SB_EEENS0_18inequality_wrapperIN6hipcub16HIPCUB_304000_NS8EqualityEEEPlJS6_EEE10hipError_tPvRmT3_T4_T5_T6_T7_T9_mT8_P12ihipStream_tbDpT10_ENKUlT_T0_E_clISt17integral_constantIbLb0EES17_EEDaS12_S13_EUlS12_E_NS1_11comp_targetILNS1_3genE0ELNS1_11target_archE4294967295ELNS1_3gpuE0ELNS1_3repE0EEENS1_30default_config_static_selectorELNS0_4arch9wavefront6targetE0EEEvT1_
; %bb.0:
	s_clause 0x3
	s_load_b128 s[4:7], s[0:1], 0x8
	s_load_b128 s[12:15], s[0:1], 0x40
	s_load_b32 s9, s[0:1], 0x68
	s_load_b64 s[2:3], s[0:1], 0x50
	s_bfe_u32 s8, ttmp6, 0x4000c
	s_and_b32 s10, ttmp6, 15
	s_add_co_i32 s17, s8, 1
	s_mov_b32 s11, 0
	s_mul_i32 s17, ttmp9, s17
	s_getreg_b32 s16, hwreg(HW_REG_IB_STS2, 6, 4)
	s_add_co_i32 s18, s10, s17
	s_mov_b32 s23, s11
	v_dual_mov_b32 v1, v0 :: v_dual_lshlrev_b32 v22, 3, v0
	s_mov_b32 s8, -1
	s_wait_kmcnt 0x0
	s_lshl_b64 s[20:21], s[6:7], 3
	s_load_b64 s[14:15], s[14:15], 0x0
	s_mul_i32 s10, s9, 0xe00
	s_cmp_eq_u32 s16, 0
	s_add_nc_u64 s[16:17], s[6:7], s[10:11]
	s_cselect_b32 s18, ttmp9, s18
	s_add_co_i32 s10, s10, s6
	v_cmp_le_u64_e64 s11, s[2:3], s[16:17]
	s_add_co_i32 s9, s9, -1
	s_sub_co_i32 s19, s2, s10
	s_cmp_eq_u32 s18, s9
	s_add_nc_u64 s[2:3], s[4:5], s[20:21]
	s_cselect_b32 s16, -1, 0
	s_mul_i32 s22, s18, 0xe00
	s_and_b32 s20, s16, s11
	s_lshl_b64 s[4:5], s[22:23], 3
	s_xor_b32 s17, s20, -1
	s_add_nc_u64 s[2:3], s[2:3], s[4:5]
	s_and_b32 vcc_lo, exec_lo, s17
	s_cbranch_vccz .LBB272_2
; %bb.1:
	s_clause 0x6
	global_load_b64 v[2:3], v0, s[2:3] scale_offset
	global_load_b64 v[4:5], v0, s[2:3] offset:4096 scale_offset
	global_load_b64 v[6:7], v0, s[2:3] offset:8192 scale_offset
	;; [unrolled: 1-line block ×6, first 2 shown]
	v_lshlrev_b32_e32 v16, 3, v0
	s_mov_b32 s8, 0
	s_wait_loadcnt 0x5
	ds_store_2addr_stride64_b64 v16, v[2:3], v[4:5] offset1:8
	s_wait_loadcnt 0x3
	ds_store_2addr_stride64_b64 v16, v[6:7], v[8:9] offset0:16 offset1:24
	s_wait_loadcnt 0x1
	ds_store_2addr_stride64_b64 v16, v[10:11], v[12:13] offset0:32 offset1:40
	s_wait_loadcnt 0x0
	ds_store_b64 v16, v[14:15] offset:24576
	s_wait_dscnt 0x0
	s_barrier_signal -1
	s_barrier_wait -1
.LBB272_2:
	s_and_not1_b32 vcc_lo, exec_lo, s8
	s_addk_co_i32 s19, 0xe00
	s_cbranch_vccnz .LBB272_18
; %bb.3:
	v_mov_b32_e32 v2, 0
	s_mov_b32 s4, exec_lo
	s_delay_alu instid0(VALU_DEP_1)
	v_dual_mov_b32 v3, v2 :: v_dual_mov_b32 v4, v2
	v_dual_mov_b32 v5, v2 :: v_dual_mov_b32 v6, v2
	;; [unrolled: 1-line block ×6, first 2 shown]
	v_mov_b32_e32 v15, v2
	v_cmpx_gt_u32_e64 s19, v0
	s_cbranch_execz .LBB272_5
; %bb.4:
	global_load_b64 v[4:5], v0, s[2:3] scale_offset
	v_dual_mov_b32 v6, v2 :: v_dual_mov_b32 v7, v2
	v_dual_mov_b32 v8, v2 :: v_dual_mov_b32 v9, v2
	;; [unrolled: 1-line block ×6, first 2 shown]
	s_wait_loadcnt 0x0
	v_mov_b64_e32 v[2:3], v[4:5]
	v_mov_b64_e32 v[4:5], v[6:7]
	;; [unrolled: 1-line block ×8, first 2 shown]
.LBB272_5:
	s_or_b32 exec_lo, exec_lo, s4
	v_or_b32_e32 v16, 0x200, v0
	s_mov_b32 s4, exec_lo
	s_delay_alu instid0(VALU_DEP_1)
	v_cmpx_gt_u32_e64 s19, v16
	s_cbranch_execz .LBB272_7
; %bb.6:
	global_load_b64 v[4:5], v0, s[2:3] offset:4096 scale_offset
.LBB272_7:
	s_wait_xcnt 0x0
	s_or_b32 exec_lo, exec_lo, s4
	v_or_b32_e32 v16, 0x400, v0
	s_mov_b32 s4, exec_lo
	s_delay_alu instid0(VALU_DEP_1)
	v_cmpx_gt_u32_e64 s19, v16
	s_cbranch_execz .LBB272_9
; %bb.8:
	global_load_b64 v[6:7], v0, s[2:3] offset:8192 scale_offset
.LBB272_9:
	s_wait_xcnt 0x0
	;; [unrolled: 10-line block ×6, first 2 shown]
	s_or_b32 exec_lo, exec_lo, s4
	v_lshlrev_b32_e32 v16, 3, v0
	s_wait_loadcnt 0x0
	ds_store_2addr_stride64_b64 v16, v[2:3], v[4:5] offset1:8
	ds_store_2addr_stride64_b64 v16, v[6:7], v[8:9] offset0:16 offset1:24
	ds_store_2addr_stride64_b64 v16, v[10:11], v[12:13] offset0:32 offset1:40
	ds_store_b64 v16, v[14:15] offset:24576
	s_wait_dscnt 0x0
	s_barrier_signal -1
	s_barrier_wait -1
.LBB272_18:
	v_mul_u32_u24_e32 v28, 7, v0
	s_cmp_lg_u32 s18, 0
	s_mov_b32 s10, 0
	s_cselect_b32 s21, -1, 0
	s_delay_alu instid0(VALU_DEP_1)
	v_lshlrev_b32_e32 v23, 3, v28
	s_cmp_lg_u64 s[6:7], 0
	ds_load_2addr_b64 v[10:13], v23 offset0:2 offset1:3
	ds_load_2addr_b64 v[6:9], v23 offset0:3 offset1:4
	ds_load_2addr_b64 v[14:17], v23 offset1:1
	ds_load_2addr_b64 v[18:21], v23 offset0:1 offset1:2
	ds_load_2addr_b64 v[2:5], v23 offset0:5 offset1:6
	s_cselect_b32 s4, -1, 0
	s_wait_dscnt 0x0
	s_or_b32 s4, s21, s4
	s_barrier_signal -1
	s_and_b32 vcc_lo, exec_lo, s4
	s_barrier_wait -1
	s_cbranch_vccz .LBB272_23
; %bb.19:
	s_add_nc_u64 s[2:3], s[2:3], -8
	v_lshlrev_b32_e32 v26, 3, v0
	s_load_b64 s[2:3], s[2:3], 0x0
	s_and_b32 vcc_lo, exec_lo, s17
	ds_store_b64 v26, v[4:5]
	s_cbranch_vccz .LBB272_25
; %bb.20:
	s_wait_kmcnt 0x0
	v_mov_b64_e32 v[24:25], s[2:3]
	s_mov_b32 s5, 0
	s_mov_b32 s4, exec_lo
	s_wait_dscnt 0x0
	s_barrier_signal -1
	s_barrier_wait -1
	v_cmpx_ne_u32_e32 0, v0
; %bb.21:
	v_add_nc_u32_e32 v24, -8, v26
	ds_load_b64 v[24:25], v24
; %bb.22:
	s_or_b32 exec_lo, exec_lo, s4
	v_cmp_neq_f64_e32 vcc_lo, v[10:11], v[12:13]
	s_wait_dscnt 0x0
	v_cmp_neq_f64_e64 s4, v[24:25], v[14:15]
	v_cndmask_b32_e64 v24, 0, 1, vcc_lo
	v_cmp_neq_f64_e32 vcc_lo, v[16:17], v[10:11]
	s_delay_alu instid0(VALU_DEP_2) | instskip(SKIP_2) | instid1(VALU_DEP_2)
	v_lshlrev_b16 v24, 8, v24
	v_cndmask_b32_e64 v25, 0, 1, vcc_lo
	v_cmp_neq_f64_e32 vcc_lo, v[14:15], v[16:17]
	v_or_b32_e32 v24, v25, v24
	s_delay_alu instid0(VALU_DEP_1) | instskip(SKIP_2) | instid1(VALU_DEP_2)
	v_lshlrev_b32_e32 v24, 16, v24
	v_cndmask_b32_e64 v27, 0, 1, vcc_lo
	v_cmp_neq_f64_e32 vcc_lo, v[2:3], v[4:5]
	v_lshlrev_b16 v25, 8, v27
	s_delay_alu instid0(VALU_DEP_1) | instskip(NEXT) | instid1(VALU_DEP_1)
	v_and_b32_e32 v25, 0xffff, v25
	v_or_b32_e32 v29, v25, v24
	v_cndmask_b32_e64 v27, 0, 1, vcc_lo
	v_cmp_neq_f64_e32 vcc_lo, v[8:9], v[2:3]
	v_cndmask_b32_e64 v30, 0, 1, vcc_lo
	v_cmp_neq_f64_e32 vcc_lo, v[12:13], v[8:9]
	v_cndmask_b32_e64 v33, 0, 1, vcc_lo
	s_and_b32 vcc_lo, exec_lo, s5
	s_cbranch_vccnz .LBB272_26
	s_branch .LBB272_29
.LBB272_23:
                                        ; implicit-def: $sgpr4
                                        ; implicit-def: $vgpr27
                                        ; implicit-def: $vgpr30
                                        ; implicit-def: $vgpr33
                                        ; implicit-def: $vgpr29
	s_branch .LBB272_30
.LBB272_24:
                                        ; implicit-def: $vgpr24
                                        ; implicit-def: $vgpr32
                                        ; implicit-def: $vgpr31
                                        ; implicit-def: $vgpr26
	s_branch .LBB272_38
.LBB272_25:
                                        ; implicit-def: $sgpr4
                                        ; implicit-def: $vgpr27
                                        ; implicit-def: $vgpr30
                                        ; implicit-def: $vgpr33
                                        ; implicit-def: $vgpr29
	s_cbranch_execz .LBB272_29
.LBB272_26:
	s_wait_kmcnt 0x0
	v_mov_b64_e32 v[24:25], s[2:3]
	s_mov_b32 s2, exec_lo
	s_wait_dscnt 0x0
	s_barrier_signal -1
	s_barrier_wait -1
	v_cmpx_ne_u32_e32 0, v0
; %bb.27:
	v_add_nc_u32_e32 v24, -8, v26
	ds_load_b64 v[24:25], v24
; %bb.28:
	s_or_b32 exec_lo, exec_lo, s2
	v_cmp_neq_f64_e32 vcc_lo, v[10:11], v[12:13]
	v_cmp_neq_f64_e64 s2, v[16:17], v[10:11]
	v_cmp_neq_f64_e64 s3, v[14:15], v[16:17]
	v_cmp_neq_f64_e64 s5, v[8:9], v[2:3]
	v_cmp_neq_f64_e64 s4, v[2:3], v[4:5]
	v_cmp_neq_f64_e64 s6, v[12:13], v[8:9]
	v_dual_add_nc_u32 v26, 3, v28 :: v_dual_add_nc_u32 v27, 2, v28
	s_wait_dscnt 0x0
	v_cmp_neq_f64_e64 s7, v[24:25], v[14:15]
	v_dual_add_nc_u32 v24, 1, v28 :: v_dual_add_nc_u32 v25, 6, v28
	s_delay_alu instid0(VALU_DEP_3) | instskip(SKIP_2) | instid1(VALU_DEP_4)
	v_cmp_gt_u32_e64 s8, s19, v26
	v_cmp_gt_u32_e64 s9, s19, v27
	v_dual_add_nc_u32 v26, 5, v28 :: v_dual_add_nc_u32 v30, 4, v28
	v_cmp_gt_u32_e64 s10, s19, v24
	s_and_b32 s8, s8, vcc_lo
	s_and_b32 s2, s9, s2
	v_cndmask_b32_e64 v24, 0, 1, s8
	v_cndmask_b32_e64 v27, 0, 1, s2
	s_and_b32 s2, s10, s3
	v_cmp_gt_u32_e32 vcc_lo, s19, v25
	v_cndmask_b32_e64 v29, 0, 1, s2
	v_lshlrev_b16 v24, 8, v24
	v_cmp_gt_u32_e64 s2, s19, v26
	v_cmp_gt_u32_e64 s3, s19, v30
	s_and_b32 s4, vcc_lo, s4
	v_lshlrev_b16 v25, 8, v29
	v_or_b32_e32 v24, v27, v24
	s_and_b32 s2, s2, s5
	v_cmp_gt_u32_e32 vcc_lo, s19, v28
	v_cndmask_b32_e64 v30, 0, 1, s2
	v_and_b32_e32 v25, 0xffff, v25
	v_lshlrev_b32_e32 v24, 16, v24
	s_and_b32 s2, s3, s6
	v_cndmask_b32_e64 v27, 0, 1, s4
	v_cndmask_b32_e64 v33, 0, 1, s2
	s_and_b32 s4, vcc_lo, s7
	v_or_b32_e32 v29, v25, v24
.LBB272_29:
	s_wait_kmcnt 0x0
	s_mov_b32 s10, -1
	s_cbranch_execnz .LBB272_24
.LBB272_30:
	v_cmp_neq_f64_e64 s2, v[2:3], v[4:5]
	v_mad_i32_i24 v34, 0xffffffd0, v0, v23
	s_and_b32 vcc_lo, exec_lo, s17
	ds_store_b64 v34, v[4:5]
	s_cbranch_vccz .LBB272_34
; %bb.31:
	v_cmp_neq_f64_e32 vcc_lo, v[8:9], v[2:3]
	v_cndmask_b32_e64 v27, 0, 1, s2
	v_mov_b32_e32 v24, 1
	s_mov_b32 s2, 0
	s_mov_b32 s3, exec_lo
	s_wait_dscnt 0x0
	s_barrier_signal -1
	s_barrier_wait -1
                                        ; implicit-def: $sgpr4
                                        ; implicit-def: $vgpr29
	v_cndmask_b32_e64 v30, 0, 1, vcc_lo
	v_cmp_neq_f64_e32 vcc_lo, v[12:13], v[8:9]
	v_cndmask_b32_e64 v25, 0, 1, vcc_lo
	v_cmp_neq_f64_e32 vcc_lo, v[14:15], v[16:17]
	v_cndmask_b32_e64 v32, 0, 1, vcc_lo
	v_cmp_neq_f64_e32 vcc_lo, v[16:17], v[10:11]
	v_cndmask_b32_e64 v31, 0, 1, vcc_lo
	v_cmp_neq_f64_e32 vcc_lo, v[10:11], v[12:13]
	v_cndmask_b32_e64 v26, 0, 1, vcc_lo
	v_cmpx_ne_u32_e32 0, v0
	s_xor_b32 s3, exec_lo, s3
	s_cbranch_execz .LBB272_33
; %bb.32:
	v_lshlrev_b16 v33, 8, v32
	v_add_nc_u32_e32 v29, -8, v34
	s_or_b32 s10, s10, exec_lo
	s_delay_alu instid0(VALU_DEP_2) | instskip(SKIP_3) | instid1(VALU_DEP_2)
	v_or_b32_e32 v33, 1, v33
	ds_load_b64 v[36:37], v29
	v_lshlrev_b16 v29, 8, v26
	v_and_b32_e32 v33, 0xffff, v33
	v_or_b32_e32 v29, v31, v29
	s_delay_alu instid0(VALU_DEP_1) | instskip(NEXT) | instid1(VALU_DEP_1)
	v_lshlrev_b32_e32 v29, 16, v29
	v_or_b32_e32 v29, v33, v29
	s_wait_dscnt 0x0
	v_cmp_neq_f64_e64 s4, v[36:37], v[14:15]
	s_delay_alu instid0(VALU_DEP_2)
	v_perm_b32 v29, v29, v29, 0x3020104
.LBB272_33:
	s_or_b32 exec_lo, exec_lo, s3
	v_mov_b32_e32 v33, v25
	s_and_b32 vcc_lo, exec_lo, s2
	s_cbranch_vccnz .LBB272_35
	s_branch .LBB272_38
.LBB272_34:
                                        ; implicit-def: $sgpr4
                                        ; implicit-def: $vgpr27
                                        ; implicit-def: $vgpr30
                                        ; implicit-def: $vgpr33
                                        ; implicit-def: $vgpr29
                                        ; implicit-def: $vgpr24
                                        ; implicit-def: $vgpr32
                                        ; implicit-def: $vgpr31
                                        ; implicit-def: $vgpr26
	s_cbranch_execz .LBB272_38
.LBB272_35:
	v_cmp_neq_f64_e32 vcc_lo, v[12:13], v[8:9]
	v_cmp_neq_f64_e64 s2, v[16:17], v[20:21]
	v_cmp_neq_f64_e64 s3, v[10:11], v[6:7]
	;; [unrolled: 1-line block ×5, first 2 shown]
	v_dual_add_nc_u32 v6, 4, v28 :: v_dual_add_nc_u32 v7, 2, v28
	v_dual_add_nc_u32 v18, 6, v28 :: v_dual_add_nc_u32 v19, 3, v28
	s_wait_dscnt 0x0
	s_delay_alu instid0(VALU_DEP_2) | instskip(NEXT) | instid1(VALU_DEP_3)
	v_cmp_gt_u32_e64 s7, s19, v6
	v_cmp_gt_u32_e64 s8, s19, v7
	v_dual_add_nc_u32 v6, 5, v28 :: v_dual_add_nc_u32 v7, 1, v28
	v_cmp_gt_u32_e64 s9, s19, v19
	s_barrier_signal -1
	s_barrier_wait -1
                                        ; implicit-def: $vgpr33
                                        ; implicit-def: $vgpr29
	s_and_b32 s7, s7, vcc_lo
	s_and_b32 s2, s8, s2
	v_cndmask_b32_e64 v20, 0, 1, s7
	v_cndmask_b32_e64 v21, 0, 1, s2
	s_and_b32 s2, s9, s3
	v_cmp_gt_u32_e32 vcc_lo, s19, v18
	v_cndmask_b32_e64 v25, 0, 1, s2
	v_lshlrev_b16 v19, 8, v20
	v_mov_b32_e32 v24, 1
	v_cmp_gt_u32_e64 s2, s19, v6
	v_lshlrev_b16 v6, 8, v21
	v_cmp_gt_u32_e64 s3, s19, v7
	v_or_b32_e32 v26, v25, v19
	s_and_b32 s4, vcc_lo, s4
	s_and_b32 s2, s2, s5
	v_and_b32_e32 v18, 0xffff, v6
	v_cndmask_b32_e64 v30, 0, 1, s2
	v_lshlrev_b32_e32 v7, 16, v26
	s_and_b32 s2, s3, s6
	v_cndmask_b32_e64 v27, 0, 1, s4
	v_cndmask_b32_e64 v19, 0, 1, s2
	s_mov_b32 s3, exec_lo
	v_or_b32_e32 v18, v18, v7
                                        ; implicit-def: $sgpr4
	v_cmpx_ne_u32_e32 0, v0
	s_cbranch_execz .LBB272_37
; %bb.36:
	v_lshlrev_b16 v25, 8, v25
	v_add_nc_u32_e32 v29, -8, v34
	v_lshlrev_b16 v31, 8, v30
	v_cmp_gt_u32_e64 s2, s19, v28
	s_or_b32 s10, s10, exec_lo
	v_lshrrev_b32_e32 v25, 8, v25
	ds_load_b64 v[32:33], v29
	v_lshlrev_b16 v29, 8, v19
	v_or_b32_e32 v20, v20, v31
	v_lshlrev_b16 v25, 8, v25
	s_delay_alu instid0(VALU_DEP_3) | instskip(NEXT) | instid1(VALU_DEP_3)
	v_lshrrev_b32_e32 v29, 8, v29
	v_and_b32_e32 v20, 0xffff, v20
	s_delay_alu instid0(VALU_DEP_3) | instskip(NEXT) | instid1(VALU_DEP_3)
	v_or_b32_e32 v21, v21, v25
	v_lshlrev_b16 v29, 8, v29
	s_delay_alu instid0(VALU_DEP_2) | instskip(NEXT) | instid1(VALU_DEP_2)
	v_lshlrev_b32_e32 v21, 16, v21
	v_or_b32_e32 v25, 1, v29
	s_wait_dscnt 0x0
	v_cmp_neq_f64_e32 vcc_lo, v[32:33], v[14:15]
	s_delay_alu instid0(VALU_DEP_2) | instskip(SKIP_1) | instid1(VALU_DEP_2)
	v_and_b32_e32 v25, 0xffff, v25
	v_lshl_or_b32 v33, v27, 16, v20
	v_or_b32_e32 v21, v25, v21
	s_delay_alu instid0(VALU_DEP_1)
	v_perm_b32 v29, v21, v21, 0x3020104
	s_and_b32 s4, s2, vcc_lo
.LBB272_37:
	s_or_b32 exec_lo, exec_lo, s3
	v_dual_lshrrev_b32 v25, 24, v7 :: v_dual_bitop2_b32 v32, v19, v6 bitop3:0x54
	v_lshrrev_b32_e32 v31, 8, v18
.LBB272_38:
	s_and_saveexec_b32 s2, s10
; %bb.39:
	v_dual_lshrrev_b32 v26, 24, v29 :: v_dual_lshrrev_b32 v31, 16, v29
	v_dual_mov_b32 v25, v33 :: v_dual_lshrrev_b32 v32, 8, v29
	v_cndmask_b32_e64 v24, 0, 1, s4
; %bb.40:
	s_or_b32 exec_lo, exec_lo, s2
	s_load_b64 s[10:11], s[0:1], 0x60
	s_and_not1_b32 vcc_lo, exec_lo, s20
	s_cbranch_vccnz .LBB272_44
; %bb.41:
	v_perm_b32 v6, v24, v32, 0xc0c0004
	v_perm_b32 v7, v31, v26, 0xc0c0004
	v_cmp_gt_u32_e32 vcc_lo, s19, v28
	v_and_b32_e32 v19, 0xff, v27
	v_perm_b32 v20, v25, v30, 0xc0c0004
	v_add_nc_u32_e32 v18, 1, v28
	v_lshl_or_b32 v6, v7, 16, v6
	s_delay_alu instid0(VALU_DEP_1) | instskip(NEXT) | instid1(VALU_DEP_3)
	v_dual_add_nc_u32 v21, 4, v28 :: v_dual_cndmask_b32 v7, 0, v6, vcc_lo
	v_cmp_gt_u32_e32 vcc_lo, s19, v18
	v_dual_lshlrev_b32 v18, 16, v19 :: v_dual_add_nc_u32 v19, 2, v28
	s_delay_alu instid0(VALU_DEP_3) | instskip(NEXT) | instid1(VALU_DEP_2)
	v_and_b32_e32 v7, 0xff, v7
	v_or_b32_e32 v24, v20, v18
	v_bitop3_b32 v18, v20, 0xffff00, v18 bitop3:0xc8
	s_delay_alu instid0(VALU_DEP_3) | instskip(SKIP_2) | instid1(VALU_DEP_3)
	v_cndmask_b32_e32 v7, v7, v6, vcc_lo
	v_cmp_gt_u32_e32 vcc_lo, s19, v19
	v_add_nc_u32_e32 v19, 5, v28
	v_and_b32_e32 v7, 0xffff, v7
	s_delay_alu instid0(VALU_DEP_2) | instskip(NEXT) | instid1(VALU_DEP_2)
	v_cmp_gt_u32_e64 s2, s19, v19
	v_cndmask_b32_e32 v7, v7, v6, vcc_lo
	v_cmp_gt_u32_e32 vcc_lo, s19, v21
	v_cndmask_b32_e32 v18, v18, v24, vcc_lo
	s_delay_alu instid0(VALU_DEP_3) | instskip(SKIP_2) | instid1(VALU_DEP_3)
	v_and_b32_e32 v7, 0xffffff, v7
	v_add_nc_u32_e32 v20, 3, v28
	s_or_b32 vcc_lo, s2, vcc_lo
	v_and_b32_e32 v18, 0xffff00ff, v18
	s_delay_alu instid0(VALU_DEP_2) | instskip(NEXT) | instid1(VALU_DEP_1)
	v_cmp_gt_u32_e64 s3, s19, v20
	v_dual_cndmask_b32 v7, v7, v6, s3 :: v_dual_cndmask_b32 v25, v18, v24, s2
	s_mov_b32 s2, exec_lo
	s_delay_alu instid0(VALU_DEP_1) | instskip(NEXT) | instid1(VALU_DEP_2)
	v_dual_cndmask_b32 v24, v7, v6, vcc_lo :: v_dual_add_nc_u32 v6, 6, v28
	v_lshrrev_b32_e32 v30, 8, v25
	s_delay_alu instid0(VALU_DEP_2)
	v_lshrrev_b64 v[26:27], 24, v[24:25]
	v_dual_lshrrev_b32 v31, 16, v24 :: v_dual_lshrrev_b32 v32, 8, v24
	v_lshrrev_b32_e32 v27, 16, v25
	v_cmpx_le_u32_e64 s19, v6
; %bb.42:
	v_mov_b32_e32 v27, 0
; %bb.43:
	s_or_b32 exec_lo, exec_lo, s2
.LBB272_44:
	v_and_b32_e32 v33, 0xff, v24
	v_and_b32_e32 v34, 0xff, v32
	;; [unrolled: 1-line block ×5, first 2 shown]
	v_mbcnt_lo_u32_b32 v39, -1, 0
	v_and_b32_e32 v38, 0xff, v30
	v_add3_u32 v6, v34, v33, v35
	v_and_b32_e32 v7, 0xff, v27
	s_delay_alu instid0(VALU_DEP_4) | instskip(SKIP_1) | instid1(VALU_DEP_3)
	v_dual_lshrrev_b32 v40, 5, v0 :: v_dual_bitop2_b32 v18, 15, v39 bitop3:0x40
	s_and_b32 vcc_lo, exec_lo, s21
	v_add3_u32 v6, v6, v36, v37
	s_mov_b32 s8, -1
	s_wait_dscnt 0x0
	v_cmp_eq_u32_e64 s2, 0, v18
	v_cmp_lt_u32_e64 s4, 1, v18
	v_add3_u32 v41, v6, v38, v7
	v_and_b32_e32 v6, 16, v39
	v_or_b32_e32 v7, 31, v0
	v_cmp_lt_u32_e64 s5, 3, v18
	v_cmp_lt_u32_e64 s3, 7, v18
	s_barrier_signal -1
	v_cmp_eq_u32_e64 s7, 0, v6
	v_cmp_eq_u32_e64 s6, v0, v7
	s_barrier_wait -1
	s_cbranch_vccz .LBB272_66
; %bb.45:
	v_mov_b32_dpp v6, v41 row_shr:1 row_mask:0xf bank_mask:0xf
	s_delay_alu instid0(VALU_DEP_1) | instskip(NEXT) | instid1(VALU_DEP_1)
	v_cndmask_b32_e64 v6, v6, 0, s2
	v_add_nc_u32_e32 v6, v6, v41
	s_delay_alu instid0(VALU_DEP_1) | instskip(NEXT) | instid1(VALU_DEP_1)
	v_mov_b32_dpp v7, v6 row_shr:2 row_mask:0xf bank_mask:0xf
	v_cndmask_b32_e64 v7, 0, v7, s4
	s_delay_alu instid0(VALU_DEP_1) | instskip(NEXT) | instid1(VALU_DEP_1)
	v_add_nc_u32_e32 v6, v6, v7
	v_mov_b32_dpp v7, v6 row_shr:4 row_mask:0xf bank_mask:0xf
	s_delay_alu instid0(VALU_DEP_1) | instskip(NEXT) | instid1(VALU_DEP_1)
	v_cndmask_b32_e64 v7, 0, v7, s5
	v_add_nc_u32_e32 v6, v6, v7
	s_delay_alu instid0(VALU_DEP_1) | instskip(NEXT) | instid1(VALU_DEP_1)
	v_mov_b32_dpp v7, v6 row_shr:8 row_mask:0xf bank_mask:0xf
	v_cndmask_b32_e64 v7, 0, v7, s3
	s_delay_alu instid0(VALU_DEP_1) | instskip(SKIP_3) | instid1(VALU_DEP_1)
	v_add_nc_u32_e32 v6, v6, v7
	ds_swizzle_b32 v7, v6 offset:swizzle(BROADCAST,32,15)
	s_wait_dscnt 0x0
	v_cndmask_b32_e64 v7, v7, 0, s7
	v_add_nc_u32_e32 v6, v6, v7
	s_and_saveexec_b32 s8, s6
; %bb.46:
	v_lshlrev_b32_e32 v7, 2, v40
	ds_store_b32 v7, v6
; %bb.47:
	s_or_b32 exec_lo, exec_lo, s8
	s_delay_alu instid0(SALU_CYCLE_1)
	s_mov_b32 s8, exec_lo
	s_wait_dscnt 0x0
	s_barrier_signal -1
	s_barrier_wait -1
	v_cmpx_gt_u32_e32 16, v0
	s_cbranch_execz .LBB272_49
; %bb.48:
	v_lshlrev_b32_e32 v7, 2, v0
	ds_load_b32 v18, v7
	s_wait_dscnt 0x0
	v_mov_b32_dpp v19, v18 row_shr:1 row_mask:0xf bank_mask:0xf
	s_delay_alu instid0(VALU_DEP_1) | instskip(NEXT) | instid1(VALU_DEP_1)
	v_cndmask_b32_e64 v19, v19, 0, s2
	v_add_nc_u32_e32 v18, v19, v18
	s_delay_alu instid0(VALU_DEP_1) | instskip(NEXT) | instid1(VALU_DEP_1)
	v_mov_b32_dpp v19, v18 row_shr:2 row_mask:0xf bank_mask:0xf
	v_cndmask_b32_e64 v19, 0, v19, s4
	s_delay_alu instid0(VALU_DEP_1) | instskip(NEXT) | instid1(VALU_DEP_1)
	v_add_nc_u32_e32 v18, v18, v19
	v_mov_b32_dpp v19, v18 row_shr:4 row_mask:0xf bank_mask:0xf
	s_delay_alu instid0(VALU_DEP_1) | instskip(NEXT) | instid1(VALU_DEP_1)
	v_cndmask_b32_e64 v19, 0, v19, s5
	v_add_nc_u32_e32 v18, v18, v19
	s_delay_alu instid0(VALU_DEP_1) | instskip(NEXT) | instid1(VALU_DEP_1)
	v_mov_b32_dpp v19, v18 row_shr:8 row_mask:0xf bank_mask:0xf
	v_cndmask_b32_e64 v19, 0, v19, s3
	s_delay_alu instid0(VALU_DEP_1)
	v_add_nc_u32_e32 v18, v18, v19
	ds_store_b32 v7, v18
.LBB272_49:
	s_or_b32 exec_lo, exec_lo, s8
	s_delay_alu instid0(SALU_CYCLE_1)
	s_mov_b32 s9, exec_lo
	v_cmp_gt_u32_e32 vcc_lo, 32, v0
	s_wait_dscnt 0x0
	s_barrier_signal -1
	s_barrier_wait -1
                                        ; implicit-def: $vgpr42
	v_cmpx_lt_u32_e32 31, v0
	s_cbranch_execz .LBB272_51
; %bb.50:
	v_lshl_add_u32 v7, v40, 2, -4
	ds_load_b32 v42, v7
	s_wait_dscnt 0x0
	v_add_nc_u32_e32 v6, v42, v6
.LBB272_51:
	s_or_b32 exec_lo, exec_lo, s9
	v_sub_co_u32 v7, s8, v39, 1
	s_delay_alu instid0(VALU_DEP_1) | instskip(NEXT) | instid1(VALU_DEP_1)
	v_cmp_gt_i32_e64 s9, 0, v7
	v_cndmask_b32_e64 v7, v7, v39, s9
	s_delay_alu instid0(VALU_DEP_1)
	v_lshlrev_b32_e32 v7, 2, v7
	ds_bpermute_b32 v43, v7, v6
	s_and_saveexec_b32 s9, vcc_lo
	s_cbranch_execz .LBB272_71
; %bb.52:
	v_mov_b32_e32 v29, 0
	ds_load_b32 v6, v29 offset:60
	s_and_saveexec_b32 s19, s8
	s_cbranch_execz .LBB272_54
; %bb.53:
	s_add_co_i32 s20, s18, 32
	s_delay_alu instid0(SALU_CYCLE_1)
	v_dual_mov_b32 v7, 1 :: v_dual_mov_b32 v18, s20
	s_wait_xcnt 0x0
	s_wait_dscnt 0x0
	s_wait_kmcnt 0x0
	global_store_b64 v18, v[6:7], s[10:11] scale_offset scope:SCOPE_DEV
.LBB272_54:
	s_wait_xcnt 0x0
	s_or_b32 exec_lo, exec_lo, s19
	v_xad_u32 v18, v39, -1, s18
	s_mov_b32 s20, 0
	s_mov_b32 s19, exec_lo
	s_delay_alu instid0(VALU_DEP_1)
	v_add_nc_u32_e32 v28, 32, v18
	s_wait_kmcnt 0x0
	global_load_b64 v[20:21], v28, s[10:11] scale_offset scope:SCOPE_DEV
	s_wait_loadcnt 0x0
	v_and_b32_e32 v7, 0xff, v21
	s_wait_xcnt 0x0
	s_delay_alu instid0(VALU_DEP_1)
	v_cmpx_eq_u16_e32 0, v7
	s_cbranch_execz .LBB272_58
; %bb.55:
	v_lshl_add_u64 v[28:29], v[28:29], 3, s[10:11]
.LBB272_56:                             ; =>This Inner Loop Header: Depth=1
	global_load_b64 v[20:21], v[28:29], off scope:SCOPE_DEV
	s_wait_loadcnt 0x0
	v_and_b32_e32 v7, 0xff, v21
	s_delay_alu instid0(VALU_DEP_1)
	v_cmp_ne_u16_e32 vcc_lo, 0, v7
	s_or_b32 s20, vcc_lo, s20
	s_wait_xcnt 0x0
	s_and_not1_b32 exec_lo, exec_lo, s20
	s_cbranch_execnz .LBB272_56
; %bb.57:
	s_or_b32 exec_lo, exec_lo, s20
.LBB272_58:
	s_delay_alu instid0(SALU_CYCLE_1)
	s_or_b32 exec_lo, exec_lo, s19
	v_cmp_ne_u32_e32 vcc_lo, 31, v39
	v_lshlrev_b32_e64 v45, v39, -1
	v_lshl_or_b32 v52, v39, 2, 64
	v_dual_add_nc_u32 v51, 8, v39 :: v_dual_add_nc_u32 v53, 16, v39
	v_add_co_ci_u32_e64 v7, null, 0, v39, vcc_lo
	s_delay_alu instid0(VALU_DEP_1)
	v_lshlrev_b32_e32 v44, 2, v7
	v_and_b32_e32 v7, 0xff, v21
	ds_bpermute_b32 v19, v44, v20
	v_cmp_eq_u16_e32 vcc_lo, 2, v7
	v_and_or_b32 v7, vcc_lo, v45, 0x80000000
	v_cmp_gt_u32_e32 vcc_lo, 30, v39
	s_delay_alu instid0(VALU_DEP_2) | instskip(SKIP_1) | instid1(VALU_DEP_2)
	v_ctz_i32_b32_e32 v7, v7
	v_cndmask_b32_e64 v28, 0, 2, vcc_lo
	v_cmp_lt_u32_e32 vcc_lo, v39, v7
	s_delay_alu instid0(VALU_DEP_2) | instskip(SKIP_3) | instid1(VALU_DEP_2)
	v_add_lshl_u32 v46, v28, v39, 2
	s_wait_dscnt 0x0
	v_cndmask_b32_e32 v19, 0, v19, vcc_lo
	v_cmp_gt_u32_e32 vcc_lo, 28, v39
	v_dual_add_nc_u32 v19, v19, v20 :: v_dual_add_nc_u32 v47, 2, v39
	v_cndmask_b32_e64 v28, 0, 4, vcc_lo
	ds_bpermute_b32 v20, v46, v19
	v_cmp_le_u32_e32 vcc_lo, v47, v7
	v_add_lshl_u32 v48, v28, v39, 2
	s_wait_dscnt 0x0
	v_cndmask_b32_e32 v20, 0, v20, vcc_lo
	v_cmp_gt_u32_e32 vcc_lo, 24, v39
	s_delay_alu instid0(VALU_DEP_2) | instskip(SKIP_4) | instid1(VALU_DEP_2)
	v_add_nc_u32_e32 v19, v19, v20
	v_cndmask_b32_e64 v28, 0, 8, vcc_lo
	ds_bpermute_b32 v20, v48, v19
	v_add_nc_u32_e32 v49, 4, v39
	v_add_lshl_u32 v50, v28, v39, 2
	v_cmp_le_u32_e32 vcc_lo, v49, v7
	s_wait_dscnt 0x0
	v_cndmask_b32_e32 v20, 0, v20, vcc_lo
	v_cmp_le_u32_e32 vcc_lo, v51, v7
	s_delay_alu instid0(VALU_DEP_2) | instskip(SKIP_4) | instid1(VALU_DEP_2)
	v_add_nc_u32_e32 v19, v19, v20
	ds_bpermute_b32 v20, v50, v19
	s_wait_dscnt 0x0
	v_cndmask_b32_e32 v20, 0, v20, vcc_lo
	v_cmp_le_u32_e32 vcc_lo, v53, v7
	v_add_nc_u32_e32 v19, v19, v20
	ds_bpermute_b32 v20, v52, v19
	s_wait_dscnt 0x0
	v_cndmask_b32_e32 v7, 0, v20, vcc_lo
	s_delay_alu instid0(VALU_DEP_1)
	v_dual_mov_b32 v19, 0 :: v_dual_add_nc_u32 v20, v19, v7
	s_branch .LBB272_61
.LBB272_59:                             ;   in Loop: Header=BB272_61 Depth=1
	s_or_b32 exec_lo, exec_lo, s19
	v_and_b32_e32 v28, 0xff, v21
	ds_bpermute_b32 v29, v44, v20
	v_subrev_nc_u32_e32 v18, 32, v18
	s_mov_b32 s19, 0
	v_cmp_eq_u16_e32 vcc_lo, 2, v28
	v_and_or_b32 v28, vcc_lo, v45, 0x80000000
	s_delay_alu instid0(VALU_DEP_1) | instskip(NEXT) | instid1(VALU_DEP_1)
	v_ctz_i32_b32_e32 v28, v28
	v_cmp_lt_u32_e32 vcc_lo, v39, v28
	s_wait_dscnt 0x0
	v_cndmask_b32_e32 v29, 0, v29, vcc_lo
	v_cmp_le_u32_e32 vcc_lo, v47, v28
	s_delay_alu instid0(VALU_DEP_2) | instskip(SKIP_4) | instid1(VALU_DEP_2)
	v_add_nc_u32_e32 v20, v29, v20
	ds_bpermute_b32 v29, v46, v20
	s_wait_dscnt 0x0
	v_cndmask_b32_e32 v29, 0, v29, vcc_lo
	v_cmp_le_u32_e32 vcc_lo, v49, v28
	v_add_nc_u32_e32 v20, v20, v29
	ds_bpermute_b32 v29, v48, v20
	s_wait_dscnt 0x0
	v_cndmask_b32_e32 v29, 0, v29, vcc_lo
	v_cmp_le_u32_e32 vcc_lo, v51, v28
	s_delay_alu instid0(VALU_DEP_2) | instskip(SKIP_4) | instid1(VALU_DEP_2)
	v_add_nc_u32_e32 v20, v20, v29
	ds_bpermute_b32 v29, v50, v20
	s_wait_dscnt 0x0
	v_cndmask_b32_e32 v29, 0, v29, vcc_lo
	v_cmp_le_u32_e32 vcc_lo, v53, v28
	v_add_nc_u32_e32 v20, v20, v29
	ds_bpermute_b32 v29, v52, v20
	s_wait_dscnt 0x0
	v_cndmask_b32_e32 v28, 0, v29, vcc_lo
	s_delay_alu instid0(VALU_DEP_1)
	v_add3_u32 v20, v28, v7, v20
.LBB272_60:                             ;   in Loop: Header=BB272_61 Depth=1
	s_and_b32 vcc_lo, exec_lo, s19
	s_cbranch_vccnz .LBB272_67
.LBB272_61:                             ; =>This Loop Header: Depth=1
                                        ;     Child Loop BB272_64 Depth 2
	v_and_b32_e32 v7, 0xff, v21
	s_mov_b32 s19, -1
                                        ; implicit-def: $vgpr21
	s_delay_alu instid0(VALU_DEP_1)
	v_cmp_ne_u16_e32 vcc_lo, 2, v7
	v_mov_b32_e32 v7, v20
                                        ; implicit-def: $vgpr20
	s_cmp_lg_u32 vcc_lo, exec_lo
	s_cbranch_scc1 .LBB272_60
; %bb.62:                               ;   in Loop: Header=BB272_61 Depth=1
	global_load_b64 v[20:21], v18, s[10:11] scale_offset scope:SCOPE_DEV
	s_mov_b32 s19, exec_lo
	s_wait_loadcnt 0x0
	v_and_b32_e32 v28, 0xff, v21
	s_wait_xcnt 0x0
	s_delay_alu instid0(VALU_DEP_1)
	v_cmpx_eq_u16_e32 0, v28
	s_cbranch_execz .LBB272_59
; %bb.63:                               ;   in Loop: Header=BB272_61 Depth=1
	v_lshl_add_u64 v[28:29], v[18:19], 3, s[10:11]
	s_mov_b32 s20, 0
.LBB272_64:                             ;   Parent Loop BB272_61 Depth=1
                                        ; =>  This Inner Loop Header: Depth=2
	global_load_b64 v[20:21], v[28:29], off scope:SCOPE_DEV
	s_wait_loadcnt 0x0
	v_and_b32_e32 v54, 0xff, v21
	s_delay_alu instid0(VALU_DEP_1)
	v_cmp_ne_u16_e32 vcc_lo, 0, v54
	s_or_b32 s20, vcc_lo, s20
	s_wait_xcnt 0x0
	s_and_not1_b32 exec_lo, exec_lo, s20
	s_cbranch_execnz .LBB272_64
; %bb.65:                               ;   in Loop: Header=BB272_61 Depth=1
	s_or_b32 exec_lo, exec_lo, s20
	s_branch .LBB272_59
.LBB272_66:
                                        ; implicit-def: $vgpr18
                                        ; implicit-def: $vgpr6
                                        ; implicit-def: $vgpr19
                                        ; implicit-def: $vgpr20
                                        ; implicit-def: $vgpr21
                                        ; implicit-def: $vgpr28
                                        ; implicit-def: $vgpr29
                                        ; implicit-def: $vgpr42
                                        ; implicit-def: $vgpr43
	s_and_b32 vcc_lo, exec_lo, s8
	s_cbranch_vccnz .LBB272_72
	s_branch .LBB272_81
.LBB272_67:
	s_and_saveexec_b32 s19, s8
	s_cbranch_execz .LBB272_69
; %bb.68:
	s_add_co_i32 s18, s18, 32
	v_dual_mov_b32 v19, 2 :: v_dual_add_nc_u32 v18, v7, v6
	v_dual_mov_b32 v20, s18 :: v_dual_mov_b32 v21, 0
	global_store_b64 v20, v[18:19], s[10:11] scale_offset scope:SCOPE_DEV
	ds_store_b64 v21, v[6:7] offset:28672
.LBB272_69:
	s_wait_xcnt 0x0
	s_or_b32 exec_lo, exec_lo, s19
	v_cmp_eq_u32_e32 vcc_lo, 0, v0
	s_and_b32 exec_lo, exec_lo, vcc_lo
; %bb.70:
	v_mov_b32_e32 v6, 0
	ds_store_b32 v6, v7 offset:60
.LBB272_71:
	s_or_b32 exec_lo, exec_lo, s9
	s_wait_dscnt 0x0
	v_dual_mov_b32 v6, 0 :: v_dual_cndmask_b32 v18, v43, v42, s8
	s_wait_storecnt 0x0
	s_barrier_signal -1
	s_barrier_wait -1
	ds_load_b32 v7, v6 offset:60
	v_cmp_ne_u32_e32 vcc_lo, 0, v0
	s_wait_dscnt 0x0
	s_barrier_signal -1
	s_barrier_wait -1
	v_cndmask_b32_e32 v18, 0, v18, vcc_lo
	s_delay_alu instid0(VALU_DEP_1) | instskip(SKIP_2) | instid1(VALU_DEP_1)
	v_add_nc_u32_e32 v43, v7, v18
	ds_load_b64 v[6:7], v6 offset:28672
	v_add_nc_u32_e32 v42, v43, v33
	v_add_nc_u32_e32 v29, v42, v34
	s_delay_alu instid0(VALU_DEP_1) | instskip(SKIP_1) | instid1(VALU_DEP_1)
	v_add_nc_u32_e32 v28, v29, v35
	s_wait_dscnt 0x0
	v_dual_mov_b32 v18, v7 :: v_dual_add_nc_u32 v21, v28, v36
	s_delay_alu instid0(VALU_DEP_1) | instskip(NEXT) | instid1(VALU_DEP_1)
	v_add_nc_u32_e32 v20, v21, v37
	v_add_nc_u32_e32 v19, v20, v38
	s_branch .LBB272_81
.LBB272_72:
	v_mov_b32_dpp v6, v41 row_shr:1 row_mask:0xf bank_mask:0xf
	s_delay_alu instid0(VALU_DEP_1) | instskip(NEXT) | instid1(VALU_DEP_1)
	v_cndmask_b32_e64 v6, v6, 0, s2
	v_add_nc_u32_e32 v6, v6, v41
	s_delay_alu instid0(VALU_DEP_1) | instskip(NEXT) | instid1(VALU_DEP_1)
	v_mov_b32_dpp v7, v6 row_shr:2 row_mask:0xf bank_mask:0xf
	v_cndmask_b32_e64 v7, 0, v7, s4
	s_delay_alu instid0(VALU_DEP_1) | instskip(NEXT) | instid1(VALU_DEP_1)
	v_add_nc_u32_e32 v6, v6, v7
	v_mov_b32_dpp v7, v6 row_shr:4 row_mask:0xf bank_mask:0xf
	s_delay_alu instid0(VALU_DEP_1) | instskip(NEXT) | instid1(VALU_DEP_1)
	v_cndmask_b32_e64 v7, 0, v7, s5
	v_add_nc_u32_e32 v6, v6, v7
	s_delay_alu instid0(VALU_DEP_1) | instskip(NEXT) | instid1(VALU_DEP_1)
	v_mov_b32_dpp v7, v6 row_shr:8 row_mask:0xf bank_mask:0xf
	v_cndmask_b32_e64 v7, 0, v7, s3
	s_delay_alu instid0(VALU_DEP_1) | instskip(SKIP_3) | instid1(VALU_DEP_1)
	v_add_nc_u32_e32 v6, v6, v7
	ds_swizzle_b32 v7, v6 offset:swizzle(BROADCAST,32,15)
	s_wait_dscnt 0x0
	v_cndmask_b32_e64 v7, v7, 0, s7
	v_add_nc_u32_e32 v6, v6, v7
	s_and_saveexec_b32 s7, s6
; %bb.73:
	v_lshlrev_b32_e32 v7, 2, v40
	ds_store_b32 v7, v6
; %bb.74:
	s_or_b32 exec_lo, exec_lo, s7
	s_delay_alu instid0(SALU_CYCLE_1)
	s_mov_b32 s6, exec_lo
	s_wait_dscnt 0x0
	s_barrier_signal -1
	s_barrier_wait -1
	v_cmpx_gt_u32_e32 16, v0
	s_cbranch_execz .LBB272_76
; %bb.75:
	v_mad_i32_i24 v7, 0xffffffcc, v0, v23
	ds_load_b32 v18, v7
	s_wait_dscnt 0x0
	v_mov_b32_dpp v19, v18 row_shr:1 row_mask:0xf bank_mask:0xf
	s_delay_alu instid0(VALU_DEP_1) | instskip(NEXT) | instid1(VALU_DEP_1)
	v_cndmask_b32_e64 v19, v19, 0, s2
	v_add_nc_u32_e32 v18, v19, v18
	s_delay_alu instid0(VALU_DEP_1) | instskip(NEXT) | instid1(VALU_DEP_1)
	v_mov_b32_dpp v19, v18 row_shr:2 row_mask:0xf bank_mask:0xf
	v_cndmask_b32_e64 v19, 0, v19, s4
	s_delay_alu instid0(VALU_DEP_1) | instskip(NEXT) | instid1(VALU_DEP_1)
	v_add_nc_u32_e32 v18, v18, v19
	v_mov_b32_dpp v19, v18 row_shr:4 row_mask:0xf bank_mask:0xf
	s_delay_alu instid0(VALU_DEP_1) | instskip(NEXT) | instid1(VALU_DEP_1)
	v_cndmask_b32_e64 v19, 0, v19, s5
	v_add_nc_u32_e32 v18, v18, v19
	s_delay_alu instid0(VALU_DEP_1) | instskip(NEXT) | instid1(VALU_DEP_1)
	v_mov_b32_dpp v19, v18 row_shr:8 row_mask:0xf bank_mask:0xf
	v_cndmask_b32_e64 v19, 0, v19, s3
	s_delay_alu instid0(VALU_DEP_1)
	v_add_nc_u32_e32 v18, v18, v19
	ds_store_b32 v7, v18
.LBB272_76:
	s_or_b32 exec_lo, exec_lo, s6
	v_dual_mov_b32 v7, 0 :: v_dual_mov_b32 v18, 0
	s_mov_b32 s2, exec_lo
	s_wait_dscnt 0x0
	s_barrier_signal -1
	s_barrier_wait -1
	v_cmpx_lt_u32_e32 31, v0
; %bb.77:
	v_lshl_add_u32 v18, v40, 2, -4
	ds_load_b32 v18, v18
; %bb.78:
	s_or_b32 exec_lo, exec_lo, s2
	v_sub_co_u32 v19, vcc_lo, v39, 1
	s_wait_dscnt 0x0
	v_add_nc_u32_e32 v6, v18, v6
	s_delay_alu instid0(VALU_DEP_2) | instskip(NEXT) | instid1(VALU_DEP_1)
	v_cmp_gt_i32_e64 s2, 0, v19
	v_cndmask_b32_e64 v19, v19, v39, s2
	v_cmp_eq_u32_e64 s2, 0, v0
	s_delay_alu instid0(VALU_DEP_2)
	v_lshlrev_b32_e32 v19, 2, v19
	ds_bpermute_b32 v19, v19, v6
	ds_load_b32 v6, v7 offset:60
	s_and_saveexec_b32 s3, s2
	s_cbranch_execz .LBB272_80
; %bb.79:
	v_dual_mov_b32 v20, 0 :: v_dual_mov_b32 v7, 2
	s_wait_xcnt 0x0
	s_wait_dscnt 0x0
	s_wait_kmcnt 0x0
	global_store_b64 v20, v[6:7], s[10:11] offset:256 scope:SCOPE_DEV
.LBB272_80:
	s_wait_xcnt 0x0
	s_or_b32 exec_lo, exec_lo, s3
	s_wait_dscnt 0x1
	v_cndmask_b32_e32 v7, v19, v18, vcc_lo
	s_wait_storecnt_dscnt 0x0
	s_barrier_signal -1
	s_barrier_wait -1
	s_delay_alu instid0(VALU_DEP_1) | instskip(NEXT) | instid1(VALU_DEP_1)
	v_cndmask_b32_e64 v43, v7, 0, s2
	v_dual_mov_b32 v18, 0 :: v_dual_add_nc_u32 v42, v43, v33
	s_delay_alu instid0(VALU_DEP_1) | instskip(NEXT) | instid1(VALU_DEP_1)
	v_add_nc_u32_e32 v29, v42, v34
	v_add_nc_u32_e32 v28, v29, v35
	s_delay_alu instid0(VALU_DEP_1) | instskip(NEXT) | instid1(VALU_DEP_1)
	v_add_nc_u32_e32 v21, v28, v36
	v_add_nc_u32_e32 v20, v21, v37
	s_delay_alu instid0(VALU_DEP_1)
	v_add_nc_u32_e32 v19, v20, v38
.LBB272_81:
	s_load_b64 s[2:3], s[0:1], 0x28
	v_and_b32_e32 v7, 1, v24
	v_cmp_gt_u32_e32 vcc_lo, 0x201, v6
	s_wait_xcnt 0x0
	s_mov_b32 s1, -1
	s_delay_alu instid0(VALU_DEP_2)
	v_cmp_eq_u32_e64 s0, 1, v7
	s_cbranch_vccnz .LBB272_85
; %bb.82:
	s_and_b32 vcc_lo, exec_lo, s1
	s_cbranch_vccnz .LBB272_100
.LBB272_83:
	v_cmp_eq_u32_e32 vcc_lo, 0, v0
	s_and_b32 s0, vcc_lo, s16
	s_delay_alu instid0(SALU_CYCLE_1)
	s_and_saveexec_b32 s1, s0
	s_cbranch_execnz .LBB272_117
.LBB272_84:
	s_endpgm
.LBB272_85:
	v_add_nc_u32_e32 v23, v18, v6
	s_wait_kmcnt 0x0
	s_lshl_b64 s[4:5], s[14:15], 3
	s_delay_alu instid0(SALU_CYCLE_1) | instskip(NEXT) | instid1(VALU_DEP_1)
	s_add_nc_u64 s[4:5], s[2:3], s[4:5]
	v_cmp_lt_u32_e32 vcc_lo, v43, v23
	s_or_b32 s1, s17, vcc_lo
	s_delay_alu instid0(SALU_CYCLE_1) | instskip(NEXT) | instid1(SALU_CYCLE_1)
	s_and_b32 s1, s1, s0
	s_and_saveexec_b32 s0, s1
	s_cbranch_execz .LBB272_87
; %bb.86:
	global_store_b64 v43, v[14:15], s[4:5] scale_offset
.LBB272_87:
	s_wait_xcnt 0x0
	s_or_b32 exec_lo, exec_lo, s0
	v_and_b32_e32 v24, 1, v32
	v_cmp_lt_u32_e32 vcc_lo, v42, v23
	s_delay_alu instid0(VALU_DEP_2) | instskip(SKIP_1) | instid1(SALU_CYCLE_1)
	v_cmp_eq_u32_e64 s0, 1, v24
	s_or_b32 s1, s17, vcc_lo
	s_and_b32 s1, s1, s0
	s_delay_alu instid0(SALU_CYCLE_1)
	s_and_saveexec_b32 s0, s1
	s_cbranch_execz .LBB272_89
; %bb.88:
	global_store_b64 v42, v[16:17], s[4:5] scale_offset
.LBB272_89:
	s_wait_xcnt 0x0
	s_or_b32 exec_lo, exec_lo, s0
	v_and_b32_e32 v24, 1, v31
	v_cmp_lt_u32_e32 vcc_lo, v29, v23
	s_delay_alu instid0(VALU_DEP_2) | instskip(SKIP_1) | instid1(SALU_CYCLE_1)
	v_cmp_eq_u32_e64 s0, 1, v24
	s_or_b32 s1, s17, vcc_lo
	s_and_b32 s1, s1, s0
	s_delay_alu instid0(SALU_CYCLE_1)
	s_and_saveexec_b32 s0, s1
	s_cbranch_execz .LBB272_91
; %bb.90:
	global_store_b64 v29, v[10:11], s[4:5] scale_offset
.LBB272_91:
	s_wait_xcnt 0x0
	s_or_b32 exec_lo, exec_lo, s0
	v_and_b32_e32 v24, 1, v26
	v_cmp_lt_u32_e32 vcc_lo, v28, v23
	s_delay_alu instid0(VALU_DEP_2) | instskip(SKIP_1) | instid1(SALU_CYCLE_1)
	v_cmp_eq_u32_e64 s0, 1, v24
	s_or_b32 s1, s17, vcc_lo
	s_and_b32 s1, s1, s0
	s_delay_alu instid0(SALU_CYCLE_1)
	s_and_saveexec_b32 s0, s1
	s_cbranch_execz .LBB272_93
; %bb.92:
	global_store_b64 v28, v[12:13], s[4:5] scale_offset
.LBB272_93:
	s_wait_xcnt 0x0
	s_or_b32 exec_lo, exec_lo, s0
	v_and_b32_e32 v24, 1, v25
	v_cmp_lt_u32_e32 vcc_lo, v21, v23
	s_delay_alu instid0(VALU_DEP_2) | instskip(SKIP_1) | instid1(SALU_CYCLE_1)
	v_cmp_eq_u32_e64 s0, 1, v24
	s_or_b32 s1, s17, vcc_lo
	s_and_b32 s1, s1, s0
	s_delay_alu instid0(SALU_CYCLE_1)
	s_and_saveexec_b32 s0, s1
	s_cbranch_execz .LBB272_95
; %bb.94:
	global_store_b64 v21, v[8:9], s[4:5] scale_offset
.LBB272_95:
	s_wait_xcnt 0x0
	s_or_b32 exec_lo, exec_lo, s0
	v_and_b32_e32 v24, 1, v30
	v_cmp_lt_u32_e32 vcc_lo, v20, v23
	s_delay_alu instid0(VALU_DEP_2) | instskip(SKIP_1) | instid1(SALU_CYCLE_1)
	v_cmp_eq_u32_e64 s0, 1, v24
	s_or_b32 s1, s17, vcc_lo
	s_and_b32 s1, s1, s0
	s_delay_alu instid0(SALU_CYCLE_1)
	s_and_saveexec_b32 s0, s1
	s_cbranch_execz .LBB272_97
; %bb.96:
	global_store_b64 v20, v[2:3], s[4:5] scale_offset
.LBB272_97:
	s_wait_xcnt 0x0
	s_or_b32 exec_lo, exec_lo, s0
	v_and_b32_e32 v24, 1, v27
	v_cmp_lt_u32_e32 vcc_lo, v19, v23
	s_delay_alu instid0(VALU_DEP_2) | instskip(SKIP_1) | instid1(SALU_CYCLE_1)
	v_cmp_eq_u32_e64 s0, 1, v24
	s_or_b32 s1, s17, vcc_lo
	s_and_b32 s1, s1, s0
	s_delay_alu instid0(SALU_CYCLE_1)
	s_and_saveexec_b32 s0, s1
	s_cbranch_execz .LBB272_99
; %bb.98:
	global_store_b64 v19, v[4:5], s[4:5] scale_offset
.LBB272_99:
	s_wait_xcnt 0x0
	s_or_b32 exec_lo, exec_lo, s0
	s_branch .LBB272_83
.LBB272_100:
	s_mov_b32 s0, exec_lo
	v_cmpx_eq_u32_e32 1, v7
; %bb.101:
	v_sub_nc_u32_e32 v7, v43, v18
	s_delay_alu instid0(VALU_DEP_1)
	v_lshlrev_b32_e32 v7, 3, v7
	ds_store_b64 v7, v[14:15]
; %bb.102:
	s_or_b32 exec_lo, exec_lo, s0
	v_and_b32_e32 v7, 1, v32
	s_mov_b32 s0, exec_lo
	s_delay_alu instid0(VALU_DEP_1)
	v_cmpx_eq_u32_e32 1, v7
; %bb.103:
	v_sub_nc_u32_e32 v7, v42, v18
	s_delay_alu instid0(VALU_DEP_1)
	v_lshlrev_b32_e32 v7, 3, v7
	ds_store_b64 v7, v[16:17]
; %bb.104:
	s_or_b32 exec_lo, exec_lo, s0
	v_and_b32_e32 v7, 1, v31
	s_mov_b32 s0, exec_lo
	s_delay_alu instid0(VALU_DEP_1)
	;; [unrolled: 11-line block ×6, first 2 shown]
	v_cmpx_eq_u32_e32 1, v2
; %bb.113:
	v_sub_nc_u32_e32 v2, v19, v18
	s_delay_alu instid0(VALU_DEP_1)
	v_lshlrev_b32_e32 v2, 3, v2
	ds_store_b64 v2, v[4:5]
; %bb.114:
	s_or_b32 exec_lo, exec_lo, s0
	v_mov_b32_e32 v19, 0
	s_wait_kmcnt 0x0
	s_lshl_b64 s[0:1], s[14:15], 3
	s_wait_storecnt_dscnt 0x0
	s_barrier_signal -1
	s_barrier_wait -1
	v_lshlrev_b64_e32 v[2:3], 3, v[18:19]
	v_mov_b32_e32 v23, v19
	s_delay_alu instid0(VALU_DEP_2) | instskip(SKIP_1) | instid1(VALU_DEP_1)
	v_add_nc_u64_e32 v[2:3], s[0:1], v[2:3]
	s_mov_b32 s0, 0
	v_add_nc_u64_e32 v[2:3], s[2:3], v[2:3]
	s_delay_alu instid0(VALU_DEP_1)
	v_add_nc_u64_e32 v[2:3], v[2:3], v[22:23]
.LBB272_115:                            ; =>This Inner Loop Header: Depth=1
	ds_load_b64 v[4:5], v22
	v_add_nc_u32_e32 v1, 0x200, v1
	v_add_nc_u32_e32 v22, 0x1000, v22
	s_delay_alu instid0(VALU_DEP_2)
	v_cmp_ge_u32_e32 vcc_lo, v1, v6
	s_or_b32 s0, vcc_lo, s0
	s_wait_dscnt 0x0
	global_store_b64 v[2:3], v[4:5], off
	s_wait_xcnt 0x0
	v_add_nc_u64_e32 v[2:3], 0x1000, v[2:3]
	s_and_not1_b32 exec_lo, exec_lo, s0
	s_cbranch_execnz .LBB272_115
; %bb.116:
	s_or_b32 exec_lo, exec_lo, s0
	v_cmp_eq_u32_e32 vcc_lo, 0, v0
	s_and_b32 s0, vcc_lo, s16
	s_delay_alu instid0(SALU_CYCLE_1)
	s_and_saveexec_b32 s1, s0
	s_cbranch_execz .LBB272_84
.LBB272_117:
	v_mov_b32_e32 v7, 0
	s_wait_kmcnt 0x0
	s_delay_alu instid0(VALU_DEP_1) | instskip(SKIP_1) | instid1(VALU_DEP_1)
	v_add_nc_u64_e32 v[0:1], s[14:15], v[6:7]
	v_mov_b32_e32 v19, v7
	v_add_nc_u64_e32 v[0:1], v[0:1], v[18:19]
	global_store_b64 v7, v[0:1], s[12:13]
	s_endpgm
	.section	.rodata,"a",@progbits
	.p2align	6, 0x0
	.amdhsa_kernel _ZN7rocprim17ROCPRIM_400000_NS6detail17trampoline_kernelINS0_14default_configENS1_25partition_config_selectorILNS1_17partition_subalgoE8EdNS0_10empty_typeEbEEZZNS1_14partition_implILS5_8ELb0ES3_jPKdPS6_PKS6_NS0_5tupleIJPdS6_EEENSE_IJSB_SB_EEENS0_18inequality_wrapperIN6hipcub16HIPCUB_304000_NS8EqualityEEEPlJS6_EEE10hipError_tPvRmT3_T4_T5_T6_T7_T9_mT8_P12ihipStream_tbDpT10_ENKUlT_T0_E_clISt17integral_constantIbLb0EES17_EEDaS12_S13_EUlS12_E_NS1_11comp_targetILNS1_3genE0ELNS1_11target_archE4294967295ELNS1_3gpuE0ELNS1_3repE0EEENS1_30default_config_static_selectorELNS0_4arch9wavefront6targetE0EEEvT1_
		.amdhsa_group_segment_fixed_size 28680
		.amdhsa_private_segment_fixed_size 0
		.amdhsa_kernarg_size 112
		.amdhsa_user_sgpr_count 2
		.amdhsa_user_sgpr_dispatch_ptr 0
		.amdhsa_user_sgpr_queue_ptr 0
		.amdhsa_user_sgpr_kernarg_segment_ptr 1
		.amdhsa_user_sgpr_dispatch_id 0
		.amdhsa_user_sgpr_kernarg_preload_length 0
		.amdhsa_user_sgpr_kernarg_preload_offset 0
		.amdhsa_user_sgpr_private_segment_size 0
		.amdhsa_wavefront_size32 1
		.amdhsa_uses_dynamic_stack 0
		.amdhsa_enable_private_segment 0
		.amdhsa_system_sgpr_workgroup_id_x 1
		.amdhsa_system_sgpr_workgroup_id_y 0
		.amdhsa_system_sgpr_workgroup_id_z 0
		.amdhsa_system_sgpr_workgroup_info 0
		.amdhsa_system_vgpr_workitem_id 0
		.amdhsa_next_free_vgpr 55
		.amdhsa_next_free_sgpr 24
		.amdhsa_named_barrier_count 0
		.amdhsa_reserve_vcc 1
		.amdhsa_float_round_mode_32 0
		.amdhsa_float_round_mode_16_64 0
		.amdhsa_float_denorm_mode_32 3
		.amdhsa_float_denorm_mode_16_64 3
		.amdhsa_fp16_overflow 0
		.amdhsa_memory_ordered 1
		.amdhsa_forward_progress 1
		.amdhsa_inst_pref_size 45
		.amdhsa_round_robin_scheduling 0
		.amdhsa_exception_fp_ieee_invalid_op 0
		.amdhsa_exception_fp_denorm_src 0
		.amdhsa_exception_fp_ieee_div_zero 0
		.amdhsa_exception_fp_ieee_overflow 0
		.amdhsa_exception_fp_ieee_underflow 0
		.amdhsa_exception_fp_ieee_inexact 0
		.amdhsa_exception_int_div_zero 0
	.end_amdhsa_kernel
	.section	.text._ZN7rocprim17ROCPRIM_400000_NS6detail17trampoline_kernelINS0_14default_configENS1_25partition_config_selectorILNS1_17partition_subalgoE8EdNS0_10empty_typeEbEEZZNS1_14partition_implILS5_8ELb0ES3_jPKdPS6_PKS6_NS0_5tupleIJPdS6_EEENSE_IJSB_SB_EEENS0_18inequality_wrapperIN6hipcub16HIPCUB_304000_NS8EqualityEEEPlJS6_EEE10hipError_tPvRmT3_T4_T5_T6_T7_T9_mT8_P12ihipStream_tbDpT10_ENKUlT_T0_E_clISt17integral_constantIbLb0EES17_EEDaS12_S13_EUlS12_E_NS1_11comp_targetILNS1_3genE0ELNS1_11target_archE4294967295ELNS1_3gpuE0ELNS1_3repE0EEENS1_30default_config_static_selectorELNS0_4arch9wavefront6targetE0EEEvT1_,"axG",@progbits,_ZN7rocprim17ROCPRIM_400000_NS6detail17trampoline_kernelINS0_14default_configENS1_25partition_config_selectorILNS1_17partition_subalgoE8EdNS0_10empty_typeEbEEZZNS1_14partition_implILS5_8ELb0ES3_jPKdPS6_PKS6_NS0_5tupleIJPdS6_EEENSE_IJSB_SB_EEENS0_18inequality_wrapperIN6hipcub16HIPCUB_304000_NS8EqualityEEEPlJS6_EEE10hipError_tPvRmT3_T4_T5_T6_T7_T9_mT8_P12ihipStream_tbDpT10_ENKUlT_T0_E_clISt17integral_constantIbLb0EES17_EEDaS12_S13_EUlS12_E_NS1_11comp_targetILNS1_3genE0ELNS1_11target_archE4294967295ELNS1_3gpuE0ELNS1_3repE0EEENS1_30default_config_static_selectorELNS0_4arch9wavefront6targetE0EEEvT1_,comdat
.Lfunc_end272:
	.size	_ZN7rocprim17ROCPRIM_400000_NS6detail17trampoline_kernelINS0_14default_configENS1_25partition_config_selectorILNS1_17partition_subalgoE8EdNS0_10empty_typeEbEEZZNS1_14partition_implILS5_8ELb0ES3_jPKdPS6_PKS6_NS0_5tupleIJPdS6_EEENSE_IJSB_SB_EEENS0_18inequality_wrapperIN6hipcub16HIPCUB_304000_NS8EqualityEEEPlJS6_EEE10hipError_tPvRmT3_T4_T5_T6_T7_T9_mT8_P12ihipStream_tbDpT10_ENKUlT_T0_E_clISt17integral_constantIbLb0EES17_EEDaS12_S13_EUlS12_E_NS1_11comp_targetILNS1_3genE0ELNS1_11target_archE4294967295ELNS1_3gpuE0ELNS1_3repE0EEENS1_30default_config_static_selectorELNS0_4arch9wavefront6targetE0EEEvT1_, .Lfunc_end272-_ZN7rocprim17ROCPRIM_400000_NS6detail17trampoline_kernelINS0_14default_configENS1_25partition_config_selectorILNS1_17partition_subalgoE8EdNS0_10empty_typeEbEEZZNS1_14partition_implILS5_8ELb0ES3_jPKdPS6_PKS6_NS0_5tupleIJPdS6_EEENSE_IJSB_SB_EEENS0_18inequality_wrapperIN6hipcub16HIPCUB_304000_NS8EqualityEEEPlJS6_EEE10hipError_tPvRmT3_T4_T5_T6_T7_T9_mT8_P12ihipStream_tbDpT10_ENKUlT_T0_E_clISt17integral_constantIbLb0EES17_EEDaS12_S13_EUlS12_E_NS1_11comp_targetILNS1_3genE0ELNS1_11target_archE4294967295ELNS1_3gpuE0ELNS1_3repE0EEENS1_30default_config_static_selectorELNS0_4arch9wavefront6targetE0EEEvT1_
                                        ; -- End function
	.set _ZN7rocprim17ROCPRIM_400000_NS6detail17trampoline_kernelINS0_14default_configENS1_25partition_config_selectorILNS1_17partition_subalgoE8EdNS0_10empty_typeEbEEZZNS1_14partition_implILS5_8ELb0ES3_jPKdPS6_PKS6_NS0_5tupleIJPdS6_EEENSE_IJSB_SB_EEENS0_18inequality_wrapperIN6hipcub16HIPCUB_304000_NS8EqualityEEEPlJS6_EEE10hipError_tPvRmT3_T4_T5_T6_T7_T9_mT8_P12ihipStream_tbDpT10_ENKUlT_T0_E_clISt17integral_constantIbLb0EES17_EEDaS12_S13_EUlS12_E_NS1_11comp_targetILNS1_3genE0ELNS1_11target_archE4294967295ELNS1_3gpuE0ELNS1_3repE0EEENS1_30default_config_static_selectorELNS0_4arch9wavefront6targetE0EEEvT1_.num_vgpr, 55
	.set _ZN7rocprim17ROCPRIM_400000_NS6detail17trampoline_kernelINS0_14default_configENS1_25partition_config_selectorILNS1_17partition_subalgoE8EdNS0_10empty_typeEbEEZZNS1_14partition_implILS5_8ELb0ES3_jPKdPS6_PKS6_NS0_5tupleIJPdS6_EEENSE_IJSB_SB_EEENS0_18inequality_wrapperIN6hipcub16HIPCUB_304000_NS8EqualityEEEPlJS6_EEE10hipError_tPvRmT3_T4_T5_T6_T7_T9_mT8_P12ihipStream_tbDpT10_ENKUlT_T0_E_clISt17integral_constantIbLb0EES17_EEDaS12_S13_EUlS12_E_NS1_11comp_targetILNS1_3genE0ELNS1_11target_archE4294967295ELNS1_3gpuE0ELNS1_3repE0EEENS1_30default_config_static_selectorELNS0_4arch9wavefront6targetE0EEEvT1_.num_agpr, 0
	.set _ZN7rocprim17ROCPRIM_400000_NS6detail17trampoline_kernelINS0_14default_configENS1_25partition_config_selectorILNS1_17partition_subalgoE8EdNS0_10empty_typeEbEEZZNS1_14partition_implILS5_8ELb0ES3_jPKdPS6_PKS6_NS0_5tupleIJPdS6_EEENSE_IJSB_SB_EEENS0_18inequality_wrapperIN6hipcub16HIPCUB_304000_NS8EqualityEEEPlJS6_EEE10hipError_tPvRmT3_T4_T5_T6_T7_T9_mT8_P12ihipStream_tbDpT10_ENKUlT_T0_E_clISt17integral_constantIbLb0EES17_EEDaS12_S13_EUlS12_E_NS1_11comp_targetILNS1_3genE0ELNS1_11target_archE4294967295ELNS1_3gpuE0ELNS1_3repE0EEENS1_30default_config_static_selectorELNS0_4arch9wavefront6targetE0EEEvT1_.numbered_sgpr, 24
	.set _ZN7rocprim17ROCPRIM_400000_NS6detail17trampoline_kernelINS0_14default_configENS1_25partition_config_selectorILNS1_17partition_subalgoE8EdNS0_10empty_typeEbEEZZNS1_14partition_implILS5_8ELb0ES3_jPKdPS6_PKS6_NS0_5tupleIJPdS6_EEENSE_IJSB_SB_EEENS0_18inequality_wrapperIN6hipcub16HIPCUB_304000_NS8EqualityEEEPlJS6_EEE10hipError_tPvRmT3_T4_T5_T6_T7_T9_mT8_P12ihipStream_tbDpT10_ENKUlT_T0_E_clISt17integral_constantIbLb0EES17_EEDaS12_S13_EUlS12_E_NS1_11comp_targetILNS1_3genE0ELNS1_11target_archE4294967295ELNS1_3gpuE0ELNS1_3repE0EEENS1_30default_config_static_selectorELNS0_4arch9wavefront6targetE0EEEvT1_.num_named_barrier, 0
	.set _ZN7rocprim17ROCPRIM_400000_NS6detail17trampoline_kernelINS0_14default_configENS1_25partition_config_selectorILNS1_17partition_subalgoE8EdNS0_10empty_typeEbEEZZNS1_14partition_implILS5_8ELb0ES3_jPKdPS6_PKS6_NS0_5tupleIJPdS6_EEENSE_IJSB_SB_EEENS0_18inequality_wrapperIN6hipcub16HIPCUB_304000_NS8EqualityEEEPlJS6_EEE10hipError_tPvRmT3_T4_T5_T6_T7_T9_mT8_P12ihipStream_tbDpT10_ENKUlT_T0_E_clISt17integral_constantIbLb0EES17_EEDaS12_S13_EUlS12_E_NS1_11comp_targetILNS1_3genE0ELNS1_11target_archE4294967295ELNS1_3gpuE0ELNS1_3repE0EEENS1_30default_config_static_selectorELNS0_4arch9wavefront6targetE0EEEvT1_.private_seg_size, 0
	.set _ZN7rocprim17ROCPRIM_400000_NS6detail17trampoline_kernelINS0_14default_configENS1_25partition_config_selectorILNS1_17partition_subalgoE8EdNS0_10empty_typeEbEEZZNS1_14partition_implILS5_8ELb0ES3_jPKdPS6_PKS6_NS0_5tupleIJPdS6_EEENSE_IJSB_SB_EEENS0_18inequality_wrapperIN6hipcub16HIPCUB_304000_NS8EqualityEEEPlJS6_EEE10hipError_tPvRmT3_T4_T5_T6_T7_T9_mT8_P12ihipStream_tbDpT10_ENKUlT_T0_E_clISt17integral_constantIbLb0EES17_EEDaS12_S13_EUlS12_E_NS1_11comp_targetILNS1_3genE0ELNS1_11target_archE4294967295ELNS1_3gpuE0ELNS1_3repE0EEENS1_30default_config_static_selectorELNS0_4arch9wavefront6targetE0EEEvT1_.uses_vcc, 1
	.set _ZN7rocprim17ROCPRIM_400000_NS6detail17trampoline_kernelINS0_14default_configENS1_25partition_config_selectorILNS1_17partition_subalgoE8EdNS0_10empty_typeEbEEZZNS1_14partition_implILS5_8ELb0ES3_jPKdPS6_PKS6_NS0_5tupleIJPdS6_EEENSE_IJSB_SB_EEENS0_18inequality_wrapperIN6hipcub16HIPCUB_304000_NS8EqualityEEEPlJS6_EEE10hipError_tPvRmT3_T4_T5_T6_T7_T9_mT8_P12ihipStream_tbDpT10_ENKUlT_T0_E_clISt17integral_constantIbLb0EES17_EEDaS12_S13_EUlS12_E_NS1_11comp_targetILNS1_3genE0ELNS1_11target_archE4294967295ELNS1_3gpuE0ELNS1_3repE0EEENS1_30default_config_static_selectorELNS0_4arch9wavefront6targetE0EEEvT1_.uses_flat_scratch, 0
	.set _ZN7rocprim17ROCPRIM_400000_NS6detail17trampoline_kernelINS0_14default_configENS1_25partition_config_selectorILNS1_17partition_subalgoE8EdNS0_10empty_typeEbEEZZNS1_14partition_implILS5_8ELb0ES3_jPKdPS6_PKS6_NS0_5tupleIJPdS6_EEENSE_IJSB_SB_EEENS0_18inequality_wrapperIN6hipcub16HIPCUB_304000_NS8EqualityEEEPlJS6_EEE10hipError_tPvRmT3_T4_T5_T6_T7_T9_mT8_P12ihipStream_tbDpT10_ENKUlT_T0_E_clISt17integral_constantIbLb0EES17_EEDaS12_S13_EUlS12_E_NS1_11comp_targetILNS1_3genE0ELNS1_11target_archE4294967295ELNS1_3gpuE0ELNS1_3repE0EEENS1_30default_config_static_selectorELNS0_4arch9wavefront6targetE0EEEvT1_.has_dyn_sized_stack, 0
	.set _ZN7rocprim17ROCPRIM_400000_NS6detail17trampoline_kernelINS0_14default_configENS1_25partition_config_selectorILNS1_17partition_subalgoE8EdNS0_10empty_typeEbEEZZNS1_14partition_implILS5_8ELb0ES3_jPKdPS6_PKS6_NS0_5tupleIJPdS6_EEENSE_IJSB_SB_EEENS0_18inequality_wrapperIN6hipcub16HIPCUB_304000_NS8EqualityEEEPlJS6_EEE10hipError_tPvRmT3_T4_T5_T6_T7_T9_mT8_P12ihipStream_tbDpT10_ENKUlT_T0_E_clISt17integral_constantIbLb0EES17_EEDaS12_S13_EUlS12_E_NS1_11comp_targetILNS1_3genE0ELNS1_11target_archE4294967295ELNS1_3gpuE0ELNS1_3repE0EEENS1_30default_config_static_selectorELNS0_4arch9wavefront6targetE0EEEvT1_.has_recursion, 0
	.set _ZN7rocprim17ROCPRIM_400000_NS6detail17trampoline_kernelINS0_14default_configENS1_25partition_config_selectorILNS1_17partition_subalgoE8EdNS0_10empty_typeEbEEZZNS1_14partition_implILS5_8ELb0ES3_jPKdPS6_PKS6_NS0_5tupleIJPdS6_EEENSE_IJSB_SB_EEENS0_18inequality_wrapperIN6hipcub16HIPCUB_304000_NS8EqualityEEEPlJS6_EEE10hipError_tPvRmT3_T4_T5_T6_T7_T9_mT8_P12ihipStream_tbDpT10_ENKUlT_T0_E_clISt17integral_constantIbLb0EES17_EEDaS12_S13_EUlS12_E_NS1_11comp_targetILNS1_3genE0ELNS1_11target_archE4294967295ELNS1_3gpuE0ELNS1_3repE0EEENS1_30default_config_static_selectorELNS0_4arch9wavefront6targetE0EEEvT1_.has_indirect_call, 0
	.section	.AMDGPU.csdata,"",@progbits
; Kernel info:
; codeLenInByte = 5720
; TotalNumSgprs: 26
; NumVgprs: 55
; ScratchSize: 0
; MemoryBound: 0
; FloatMode: 240
; IeeeMode: 1
; LDSByteSize: 28680 bytes/workgroup (compile time only)
; SGPRBlocks: 0
; VGPRBlocks: 3
; NumSGPRsForWavesPerEU: 26
; NumVGPRsForWavesPerEU: 55
; NamedBarCnt: 0
; Occupancy: 16
; WaveLimiterHint : 1
; COMPUTE_PGM_RSRC2:SCRATCH_EN: 0
; COMPUTE_PGM_RSRC2:USER_SGPR: 2
; COMPUTE_PGM_RSRC2:TRAP_HANDLER: 0
; COMPUTE_PGM_RSRC2:TGID_X_EN: 1
; COMPUTE_PGM_RSRC2:TGID_Y_EN: 0
; COMPUTE_PGM_RSRC2:TGID_Z_EN: 0
; COMPUTE_PGM_RSRC2:TIDIG_COMP_CNT: 0
	.section	.text._ZN7rocprim17ROCPRIM_400000_NS6detail17trampoline_kernelINS0_14default_configENS1_25partition_config_selectorILNS1_17partition_subalgoE8EdNS0_10empty_typeEbEEZZNS1_14partition_implILS5_8ELb0ES3_jPKdPS6_PKS6_NS0_5tupleIJPdS6_EEENSE_IJSB_SB_EEENS0_18inequality_wrapperIN6hipcub16HIPCUB_304000_NS8EqualityEEEPlJS6_EEE10hipError_tPvRmT3_T4_T5_T6_T7_T9_mT8_P12ihipStream_tbDpT10_ENKUlT_T0_E_clISt17integral_constantIbLb0EES17_EEDaS12_S13_EUlS12_E_NS1_11comp_targetILNS1_3genE5ELNS1_11target_archE942ELNS1_3gpuE9ELNS1_3repE0EEENS1_30default_config_static_selectorELNS0_4arch9wavefront6targetE0EEEvT1_,"axG",@progbits,_ZN7rocprim17ROCPRIM_400000_NS6detail17trampoline_kernelINS0_14default_configENS1_25partition_config_selectorILNS1_17partition_subalgoE8EdNS0_10empty_typeEbEEZZNS1_14partition_implILS5_8ELb0ES3_jPKdPS6_PKS6_NS0_5tupleIJPdS6_EEENSE_IJSB_SB_EEENS0_18inequality_wrapperIN6hipcub16HIPCUB_304000_NS8EqualityEEEPlJS6_EEE10hipError_tPvRmT3_T4_T5_T6_T7_T9_mT8_P12ihipStream_tbDpT10_ENKUlT_T0_E_clISt17integral_constantIbLb0EES17_EEDaS12_S13_EUlS12_E_NS1_11comp_targetILNS1_3genE5ELNS1_11target_archE942ELNS1_3gpuE9ELNS1_3repE0EEENS1_30default_config_static_selectorELNS0_4arch9wavefront6targetE0EEEvT1_,comdat
	.protected	_ZN7rocprim17ROCPRIM_400000_NS6detail17trampoline_kernelINS0_14default_configENS1_25partition_config_selectorILNS1_17partition_subalgoE8EdNS0_10empty_typeEbEEZZNS1_14partition_implILS5_8ELb0ES3_jPKdPS6_PKS6_NS0_5tupleIJPdS6_EEENSE_IJSB_SB_EEENS0_18inequality_wrapperIN6hipcub16HIPCUB_304000_NS8EqualityEEEPlJS6_EEE10hipError_tPvRmT3_T4_T5_T6_T7_T9_mT8_P12ihipStream_tbDpT10_ENKUlT_T0_E_clISt17integral_constantIbLb0EES17_EEDaS12_S13_EUlS12_E_NS1_11comp_targetILNS1_3genE5ELNS1_11target_archE942ELNS1_3gpuE9ELNS1_3repE0EEENS1_30default_config_static_selectorELNS0_4arch9wavefront6targetE0EEEvT1_ ; -- Begin function _ZN7rocprim17ROCPRIM_400000_NS6detail17trampoline_kernelINS0_14default_configENS1_25partition_config_selectorILNS1_17partition_subalgoE8EdNS0_10empty_typeEbEEZZNS1_14partition_implILS5_8ELb0ES3_jPKdPS6_PKS6_NS0_5tupleIJPdS6_EEENSE_IJSB_SB_EEENS0_18inequality_wrapperIN6hipcub16HIPCUB_304000_NS8EqualityEEEPlJS6_EEE10hipError_tPvRmT3_T4_T5_T6_T7_T9_mT8_P12ihipStream_tbDpT10_ENKUlT_T0_E_clISt17integral_constantIbLb0EES17_EEDaS12_S13_EUlS12_E_NS1_11comp_targetILNS1_3genE5ELNS1_11target_archE942ELNS1_3gpuE9ELNS1_3repE0EEENS1_30default_config_static_selectorELNS0_4arch9wavefront6targetE0EEEvT1_
	.globl	_ZN7rocprim17ROCPRIM_400000_NS6detail17trampoline_kernelINS0_14default_configENS1_25partition_config_selectorILNS1_17partition_subalgoE8EdNS0_10empty_typeEbEEZZNS1_14partition_implILS5_8ELb0ES3_jPKdPS6_PKS6_NS0_5tupleIJPdS6_EEENSE_IJSB_SB_EEENS0_18inequality_wrapperIN6hipcub16HIPCUB_304000_NS8EqualityEEEPlJS6_EEE10hipError_tPvRmT3_T4_T5_T6_T7_T9_mT8_P12ihipStream_tbDpT10_ENKUlT_T0_E_clISt17integral_constantIbLb0EES17_EEDaS12_S13_EUlS12_E_NS1_11comp_targetILNS1_3genE5ELNS1_11target_archE942ELNS1_3gpuE9ELNS1_3repE0EEENS1_30default_config_static_selectorELNS0_4arch9wavefront6targetE0EEEvT1_
	.p2align	8
	.type	_ZN7rocprim17ROCPRIM_400000_NS6detail17trampoline_kernelINS0_14default_configENS1_25partition_config_selectorILNS1_17partition_subalgoE8EdNS0_10empty_typeEbEEZZNS1_14partition_implILS5_8ELb0ES3_jPKdPS6_PKS6_NS0_5tupleIJPdS6_EEENSE_IJSB_SB_EEENS0_18inequality_wrapperIN6hipcub16HIPCUB_304000_NS8EqualityEEEPlJS6_EEE10hipError_tPvRmT3_T4_T5_T6_T7_T9_mT8_P12ihipStream_tbDpT10_ENKUlT_T0_E_clISt17integral_constantIbLb0EES17_EEDaS12_S13_EUlS12_E_NS1_11comp_targetILNS1_3genE5ELNS1_11target_archE942ELNS1_3gpuE9ELNS1_3repE0EEENS1_30default_config_static_selectorELNS0_4arch9wavefront6targetE0EEEvT1_,@function
_ZN7rocprim17ROCPRIM_400000_NS6detail17trampoline_kernelINS0_14default_configENS1_25partition_config_selectorILNS1_17partition_subalgoE8EdNS0_10empty_typeEbEEZZNS1_14partition_implILS5_8ELb0ES3_jPKdPS6_PKS6_NS0_5tupleIJPdS6_EEENSE_IJSB_SB_EEENS0_18inequality_wrapperIN6hipcub16HIPCUB_304000_NS8EqualityEEEPlJS6_EEE10hipError_tPvRmT3_T4_T5_T6_T7_T9_mT8_P12ihipStream_tbDpT10_ENKUlT_T0_E_clISt17integral_constantIbLb0EES17_EEDaS12_S13_EUlS12_E_NS1_11comp_targetILNS1_3genE5ELNS1_11target_archE942ELNS1_3gpuE9ELNS1_3repE0EEENS1_30default_config_static_selectorELNS0_4arch9wavefront6targetE0EEEvT1_: ; @_ZN7rocprim17ROCPRIM_400000_NS6detail17trampoline_kernelINS0_14default_configENS1_25partition_config_selectorILNS1_17partition_subalgoE8EdNS0_10empty_typeEbEEZZNS1_14partition_implILS5_8ELb0ES3_jPKdPS6_PKS6_NS0_5tupleIJPdS6_EEENSE_IJSB_SB_EEENS0_18inequality_wrapperIN6hipcub16HIPCUB_304000_NS8EqualityEEEPlJS6_EEE10hipError_tPvRmT3_T4_T5_T6_T7_T9_mT8_P12ihipStream_tbDpT10_ENKUlT_T0_E_clISt17integral_constantIbLb0EES17_EEDaS12_S13_EUlS12_E_NS1_11comp_targetILNS1_3genE5ELNS1_11target_archE942ELNS1_3gpuE9ELNS1_3repE0EEENS1_30default_config_static_selectorELNS0_4arch9wavefront6targetE0EEEvT1_
; %bb.0:
	.section	.rodata,"a",@progbits
	.p2align	6, 0x0
	.amdhsa_kernel _ZN7rocprim17ROCPRIM_400000_NS6detail17trampoline_kernelINS0_14default_configENS1_25partition_config_selectorILNS1_17partition_subalgoE8EdNS0_10empty_typeEbEEZZNS1_14partition_implILS5_8ELb0ES3_jPKdPS6_PKS6_NS0_5tupleIJPdS6_EEENSE_IJSB_SB_EEENS0_18inequality_wrapperIN6hipcub16HIPCUB_304000_NS8EqualityEEEPlJS6_EEE10hipError_tPvRmT3_T4_T5_T6_T7_T9_mT8_P12ihipStream_tbDpT10_ENKUlT_T0_E_clISt17integral_constantIbLb0EES17_EEDaS12_S13_EUlS12_E_NS1_11comp_targetILNS1_3genE5ELNS1_11target_archE942ELNS1_3gpuE9ELNS1_3repE0EEENS1_30default_config_static_selectorELNS0_4arch9wavefront6targetE0EEEvT1_
		.amdhsa_group_segment_fixed_size 0
		.amdhsa_private_segment_fixed_size 0
		.amdhsa_kernarg_size 112
		.amdhsa_user_sgpr_count 2
		.amdhsa_user_sgpr_dispatch_ptr 0
		.amdhsa_user_sgpr_queue_ptr 0
		.amdhsa_user_sgpr_kernarg_segment_ptr 1
		.amdhsa_user_sgpr_dispatch_id 0
		.amdhsa_user_sgpr_kernarg_preload_length 0
		.amdhsa_user_sgpr_kernarg_preload_offset 0
		.amdhsa_user_sgpr_private_segment_size 0
		.amdhsa_wavefront_size32 1
		.amdhsa_uses_dynamic_stack 0
		.amdhsa_enable_private_segment 0
		.amdhsa_system_sgpr_workgroup_id_x 1
		.amdhsa_system_sgpr_workgroup_id_y 0
		.amdhsa_system_sgpr_workgroup_id_z 0
		.amdhsa_system_sgpr_workgroup_info 0
		.amdhsa_system_vgpr_workitem_id 0
		.amdhsa_next_free_vgpr 1
		.amdhsa_next_free_sgpr 1
		.amdhsa_named_barrier_count 0
		.amdhsa_reserve_vcc 0
		.amdhsa_float_round_mode_32 0
		.amdhsa_float_round_mode_16_64 0
		.amdhsa_float_denorm_mode_32 3
		.amdhsa_float_denorm_mode_16_64 3
		.amdhsa_fp16_overflow 0
		.amdhsa_memory_ordered 1
		.amdhsa_forward_progress 1
		.amdhsa_inst_pref_size 0
		.amdhsa_round_robin_scheduling 0
		.amdhsa_exception_fp_ieee_invalid_op 0
		.amdhsa_exception_fp_denorm_src 0
		.amdhsa_exception_fp_ieee_div_zero 0
		.amdhsa_exception_fp_ieee_overflow 0
		.amdhsa_exception_fp_ieee_underflow 0
		.amdhsa_exception_fp_ieee_inexact 0
		.amdhsa_exception_int_div_zero 0
	.end_amdhsa_kernel
	.section	.text._ZN7rocprim17ROCPRIM_400000_NS6detail17trampoline_kernelINS0_14default_configENS1_25partition_config_selectorILNS1_17partition_subalgoE8EdNS0_10empty_typeEbEEZZNS1_14partition_implILS5_8ELb0ES3_jPKdPS6_PKS6_NS0_5tupleIJPdS6_EEENSE_IJSB_SB_EEENS0_18inequality_wrapperIN6hipcub16HIPCUB_304000_NS8EqualityEEEPlJS6_EEE10hipError_tPvRmT3_T4_T5_T6_T7_T9_mT8_P12ihipStream_tbDpT10_ENKUlT_T0_E_clISt17integral_constantIbLb0EES17_EEDaS12_S13_EUlS12_E_NS1_11comp_targetILNS1_3genE5ELNS1_11target_archE942ELNS1_3gpuE9ELNS1_3repE0EEENS1_30default_config_static_selectorELNS0_4arch9wavefront6targetE0EEEvT1_,"axG",@progbits,_ZN7rocprim17ROCPRIM_400000_NS6detail17trampoline_kernelINS0_14default_configENS1_25partition_config_selectorILNS1_17partition_subalgoE8EdNS0_10empty_typeEbEEZZNS1_14partition_implILS5_8ELb0ES3_jPKdPS6_PKS6_NS0_5tupleIJPdS6_EEENSE_IJSB_SB_EEENS0_18inequality_wrapperIN6hipcub16HIPCUB_304000_NS8EqualityEEEPlJS6_EEE10hipError_tPvRmT3_T4_T5_T6_T7_T9_mT8_P12ihipStream_tbDpT10_ENKUlT_T0_E_clISt17integral_constantIbLb0EES17_EEDaS12_S13_EUlS12_E_NS1_11comp_targetILNS1_3genE5ELNS1_11target_archE942ELNS1_3gpuE9ELNS1_3repE0EEENS1_30default_config_static_selectorELNS0_4arch9wavefront6targetE0EEEvT1_,comdat
.Lfunc_end273:
	.size	_ZN7rocprim17ROCPRIM_400000_NS6detail17trampoline_kernelINS0_14default_configENS1_25partition_config_selectorILNS1_17partition_subalgoE8EdNS0_10empty_typeEbEEZZNS1_14partition_implILS5_8ELb0ES3_jPKdPS6_PKS6_NS0_5tupleIJPdS6_EEENSE_IJSB_SB_EEENS0_18inequality_wrapperIN6hipcub16HIPCUB_304000_NS8EqualityEEEPlJS6_EEE10hipError_tPvRmT3_T4_T5_T6_T7_T9_mT8_P12ihipStream_tbDpT10_ENKUlT_T0_E_clISt17integral_constantIbLb0EES17_EEDaS12_S13_EUlS12_E_NS1_11comp_targetILNS1_3genE5ELNS1_11target_archE942ELNS1_3gpuE9ELNS1_3repE0EEENS1_30default_config_static_selectorELNS0_4arch9wavefront6targetE0EEEvT1_, .Lfunc_end273-_ZN7rocprim17ROCPRIM_400000_NS6detail17trampoline_kernelINS0_14default_configENS1_25partition_config_selectorILNS1_17partition_subalgoE8EdNS0_10empty_typeEbEEZZNS1_14partition_implILS5_8ELb0ES3_jPKdPS6_PKS6_NS0_5tupleIJPdS6_EEENSE_IJSB_SB_EEENS0_18inequality_wrapperIN6hipcub16HIPCUB_304000_NS8EqualityEEEPlJS6_EEE10hipError_tPvRmT3_T4_T5_T6_T7_T9_mT8_P12ihipStream_tbDpT10_ENKUlT_T0_E_clISt17integral_constantIbLb0EES17_EEDaS12_S13_EUlS12_E_NS1_11comp_targetILNS1_3genE5ELNS1_11target_archE942ELNS1_3gpuE9ELNS1_3repE0EEENS1_30default_config_static_selectorELNS0_4arch9wavefront6targetE0EEEvT1_
                                        ; -- End function
	.set _ZN7rocprim17ROCPRIM_400000_NS6detail17trampoline_kernelINS0_14default_configENS1_25partition_config_selectorILNS1_17partition_subalgoE8EdNS0_10empty_typeEbEEZZNS1_14partition_implILS5_8ELb0ES3_jPKdPS6_PKS6_NS0_5tupleIJPdS6_EEENSE_IJSB_SB_EEENS0_18inequality_wrapperIN6hipcub16HIPCUB_304000_NS8EqualityEEEPlJS6_EEE10hipError_tPvRmT3_T4_T5_T6_T7_T9_mT8_P12ihipStream_tbDpT10_ENKUlT_T0_E_clISt17integral_constantIbLb0EES17_EEDaS12_S13_EUlS12_E_NS1_11comp_targetILNS1_3genE5ELNS1_11target_archE942ELNS1_3gpuE9ELNS1_3repE0EEENS1_30default_config_static_selectorELNS0_4arch9wavefront6targetE0EEEvT1_.num_vgpr, 0
	.set _ZN7rocprim17ROCPRIM_400000_NS6detail17trampoline_kernelINS0_14default_configENS1_25partition_config_selectorILNS1_17partition_subalgoE8EdNS0_10empty_typeEbEEZZNS1_14partition_implILS5_8ELb0ES3_jPKdPS6_PKS6_NS0_5tupleIJPdS6_EEENSE_IJSB_SB_EEENS0_18inequality_wrapperIN6hipcub16HIPCUB_304000_NS8EqualityEEEPlJS6_EEE10hipError_tPvRmT3_T4_T5_T6_T7_T9_mT8_P12ihipStream_tbDpT10_ENKUlT_T0_E_clISt17integral_constantIbLb0EES17_EEDaS12_S13_EUlS12_E_NS1_11comp_targetILNS1_3genE5ELNS1_11target_archE942ELNS1_3gpuE9ELNS1_3repE0EEENS1_30default_config_static_selectorELNS0_4arch9wavefront6targetE0EEEvT1_.num_agpr, 0
	.set _ZN7rocprim17ROCPRIM_400000_NS6detail17trampoline_kernelINS0_14default_configENS1_25partition_config_selectorILNS1_17partition_subalgoE8EdNS0_10empty_typeEbEEZZNS1_14partition_implILS5_8ELb0ES3_jPKdPS6_PKS6_NS0_5tupleIJPdS6_EEENSE_IJSB_SB_EEENS0_18inequality_wrapperIN6hipcub16HIPCUB_304000_NS8EqualityEEEPlJS6_EEE10hipError_tPvRmT3_T4_T5_T6_T7_T9_mT8_P12ihipStream_tbDpT10_ENKUlT_T0_E_clISt17integral_constantIbLb0EES17_EEDaS12_S13_EUlS12_E_NS1_11comp_targetILNS1_3genE5ELNS1_11target_archE942ELNS1_3gpuE9ELNS1_3repE0EEENS1_30default_config_static_selectorELNS0_4arch9wavefront6targetE0EEEvT1_.numbered_sgpr, 0
	.set _ZN7rocprim17ROCPRIM_400000_NS6detail17trampoline_kernelINS0_14default_configENS1_25partition_config_selectorILNS1_17partition_subalgoE8EdNS0_10empty_typeEbEEZZNS1_14partition_implILS5_8ELb0ES3_jPKdPS6_PKS6_NS0_5tupleIJPdS6_EEENSE_IJSB_SB_EEENS0_18inequality_wrapperIN6hipcub16HIPCUB_304000_NS8EqualityEEEPlJS6_EEE10hipError_tPvRmT3_T4_T5_T6_T7_T9_mT8_P12ihipStream_tbDpT10_ENKUlT_T0_E_clISt17integral_constantIbLb0EES17_EEDaS12_S13_EUlS12_E_NS1_11comp_targetILNS1_3genE5ELNS1_11target_archE942ELNS1_3gpuE9ELNS1_3repE0EEENS1_30default_config_static_selectorELNS0_4arch9wavefront6targetE0EEEvT1_.num_named_barrier, 0
	.set _ZN7rocprim17ROCPRIM_400000_NS6detail17trampoline_kernelINS0_14default_configENS1_25partition_config_selectorILNS1_17partition_subalgoE8EdNS0_10empty_typeEbEEZZNS1_14partition_implILS5_8ELb0ES3_jPKdPS6_PKS6_NS0_5tupleIJPdS6_EEENSE_IJSB_SB_EEENS0_18inequality_wrapperIN6hipcub16HIPCUB_304000_NS8EqualityEEEPlJS6_EEE10hipError_tPvRmT3_T4_T5_T6_T7_T9_mT8_P12ihipStream_tbDpT10_ENKUlT_T0_E_clISt17integral_constantIbLb0EES17_EEDaS12_S13_EUlS12_E_NS1_11comp_targetILNS1_3genE5ELNS1_11target_archE942ELNS1_3gpuE9ELNS1_3repE0EEENS1_30default_config_static_selectorELNS0_4arch9wavefront6targetE0EEEvT1_.private_seg_size, 0
	.set _ZN7rocprim17ROCPRIM_400000_NS6detail17trampoline_kernelINS0_14default_configENS1_25partition_config_selectorILNS1_17partition_subalgoE8EdNS0_10empty_typeEbEEZZNS1_14partition_implILS5_8ELb0ES3_jPKdPS6_PKS6_NS0_5tupleIJPdS6_EEENSE_IJSB_SB_EEENS0_18inequality_wrapperIN6hipcub16HIPCUB_304000_NS8EqualityEEEPlJS6_EEE10hipError_tPvRmT3_T4_T5_T6_T7_T9_mT8_P12ihipStream_tbDpT10_ENKUlT_T0_E_clISt17integral_constantIbLb0EES17_EEDaS12_S13_EUlS12_E_NS1_11comp_targetILNS1_3genE5ELNS1_11target_archE942ELNS1_3gpuE9ELNS1_3repE0EEENS1_30default_config_static_selectorELNS0_4arch9wavefront6targetE0EEEvT1_.uses_vcc, 0
	.set _ZN7rocprim17ROCPRIM_400000_NS6detail17trampoline_kernelINS0_14default_configENS1_25partition_config_selectorILNS1_17partition_subalgoE8EdNS0_10empty_typeEbEEZZNS1_14partition_implILS5_8ELb0ES3_jPKdPS6_PKS6_NS0_5tupleIJPdS6_EEENSE_IJSB_SB_EEENS0_18inequality_wrapperIN6hipcub16HIPCUB_304000_NS8EqualityEEEPlJS6_EEE10hipError_tPvRmT3_T4_T5_T6_T7_T9_mT8_P12ihipStream_tbDpT10_ENKUlT_T0_E_clISt17integral_constantIbLb0EES17_EEDaS12_S13_EUlS12_E_NS1_11comp_targetILNS1_3genE5ELNS1_11target_archE942ELNS1_3gpuE9ELNS1_3repE0EEENS1_30default_config_static_selectorELNS0_4arch9wavefront6targetE0EEEvT1_.uses_flat_scratch, 0
	.set _ZN7rocprim17ROCPRIM_400000_NS6detail17trampoline_kernelINS0_14default_configENS1_25partition_config_selectorILNS1_17partition_subalgoE8EdNS0_10empty_typeEbEEZZNS1_14partition_implILS5_8ELb0ES3_jPKdPS6_PKS6_NS0_5tupleIJPdS6_EEENSE_IJSB_SB_EEENS0_18inequality_wrapperIN6hipcub16HIPCUB_304000_NS8EqualityEEEPlJS6_EEE10hipError_tPvRmT3_T4_T5_T6_T7_T9_mT8_P12ihipStream_tbDpT10_ENKUlT_T0_E_clISt17integral_constantIbLb0EES17_EEDaS12_S13_EUlS12_E_NS1_11comp_targetILNS1_3genE5ELNS1_11target_archE942ELNS1_3gpuE9ELNS1_3repE0EEENS1_30default_config_static_selectorELNS0_4arch9wavefront6targetE0EEEvT1_.has_dyn_sized_stack, 0
	.set _ZN7rocprim17ROCPRIM_400000_NS6detail17trampoline_kernelINS0_14default_configENS1_25partition_config_selectorILNS1_17partition_subalgoE8EdNS0_10empty_typeEbEEZZNS1_14partition_implILS5_8ELb0ES3_jPKdPS6_PKS6_NS0_5tupleIJPdS6_EEENSE_IJSB_SB_EEENS0_18inequality_wrapperIN6hipcub16HIPCUB_304000_NS8EqualityEEEPlJS6_EEE10hipError_tPvRmT3_T4_T5_T6_T7_T9_mT8_P12ihipStream_tbDpT10_ENKUlT_T0_E_clISt17integral_constantIbLb0EES17_EEDaS12_S13_EUlS12_E_NS1_11comp_targetILNS1_3genE5ELNS1_11target_archE942ELNS1_3gpuE9ELNS1_3repE0EEENS1_30default_config_static_selectorELNS0_4arch9wavefront6targetE0EEEvT1_.has_recursion, 0
	.set _ZN7rocprim17ROCPRIM_400000_NS6detail17trampoline_kernelINS0_14default_configENS1_25partition_config_selectorILNS1_17partition_subalgoE8EdNS0_10empty_typeEbEEZZNS1_14partition_implILS5_8ELb0ES3_jPKdPS6_PKS6_NS0_5tupleIJPdS6_EEENSE_IJSB_SB_EEENS0_18inequality_wrapperIN6hipcub16HIPCUB_304000_NS8EqualityEEEPlJS6_EEE10hipError_tPvRmT3_T4_T5_T6_T7_T9_mT8_P12ihipStream_tbDpT10_ENKUlT_T0_E_clISt17integral_constantIbLb0EES17_EEDaS12_S13_EUlS12_E_NS1_11comp_targetILNS1_3genE5ELNS1_11target_archE942ELNS1_3gpuE9ELNS1_3repE0EEENS1_30default_config_static_selectorELNS0_4arch9wavefront6targetE0EEEvT1_.has_indirect_call, 0
	.section	.AMDGPU.csdata,"",@progbits
; Kernel info:
; codeLenInByte = 0
; TotalNumSgprs: 0
; NumVgprs: 0
; ScratchSize: 0
; MemoryBound: 0
; FloatMode: 240
; IeeeMode: 1
; LDSByteSize: 0 bytes/workgroup (compile time only)
; SGPRBlocks: 0
; VGPRBlocks: 0
; NumSGPRsForWavesPerEU: 1
; NumVGPRsForWavesPerEU: 1
; NamedBarCnt: 0
; Occupancy: 16
; WaveLimiterHint : 0
; COMPUTE_PGM_RSRC2:SCRATCH_EN: 0
; COMPUTE_PGM_RSRC2:USER_SGPR: 2
; COMPUTE_PGM_RSRC2:TRAP_HANDLER: 0
; COMPUTE_PGM_RSRC2:TGID_X_EN: 1
; COMPUTE_PGM_RSRC2:TGID_Y_EN: 0
; COMPUTE_PGM_RSRC2:TGID_Z_EN: 0
; COMPUTE_PGM_RSRC2:TIDIG_COMP_CNT: 0
	.section	.text._ZN7rocprim17ROCPRIM_400000_NS6detail17trampoline_kernelINS0_14default_configENS1_25partition_config_selectorILNS1_17partition_subalgoE8EdNS0_10empty_typeEbEEZZNS1_14partition_implILS5_8ELb0ES3_jPKdPS6_PKS6_NS0_5tupleIJPdS6_EEENSE_IJSB_SB_EEENS0_18inequality_wrapperIN6hipcub16HIPCUB_304000_NS8EqualityEEEPlJS6_EEE10hipError_tPvRmT3_T4_T5_T6_T7_T9_mT8_P12ihipStream_tbDpT10_ENKUlT_T0_E_clISt17integral_constantIbLb0EES17_EEDaS12_S13_EUlS12_E_NS1_11comp_targetILNS1_3genE4ELNS1_11target_archE910ELNS1_3gpuE8ELNS1_3repE0EEENS1_30default_config_static_selectorELNS0_4arch9wavefront6targetE0EEEvT1_,"axG",@progbits,_ZN7rocprim17ROCPRIM_400000_NS6detail17trampoline_kernelINS0_14default_configENS1_25partition_config_selectorILNS1_17partition_subalgoE8EdNS0_10empty_typeEbEEZZNS1_14partition_implILS5_8ELb0ES3_jPKdPS6_PKS6_NS0_5tupleIJPdS6_EEENSE_IJSB_SB_EEENS0_18inequality_wrapperIN6hipcub16HIPCUB_304000_NS8EqualityEEEPlJS6_EEE10hipError_tPvRmT3_T4_T5_T6_T7_T9_mT8_P12ihipStream_tbDpT10_ENKUlT_T0_E_clISt17integral_constantIbLb0EES17_EEDaS12_S13_EUlS12_E_NS1_11comp_targetILNS1_3genE4ELNS1_11target_archE910ELNS1_3gpuE8ELNS1_3repE0EEENS1_30default_config_static_selectorELNS0_4arch9wavefront6targetE0EEEvT1_,comdat
	.protected	_ZN7rocprim17ROCPRIM_400000_NS6detail17trampoline_kernelINS0_14default_configENS1_25partition_config_selectorILNS1_17partition_subalgoE8EdNS0_10empty_typeEbEEZZNS1_14partition_implILS5_8ELb0ES3_jPKdPS6_PKS6_NS0_5tupleIJPdS6_EEENSE_IJSB_SB_EEENS0_18inequality_wrapperIN6hipcub16HIPCUB_304000_NS8EqualityEEEPlJS6_EEE10hipError_tPvRmT3_T4_T5_T6_T7_T9_mT8_P12ihipStream_tbDpT10_ENKUlT_T0_E_clISt17integral_constantIbLb0EES17_EEDaS12_S13_EUlS12_E_NS1_11comp_targetILNS1_3genE4ELNS1_11target_archE910ELNS1_3gpuE8ELNS1_3repE0EEENS1_30default_config_static_selectorELNS0_4arch9wavefront6targetE0EEEvT1_ ; -- Begin function _ZN7rocprim17ROCPRIM_400000_NS6detail17trampoline_kernelINS0_14default_configENS1_25partition_config_selectorILNS1_17partition_subalgoE8EdNS0_10empty_typeEbEEZZNS1_14partition_implILS5_8ELb0ES3_jPKdPS6_PKS6_NS0_5tupleIJPdS6_EEENSE_IJSB_SB_EEENS0_18inequality_wrapperIN6hipcub16HIPCUB_304000_NS8EqualityEEEPlJS6_EEE10hipError_tPvRmT3_T4_T5_T6_T7_T9_mT8_P12ihipStream_tbDpT10_ENKUlT_T0_E_clISt17integral_constantIbLb0EES17_EEDaS12_S13_EUlS12_E_NS1_11comp_targetILNS1_3genE4ELNS1_11target_archE910ELNS1_3gpuE8ELNS1_3repE0EEENS1_30default_config_static_selectorELNS0_4arch9wavefront6targetE0EEEvT1_
	.globl	_ZN7rocprim17ROCPRIM_400000_NS6detail17trampoline_kernelINS0_14default_configENS1_25partition_config_selectorILNS1_17partition_subalgoE8EdNS0_10empty_typeEbEEZZNS1_14partition_implILS5_8ELb0ES3_jPKdPS6_PKS6_NS0_5tupleIJPdS6_EEENSE_IJSB_SB_EEENS0_18inequality_wrapperIN6hipcub16HIPCUB_304000_NS8EqualityEEEPlJS6_EEE10hipError_tPvRmT3_T4_T5_T6_T7_T9_mT8_P12ihipStream_tbDpT10_ENKUlT_T0_E_clISt17integral_constantIbLb0EES17_EEDaS12_S13_EUlS12_E_NS1_11comp_targetILNS1_3genE4ELNS1_11target_archE910ELNS1_3gpuE8ELNS1_3repE0EEENS1_30default_config_static_selectorELNS0_4arch9wavefront6targetE0EEEvT1_
	.p2align	8
	.type	_ZN7rocprim17ROCPRIM_400000_NS6detail17trampoline_kernelINS0_14default_configENS1_25partition_config_selectorILNS1_17partition_subalgoE8EdNS0_10empty_typeEbEEZZNS1_14partition_implILS5_8ELb0ES3_jPKdPS6_PKS6_NS0_5tupleIJPdS6_EEENSE_IJSB_SB_EEENS0_18inequality_wrapperIN6hipcub16HIPCUB_304000_NS8EqualityEEEPlJS6_EEE10hipError_tPvRmT3_T4_T5_T6_T7_T9_mT8_P12ihipStream_tbDpT10_ENKUlT_T0_E_clISt17integral_constantIbLb0EES17_EEDaS12_S13_EUlS12_E_NS1_11comp_targetILNS1_3genE4ELNS1_11target_archE910ELNS1_3gpuE8ELNS1_3repE0EEENS1_30default_config_static_selectorELNS0_4arch9wavefront6targetE0EEEvT1_,@function
_ZN7rocprim17ROCPRIM_400000_NS6detail17trampoline_kernelINS0_14default_configENS1_25partition_config_selectorILNS1_17partition_subalgoE8EdNS0_10empty_typeEbEEZZNS1_14partition_implILS5_8ELb0ES3_jPKdPS6_PKS6_NS0_5tupleIJPdS6_EEENSE_IJSB_SB_EEENS0_18inequality_wrapperIN6hipcub16HIPCUB_304000_NS8EqualityEEEPlJS6_EEE10hipError_tPvRmT3_T4_T5_T6_T7_T9_mT8_P12ihipStream_tbDpT10_ENKUlT_T0_E_clISt17integral_constantIbLb0EES17_EEDaS12_S13_EUlS12_E_NS1_11comp_targetILNS1_3genE4ELNS1_11target_archE910ELNS1_3gpuE8ELNS1_3repE0EEENS1_30default_config_static_selectorELNS0_4arch9wavefront6targetE0EEEvT1_: ; @_ZN7rocprim17ROCPRIM_400000_NS6detail17trampoline_kernelINS0_14default_configENS1_25partition_config_selectorILNS1_17partition_subalgoE8EdNS0_10empty_typeEbEEZZNS1_14partition_implILS5_8ELb0ES3_jPKdPS6_PKS6_NS0_5tupleIJPdS6_EEENSE_IJSB_SB_EEENS0_18inequality_wrapperIN6hipcub16HIPCUB_304000_NS8EqualityEEEPlJS6_EEE10hipError_tPvRmT3_T4_T5_T6_T7_T9_mT8_P12ihipStream_tbDpT10_ENKUlT_T0_E_clISt17integral_constantIbLb0EES17_EEDaS12_S13_EUlS12_E_NS1_11comp_targetILNS1_3genE4ELNS1_11target_archE910ELNS1_3gpuE8ELNS1_3repE0EEENS1_30default_config_static_selectorELNS0_4arch9wavefront6targetE0EEEvT1_
; %bb.0:
	.section	.rodata,"a",@progbits
	.p2align	6, 0x0
	.amdhsa_kernel _ZN7rocprim17ROCPRIM_400000_NS6detail17trampoline_kernelINS0_14default_configENS1_25partition_config_selectorILNS1_17partition_subalgoE8EdNS0_10empty_typeEbEEZZNS1_14partition_implILS5_8ELb0ES3_jPKdPS6_PKS6_NS0_5tupleIJPdS6_EEENSE_IJSB_SB_EEENS0_18inequality_wrapperIN6hipcub16HIPCUB_304000_NS8EqualityEEEPlJS6_EEE10hipError_tPvRmT3_T4_T5_T6_T7_T9_mT8_P12ihipStream_tbDpT10_ENKUlT_T0_E_clISt17integral_constantIbLb0EES17_EEDaS12_S13_EUlS12_E_NS1_11comp_targetILNS1_3genE4ELNS1_11target_archE910ELNS1_3gpuE8ELNS1_3repE0EEENS1_30default_config_static_selectorELNS0_4arch9wavefront6targetE0EEEvT1_
		.amdhsa_group_segment_fixed_size 0
		.amdhsa_private_segment_fixed_size 0
		.amdhsa_kernarg_size 112
		.amdhsa_user_sgpr_count 2
		.amdhsa_user_sgpr_dispatch_ptr 0
		.amdhsa_user_sgpr_queue_ptr 0
		.amdhsa_user_sgpr_kernarg_segment_ptr 1
		.amdhsa_user_sgpr_dispatch_id 0
		.amdhsa_user_sgpr_kernarg_preload_length 0
		.amdhsa_user_sgpr_kernarg_preload_offset 0
		.amdhsa_user_sgpr_private_segment_size 0
		.amdhsa_wavefront_size32 1
		.amdhsa_uses_dynamic_stack 0
		.amdhsa_enable_private_segment 0
		.amdhsa_system_sgpr_workgroup_id_x 1
		.amdhsa_system_sgpr_workgroup_id_y 0
		.amdhsa_system_sgpr_workgroup_id_z 0
		.amdhsa_system_sgpr_workgroup_info 0
		.amdhsa_system_vgpr_workitem_id 0
		.amdhsa_next_free_vgpr 1
		.amdhsa_next_free_sgpr 1
		.amdhsa_named_barrier_count 0
		.amdhsa_reserve_vcc 0
		.amdhsa_float_round_mode_32 0
		.amdhsa_float_round_mode_16_64 0
		.amdhsa_float_denorm_mode_32 3
		.amdhsa_float_denorm_mode_16_64 3
		.amdhsa_fp16_overflow 0
		.amdhsa_memory_ordered 1
		.amdhsa_forward_progress 1
		.amdhsa_inst_pref_size 0
		.amdhsa_round_robin_scheduling 0
		.amdhsa_exception_fp_ieee_invalid_op 0
		.amdhsa_exception_fp_denorm_src 0
		.amdhsa_exception_fp_ieee_div_zero 0
		.amdhsa_exception_fp_ieee_overflow 0
		.amdhsa_exception_fp_ieee_underflow 0
		.amdhsa_exception_fp_ieee_inexact 0
		.amdhsa_exception_int_div_zero 0
	.end_amdhsa_kernel
	.section	.text._ZN7rocprim17ROCPRIM_400000_NS6detail17trampoline_kernelINS0_14default_configENS1_25partition_config_selectorILNS1_17partition_subalgoE8EdNS0_10empty_typeEbEEZZNS1_14partition_implILS5_8ELb0ES3_jPKdPS6_PKS6_NS0_5tupleIJPdS6_EEENSE_IJSB_SB_EEENS0_18inequality_wrapperIN6hipcub16HIPCUB_304000_NS8EqualityEEEPlJS6_EEE10hipError_tPvRmT3_T4_T5_T6_T7_T9_mT8_P12ihipStream_tbDpT10_ENKUlT_T0_E_clISt17integral_constantIbLb0EES17_EEDaS12_S13_EUlS12_E_NS1_11comp_targetILNS1_3genE4ELNS1_11target_archE910ELNS1_3gpuE8ELNS1_3repE0EEENS1_30default_config_static_selectorELNS0_4arch9wavefront6targetE0EEEvT1_,"axG",@progbits,_ZN7rocprim17ROCPRIM_400000_NS6detail17trampoline_kernelINS0_14default_configENS1_25partition_config_selectorILNS1_17partition_subalgoE8EdNS0_10empty_typeEbEEZZNS1_14partition_implILS5_8ELb0ES3_jPKdPS6_PKS6_NS0_5tupleIJPdS6_EEENSE_IJSB_SB_EEENS0_18inequality_wrapperIN6hipcub16HIPCUB_304000_NS8EqualityEEEPlJS6_EEE10hipError_tPvRmT3_T4_T5_T6_T7_T9_mT8_P12ihipStream_tbDpT10_ENKUlT_T0_E_clISt17integral_constantIbLb0EES17_EEDaS12_S13_EUlS12_E_NS1_11comp_targetILNS1_3genE4ELNS1_11target_archE910ELNS1_3gpuE8ELNS1_3repE0EEENS1_30default_config_static_selectorELNS0_4arch9wavefront6targetE0EEEvT1_,comdat
.Lfunc_end274:
	.size	_ZN7rocprim17ROCPRIM_400000_NS6detail17trampoline_kernelINS0_14default_configENS1_25partition_config_selectorILNS1_17partition_subalgoE8EdNS0_10empty_typeEbEEZZNS1_14partition_implILS5_8ELb0ES3_jPKdPS6_PKS6_NS0_5tupleIJPdS6_EEENSE_IJSB_SB_EEENS0_18inequality_wrapperIN6hipcub16HIPCUB_304000_NS8EqualityEEEPlJS6_EEE10hipError_tPvRmT3_T4_T5_T6_T7_T9_mT8_P12ihipStream_tbDpT10_ENKUlT_T0_E_clISt17integral_constantIbLb0EES17_EEDaS12_S13_EUlS12_E_NS1_11comp_targetILNS1_3genE4ELNS1_11target_archE910ELNS1_3gpuE8ELNS1_3repE0EEENS1_30default_config_static_selectorELNS0_4arch9wavefront6targetE0EEEvT1_, .Lfunc_end274-_ZN7rocprim17ROCPRIM_400000_NS6detail17trampoline_kernelINS0_14default_configENS1_25partition_config_selectorILNS1_17partition_subalgoE8EdNS0_10empty_typeEbEEZZNS1_14partition_implILS5_8ELb0ES3_jPKdPS6_PKS6_NS0_5tupleIJPdS6_EEENSE_IJSB_SB_EEENS0_18inequality_wrapperIN6hipcub16HIPCUB_304000_NS8EqualityEEEPlJS6_EEE10hipError_tPvRmT3_T4_T5_T6_T7_T9_mT8_P12ihipStream_tbDpT10_ENKUlT_T0_E_clISt17integral_constantIbLb0EES17_EEDaS12_S13_EUlS12_E_NS1_11comp_targetILNS1_3genE4ELNS1_11target_archE910ELNS1_3gpuE8ELNS1_3repE0EEENS1_30default_config_static_selectorELNS0_4arch9wavefront6targetE0EEEvT1_
                                        ; -- End function
	.set _ZN7rocprim17ROCPRIM_400000_NS6detail17trampoline_kernelINS0_14default_configENS1_25partition_config_selectorILNS1_17partition_subalgoE8EdNS0_10empty_typeEbEEZZNS1_14partition_implILS5_8ELb0ES3_jPKdPS6_PKS6_NS0_5tupleIJPdS6_EEENSE_IJSB_SB_EEENS0_18inequality_wrapperIN6hipcub16HIPCUB_304000_NS8EqualityEEEPlJS6_EEE10hipError_tPvRmT3_T4_T5_T6_T7_T9_mT8_P12ihipStream_tbDpT10_ENKUlT_T0_E_clISt17integral_constantIbLb0EES17_EEDaS12_S13_EUlS12_E_NS1_11comp_targetILNS1_3genE4ELNS1_11target_archE910ELNS1_3gpuE8ELNS1_3repE0EEENS1_30default_config_static_selectorELNS0_4arch9wavefront6targetE0EEEvT1_.num_vgpr, 0
	.set _ZN7rocprim17ROCPRIM_400000_NS6detail17trampoline_kernelINS0_14default_configENS1_25partition_config_selectorILNS1_17partition_subalgoE8EdNS0_10empty_typeEbEEZZNS1_14partition_implILS5_8ELb0ES3_jPKdPS6_PKS6_NS0_5tupleIJPdS6_EEENSE_IJSB_SB_EEENS0_18inequality_wrapperIN6hipcub16HIPCUB_304000_NS8EqualityEEEPlJS6_EEE10hipError_tPvRmT3_T4_T5_T6_T7_T9_mT8_P12ihipStream_tbDpT10_ENKUlT_T0_E_clISt17integral_constantIbLb0EES17_EEDaS12_S13_EUlS12_E_NS1_11comp_targetILNS1_3genE4ELNS1_11target_archE910ELNS1_3gpuE8ELNS1_3repE0EEENS1_30default_config_static_selectorELNS0_4arch9wavefront6targetE0EEEvT1_.num_agpr, 0
	.set _ZN7rocprim17ROCPRIM_400000_NS6detail17trampoline_kernelINS0_14default_configENS1_25partition_config_selectorILNS1_17partition_subalgoE8EdNS0_10empty_typeEbEEZZNS1_14partition_implILS5_8ELb0ES3_jPKdPS6_PKS6_NS0_5tupleIJPdS6_EEENSE_IJSB_SB_EEENS0_18inequality_wrapperIN6hipcub16HIPCUB_304000_NS8EqualityEEEPlJS6_EEE10hipError_tPvRmT3_T4_T5_T6_T7_T9_mT8_P12ihipStream_tbDpT10_ENKUlT_T0_E_clISt17integral_constantIbLb0EES17_EEDaS12_S13_EUlS12_E_NS1_11comp_targetILNS1_3genE4ELNS1_11target_archE910ELNS1_3gpuE8ELNS1_3repE0EEENS1_30default_config_static_selectorELNS0_4arch9wavefront6targetE0EEEvT1_.numbered_sgpr, 0
	.set _ZN7rocprim17ROCPRIM_400000_NS6detail17trampoline_kernelINS0_14default_configENS1_25partition_config_selectorILNS1_17partition_subalgoE8EdNS0_10empty_typeEbEEZZNS1_14partition_implILS5_8ELb0ES3_jPKdPS6_PKS6_NS0_5tupleIJPdS6_EEENSE_IJSB_SB_EEENS0_18inequality_wrapperIN6hipcub16HIPCUB_304000_NS8EqualityEEEPlJS6_EEE10hipError_tPvRmT3_T4_T5_T6_T7_T9_mT8_P12ihipStream_tbDpT10_ENKUlT_T0_E_clISt17integral_constantIbLb0EES17_EEDaS12_S13_EUlS12_E_NS1_11comp_targetILNS1_3genE4ELNS1_11target_archE910ELNS1_3gpuE8ELNS1_3repE0EEENS1_30default_config_static_selectorELNS0_4arch9wavefront6targetE0EEEvT1_.num_named_barrier, 0
	.set _ZN7rocprim17ROCPRIM_400000_NS6detail17trampoline_kernelINS0_14default_configENS1_25partition_config_selectorILNS1_17partition_subalgoE8EdNS0_10empty_typeEbEEZZNS1_14partition_implILS5_8ELb0ES3_jPKdPS6_PKS6_NS0_5tupleIJPdS6_EEENSE_IJSB_SB_EEENS0_18inequality_wrapperIN6hipcub16HIPCUB_304000_NS8EqualityEEEPlJS6_EEE10hipError_tPvRmT3_T4_T5_T6_T7_T9_mT8_P12ihipStream_tbDpT10_ENKUlT_T0_E_clISt17integral_constantIbLb0EES17_EEDaS12_S13_EUlS12_E_NS1_11comp_targetILNS1_3genE4ELNS1_11target_archE910ELNS1_3gpuE8ELNS1_3repE0EEENS1_30default_config_static_selectorELNS0_4arch9wavefront6targetE0EEEvT1_.private_seg_size, 0
	.set _ZN7rocprim17ROCPRIM_400000_NS6detail17trampoline_kernelINS0_14default_configENS1_25partition_config_selectorILNS1_17partition_subalgoE8EdNS0_10empty_typeEbEEZZNS1_14partition_implILS5_8ELb0ES3_jPKdPS6_PKS6_NS0_5tupleIJPdS6_EEENSE_IJSB_SB_EEENS0_18inequality_wrapperIN6hipcub16HIPCUB_304000_NS8EqualityEEEPlJS6_EEE10hipError_tPvRmT3_T4_T5_T6_T7_T9_mT8_P12ihipStream_tbDpT10_ENKUlT_T0_E_clISt17integral_constantIbLb0EES17_EEDaS12_S13_EUlS12_E_NS1_11comp_targetILNS1_3genE4ELNS1_11target_archE910ELNS1_3gpuE8ELNS1_3repE0EEENS1_30default_config_static_selectorELNS0_4arch9wavefront6targetE0EEEvT1_.uses_vcc, 0
	.set _ZN7rocprim17ROCPRIM_400000_NS6detail17trampoline_kernelINS0_14default_configENS1_25partition_config_selectorILNS1_17partition_subalgoE8EdNS0_10empty_typeEbEEZZNS1_14partition_implILS5_8ELb0ES3_jPKdPS6_PKS6_NS0_5tupleIJPdS6_EEENSE_IJSB_SB_EEENS0_18inequality_wrapperIN6hipcub16HIPCUB_304000_NS8EqualityEEEPlJS6_EEE10hipError_tPvRmT3_T4_T5_T6_T7_T9_mT8_P12ihipStream_tbDpT10_ENKUlT_T0_E_clISt17integral_constantIbLb0EES17_EEDaS12_S13_EUlS12_E_NS1_11comp_targetILNS1_3genE4ELNS1_11target_archE910ELNS1_3gpuE8ELNS1_3repE0EEENS1_30default_config_static_selectorELNS0_4arch9wavefront6targetE0EEEvT1_.uses_flat_scratch, 0
	.set _ZN7rocprim17ROCPRIM_400000_NS6detail17trampoline_kernelINS0_14default_configENS1_25partition_config_selectorILNS1_17partition_subalgoE8EdNS0_10empty_typeEbEEZZNS1_14partition_implILS5_8ELb0ES3_jPKdPS6_PKS6_NS0_5tupleIJPdS6_EEENSE_IJSB_SB_EEENS0_18inequality_wrapperIN6hipcub16HIPCUB_304000_NS8EqualityEEEPlJS6_EEE10hipError_tPvRmT3_T4_T5_T6_T7_T9_mT8_P12ihipStream_tbDpT10_ENKUlT_T0_E_clISt17integral_constantIbLb0EES17_EEDaS12_S13_EUlS12_E_NS1_11comp_targetILNS1_3genE4ELNS1_11target_archE910ELNS1_3gpuE8ELNS1_3repE0EEENS1_30default_config_static_selectorELNS0_4arch9wavefront6targetE0EEEvT1_.has_dyn_sized_stack, 0
	.set _ZN7rocprim17ROCPRIM_400000_NS6detail17trampoline_kernelINS0_14default_configENS1_25partition_config_selectorILNS1_17partition_subalgoE8EdNS0_10empty_typeEbEEZZNS1_14partition_implILS5_8ELb0ES3_jPKdPS6_PKS6_NS0_5tupleIJPdS6_EEENSE_IJSB_SB_EEENS0_18inequality_wrapperIN6hipcub16HIPCUB_304000_NS8EqualityEEEPlJS6_EEE10hipError_tPvRmT3_T4_T5_T6_T7_T9_mT8_P12ihipStream_tbDpT10_ENKUlT_T0_E_clISt17integral_constantIbLb0EES17_EEDaS12_S13_EUlS12_E_NS1_11comp_targetILNS1_3genE4ELNS1_11target_archE910ELNS1_3gpuE8ELNS1_3repE0EEENS1_30default_config_static_selectorELNS0_4arch9wavefront6targetE0EEEvT1_.has_recursion, 0
	.set _ZN7rocprim17ROCPRIM_400000_NS6detail17trampoline_kernelINS0_14default_configENS1_25partition_config_selectorILNS1_17partition_subalgoE8EdNS0_10empty_typeEbEEZZNS1_14partition_implILS5_8ELb0ES3_jPKdPS6_PKS6_NS0_5tupleIJPdS6_EEENSE_IJSB_SB_EEENS0_18inequality_wrapperIN6hipcub16HIPCUB_304000_NS8EqualityEEEPlJS6_EEE10hipError_tPvRmT3_T4_T5_T6_T7_T9_mT8_P12ihipStream_tbDpT10_ENKUlT_T0_E_clISt17integral_constantIbLb0EES17_EEDaS12_S13_EUlS12_E_NS1_11comp_targetILNS1_3genE4ELNS1_11target_archE910ELNS1_3gpuE8ELNS1_3repE0EEENS1_30default_config_static_selectorELNS0_4arch9wavefront6targetE0EEEvT1_.has_indirect_call, 0
	.section	.AMDGPU.csdata,"",@progbits
; Kernel info:
; codeLenInByte = 0
; TotalNumSgprs: 0
; NumVgprs: 0
; ScratchSize: 0
; MemoryBound: 0
; FloatMode: 240
; IeeeMode: 1
; LDSByteSize: 0 bytes/workgroup (compile time only)
; SGPRBlocks: 0
; VGPRBlocks: 0
; NumSGPRsForWavesPerEU: 1
; NumVGPRsForWavesPerEU: 1
; NamedBarCnt: 0
; Occupancy: 16
; WaveLimiterHint : 0
; COMPUTE_PGM_RSRC2:SCRATCH_EN: 0
; COMPUTE_PGM_RSRC2:USER_SGPR: 2
; COMPUTE_PGM_RSRC2:TRAP_HANDLER: 0
; COMPUTE_PGM_RSRC2:TGID_X_EN: 1
; COMPUTE_PGM_RSRC2:TGID_Y_EN: 0
; COMPUTE_PGM_RSRC2:TGID_Z_EN: 0
; COMPUTE_PGM_RSRC2:TIDIG_COMP_CNT: 0
	.section	.text._ZN7rocprim17ROCPRIM_400000_NS6detail17trampoline_kernelINS0_14default_configENS1_25partition_config_selectorILNS1_17partition_subalgoE8EdNS0_10empty_typeEbEEZZNS1_14partition_implILS5_8ELb0ES3_jPKdPS6_PKS6_NS0_5tupleIJPdS6_EEENSE_IJSB_SB_EEENS0_18inequality_wrapperIN6hipcub16HIPCUB_304000_NS8EqualityEEEPlJS6_EEE10hipError_tPvRmT3_T4_T5_T6_T7_T9_mT8_P12ihipStream_tbDpT10_ENKUlT_T0_E_clISt17integral_constantIbLb0EES17_EEDaS12_S13_EUlS12_E_NS1_11comp_targetILNS1_3genE3ELNS1_11target_archE908ELNS1_3gpuE7ELNS1_3repE0EEENS1_30default_config_static_selectorELNS0_4arch9wavefront6targetE0EEEvT1_,"axG",@progbits,_ZN7rocprim17ROCPRIM_400000_NS6detail17trampoline_kernelINS0_14default_configENS1_25partition_config_selectorILNS1_17partition_subalgoE8EdNS0_10empty_typeEbEEZZNS1_14partition_implILS5_8ELb0ES3_jPKdPS6_PKS6_NS0_5tupleIJPdS6_EEENSE_IJSB_SB_EEENS0_18inequality_wrapperIN6hipcub16HIPCUB_304000_NS8EqualityEEEPlJS6_EEE10hipError_tPvRmT3_T4_T5_T6_T7_T9_mT8_P12ihipStream_tbDpT10_ENKUlT_T0_E_clISt17integral_constantIbLb0EES17_EEDaS12_S13_EUlS12_E_NS1_11comp_targetILNS1_3genE3ELNS1_11target_archE908ELNS1_3gpuE7ELNS1_3repE0EEENS1_30default_config_static_selectorELNS0_4arch9wavefront6targetE0EEEvT1_,comdat
	.protected	_ZN7rocprim17ROCPRIM_400000_NS6detail17trampoline_kernelINS0_14default_configENS1_25partition_config_selectorILNS1_17partition_subalgoE8EdNS0_10empty_typeEbEEZZNS1_14partition_implILS5_8ELb0ES3_jPKdPS6_PKS6_NS0_5tupleIJPdS6_EEENSE_IJSB_SB_EEENS0_18inequality_wrapperIN6hipcub16HIPCUB_304000_NS8EqualityEEEPlJS6_EEE10hipError_tPvRmT3_T4_T5_T6_T7_T9_mT8_P12ihipStream_tbDpT10_ENKUlT_T0_E_clISt17integral_constantIbLb0EES17_EEDaS12_S13_EUlS12_E_NS1_11comp_targetILNS1_3genE3ELNS1_11target_archE908ELNS1_3gpuE7ELNS1_3repE0EEENS1_30default_config_static_selectorELNS0_4arch9wavefront6targetE0EEEvT1_ ; -- Begin function _ZN7rocprim17ROCPRIM_400000_NS6detail17trampoline_kernelINS0_14default_configENS1_25partition_config_selectorILNS1_17partition_subalgoE8EdNS0_10empty_typeEbEEZZNS1_14partition_implILS5_8ELb0ES3_jPKdPS6_PKS6_NS0_5tupleIJPdS6_EEENSE_IJSB_SB_EEENS0_18inequality_wrapperIN6hipcub16HIPCUB_304000_NS8EqualityEEEPlJS6_EEE10hipError_tPvRmT3_T4_T5_T6_T7_T9_mT8_P12ihipStream_tbDpT10_ENKUlT_T0_E_clISt17integral_constantIbLb0EES17_EEDaS12_S13_EUlS12_E_NS1_11comp_targetILNS1_3genE3ELNS1_11target_archE908ELNS1_3gpuE7ELNS1_3repE0EEENS1_30default_config_static_selectorELNS0_4arch9wavefront6targetE0EEEvT1_
	.globl	_ZN7rocprim17ROCPRIM_400000_NS6detail17trampoline_kernelINS0_14default_configENS1_25partition_config_selectorILNS1_17partition_subalgoE8EdNS0_10empty_typeEbEEZZNS1_14partition_implILS5_8ELb0ES3_jPKdPS6_PKS6_NS0_5tupleIJPdS6_EEENSE_IJSB_SB_EEENS0_18inequality_wrapperIN6hipcub16HIPCUB_304000_NS8EqualityEEEPlJS6_EEE10hipError_tPvRmT3_T4_T5_T6_T7_T9_mT8_P12ihipStream_tbDpT10_ENKUlT_T0_E_clISt17integral_constantIbLb0EES17_EEDaS12_S13_EUlS12_E_NS1_11comp_targetILNS1_3genE3ELNS1_11target_archE908ELNS1_3gpuE7ELNS1_3repE0EEENS1_30default_config_static_selectorELNS0_4arch9wavefront6targetE0EEEvT1_
	.p2align	8
	.type	_ZN7rocprim17ROCPRIM_400000_NS6detail17trampoline_kernelINS0_14default_configENS1_25partition_config_selectorILNS1_17partition_subalgoE8EdNS0_10empty_typeEbEEZZNS1_14partition_implILS5_8ELb0ES3_jPKdPS6_PKS6_NS0_5tupleIJPdS6_EEENSE_IJSB_SB_EEENS0_18inequality_wrapperIN6hipcub16HIPCUB_304000_NS8EqualityEEEPlJS6_EEE10hipError_tPvRmT3_T4_T5_T6_T7_T9_mT8_P12ihipStream_tbDpT10_ENKUlT_T0_E_clISt17integral_constantIbLb0EES17_EEDaS12_S13_EUlS12_E_NS1_11comp_targetILNS1_3genE3ELNS1_11target_archE908ELNS1_3gpuE7ELNS1_3repE0EEENS1_30default_config_static_selectorELNS0_4arch9wavefront6targetE0EEEvT1_,@function
_ZN7rocprim17ROCPRIM_400000_NS6detail17trampoline_kernelINS0_14default_configENS1_25partition_config_selectorILNS1_17partition_subalgoE8EdNS0_10empty_typeEbEEZZNS1_14partition_implILS5_8ELb0ES3_jPKdPS6_PKS6_NS0_5tupleIJPdS6_EEENSE_IJSB_SB_EEENS0_18inequality_wrapperIN6hipcub16HIPCUB_304000_NS8EqualityEEEPlJS6_EEE10hipError_tPvRmT3_T4_T5_T6_T7_T9_mT8_P12ihipStream_tbDpT10_ENKUlT_T0_E_clISt17integral_constantIbLb0EES17_EEDaS12_S13_EUlS12_E_NS1_11comp_targetILNS1_3genE3ELNS1_11target_archE908ELNS1_3gpuE7ELNS1_3repE0EEENS1_30default_config_static_selectorELNS0_4arch9wavefront6targetE0EEEvT1_: ; @_ZN7rocprim17ROCPRIM_400000_NS6detail17trampoline_kernelINS0_14default_configENS1_25partition_config_selectorILNS1_17partition_subalgoE8EdNS0_10empty_typeEbEEZZNS1_14partition_implILS5_8ELb0ES3_jPKdPS6_PKS6_NS0_5tupleIJPdS6_EEENSE_IJSB_SB_EEENS0_18inequality_wrapperIN6hipcub16HIPCUB_304000_NS8EqualityEEEPlJS6_EEE10hipError_tPvRmT3_T4_T5_T6_T7_T9_mT8_P12ihipStream_tbDpT10_ENKUlT_T0_E_clISt17integral_constantIbLb0EES17_EEDaS12_S13_EUlS12_E_NS1_11comp_targetILNS1_3genE3ELNS1_11target_archE908ELNS1_3gpuE7ELNS1_3repE0EEENS1_30default_config_static_selectorELNS0_4arch9wavefront6targetE0EEEvT1_
; %bb.0:
	.section	.rodata,"a",@progbits
	.p2align	6, 0x0
	.amdhsa_kernel _ZN7rocprim17ROCPRIM_400000_NS6detail17trampoline_kernelINS0_14default_configENS1_25partition_config_selectorILNS1_17partition_subalgoE8EdNS0_10empty_typeEbEEZZNS1_14partition_implILS5_8ELb0ES3_jPKdPS6_PKS6_NS0_5tupleIJPdS6_EEENSE_IJSB_SB_EEENS0_18inequality_wrapperIN6hipcub16HIPCUB_304000_NS8EqualityEEEPlJS6_EEE10hipError_tPvRmT3_T4_T5_T6_T7_T9_mT8_P12ihipStream_tbDpT10_ENKUlT_T0_E_clISt17integral_constantIbLb0EES17_EEDaS12_S13_EUlS12_E_NS1_11comp_targetILNS1_3genE3ELNS1_11target_archE908ELNS1_3gpuE7ELNS1_3repE0EEENS1_30default_config_static_selectorELNS0_4arch9wavefront6targetE0EEEvT1_
		.amdhsa_group_segment_fixed_size 0
		.amdhsa_private_segment_fixed_size 0
		.amdhsa_kernarg_size 112
		.amdhsa_user_sgpr_count 2
		.amdhsa_user_sgpr_dispatch_ptr 0
		.amdhsa_user_sgpr_queue_ptr 0
		.amdhsa_user_sgpr_kernarg_segment_ptr 1
		.amdhsa_user_sgpr_dispatch_id 0
		.amdhsa_user_sgpr_kernarg_preload_length 0
		.amdhsa_user_sgpr_kernarg_preload_offset 0
		.amdhsa_user_sgpr_private_segment_size 0
		.amdhsa_wavefront_size32 1
		.amdhsa_uses_dynamic_stack 0
		.amdhsa_enable_private_segment 0
		.amdhsa_system_sgpr_workgroup_id_x 1
		.amdhsa_system_sgpr_workgroup_id_y 0
		.amdhsa_system_sgpr_workgroup_id_z 0
		.amdhsa_system_sgpr_workgroup_info 0
		.amdhsa_system_vgpr_workitem_id 0
		.amdhsa_next_free_vgpr 1
		.amdhsa_next_free_sgpr 1
		.amdhsa_named_barrier_count 0
		.amdhsa_reserve_vcc 0
		.amdhsa_float_round_mode_32 0
		.amdhsa_float_round_mode_16_64 0
		.amdhsa_float_denorm_mode_32 3
		.amdhsa_float_denorm_mode_16_64 3
		.amdhsa_fp16_overflow 0
		.amdhsa_memory_ordered 1
		.amdhsa_forward_progress 1
		.amdhsa_inst_pref_size 0
		.amdhsa_round_robin_scheduling 0
		.amdhsa_exception_fp_ieee_invalid_op 0
		.amdhsa_exception_fp_denorm_src 0
		.amdhsa_exception_fp_ieee_div_zero 0
		.amdhsa_exception_fp_ieee_overflow 0
		.amdhsa_exception_fp_ieee_underflow 0
		.amdhsa_exception_fp_ieee_inexact 0
		.amdhsa_exception_int_div_zero 0
	.end_amdhsa_kernel
	.section	.text._ZN7rocprim17ROCPRIM_400000_NS6detail17trampoline_kernelINS0_14default_configENS1_25partition_config_selectorILNS1_17partition_subalgoE8EdNS0_10empty_typeEbEEZZNS1_14partition_implILS5_8ELb0ES3_jPKdPS6_PKS6_NS0_5tupleIJPdS6_EEENSE_IJSB_SB_EEENS0_18inequality_wrapperIN6hipcub16HIPCUB_304000_NS8EqualityEEEPlJS6_EEE10hipError_tPvRmT3_T4_T5_T6_T7_T9_mT8_P12ihipStream_tbDpT10_ENKUlT_T0_E_clISt17integral_constantIbLb0EES17_EEDaS12_S13_EUlS12_E_NS1_11comp_targetILNS1_3genE3ELNS1_11target_archE908ELNS1_3gpuE7ELNS1_3repE0EEENS1_30default_config_static_selectorELNS0_4arch9wavefront6targetE0EEEvT1_,"axG",@progbits,_ZN7rocprim17ROCPRIM_400000_NS6detail17trampoline_kernelINS0_14default_configENS1_25partition_config_selectorILNS1_17partition_subalgoE8EdNS0_10empty_typeEbEEZZNS1_14partition_implILS5_8ELb0ES3_jPKdPS6_PKS6_NS0_5tupleIJPdS6_EEENSE_IJSB_SB_EEENS0_18inequality_wrapperIN6hipcub16HIPCUB_304000_NS8EqualityEEEPlJS6_EEE10hipError_tPvRmT3_T4_T5_T6_T7_T9_mT8_P12ihipStream_tbDpT10_ENKUlT_T0_E_clISt17integral_constantIbLb0EES17_EEDaS12_S13_EUlS12_E_NS1_11comp_targetILNS1_3genE3ELNS1_11target_archE908ELNS1_3gpuE7ELNS1_3repE0EEENS1_30default_config_static_selectorELNS0_4arch9wavefront6targetE0EEEvT1_,comdat
.Lfunc_end275:
	.size	_ZN7rocprim17ROCPRIM_400000_NS6detail17trampoline_kernelINS0_14default_configENS1_25partition_config_selectorILNS1_17partition_subalgoE8EdNS0_10empty_typeEbEEZZNS1_14partition_implILS5_8ELb0ES3_jPKdPS6_PKS6_NS0_5tupleIJPdS6_EEENSE_IJSB_SB_EEENS0_18inequality_wrapperIN6hipcub16HIPCUB_304000_NS8EqualityEEEPlJS6_EEE10hipError_tPvRmT3_T4_T5_T6_T7_T9_mT8_P12ihipStream_tbDpT10_ENKUlT_T0_E_clISt17integral_constantIbLb0EES17_EEDaS12_S13_EUlS12_E_NS1_11comp_targetILNS1_3genE3ELNS1_11target_archE908ELNS1_3gpuE7ELNS1_3repE0EEENS1_30default_config_static_selectorELNS0_4arch9wavefront6targetE0EEEvT1_, .Lfunc_end275-_ZN7rocprim17ROCPRIM_400000_NS6detail17trampoline_kernelINS0_14default_configENS1_25partition_config_selectorILNS1_17partition_subalgoE8EdNS0_10empty_typeEbEEZZNS1_14partition_implILS5_8ELb0ES3_jPKdPS6_PKS6_NS0_5tupleIJPdS6_EEENSE_IJSB_SB_EEENS0_18inequality_wrapperIN6hipcub16HIPCUB_304000_NS8EqualityEEEPlJS6_EEE10hipError_tPvRmT3_T4_T5_T6_T7_T9_mT8_P12ihipStream_tbDpT10_ENKUlT_T0_E_clISt17integral_constantIbLb0EES17_EEDaS12_S13_EUlS12_E_NS1_11comp_targetILNS1_3genE3ELNS1_11target_archE908ELNS1_3gpuE7ELNS1_3repE0EEENS1_30default_config_static_selectorELNS0_4arch9wavefront6targetE0EEEvT1_
                                        ; -- End function
	.set _ZN7rocprim17ROCPRIM_400000_NS6detail17trampoline_kernelINS0_14default_configENS1_25partition_config_selectorILNS1_17partition_subalgoE8EdNS0_10empty_typeEbEEZZNS1_14partition_implILS5_8ELb0ES3_jPKdPS6_PKS6_NS0_5tupleIJPdS6_EEENSE_IJSB_SB_EEENS0_18inequality_wrapperIN6hipcub16HIPCUB_304000_NS8EqualityEEEPlJS6_EEE10hipError_tPvRmT3_T4_T5_T6_T7_T9_mT8_P12ihipStream_tbDpT10_ENKUlT_T0_E_clISt17integral_constantIbLb0EES17_EEDaS12_S13_EUlS12_E_NS1_11comp_targetILNS1_3genE3ELNS1_11target_archE908ELNS1_3gpuE7ELNS1_3repE0EEENS1_30default_config_static_selectorELNS0_4arch9wavefront6targetE0EEEvT1_.num_vgpr, 0
	.set _ZN7rocprim17ROCPRIM_400000_NS6detail17trampoline_kernelINS0_14default_configENS1_25partition_config_selectorILNS1_17partition_subalgoE8EdNS0_10empty_typeEbEEZZNS1_14partition_implILS5_8ELb0ES3_jPKdPS6_PKS6_NS0_5tupleIJPdS6_EEENSE_IJSB_SB_EEENS0_18inequality_wrapperIN6hipcub16HIPCUB_304000_NS8EqualityEEEPlJS6_EEE10hipError_tPvRmT3_T4_T5_T6_T7_T9_mT8_P12ihipStream_tbDpT10_ENKUlT_T0_E_clISt17integral_constantIbLb0EES17_EEDaS12_S13_EUlS12_E_NS1_11comp_targetILNS1_3genE3ELNS1_11target_archE908ELNS1_3gpuE7ELNS1_3repE0EEENS1_30default_config_static_selectorELNS0_4arch9wavefront6targetE0EEEvT1_.num_agpr, 0
	.set _ZN7rocprim17ROCPRIM_400000_NS6detail17trampoline_kernelINS0_14default_configENS1_25partition_config_selectorILNS1_17partition_subalgoE8EdNS0_10empty_typeEbEEZZNS1_14partition_implILS5_8ELb0ES3_jPKdPS6_PKS6_NS0_5tupleIJPdS6_EEENSE_IJSB_SB_EEENS0_18inequality_wrapperIN6hipcub16HIPCUB_304000_NS8EqualityEEEPlJS6_EEE10hipError_tPvRmT3_T4_T5_T6_T7_T9_mT8_P12ihipStream_tbDpT10_ENKUlT_T0_E_clISt17integral_constantIbLb0EES17_EEDaS12_S13_EUlS12_E_NS1_11comp_targetILNS1_3genE3ELNS1_11target_archE908ELNS1_3gpuE7ELNS1_3repE0EEENS1_30default_config_static_selectorELNS0_4arch9wavefront6targetE0EEEvT1_.numbered_sgpr, 0
	.set _ZN7rocprim17ROCPRIM_400000_NS6detail17trampoline_kernelINS0_14default_configENS1_25partition_config_selectorILNS1_17partition_subalgoE8EdNS0_10empty_typeEbEEZZNS1_14partition_implILS5_8ELb0ES3_jPKdPS6_PKS6_NS0_5tupleIJPdS6_EEENSE_IJSB_SB_EEENS0_18inequality_wrapperIN6hipcub16HIPCUB_304000_NS8EqualityEEEPlJS6_EEE10hipError_tPvRmT3_T4_T5_T6_T7_T9_mT8_P12ihipStream_tbDpT10_ENKUlT_T0_E_clISt17integral_constantIbLb0EES17_EEDaS12_S13_EUlS12_E_NS1_11comp_targetILNS1_3genE3ELNS1_11target_archE908ELNS1_3gpuE7ELNS1_3repE0EEENS1_30default_config_static_selectorELNS0_4arch9wavefront6targetE0EEEvT1_.num_named_barrier, 0
	.set _ZN7rocprim17ROCPRIM_400000_NS6detail17trampoline_kernelINS0_14default_configENS1_25partition_config_selectorILNS1_17partition_subalgoE8EdNS0_10empty_typeEbEEZZNS1_14partition_implILS5_8ELb0ES3_jPKdPS6_PKS6_NS0_5tupleIJPdS6_EEENSE_IJSB_SB_EEENS0_18inequality_wrapperIN6hipcub16HIPCUB_304000_NS8EqualityEEEPlJS6_EEE10hipError_tPvRmT3_T4_T5_T6_T7_T9_mT8_P12ihipStream_tbDpT10_ENKUlT_T0_E_clISt17integral_constantIbLb0EES17_EEDaS12_S13_EUlS12_E_NS1_11comp_targetILNS1_3genE3ELNS1_11target_archE908ELNS1_3gpuE7ELNS1_3repE0EEENS1_30default_config_static_selectorELNS0_4arch9wavefront6targetE0EEEvT1_.private_seg_size, 0
	.set _ZN7rocprim17ROCPRIM_400000_NS6detail17trampoline_kernelINS0_14default_configENS1_25partition_config_selectorILNS1_17partition_subalgoE8EdNS0_10empty_typeEbEEZZNS1_14partition_implILS5_8ELb0ES3_jPKdPS6_PKS6_NS0_5tupleIJPdS6_EEENSE_IJSB_SB_EEENS0_18inequality_wrapperIN6hipcub16HIPCUB_304000_NS8EqualityEEEPlJS6_EEE10hipError_tPvRmT3_T4_T5_T6_T7_T9_mT8_P12ihipStream_tbDpT10_ENKUlT_T0_E_clISt17integral_constantIbLb0EES17_EEDaS12_S13_EUlS12_E_NS1_11comp_targetILNS1_3genE3ELNS1_11target_archE908ELNS1_3gpuE7ELNS1_3repE0EEENS1_30default_config_static_selectorELNS0_4arch9wavefront6targetE0EEEvT1_.uses_vcc, 0
	.set _ZN7rocprim17ROCPRIM_400000_NS6detail17trampoline_kernelINS0_14default_configENS1_25partition_config_selectorILNS1_17partition_subalgoE8EdNS0_10empty_typeEbEEZZNS1_14partition_implILS5_8ELb0ES3_jPKdPS6_PKS6_NS0_5tupleIJPdS6_EEENSE_IJSB_SB_EEENS0_18inequality_wrapperIN6hipcub16HIPCUB_304000_NS8EqualityEEEPlJS6_EEE10hipError_tPvRmT3_T4_T5_T6_T7_T9_mT8_P12ihipStream_tbDpT10_ENKUlT_T0_E_clISt17integral_constantIbLb0EES17_EEDaS12_S13_EUlS12_E_NS1_11comp_targetILNS1_3genE3ELNS1_11target_archE908ELNS1_3gpuE7ELNS1_3repE0EEENS1_30default_config_static_selectorELNS0_4arch9wavefront6targetE0EEEvT1_.uses_flat_scratch, 0
	.set _ZN7rocprim17ROCPRIM_400000_NS6detail17trampoline_kernelINS0_14default_configENS1_25partition_config_selectorILNS1_17partition_subalgoE8EdNS0_10empty_typeEbEEZZNS1_14partition_implILS5_8ELb0ES3_jPKdPS6_PKS6_NS0_5tupleIJPdS6_EEENSE_IJSB_SB_EEENS0_18inequality_wrapperIN6hipcub16HIPCUB_304000_NS8EqualityEEEPlJS6_EEE10hipError_tPvRmT3_T4_T5_T6_T7_T9_mT8_P12ihipStream_tbDpT10_ENKUlT_T0_E_clISt17integral_constantIbLb0EES17_EEDaS12_S13_EUlS12_E_NS1_11comp_targetILNS1_3genE3ELNS1_11target_archE908ELNS1_3gpuE7ELNS1_3repE0EEENS1_30default_config_static_selectorELNS0_4arch9wavefront6targetE0EEEvT1_.has_dyn_sized_stack, 0
	.set _ZN7rocprim17ROCPRIM_400000_NS6detail17trampoline_kernelINS0_14default_configENS1_25partition_config_selectorILNS1_17partition_subalgoE8EdNS0_10empty_typeEbEEZZNS1_14partition_implILS5_8ELb0ES3_jPKdPS6_PKS6_NS0_5tupleIJPdS6_EEENSE_IJSB_SB_EEENS0_18inequality_wrapperIN6hipcub16HIPCUB_304000_NS8EqualityEEEPlJS6_EEE10hipError_tPvRmT3_T4_T5_T6_T7_T9_mT8_P12ihipStream_tbDpT10_ENKUlT_T0_E_clISt17integral_constantIbLb0EES17_EEDaS12_S13_EUlS12_E_NS1_11comp_targetILNS1_3genE3ELNS1_11target_archE908ELNS1_3gpuE7ELNS1_3repE0EEENS1_30default_config_static_selectorELNS0_4arch9wavefront6targetE0EEEvT1_.has_recursion, 0
	.set _ZN7rocprim17ROCPRIM_400000_NS6detail17trampoline_kernelINS0_14default_configENS1_25partition_config_selectorILNS1_17partition_subalgoE8EdNS0_10empty_typeEbEEZZNS1_14partition_implILS5_8ELb0ES3_jPKdPS6_PKS6_NS0_5tupleIJPdS6_EEENSE_IJSB_SB_EEENS0_18inequality_wrapperIN6hipcub16HIPCUB_304000_NS8EqualityEEEPlJS6_EEE10hipError_tPvRmT3_T4_T5_T6_T7_T9_mT8_P12ihipStream_tbDpT10_ENKUlT_T0_E_clISt17integral_constantIbLb0EES17_EEDaS12_S13_EUlS12_E_NS1_11comp_targetILNS1_3genE3ELNS1_11target_archE908ELNS1_3gpuE7ELNS1_3repE0EEENS1_30default_config_static_selectorELNS0_4arch9wavefront6targetE0EEEvT1_.has_indirect_call, 0
	.section	.AMDGPU.csdata,"",@progbits
; Kernel info:
; codeLenInByte = 0
; TotalNumSgprs: 0
; NumVgprs: 0
; ScratchSize: 0
; MemoryBound: 0
; FloatMode: 240
; IeeeMode: 1
; LDSByteSize: 0 bytes/workgroup (compile time only)
; SGPRBlocks: 0
; VGPRBlocks: 0
; NumSGPRsForWavesPerEU: 1
; NumVGPRsForWavesPerEU: 1
; NamedBarCnt: 0
; Occupancy: 16
; WaveLimiterHint : 0
; COMPUTE_PGM_RSRC2:SCRATCH_EN: 0
; COMPUTE_PGM_RSRC2:USER_SGPR: 2
; COMPUTE_PGM_RSRC2:TRAP_HANDLER: 0
; COMPUTE_PGM_RSRC2:TGID_X_EN: 1
; COMPUTE_PGM_RSRC2:TGID_Y_EN: 0
; COMPUTE_PGM_RSRC2:TGID_Z_EN: 0
; COMPUTE_PGM_RSRC2:TIDIG_COMP_CNT: 0
	.section	.text._ZN7rocprim17ROCPRIM_400000_NS6detail17trampoline_kernelINS0_14default_configENS1_25partition_config_selectorILNS1_17partition_subalgoE8EdNS0_10empty_typeEbEEZZNS1_14partition_implILS5_8ELb0ES3_jPKdPS6_PKS6_NS0_5tupleIJPdS6_EEENSE_IJSB_SB_EEENS0_18inequality_wrapperIN6hipcub16HIPCUB_304000_NS8EqualityEEEPlJS6_EEE10hipError_tPvRmT3_T4_T5_T6_T7_T9_mT8_P12ihipStream_tbDpT10_ENKUlT_T0_E_clISt17integral_constantIbLb0EES17_EEDaS12_S13_EUlS12_E_NS1_11comp_targetILNS1_3genE2ELNS1_11target_archE906ELNS1_3gpuE6ELNS1_3repE0EEENS1_30default_config_static_selectorELNS0_4arch9wavefront6targetE0EEEvT1_,"axG",@progbits,_ZN7rocprim17ROCPRIM_400000_NS6detail17trampoline_kernelINS0_14default_configENS1_25partition_config_selectorILNS1_17partition_subalgoE8EdNS0_10empty_typeEbEEZZNS1_14partition_implILS5_8ELb0ES3_jPKdPS6_PKS6_NS0_5tupleIJPdS6_EEENSE_IJSB_SB_EEENS0_18inequality_wrapperIN6hipcub16HIPCUB_304000_NS8EqualityEEEPlJS6_EEE10hipError_tPvRmT3_T4_T5_T6_T7_T9_mT8_P12ihipStream_tbDpT10_ENKUlT_T0_E_clISt17integral_constantIbLb0EES17_EEDaS12_S13_EUlS12_E_NS1_11comp_targetILNS1_3genE2ELNS1_11target_archE906ELNS1_3gpuE6ELNS1_3repE0EEENS1_30default_config_static_selectorELNS0_4arch9wavefront6targetE0EEEvT1_,comdat
	.protected	_ZN7rocprim17ROCPRIM_400000_NS6detail17trampoline_kernelINS0_14default_configENS1_25partition_config_selectorILNS1_17partition_subalgoE8EdNS0_10empty_typeEbEEZZNS1_14partition_implILS5_8ELb0ES3_jPKdPS6_PKS6_NS0_5tupleIJPdS6_EEENSE_IJSB_SB_EEENS0_18inequality_wrapperIN6hipcub16HIPCUB_304000_NS8EqualityEEEPlJS6_EEE10hipError_tPvRmT3_T4_T5_T6_T7_T9_mT8_P12ihipStream_tbDpT10_ENKUlT_T0_E_clISt17integral_constantIbLb0EES17_EEDaS12_S13_EUlS12_E_NS1_11comp_targetILNS1_3genE2ELNS1_11target_archE906ELNS1_3gpuE6ELNS1_3repE0EEENS1_30default_config_static_selectorELNS0_4arch9wavefront6targetE0EEEvT1_ ; -- Begin function _ZN7rocprim17ROCPRIM_400000_NS6detail17trampoline_kernelINS0_14default_configENS1_25partition_config_selectorILNS1_17partition_subalgoE8EdNS0_10empty_typeEbEEZZNS1_14partition_implILS5_8ELb0ES3_jPKdPS6_PKS6_NS0_5tupleIJPdS6_EEENSE_IJSB_SB_EEENS0_18inequality_wrapperIN6hipcub16HIPCUB_304000_NS8EqualityEEEPlJS6_EEE10hipError_tPvRmT3_T4_T5_T6_T7_T9_mT8_P12ihipStream_tbDpT10_ENKUlT_T0_E_clISt17integral_constantIbLb0EES17_EEDaS12_S13_EUlS12_E_NS1_11comp_targetILNS1_3genE2ELNS1_11target_archE906ELNS1_3gpuE6ELNS1_3repE0EEENS1_30default_config_static_selectorELNS0_4arch9wavefront6targetE0EEEvT1_
	.globl	_ZN7rocprim17ROCPRIM_400000_NS6detail17trampoline_kernelINS0_14default_configENS1_25partition_config_selectorILNS1_17partition_subalgoE8EdNS0_10empty_typeEbEEZZNS1_14partition_implILS5_8ELb0ES3_jPKdPS6_PKS6_NS0_5tupleIJPdS6_EEENSE_IJSB_SB_EEENS0_18inequality_wrapperIN6hipcub16HIPCUB_304000_NS8EqualityEEEPlJS6_EEE10hipError_tPvRmT3_T4_T5_T6_T7_T9_mT8_P12ihipStream_tbDpT10_ENKUlT_T0_E_clISt17integral_constantIbLb0EES17_EEDaS12_S13_EUlS12_E_NS1_11comp_targetILNS1_3genE2ELNS1_11target_archE906ELNS1_3gpuE6ELNS1_3repE0EEENS1_30default_config_static_selectorELNS0_4arch9wavefront6targetE0EEEvT1_
	.p2align	8
	.type	_ZN7rocprim17ROCPRIM_400000_NS6detail17trampoline_kernelINS0_14default_configENS1_25partition_config_selectorILNS1_17partition_subalgoE8EdNS0_10empty_typeEbEEZZNS1_14partition_implILS5_8ELb0ES3_jPKdPS6_PKS6_NS0_5tupleIJPdS6_EEENSE_IJSB_SB_EEENS0_18inequality_wrapperIN6hipcub16HIPCUB_304000_NS8EqualityEEEPlJS6_EEE10hipError_tPvRmT3_T4_T5_T6_T7_T9_mT8_P12ihipStream_tbDpT10_ENKUlT_T0_E_clISt17integral_constantIbLb0EES17_EEDaS12_S13_EUlS12_E_NS1_11comp_targetILNS1_3genE2ELNS1_11target_archE906ELNS1_3gpuE6ELNS1_3repE0EEENS1_30default_config_static_selectorELNS0_4arch9wavefront6targetE0EEEvT1_,@function
_ZN7rocprim17ROCPRIM_400000_NS6detail17trampoline_kernelINS0_14default_configENS1_25partition_config_selectorILNS1_17partition_subalgoE8EdNS0_10empty_typeEbEEZZNS1_14partition_implILS5_8ELb0ES3_jPKdPS6_PKS6_NS0_5tupleIJPdS6_EEENSE_IJSB_SB_EEENS0_18inequality_wrapperIN6hipcub16HIPCUB_304000_NS8EqualityEEEPlJS6_EEE10hipError_tPvRmT3_T4_T5_T6_T7_T9_mT8_P12ihipStream_tbDpT10_ENKUlT_T0_E_clISt17integral_constantIbLb0EES17_EEDaS12_S13_EUlS12_E_NS1_11comp_targetILNS1_3genE2ELNS1_11target_archE906ELNS1_3gpuE6ELNS1_3repE0EEENS1_30default_config_static_selectorELNS0_4arch9wavefront6targetE0EEEvT1_: ; @_ZN7rocprim17ROCPRIM_400000_NS6detail17trampoline_kernelINS0_14default_configENS1_25partition_config_selectorILNS1_17partition_subalgoE8EdNS0_10empty_typeEbEEZZNS1_14partition_implILS5_8ELb0ES3_jPKdPS6_PKS6_NS0_5tupleIJPdS6_EEENSE_IJSB_SB_EEENS0_18inequality_wrapperIN6hipcub16HIPCUB_304000_NS8EqualityEEEPlJS6_EEE10hipError_tPvRmT3_T4_T5_T6_T7_T9_mT8_P12ihipStream_tbDpT10_ENKUlT_T0_E_clISt17integral_constantIbLb0EES17_EEDaS12_S13_EUlS12_E_NS1_11comp_targetILNS1_3genE2ELNS1_11target_archE906ELNS1_3gpuE6ELNS1_3repE0EEENS1_30default_config_static_selectorELNS0_4arch9wavefront6targetE0EEEvT1_
; %bb.0:
	.section	.rodata,"a",@progbits
	.p2align	6, 0x0
	.amdhsa_kernel _ZN7rocprim17ROCPRIM_400000_NS6detail17trampoline_kernelINS0_14default_configENS1_25partition_config_selectorILNS1_17partition_subalgoE8EdNS0_10empty_typeEbEEZZNS1_14partition_implILS5_8ELb0ES3_jPKdPS6_PKS6_NS0_5tupleIJPdS6_EEENSE_IJSB_SB_EEENS0_18inequality_wrapperIN6hipcub16HIPCUB_304000_NS8EqualityEEEPlJS6_EEE10hipError_tPvRmT3_T4_T5_T6_T7_T9_mT8_P12ihipStream_tbDpT10_ENKUlT_T0_E_clISt17integral_constantIbLb0EES17_EEDaS12_S13_EUlS12_E_NS1_11comp_targetILNS1_3genE2ELNS1_11target_archE906ELNS1_3gpuE6ELNS1_3repE0EEENS1_30default_config_static_selectorELNS0_4arch9wavefront6targetE0EEEvT1_
		.amdhsa_group_segment_fixed_size 0
		.amdhsa_private_segment_fixed_size 0
		.amdhsa_kernarg_size 112
		.amdhsa_user_sgpr_count 2
		.amdhsa_user_sgpr_dispatch_ptr 0
		.amdhsa_user_sgpr_queue_ptr 0
		.amdhsa_user_sgpr_kernarg_segment_ptr 1
		.amdhsa_user_sgpr_dispatch_id 0
		.amdhsa_user_sgpr_kernarg_preload_length 0
		.amdhsa_user_sgpr_kernarg_preload_offset 0
		.amdhsa_user_sgpr_private_segment_size 0
		.amdhsa_wavefront_size32 1
		.amdhsa_uses_dynamic_stack 0
		.amdhsa_enable_private_segment 0
		.amdhsa_system_sgpr_workgroup_id_x 1
		.amdhsa_system_sgpr_workgroup_id_y 0
		.amdhsa_system_sgpr_workgroup_id_z 0
		.amdhsa_system_sgpr_workgroup_info 0
		.amdhsa_system_vgpr_workitem_id 0
		.amdhsa_next_free_vgpr 1
		.amdhsa_next_free_sgpr 1
		.amdhsa_named_barrier_count 0
		.amdhsa_reserve_vcc 0
		.amdhsa_float_round_mode_32 0
		.amdhsa_float_round_mode_16_64 0
		.amdhsa_float_denorm_mode_32 3
		.amdhsa_float_denorm_mode_16_64 3
		.amdhsa_fp16_overflow 0
		.amdhsa_memory_ordered 1
		.amdhsa_forward_progress 1
		.amdhsa_inst_pref_size 0
		.amdhsa_round_robin_scheduling 0
		.amdhsa_exception_fp_ieee_invalid_op 0
		.amdhsa_exception_fp_denorm_src 0
		.amdhsa_exception_fp_ieee_div_zero 0
		.amdhsa_exception_fp_ieee_overflow 0
		.amdhsa_exception_fp_ieee_underflow 0
		.amdhsa_exception_fp_ieee_inexact 0
		.amdhsa_exception_int_div_zero 0
	.end_amdhsa_kernel
	.section	.text._ZN7rocprim17ROCPRIM_400000_NS6detail17trampoline_kernelINS0_14default_configENS1_25partition_config_selectorILNS1_17partition_subalgoE8EdNS0_10empty_typeEbEEZZNS1_14partition_implILS5_8ELb0ES3_jPKdPS6_PKS6_NS0_5tupleIJPdS6_EEENSE_IJSB_SB_EEENS0_18inequality_wrapperIN6hipcub16HIPCUB_304000_NS8EqualityEEEPlJS6_EEE10hipError_tPvRmT3_T4_T5_T6_T7_T9_mT8_P12ihipStream_tbDpT10_ENKUlT_T0_E_clISt17integral_constantIbLb0EES17_EEDaS12_S13_EUlS12_E_NS1_11comp_targetILNS1_3genE2ELNS1_11target_archE906ELNS1_3gpuE6ELNS1_3repE0EEENS1_30default_config_static_selectorELNS0_4arch9wavefront6targetE0EEEvT1_,"axG",@progbits,_ZN7rocprim17ROCPRIM_400000_NS6detail17trampoline_kernelINS0_14default_configENS1_25partition_config_selectorILNS1_17partition_subalgoE8EdNS0_10empty_typeEbEEZZNS1_14partition_implILS5_8ELb0ES3_jPKdPS6_PKS6_NS0_5tupleIJPdS6_EEENSE_IJSB_SB_EEENS0_18inequality_wrapperIN6hipcub16HIPCUB_304000_NS8EqualityEEEPlJS6_EEE10hipError_tPvRmT3_T4_T5_T6_T7_T9_mT8_P12ihipStream_tbDpT10_ENKUlT_T0_E_clISt17integral_constantIbLb0EES17_EEDaS12_S13_EUlS12_E_NS1_11comp_targetILNS1_3genE2ELNS1_11target_archE906ELNS1_3gpuE6ELNS1_3repE0EEENS1_30default_config_static_selectorELNS0_4arch9wavefront6targetE0EEEvT1_,comdat
.Lfunc_end276:
	.size	_ZN7rocprim17ROCPRIM_400000_NS6detail17trampoline_kernelINS0_14default_configENS1_25partition_config_selectorILNS1_17partition_subalgoE8EdNS0_10empty_typeEbEEZZNS1_14partition_implILS5_8ELb0ES3_jPKdPS6_PKS6_NS0_5tupleIJPdS6_EEENSE_IJSB_SB_EEENS0_18inequality_wrapperIN6hipcub16HIPCUB_304000_NS8EqualityEEEPlJS6_EEE10hipError_tPvRmT3_T4_T5_T6_T7_T9_mT8_P12ihipStream_tbDpT10_ENKUlT_T0_E_clISt17integral_constantIbLb0EES17_EEDaS12_S13_EUlS12_E_NS1_11comp_targetILNS1_3genE2ELNS1_11target_archE906ELNS1_3gpuE6ELNS1_3repE0EEENS1_30default_config_static_selectorELNS0_4arch9wavefront6targetE0EEEvT1_, .Lfunc_end276-_ZN7rocprim17ROCPRIM_400000_NS6detail17trampoline_kernelINS0_14default_configENS1_25partition_config_selectorILNS1_17partition_subalgoE8EdNS0_10empty_typeEbEEZZNS1_14partition_implILS5_8ELb0ES3_jPKdPS6_PKS6_NS0_5tupleIJPdS6_EEENSE_IJSB_SB_EEENS0_18inequality_wrapperIN6hipcub16HIPCUB_304000_NS8EqualityEEEPlJS6_EEE10hipError_tPvRmT3_T4_T5_T6_T7_T9_mT8_P12ihipStream_tbDpT10_ENKUlT_T0_E_clISt17integral_constantIbLb0EES17_EEDaS12_S13_EUlS12_E_NS1_11comp_targetILNS1_3genE2ELNS1_11target_archE906ELNS1_3gpuE6ELNS1_3repE0EEENS1_30default_config_static_selectorELNS0_4arch9wavefront6targetE0EEEvT1_
                                        ; -- End function
	.set _ZN7rocprim17ROCPRIM_400000_NS6detail17trampoline_kernelINS0_14default_configENS1_25partition_config_selectorILNS1_17partition_subalgoE8EdNS0_10empty_typeEbEEZZNS1_14partition_implILS5_8ELb0ES3_jPKdPS6_PKS6_NS0_5tupleIJPdS6_EEENSE_IJSB_SB_EEENS0_18inequality_wrapperIN6hipcub16HIPCUB_304000_NS8EqualityEEEPlJS6_EEE10hipError_tPvRmT3_T4_T5_T6_T7_T9_mT8_P12ihipStream_tbDpT10_ENKUlT_T0_E_clISt17integral_constantIbLb0EES17_EEDaS12_S13_EUlS12_E_NS1_11comp_targetILNS1_3genE2ELNS1_11target_archE906ELNS1_3gpuE6ELNS1_3repE0EEENS1_30default_config_static_selectorELNS0_4arch9wavefront6targetE0EEEvT1_.num_vgpr, 0
	.set _ZN7rocprim17ROCPRIM_400000_NS6detail17trampoline_kernelINS0_14default_configENS1_25partition_config_selectorILNS1_17partition_subalgoE8EdNS0_10empty_typeEbEEZZNS1_14partition_implILS5_8ELb0ES3_jPKdPS6_PKS6_NS0_5tupleIJPdS6_EEENSE_IJSB_SB_EEENS0_18inequality_wrapperIN6hipcub16HIPCUB_304000_NS8EqualityEEEPlJS6_EEE10hipError_tPvRmT3_T4_T5_T6_T7_T9_mT8_P12ihipStream_tbDpT10_ENKUlT_T0_E_clISt17integral_constantIbLb0EES17_EEDaS12_S13_EUlS12_E_NS1_11comp_targetILNS1_3genE2ELNS1_11target_archE906ELNS1_3gpuE6ELNS1_3repE0EEENS1_30default_config_static_selectorELNS0_4arch9wavefront6targetE0EEEvT1_.num_agpr, 0
	.set _ZN7rocprim17ROCPRIM_400000_NS6detail17trampoline_kernelINS0_14default_configENS1_25partition_config_selectorILNS1_17partition_subalgoE8EdNS0_10empty_typeEbEEZZNS1_14partition_implILS5_8ELb0ES3_jPKdPS6_PKS6_NS0_5tupleIJPdS6_EEENSE_IJSB_SB_EEENS0_18inequality_wrapperIN6hipcub16HIPCUB_304000_NS8EqualityEEEPlJS6_EEE10hipError_tPvRmT3_T4_T5_T6_T7_T9_mT8_P12ihipStream_tbDpT10_ENKUlT_T0_E_clISt17integral_constantIbLb0EES17_EEDaS12_S13_EUlS12_E_NS1_11comp_targetILNS1_3genE2ELNS1_11target_archE906ELNS1_3gpuE6ELNS1_3repE0EEENS1_30default_config_static_selectorELNS0_4arch9wavefront6targetE0EEEvT1_.numbered_sgpr, 0
	.set _ZN7rocprim17ROCPRIM_400000_NS6detail17trampoline_kernelINS0_14default_configENS1_25partition_config_selectorILNS1_17partition_subalgoE8EdNS0_10empty_typeEbEEZZNS1_14partition_implILS5_8ELb0ES3_jPKdPS6_PKS6_NS0_5tupleIJPdS6_EEENSE_IJSB_SB_EEENS0_18inequality_wrapperIN6hipcub16HIPCUB_304000_NS8EqualityEEEPlJS6_EEE10hipError_tPvRmT3_T4_T5_T6_T7_T9_mT8_P12ihipStream_tbDpT10_ENKUlT_T0_E_clISt17integral_constantIbLb0EES17_EEDaS12_S13_EUlS12_E_NS1_11comp_targetILNS1_3genE2ELNS1_11target_archE906ELNS1_3gpuE6ELNS1_3repE0EEENS1_30default_config_static_selectorELNS0_4arch9wavefront6targetE0EEEvT1_.num_named_barrier, 0
	.set _ZN7rocprim17ROCPRIM_400000_NS6detail17trampoline_kernelINS0_14default_configENS1_25partition_config_selectorILNS1_17partition_subalgoE8EdNS0_10empty_typeEbEEZZNS1_14partition_implILS5_8ELb0ES3_jPKdPS6_PKS6_NS0_5tupleIJPdS6_EEENSE_IJSB_SB_EEENS0_18inequality_wrapperIN6hipcub16HIPCUB_304000_NS8EqualityEEEPlJS6_EEE10hipError_tPvRmT3_T4_T5_T6_T7_T9_mT8_P12ihipStream_tbDpT10_ENKUlT_T0_E_clISt17integral_constantIbLb0EES17_EEDaS12_S13_EUlS12_E_NS1_11comp_targetILNS1_3genE2ELNS1_11target_archE906ELNS1_3gpuE6ELNS1_3repE0EEENS1_30default_config_static_selectorELNS0_4arch9wavefront6targetE0EEEvT1_.private_seg_size, 0
	.set _ZN7rocprim17ROCPRIM_400000_NS6detail17trampoline_kernelINS0_14default_configENS1_25partition_config_selectorILNS1_17partition_subalgoE8EdNS0_10empty_typeEbEEZZNS1_14partition_implILS5_8ELb0ES3_jPKdPS6_PKS6_NS0_5tupleIJPdS6_EEENSE_IJSB_SB_EEENS0_18inequality_wrapperIN6hipcub16HIPCUB_304000_NS8EqualityEEEPlJS6_EEE10hipError_tPvRmT3_T4_T5_T6_T7_T9_mT8_P12ihipStream_tbDpT10_ENKUlT_T0_E_clISt17integral_constantIbLb0EES17_EEDaS12_S13_EUlS12_E_NS1_11comp_targetILNS1_3genE2ELNS1_11target_archE906ELNS1_3gpuE6ELNS1_3repE0EEENS1_30default_config_static_selectorELNS0_4arch9wavefront6targetE0EEEvT1_.uses_vcc, 0
	.set _ZN7rocprim17ROCPRIM_400000_NS6detail17trampoline_kernelINS0_14default_configENS1_25partition_config_selectorILNS1_17partition_subalgoE8EdNS0_10empty_typeEbEEZZNS1_14partition_implILS5_8ELb0ES3_jPKdPS6_PKS6_NS0_5tupleIJPdS6_EEENSE_IJSB_SB_EEENS0_18inequality_wrapperIN6hipcub16HIPCUB_304000_NS8EqualityEEEPlJS6_EEE10hipError_tPvRmT3_T4_T5_T6_T7_T9_mT8_P12ihipStream_tbDpT10_ENKUlT_T0_E_clISt17integral_constantIbLb0EES17_EEDaS12_S13_EUlS12_E_NS1_11comp_targetILNS1_3genE2ELNS1_11target_archE906ELNS1_3gpuE6ELNS1_3repE0EEENS1_30default_config_static_selectorELNS0_4arch9wavefront6targetE0EEEvT1_.uses_flat_scratch, 0
	.set _ZN7rocprim17ROCPRIM_400000_NS6detail17trampoline_kernelINS0_14default_configENS1_25partition_config_selectorILNS1_17partition_subalgoE8EdNS0_10empty_typeEbEEZZNS1_14partition_implILS5_8ELb0ES3_jPKdPS6_PKS6_NS0_5tupleIJPdS6_EEENSE_IJSB_SB_EEENS0_18inequality_wrapperIN6hipcub16HIPCUB_304000_NS8EqualityEEEPlJS6_EEE10hipError_tPvRmT3_T4_T5_T6_T7_T9_mT8_P12ihipStream_tbDpT10_ENKUlT_T0_E_clISt17integral_constantIbLb0EES17_EEDaS12_S13_EUlS12_E_NS1_11comp_targetILNS1_3genE2ELNS1_11target_archE906ELNS1_3gpuE6ELNS1_3repE0EEENS1_30default_config_static_selectorELNS0_4arch9wavefront6targetE0EEEvT1_.has_dyn_sized_stack, 0
	.set _ZN7rocprim17ROCPRIM_400000_NS6detail17trampoline_kernelINS0_14default_configENS1_25partition_config_selectorILNS1_17partition_subalgoE8EdNS0_10empty_typeEbEEZZNS1_14partition_implILS5_8ELb0ES3_jPKdPS6_PKS6_NS0_5tupleIJPdS6_EEENSE_IJSB_SB_EEENS0_18inequality_wrapperIN6hipcub16HIPCUB_304000_NS8EqualityEEEPlJS6_EEE10hipError_tPvRmT3_T4_T5_T6_T7_T9_mT8_P12ihipStream_tbDpT10_ENKUlT_T0_E_clISt17integral_constantIbLb0EES17_EEDaS12_S13_EUlS12_E_NS1_11comp_targetILNS1_3genE2ELNS1_11target_archE906ELNS1_3gpuE6ELNS1_3repE0EEENS1_30default_config_static_selectorELNS0_4arch9wavefront6targetE0EEEvT1_.has_recursion, 0
	.set _ZN7rocprim17ROCPRIM_400000_NS6detail17trampoline_kernelINS0_14default_configENS1_25partition_config_selectorILNS1_17partition_subalgoE8EdNS0_10empty_typeEbEEZZNS1_14partition_implILS5_8ELb0ES3_jPKdPS6_PKS6_NS0_5tupleIJPdS6_EEENSE_IJSB_SB_EEENS0_18inequality_wrapperIN6hipcub16HIPCUB_304000_NS8EqualityEEEPlJS6_EEE10hipError_tPvRmT3_T4_T5_T6_T7_T9_mT8_P12ihipStream_tbDpT10_ENKUlT_T0_E_clISt17integral_constantIbLb0EES17_EEDaS12_S13_EUlS12_E_NS1_11comp_targetILNS1_3genE2ELNS1_11target_archE906ELNS1_3gpuE6ELNS1_3repE0EEENS1_30default_config_static_selectorELNS0_4arch9wavefront6targetE0EEEvT1_.has_indirect_call, 0
	.section	.AMDGPU.csdata,"",@progbits
; Kernel info:
; codeLenInByte = 0
; TotalNumSgprs: 0
; NumVgprs: 0
; ScratchSize: 0
; MemoryBound: 0
; FloatMode: 240
; IeeeMode: 1
; LDSByteSize: 0 bytes/workgroup (compile time only)
; SGPRBlocks: 0
; VGPRBlocks: 0
; NumSGPRsForWavesPerEU: 1
; NumVGPRsForWavesPerEU: 1
; NamedBarCnt: 0
; Occupancy: 16
; WaveLimiterHint : 0
; COMPUTE_PGM_RSRC2:SCRATCH_EN: 0
; COMPUTE_PGM_RSRC2:USER_SGPR: 2
; COMPUTE_PGM_RSRC2:TRAP_HANDLER: 0
; COMPUTE_PGM_RSRC2:TGID_X_EN: 1
; COMPUTE_PGM_RSRC2:TGID_Y_EN: 0
; COMPUTE_PGM_RSRC2:TGID_Z_EN: 0
; COMPUTE_PGM_RSRC2:TIDIG_COMP_CNT: 0
	.section	.text._ZN7rocprim17ROCPRIM_400000_NS6detail17trampoline_kernelINS0_14default_configENS1_25partition_config_selectorILNS1_17partition_subalgoE8EdNS0_10empty_typeEbEEZZNS1_14partition_implILS5_8ELb0ES3_jPKdPS6_PKS6_NS0_5tupleIJPdS6_EEENSE_IJSB_SB_EEENS0_18inequality_wrapperIN6hipcub16HIPCUB_304000_NS8EqualityEEEPlJS6_EEE10hipError_tPvRmT3_T4_T5_T6_T7_T9_mT8_P12ihipStream_tbDpT10_ENKUlT_T0_E_clISt17integral_constantIbLb0EES17_EEDaS12_S13_EUlS12_E_NS1_11comp_targetILNS1_3genE10ELNS1_11target_archE1200ELNS1_3gpuE4ELNS1_3repE0EEENS1_30default_config_static_selectorELNS0_4arch9wavefront6targetE0EEEvT1_,"axG",@progbits,_ZN7rocprim17ROCPRIM_400000_NS6detail17trampoline_kernelINS0_14default_configENS1_25partition_config_selectorILNS1_17partition_subalgoE8EdNS0_10empty_typeEbEEZZNS1_14partition_implILS5_8ELb0ES3_jPKdPS6_PKS6_NS0_5tupleIJPdS6_EEENSE_IJSB_SB_EEENS0_18inequality_wrapperIN6hipcub16HIPCUB_304000_NS8EqualityEEEPlJS6_EEE10hipError_tPvRmT3_T4_T5_T6_T7_T9_mT8_P12ihipStream_tbDpT10_ENKUlT_T0_E_clISt17integral_constantIbLb0EES17_EEDaS12_S13_EUlS12_E_NS1_11comp_targetILNS1_3genE10ELNS1_11target_archE1200ELNS1_3gpuE4ELNS1_3repE0EEENS1_30default_config_static_selectorELNS0_4arch9wavefront6targetE0EEEvT1_,comdat
	.protected	_ZN7rocprim17ROCPRIM_400000_NS6detail17trampoline_kernelINS0_14default_configENS1_25partition_config_selectorILNS1_17partition_subalgoE8EdNS0_10empty_typeEbEEZZNS1_14partition_implILS5_8ELb0ES3_jPKdPS6_PKS6_NS0_5tupleIJPdS6_EEENSE_IJSB_SB_EEENS0_18inequality_wrapperIN6hipcub16HIPCUB_304000_NS8EqualityEEEPlJS6_EEE10hipError_tPvRmT3_T4_T5_T6_T7_T9_mT8_P12ihipStream_tbDpT10_ENKUlT_T0_E_clISt17integral_constantIbLb0EES17_EEDaS12_S13_EUlS12_E_NS1_11comp_targetILNS1_3genE10ELNS1_11target_archE1200ELNS1_3gpuE4ELNS1_3repE0EEENS1_30default_config_static_selectorELNS0_4arch9wavefront6targetE0EEEvT1_ ; -- Begin function _ZN7rocprim17ROCPRIM_400000_NS6detail17trampoline_kernelINS0_14default_configENS1_25partition_config_selectorILNS1_17partition_subalgoE8EdNS0_10empty_typeEbEEZZNS1_14partition_implILS5_8ELb0ES3_jPKdPS6_PKS6_NS0_5tupleIJPdS6_EEENSE_IJSB_SB_EEENS0_18inequality_wrapperIN6hipcub16HIPCUB_304000_NS8EqualityEEEPlJS6_EEE10hipError_tPvRmT3_T4_T5_T6_T7_T9_mT8_P12ihipStream_tbDpT10_ENKUlT_T0_E_clISt17integral_constantIbLb0EES17_EEDaS12_S13_EUlS12_E_NS1_11comp_targetILNS1_3genE10ELNS1_11target_archE1200ELNS1_3gpuE4ELNS1_3repE0EEENS1_30default_config_static_selectorELNS0_4arch9wavefront6targetE0EEEvT1_
	.globl	_ZN7rocprim17ROCPRIM_400000_NS6detail17trampoline_kernelINS0_14default_configENS1_25partition_config_selectorILNS1_17partition_subalgoE8EdNS0_10empty_typeEbEEZZNS1_14partition_implILS5_8ELb0ES3_jPKdPS6_PKS6_NS0_5tupleIJPdS6_EEENSE_IJSB_SB_EEENS0_18inequality_wrapperIN6hipcub16HIPCUB_304000_NS8EqualityEEEPlJS6_EEE10hipError_tPvRmT3_T4_T5_T6_T7_T9_mT8_P12ihipStream_tbDpT10_ENKUlT_T0_E_clISt17integral_constantIbLb0EES17_EEDaS12_S13_EUlS12_E_NS1_11comp_targetILNS1_3genE10ELNS1_11target_archE1200ELNS1_3gpuE4ELNS1_3repE0EEENS1_30default_config_static_selectorELNS0_4arch9wavefront6targetE0EEEvT1_
	.p2align	8
	.type	_ZN7rocprim17ROCPRIM_400000_NS6detail17trampoline_kernelINS0_14default_configENS1_25partition_config_selectorILNS1_17partition_subalgoE8EdNS0_10empty_typeEbEEZZNS1_14partition_implILS5_8ELb0ES3_jPKdPS6_PKS6_NS0_5tupleIJPdS6_EEENSE_IJSB_SB_EEENS0_18inequality_wrapperIN6hipcub16HIPCUB_304000_NS8EqualityEEEPlJS6_EEE10hipError_tPvRmT3_T4_T5_T6_T7_T9_mT8_P12ihipStream_tbDpT10_ENKUlT_T0_E_clISt17integral_constantIbLb0EES17_EEDaS12_S13_EUlS12_E_NS1_11comp_targetILNS1_3genE10ELNS1_11target_archE1200ELNS1_3gpuE4ELNS1_3repE0EEENS1_30default_config_static_selectorELNS0_4arch9wavefront6targetE0EEEvT1_,@function
_ZN7rocprim17ROCPRIM_400000_NS6detail17trampoline_kernelINS0_14default_configENS1_25partition_config_selectorILNS1_17partition_subalgoE8EdNS0_10empty_typeEbEEZZNS1_14partition_implILS5_8ELb0ES3_jPKdPS6_PKS6_NS0_5tupleIJPdS6_EEENSE_IJSB_SB_EEENS0_18inequality_wrapperIN6hipcub16HIPCUB_304000_NS8EqualityEEEPlJS6_EEE10hipError_tPvRmT3_T4_T5_T6_T7_T9_mT8_P12ihipStream_tbDpT10_ENKUlT_T0_E_clISt17integral_constantIbLb0EES17_EEDaS12_S13_EUlS12_E_NS1_11comp_targetILNS1_3genE10ELNS1_11target_archE1200ELNS1_3gpuE4ELNS1_3repE0EEENS1_30default_config_static_selectorELNS0_4arch9wavefront6targetE0EEEvT1_: ; @_ZN7rocprim17ROCPRIM_400000_NS6detail17trampoline_kernelINS0_14default_configENS1_25partition_config_selectorILNS1_17partition_subalgoE8EdNS0_10empty_typeEbEEZZNS1_14partition_implILS5_8ELb0ES3_jPKdPS6_PKS6_NS0_5tupleIJPdS6_EEENSE_IJSB_SB_EEENS0_18inequality_wrapperIN6hipcub16HIPCUB_304000_NS8EqualityEEEPlJS6_EEE10hipError_tPvRmT3_T4_T5_T6_T7_T9_mT8_P12ihipStream_tbDpT10_ENKUlT_T0_E_clISt17integral_constantIbLb0EES17_EEDaS12_S13_EUlS12_E_NS1_11comp_targetILNS1_3genE10ELNS1_11target_archE1200ELNS1_3gpuE4ELNS1_3repE0EEENS1_30default_config_static_selectorELNS0_4arch9wavefront6targetE0EEEvT1_
; %bb.0:
	.section	.rodata,"a",@progbits
	.p2align	6, 0x0
	.amdhsa_kernel _ZN7rocprim17ROCPRIM_400000_NS6detail17trampoline_kernelINS0_14default_configENS1_25partition_config_selectorILNS1_17partition_subalgoE8EdNS0_10empty_typeEbEEZZNS1_14partition_implILS5_8ELb0ES3_jPKdPS6_PKS6_NS0_5tupleIJPdS6_EEENSE_IJSB_SB_EEENS0_18inequality_wrapperIN6hipcub16HIPCUB_304000_NS8EqualityEEEPlJS6_EEE10hipError_tPvRmT3_T4_T5_T6_T7_T9_mT8_P12ihipStream_tbDpT10_ENKUlT_T0_E_clISt17integral_constantIbLb0EES17_EEDaS12_S13_EUlS12_E_NS1_11comp_targetILNS1_3genE10ELNS1_11target_archE1200ELNS1_3gpuE4ELNS1_3repE0EEENS1_30default_config_static_selectorELNS0_4arch9wavefront6targetE0EEEvT1_
		.amdhsa_group_segment_fixed_size 0
		.amdhsa_private_segment_fixed_size 0
		.amdhsa_kernarg_size 112
		.amdhsa_user_sgpr_count 2
		.amdhsa_user_sgpr_dispatch_ptr 0
		.amdhsa_user_sgpr_queue_ptr 0
		.amdhsa_user_sgpr_kernarg_segment_ptr 1
		.amdhsa_user_sgpr_dispatch_id 0
		.amdhsa_user_sgpr_kernarg_preload_length 0
		.amdhsa_user_sgpr_kernarg_preload_offset 0
		.amdhsa_user_sgpr_private_segment_size 0
		.amdhsa_wavefront_size32 1
		.amdhsa_uses_dynamic_stack 0
		.amdhsa_enable_private_segment 0
		.amdhsa_system_sgpr_workgroup_id_x 1
		.amdhsa_system_sgpr_workgroup_id_y 0
		.amdhsa_system_sgpr_workgroup_id_z 0
		.amdhsa_system_sgpr_workgroup_info 0
		.amdhsa_system_vgpr_workitem_id 0
		.amdhsa_next_free_vgpr 1
		.amdhsa_next_free_sgpr 1
		.amdhsa_named_barrier_count 0
		.amdhsa_reserve_vcc 0
		.amdhsa_float_round_mode_32 0
		.amdhsa_float_round_mode_16_64 0
		.amdhsa_float_denorm_mode_32 3
		.amdhsa_float_denorm_mode_16_64 3
		.amdhsa_fp16_overflow 0
		.amdhsa_memory_ordered 1
		.amdhsa_forward_progress 1
		.amdhsa_inst_pref_size 0
		.amdhsa_round_robin_scheduling 0
		.amdhsa_exception_fp_ieee_invalid_op 0
		.amdhsa_exception_fp_denorm_src 0
		.amdhsa_exception_fp_ieee_div_zero 0
		.amdhsa_exception_fp_ieee_overflow 0
		.amdhsa_exception_fp_ieee_underflow 0
		.amdhsa_exception_fp_ieee_inexact 0
		.amdhsa_exception_int_div_zero 0
	.end_amdhsa_kernel
	.section	.text._ZN7rocprim17ROCPRIM_400000_NS6detail17trampoline_kernelINS0_14default_configENS1_25partition_config_selectorILNS1_17partition_subalgoE8EdNS0_10empty_typeEbEEZZNS1_14partition_implILS5_8ELb0ES3_jPKdPS6_PKS6_NS0_5tupleIJPdS6_EEENSE_IJSB_SB_EEENS0_18inequality_wrapperIN6hipcub16HIPCUB_304000_NS8EqualityEEEPlJS6_EEE10hipError_tPvRmT3_T4_T5_T6_T7_T9_mT8_P12ihipStream_tbDpT10_ENKUlT_T0_E_clISt17integral_constantIbLb0EES17_EEDaS12_S13_EUlS12_E_NS1_11comp_targetILNS1_3genE10ELNS1_11target_archE1200ELNS1_3gpuE4ELNS1_3repE0EEENS1_30default_config_static_selectorELNS0_4arch9wavefront6targetE0EEEvT1_,"axG",@progbits,_ZN7rocprim17ROCPRIM_400000_NS6detail17trampoline_kernelINS0_14default_configENS1_25partition_config_selectorILNS1_17partition_subalgoE8EdNS0_10empty_typeEbEEZZNS1_14partition_implILS5_8ELb0ES3_jPKdPS6_PKS6_NS0_5tupleIJPdS6_EEENSE_IJSB_SB_EEENS0_18inequality_wrapperIN6hipcub16HIPCUB_304000_NS8EqualityEEEPlJS6_EEE10hipError_tPvRmT3_T4_T5_T6_T7_T9_mT8_P12ihipStream_tbDpT10_ENKUlT_T0_E_clISt17integral_constantIbLb0EES17_EEDaS12_S13_EUlS12_E_NS1_11comp_targetILNS1_3genE10ELNS1_11target_archE1200ELNS1_3gpuE4ELNS1_3repE0EEENS1_30default_config_static_selectorELNS0_4arch9wavefront6targetE0EEEvT1_,comdat
.Lfunc_end277:
	.size	_ZN7rocprim17ROCPRIM_400000_NS6detail17trampoline_kernelINS0_14default_configENS1_25partition_config_selectorILNS1_17partition_subalgoE8EdNS0_10empty_typeEbEEZZNS1_14partition_implILS5_8ELb0ES3_jPKdPS6_PKS6_NS0_5tupleIJPdS6_EEENSE_IJSB_SB_EEENS0_18inequality_wrapperIN6hipcub16HIPCUB_304000_NS8EqualityEEEPlJS6_EEE10hipError_tPvRmT3_T4_T5_T6_T7_T9_mT8_P12ihipStream_tbDpT10_ENKUlT_T0_E_clISt17integral_constantIbLb0EES17_EEDaS12_S13_EUlS12_E_NS1_11comp_targetILNS1_3genE10ELNS1_11target_archE1200ELNS1_3gpuE4ELNS1_3repE0EEENS1_30default_config_static_selectorELNS0_4arch9wavefront6targetE0EEEvT1_, .Lfunc_end277-_ZN7rocprim17ROCPRIM_400000_NS6detail17trampoline_kernelINS0_14default_configENS1_25partition_config_selectorILNS1_17partition_subalgoE8EdNS0_10empty_typeEbEEZZNS1_14partition_implILS5_8ELb0ES3_jPKdPS6_PKS6_NS0_5tupleIJPdS6_EEENSE_IJSB_SB_EEENS0_18inequality_wrapperIN6hipcub16HIPCUB_304000_NS8EqualityEEEPlJS6_EEE10hipError_tPvRmT3_T4_T5_T6_T7_T9_mT8_P12ihipStream_tbDpT10_ENKUlT_T0_E_clISt17integral_constantIbLb0EES17_EEDaS12_S13_EUlS12_E_NS1_11comp_targetILNS1_3genE10ELNS1_11target_archE1200ELNS1_3gpuE4ELNS1_3repE0EEENS1_30default_config_static_selectorELNS0_4arch9wavefront6targetE0EEEvT1_
                                        ; -- End function
	.set _ZN7rocprim17ROCPRIM_400000_NS6detail17trampoline_kernelINS0_14default_configENS1_25partition_config_selectorILNS1_17partition_subalgoE8EdNS0_10empty_typeEbEEZZNS1_14partition_implILS5_8ELb0ES3_jPKdPS6_PKS6_NS0_5tupleIJPdS6_EEENSE_IJSB_SB_EEENS0_18inequality_wrapperIN6hipcub16HIPCUB_304000_NS8EqualityEEEPlJS6_EEE10hipError_tPvRmT3_T4_T5_T6_T7_T9_mT8_P12ihipStream_tbDpT10_ENKUlT_T0_E_clISt17integral_constantIbLb0EES17_EEDaS12_S13_EUlS12_E_NS1_11comp_targetILNS1_3genE10ELNS1_11target_archE1200ELNS1_3gpuE4ELNS1_3repE0EEENS1_30default_config_static_selectorELNS0_4arch9wavefront6targetE0EEEvT1_.num_vgpr, 0
	.set _ZN7rocprim17ROCPRIM_400000_NS6detail17trampoline_kernelINS0_14default_configENS1_25partition_config_selectorILNS1_17partition_subalgoE8EdNS0_10empty_typeEbEEZZNS1_14partition_implILS5_8ELb0ES3_jPKdPS6_PKS6_NS0_5tupleIJPdS6_EEENSE_IJSB_SB_EEENS0_18inequality_wrapperIN6hipcub16HIPCUB_304000_NS8EqualityEEEPlJS6_EEE10hipError_tPvRmT3_T4_T5_T6_T7_T9_mT8_P12ihipStream_tbDpT10_ENKUlT_T0_E_clISt17integral_constantIbLb0EES17_EEDaS12_S13_EUlS12_E_NS1_11comp_targetILNS1_3genE10ELNS1_11target_archE1200ELNS1_3gpuE4ELNS1_3repE0EEENS1_30default_config_static_selectorELNS0_4arch9wavefront6targetE0EEEvT1_.num_agpr, 0
	.set _ZN7rocprim17ROCPRIM_400000_NS6detail17trampoline_kernelINS0_14default_configENS1_25partition_config_selectorILNS1_17partition_subalgoE8EdNS0_10empty_typeEbEEZZNS1_14partition_implILS5_8ELb0ES3_jPKdPS6_PKS6_NS0_5tupleIJPdS6_EEENSE_IJSB_SB_EEENS0_18inequality_wrapperIN6hipcub16HIPCUB_304000_NS8EqualityEEEPlJS6_EEE10hipError_tPvRmT3_T4_T5_T6_T7_T9_mT8_P12ihipStream_tbDpT10_ENKUlT_T0_E_clISt17integral_constantIbLb0EES17_EEDaS12_S13_EUlS12_E_NS1_11comp_targetILNS1_3genE10ELNS1_11target_archE1200ELNS1_3gpuE4ELNS1_3repE0EEENS1_30default_config_static_selectorELNS0_4arch9wavefront6targetE0EEEvT1_.numbered_sgpr, 0
	.set _ZN7rocprim17ROCPRIM_400000_NS6detail17trampoline_kernelINS0_14default_configENS1_25partition_config_selectorILNS1_17partition_subalgoE8EdNS0_10empty_typeEbEEZZNS1_14partition_implILS5_8ELb0ES3_jPKdPS6_PKS6_NS0_5tupleIJPdS6_EEENSE_IJSB_SB_EEENS0_18inequality_wrapperIN6hipcub16HIPCUB_304000_NS8EqualityEEEPlJS6_EEE10hipError_tPvRmT3_T4_T5_T6_T7_T9_mT8_P12ihipStream_tbDpT10_ENKUlT_T0_E_clISt17integral_constantIbLb0EES17_EEDaS12_S13_EUlS12_E_NS1_11comp_targetILNS1_3genE10ELNS1_11target_archE1200ELNS1_3gpuE4ELNS1_3repE0EEENS1_30default_config_static_selectorELNS0_4arch9wavefront6targetE0EEEvT1_.num_named_barrier, 0
	.set _ZN7rocprim17ROCPRIM_400000_NS6detail17trampoline_kernelINS0_14default_configENS1_25partition_config_selectorILNS1_17partition_subalgoE8EdNS0_10empty_typeEbEEZZNS1_14partition_implILS5_8ELb0ES3_jPKdPS6_PKS6_NS0_5tupleIJPdS6_EEENSE_IJSB_SB_EEENS0_18inequality_wrapperIN6hipcub16HIPCUB_304000_NS8EqualityEEEPlJS6_EEE10hipError_tPvRmT3_T4_T5_T6_T7_T9_mT8_P12ihipStream_tbDpT10_ENKUlT_T0_E_clISt17integral_constantIbLb0EES17_EEDaS12_S13_EUlS12_E_NS1_11comp_targetILNS1_3genE10ELNS1_11target_archE1200ELNS1_3gpuE4ELNS1_3repE0EEENS1_30default_config_static_selectorELNS0_4arch9wavefront6targetE0EEEvT1_.private_seg_size, 0
	.set _ZN7rocprim17ROCPRIM_400000_NS6detail17trampoline_kernelINS0_14default_configENS1_25partition_config_selectorILNS1_17partition_subalgoE8EdNS0_10empty_typeEbEEZZNS1_14partition_implILS5_8ELb0ES3_jPKdPS6_PKS6_NS0_5tupleIJPdS6_EEENSE_IJSB_SB_EEENS0_18inequality_wrapperIN6hipcub16HIPCUB_304000_NS8EqualityEEEPlJS6_EEE10hipError_tPvRmT3_T4_T5_T6_T7_T9_mT8_P12ihipStream_tbDpT10_ENKUlT_T0_E_clISt17integral_constantIbLb0EES17_EEDaS12_S13_EUlS12_E_NS1_11comp_targetILNS1_3genE10ELNS1_11target_archE1200ELNS1_3gpuE4ELNS1_3repE0EEENS1_30default_config_static_selectorELNS0_4arch9wavefront6targetE0EEEvT1_.uses_vcc, 0
	.set _ZN7rocprim17ROCPRIM_400000_NS6detail17trampoline_kernelINS0_14default_configENS1_25partition_config_selectorILNS1_17partition_subalgoE8EdNS0_10empty_typeEbEEZZNS1_14partition_implILS5_8ELb0ES3_jPKdPS6_PKS6_NS0_5tupleIJPdS6_EEENSE_IJSB_SB_EEENS0_18inequality_wrapperIN6hipcub16HIPCUB_304000_NS8EqualityEEEPlJS6_EEE10hipError_tPvRmT3_T4_T5_T6_T7_T9_mT8_P12ihipStream_tbDpT10_ENKUlT_T0_E_clISt17integral_constantIbLb0EES17_EEDaS12_S13_EUlS12_E_NS1_11comp_targetILNS1_3genE10ELNS1_11target_archE1200ELNS1_3gpuE4ELNS1_3repE0EEENS1_30default_config_static_selectorELNS0_4arch9wavefront6targetE0EEEvT1_.uses_flat_scratch, 0
	.set _ZN7rocprim17ROCPRIM_400000_NS6detail17trampoline_kernelINS0_14default_configENS1_25partition_config_selectorILNS1_17partition_subalgoE8EdNS0_10empty_typeEbEEZZNS1_14partition_implILS5_8ELb0ES3_jPKdPS6_PKS6_NS0_5tupleIJPdS6_EEENSE_IJSB_SB_EEENS0_18inequality_wrapperIN6hipcub16HIPCUB_304000_NS8EqualityEEEPlJS6_EEE10hipError_tPvRmT3_T4_T5_T6_T7_T9_mT8_P12ihipStream_tbDpT10_ENKUlT_T0_E_clISt17integral_constantIbLb0EES17_EEDaS12_S13_EUlS12_E_NS1_11comp_targetILNS1_3genE10ELNS1_11target_archE1200ELNS1_3gpuE4ELNS1_3repE0EEENS1_30default_config_static_selectorELNS0_4arch9wavefront6targetE0EEEvT1_.has_dyn_sized_stack, 0
	.set _ZN7rocprim17ROCPRIM_400000_NS6detail17trampoline_kernelINS0_14default_configENS1_25partition_config_selectorILNS1_17partition_subalgoE8EdNS0_10empty_typeEbEEZZNS1_14partition_implILS5_8ELb0ES3_jPKdPS6_PKS6_NS0_5tupleIJPdS6_EEENSE_IJSB_SB_EEENS0_18inequality_wrapperIN6hipcub16HIPCUB_304000_NS8EqualityEEEPlJS6_EEE10hipError_tPvRmT3_T4_T5_T6_T7_T9_mT8_P12ihipStream_tbDpT10_ENKUlT_T0_E_clISt17integral_constantIbLb0EES17_EEDaS12_S13_EUlS12_E_NS1_11comp_targetILNS1_3genE10ELNS1_11target_archE1200ELNS1_3gpuE4ELNS1_3repE0EEENS1_30default_config_static_selectorELNS0_4arch9wavefront6targetE0EEEvT1_.has_recursion, 0
	.set _ZN7rocprim17ROCPRIM_400000_NS6detail17trampoline_kernelINS0_14default_configENS1_25partition_config_selectorILNS1_17partition_subalgoE8EdNS0_10empty_typeEbEEZZNS1_14partition_implILS5_8ELb0ES3_jPKdPS6_PKS6_NS0_5tupleIJPdS6_EEENSE_IJSB_SB_EEENS0_18inequality_wrapperIN6hipcub16HIPCUB_304000_NS8EqualityEEEPlJS6_EEE10hipError_tPvRmT3_T4_T5_T6_T7_T9_mT8_P12ihipStream_tbDpT10_ENKUlT_T0_E_clISt17integral_constantIbLb0EES17_EEDaS12_S13_EUlS12_E_NS1_11comp_targetILNS1_3genE10ELNS1_11target_archE1200ELNS1_3gpuE4ELNS1_3repE0EEENS1_30default_config_static_selectorELNS0_4arch9wavefront6targetE0EEEvT1_.has_indirect_call, 0
	.section	.AMDGPU.csdata,"",@progbits
; Kernel info:
; codeLenInByte = 0
; TotalNumSgprs: 0
; NumVgprs: 0
; ScratchSize: 0
; MemoryBound: 0
; FloatMode: 240
; IeeeMode: 1
; LDSByteSize: 0 bytes/workgroup (compile time only)
; SGPRBlocks: 0
; VGPRBlocks: 0
; NumSGPRsForWavesPerEU: 1
; NumVGPRsForWavesPerEU: 1
; NamedBarCnt: 0
; Occupancy: 16
; WaveLimiterHint : 0
; COMPUTE_PGM_RSRC2:SCRATCH_EN: 0
; COMPUTE_PGM_RSRC2:USER_SGPR: 2
; COMPUTE_PGM_RSRC2:TRAP_HANDLER: 0
; COMPUTE_PGM_RSRC2:TGID_X_EN: 1
; COMPUTE_PGM_RSRC2:TGID_Y_EN: 0
; COMPUTE_PGM_RSRC2:TGID_Z_EN: 0
; COMPUTE_PGM_RSRC2:TIDIG_COMP_CNT: 0
	.section	.text._ZN7rocprim17ROCPRIM_400000_NS6detail17trampoline_kernelINS0_14default_configENS1_25partition_config_selectorILNS1_17partition_subalgoE8EdNS0_10empty_typeEbEEZZNS1_14partition_implILS5_8ELb0ES3_jPKdPS6_PKS6_NS0_5tupleIJPdS6_EEENSE_IJSB_SB_EEENS0_18inequality_wrapperIN6hipcub16HIPCUB_304000_NS8EqualityEEEPlJS6_EEE10hipError_tPvRmT3_T4_T5_T6_T7_T9_mT8_P12ihipStream_tbDpT10_ENKUlT_T0_E_clISt17integral_constantIbLb0EES17_EEDaS12_S13_EUlS12_E_NS1_11comp_targetILNS1_3genE9ELNS1_11target_archE1100ELNS1_3gpuE3ELNS1_3repE0EEENS1_30default_config_static_selectorELNS0_4arch9wavefront6targetE0EEEvT1_,"axG",@progbits,_ZN7rocprim17ROCPRIM_400000_NS6detail17trampoline_kernelINS0_14default_configENS1_25partition_config_selectorILNS1_17partition_subalgoE8EdNS0_10empty_typeEbEEZZNS1_14partition_implILS5_8ELb0ES3_jPKdPS6_PKS6_NS0_5tupleIJPdS6_EEENSE_IJSB_SB_EEENS0_18inequality_wrapperIN6hipcub16HIPCUB_304000_NS8EqualityEEEPlJS6_EEE10hipError_tPvRmT3_T4_T5_T6_T7_T9_mT8_P12ihipStream_tbDpT10_ENKUlT_T0_E_clISt17integral_constantIbLb0EES17_EEDaS12_S13_EUlS12_E_NS1_11comp_targetILNS1_3genE9ELNS1_11target_archE1100ELNS1_3gpuE3ELNS1_3repE0EEENS1_30default_config_static_selectorELNS0_4arch9wavefront6targetE0EEEvT1_,comdat
	.protected	_ZN7rocprim17ROCPRIM_400000_NS6detail17trampoline_kernelINS0_14default_configENS1_25partition_config_selectorILNS1_17partition_subalgoE8EdNS0_10empty_typeEbEEZZNS1_14partition_implILS5_8ELb0ES3_jPKdPS6_PKS6_NS0_5tupleIJPdS6_EEENSE_IJSB_SB_EEENS0_18inequality_wrapperIN6hipcub16HIPCUB_304000_NS8EqualityEEEPlJS6_EEE10hipError_tPvRmT3_T4_T5_T6_T7_T9_mT8_P12ihipStream_tbDpT10_ENKUlT_T0_E_clISt17integral_constantIbLb0EES17_EEDaS12_S13_EUlS12_E_NS1_11comp_targetILNS1_3genE9ELNS1_11target_archE1100ELNS1_3gpuE3ELNS1_3repE0EEENS1_30default_config_static_selectorELNS0_4arch9wavefront6targetE0EEEvT1_ ; -- Begin function _ZN7rocprim17ROCPRIM_400000_NS6detail17trampoline_kernelINS0_14default_configENS1_25partition_config_selectorILNS1_17partition_subalgoE8EdNS0_10empty_typeEbEEZZNS1_14partition_implILS5_8ELb0ES3_jPKdPS6_PKS6_NS0_5tupleIJPdS6_EEENSE_IJSB_SB_EEENS0_18inequality_wrapperIN6hipcub16HIPCUB_304000_NS8EqualityEEEPlJS6_EEE10hipError_tPvRmT3_T4_T5_T6_T7_T9_mT8_P12ihipStream_tbDpT10_ENKUlT_T0_E_clISt17integral_constantIbLb0EES17_EEDaS12_S13_EUlS12_E_NS1_11comp_targetILNS1_3genE9ELNS1_11target_archE1100ELNS1_3gpuE3ELNS1_3repE0EEENS1_30default_config_static_selectorELNS0_4arch9wavefront6targetE0EEEvT1_
	.globl	_ZN7rocprim17ROCPRIM_400000_NS6detail17trampoline_kernelINS0_14default_configENS1_25partition_config_selectorILNS1_17partition_subalgoE8EdNS0_10empty_typeEbEEZZNS1_14partition_implILS5_8ELb0ES3_jPKdPS6_PKS6_NS0_5tupleIJPdS6_EEENSE_IJSB_SB_EEENS0_18inequality_wrapperIN6hipcub16HIPCUB_304000_NS8EqualityEEEPlJS6_EEE10hipError_tPvRmT3_T4_T5_T6_T7_T9_mT8_P12ihipStream_tbDpT10_ENKUlT_T0_E_clISt17integral_constantIbLb0EES17_EEDaS12_S13_EUlS12_E_NS1_11comp_targetILNS1_3genE9ELNS1_11target_archE1100ELNS1_3gpuE3ELNS1_3repE0EEENS1_30default_config_static_selectorELNS0_4arch9wavefront6targetE0EEEvT1_
	.p2align	8
	.type	_ZN7rocprim17ROCPRIM_400000_NS6detail17trampoline_kernelINS0_14default_configENS1_25partition_config_selectorILNS1_17partition_subalgoE8EdNS0_10empty_typeEbEEZZNS1_14partition_implILS5_8ELb0ES3_jPKdPS6_PKS6_NS0_5tupleIJPdS6_EEENSE_IJSB_SB_EEENS0_18inequality_wrapperIN6hipcub16HIPCUB_304000_NS8EqualityEEEPlJS6_EEE10hipError_tPvRmT3_T4_T5_T6_T7_T9_mT8_P12ihipStream_tbDpT10_ENKUlT_T0_E_clISt17integral_constantIbLb0EES17_EEDaS12_S13_EUlS12_E_NS1_11comp_targetILNS1_3genE9ELNS1_11target_archE1100ELNS1_3gpuE3ELNS1_3repE0EEENS1_30default_config_static_selectorELNS0_4arch9wavefront6targetE0EEEvT1_,@function
_ZN7rocprim17ROCPRIM_400000_NS6detail17trampoline_kernelINS0_14default_configENS1_25partition_config_selectorILNS1_17partition_subalgoE8EdNS0_10empty_typeEbEEZZNS1_14partition_implILS5_8ELb0ES3_jPKdPS6_PKS6_NS0_5tupleIJPdS6_EEENSE_IJSB_SB_EEENS0_18inequality_wrapperIN6hipcub16HIPCUB_304000_NS8EqualityEEEPlJS6_EEE10hipError_tPvRmT3_T4_T5_T6_T7_T9_mT8_P12ihipStream_tbDpT10_ENKUlT_T0_E_clISt17integral_constantIbLb0EES17_EEDaS12_S13_EUlS12_E_NS1_11comp_targetILNS1_3genE9ELNS1_11target_archE1100ELNS1_3gpuE3ELNS1_3repE0EEENS1_30default_config_static_selectorELNS0_4arch9wavefront6targetE0EEEvT1_: ; @_ZN7rocprim17ROCPRIM_400000_NS6detail17trampoline_kernelINS0_14default_configENS1_25partition_config_selectorILNS1_17partition_subalgoE8EdNS0_10empty_typeEbEEZZNS1_14partition_implILS5_8ELb0ES3_jPKdPS6_PKS6_NS0_5tupleIJPdS6_EEENSE_IJSB_SB_EEENS0_18inequality_wrapperIN6hipcub16HIPCUB_304000_NS8EqualityEEEPlJS6_EEE10hipError_tPvRmT3_T4_T5_T6_T7_T9_mT8_P12ihipStream_tbDpT10_ENKUlT_T0_E_clISt17integral_constantIbLb0EES17_EEDaS12_S13_EUlS12_E_NS1_11comp_targetILNS1_3genE9ELNS1_11target_archE1100ELNS1_3gpuE3ELNS1_3repE0EEENS1_30default_config_static_selectorELNS0_4arch9wavefront6targetE0EEEvT1_
; %bb.0:
	.section	.rodata,"a",@progbits
	.p2align	6, 0x0
	.amdhsa_kernel _ZN7rocprim17ROCPRIM_400000_NS6detail17trampoline_kernelINS0_14default_configENS1_25partition_config_selectorILNS1_17partition_subalgoE8EdNS0_10empty_typeEbEEZZNS1_14partition_implILS5_8ELb0ES3_jPKdPS6_PKS6_NS0_5tupleIJPdS6_EEENSE_IJSB_SB_EEENS0_18inequality_wrapperIN6hipcub16HIPCUB_304000_NS8EqualityEEEPlJS6_EEE10hipError_tPvRmT3_T4_T5_T6_T7_T9_mT8_P12ihipStream_tbDpT10_ENKUlT_T0_E_clISt17integral_constantIbLb0EES17_EEDaS12_S13_EUlS12_E_NS1_11comp_targetILNS1_3genE9ELNS1_11target_archE1100ELNS1_3gpuE3ELNS1_3repE0EEENS1_30default_config_static_selectorELNS0_4arch9wavefront6targetE0EEEvT1_
		.amdhsa_group_segment_fixed_size 0
		.amdhsa_private_segment_fixed_size 0
		.amdhsa_kernarg_size 112
		.amdhsa_user_sgpr_count 2
		.amdhsa_user_sgpr_dispatch_ptr 0
		.amdhsa_user_sgpr_queue_ptr 0
		.amdhsa_user_sgpr_kernarg_segment_ptr 1
		.amdhsa_user_sgpr_dispatch_id 0
		.amdhsa_user_sgpr_kernarg_preload_length 0
		.amdhsa_user_sgpr_kernarg_preload_offset 0
		.amdhsa_user_sgpr_private_segment_size 0
		.amdhsa_wavefront_size32 1
		.amdhsa_uses_dynamic_stack 0
		.amdhsa_enable_private_segment 0
		.amdhsa_system_sgpr_workgroup_id_x 1
		.amdhsa_system_sgpr_workgroup_id_y 0
		.amdhsa_system_sgpr_workgroup_id_z 0
		.amdhsa_system_sgpr_workgroup_info 0
		.amdhsa_system_vgpr_workitem_id 0
		.amdhsa_next_free_vgpr 1
		.amdhsa_next_free_sgpr 1
		.amdhsa_named_barrier_count 0
		.amdhsa_reserve_vcc 0
		.amdhsa_float_round_mode_32 0
		.amdhsa_float_round_mode_16_64 0
		.amdhsa_float_denorm_mode_32 3
		.amdhsa_float_denorm_mode_16_64 3
		.amdhsa_fp16_overflow 0
		.amdhsa_memory_ordered 1
		.amdhsa_forward_progress 1
		.amdhsa_inst_pref_size 0
		.amdhsa_round_robin_scheduling 0
		.amdhsa_exception_fp_ieee_invalid_op 0
		.amdhsa_exception_fp_denorm_src 0
		.amdhsa_exception_fp_ieee_div_zero 0
		.amdhsa_exception_fp_ieee_overflow 0
		.amdhsa_exception_fp_ieee_underflow 0
		.amdhsa_exception_fp_ieee_inexact 0
		.amdhsa_exception_int_div_zero 0
	.end_amdhsa_kernel
	.section	.text._ZN7rocprim17ROCPRIM_400000_NS6detail17trampoline_kernelINS0_14default_configENS1_25partition_config_selectorILNS1_17partition_subalgoE8EdNS0_10empty_typeEbEEZZNS1_14partition_implILS5_8ELb0ES3_jPKdPS6_PKS6_NS0_5tupleIJPdS6_EEENSE_IJSB_SB_EEENS0_18inequality_wrapperIN6hipcub16HIPCUB_304000_NS8EqualityEEEPlJS6_EEE10hipError_tPvRmT3_T4_T5_T6_T7_T9_mT8_P12ihipStream_tbDpT10_ENKUlT_T0_E_clISt17integral_constantIbLb0EES17_EEDaS12_S13_EUlS12_E_NS1_11comp_targetILNS1_3genE9ELNS1_11target_archE1100ELNS1_3gpuE3ELNS1_3repE0EEENS1_30default_config_static_selectorELNS0_4arch9wavefront6targetE0EEEvT1_,"axG",@progbits,_ZN7rocprim17ROCPRIM_400000_NS6detail17trampoline_kernelINS0_14default_configENS1_25partition_config_selectorILNS1_17partition_subalgoE8EdNS0_10empty_typeEbEEZZNS1_14partition_implILS5_8ELb0ES3_jPKdPS6_PKS6_NS0_5tupleIJPdS6_EEENSE_IJSB_SB_EEENS0_18inequality_wrapperIN6hipcub16HIPCUB_304000_NS8EqualityEEEPlJS6_EEE10hipError_tPvRmT3_T4_T5_T6_T7_T9_mT8_P12ihipStream_tbDpT10_ENKUlT_T0_E_clISt17integral_constantIbLb0EES17_EEDaS12_S13_EUlS12_E_NS1_11comp_targetILNS1_3genE9ELNS1_11target_archE1100ELNS1_3gpuE3ELNS1_3repE0EEENS1_30default_config_static_selectorELNS0_4arch9wavefront6targetE0EEEvT1_,comdat
.Lfunc_end278:
	.size	_ZN7rocprim17ROCPRIM_400000_NS6detail17trampoline_kernelINS0_14default_configENS1_25partition_config_selectorILNS1_17partition_subalgoE8EdNS0_10empty_typeEbEEZZNS1_14partition_implILS5_8ELb0ES3_jPKdPS6_PKS6_NS0_5tupleIJPdS6_EEENSE_IJSB_SB_EEENS0_18inequality_wrapperIN6hipcub16HIPCUB_304000_NS8EqualityEEEPlJS6_EEE10hipError_tPvRmT3_T4_T5_T6_T7_T9_mT8_P12ihipStream_tbDpT10_ENKUlT_T0_E_clISt17integral_constantIbLb0EES17_EEDaS12_S13_EUlS12_E_NS1_11comp_targetILNS1_3genE9ELNS1_11target_archE1100ELNS1_3gpuE3ELNS1_3repE0EEENS1_30default_config_static_selectorELNS0_4arch9wavefront6targetE0EEEvT1_, .Lfunc_end278-_ZN7rocprim17ROCPRIM_400000_NS6detail17trampoline_kernelINS0_14default_configENS1_25partition_config_selectorILNS1_17partition_subalgoE8EdNS0_10empty_typeEbEEZZNS1_14partition_implILS5_8ELb0ES3_jPKdPS6_PKS6_NS0_5tupleIJPdS6_EEENSE_IJSB_SB_EEENS0_18inequality_wrapperIN6hipcub16HIPCUB_304000_NS8EqualityEEEPlJS6_EEE10hipError_tPvRmT3_T4_T5_T6_T7_T9_mT8_P12ihipStream_tbDpT10_ENKUlT_T0_E_clISt17integral_constantIbLb0EES17_EEDaS12_S13_EUlS12_E_NS1_11comp_targetILNS1_3genE9ELNS1_11target_archE1100ELNS1_3gpuE3ELNS1_3repE0EEENS1_30default_config_static_selectorELNS0_4arch9wavefront6targetE0EEEvT1_
                                        ; -- End function
	.set _ZN7rocprim17ROCPRIM_400000_NS6detail17trampoline_kernelINS0_14default_configENS1_25partition_config_selectorILNS1_17partition_subalgoE8EdNS0_10empty_typeEbEEZZNS1_14partition_implILS5_8ELb0ES3_jPKdPS6_PKS6_NS0_5tupleIJPdS6_EEENSE_IJSB_SB_EEENS0_18inequality_wrapperIN6hipcub16HIPCUB_304000_NS8EqualityEEEPlJS6_EEE10hipError_tPvRmT3_T4_T5_T6_T7_T9_mT8_P12ihipStream_tbDpT10_ENKUlT_T0_E_clISt17integral_constantIbLb0EES17_EEDaS12_S13_EUlS12_E_NS1_11comp_targetILNS1_3genE9ELNS1_11target_archE1100ELNS1_3gpuE3ELNS1_3repE0EEENS1_30default_config_static_selectorELNS0_4arch9wavefront6targetE0EEEvT1_.num_vgpr, 0
	.set _ZN7rocprim17ROCPRIM_400000_NS6detail17trampoline_kernelINS0_14default_configENS1_25partition_config_selectorILNS1_17partition_subalgoE8EdNS0_10empty_typeEbEEZZNS1_14partition_implILS5_8ELb0ES3_jPKdPS6_PKS6_NS0_5tupleIJPdS6_EEENSE_IJSB_SB_EEENS0_18inequality_wrapperIN6hipcub16HIPCUB_304000_NS8EqualityEEEPlJS6_EEE10hipError_tPvRmT3_T4_T5_T6_T7_T9_mT8_P12ihipStream_tbDpT10_ENKUlT_T0_E_clISt17integral_constantIbLb0EES17_EEDaS12_S13_EUlS12_E_NS1_11comp_targetILNS1_3genE9ELNS1_11target_archE1100ELNS1_3gpuE3ELNS1_3repE0EEENS1_30default_config_static_selectorELNS0_4arch9wavefront6targetE0EEEvT1_.num_agpr, 0
	.set _ZN7rocprim17ROCPRIM_400000_NS6detail17trampoline_kernelINS0_14default_configENS1_25partition_config_selectorILNS1_17partition_subalgoE8EdNS0_10empty_typeEbEEZZNS1_14partition_implILS5_8ELb0ES3_jPKdPS6_PKS6_NS0_5tupleIJPdS6_EEENSE_IJSB_SB_EEENS0_18inequality_wrapperIN6hipcub16HIPCUB_304000_NS8EqualityEEEPlJS6_EEE10hipError_tPvRmT3_T4_T5_T6_T7_T9_mT8_P12ihipStream_tbDpT10_ENKUlT_T0_E_clISt17integral_constantIbLb0EES17_EEDaS12_S13_EUlS12_E_NS1_11comp_targetILNS1_3genE9ELNS1_11target_archE1100ELNS1_3gpuE3ELNS1_3repE0EEENS1_30default_config_static_selectorELNS0_4arch9wavefront6targetE0EEEvT1_.numbered_sgpr, 0
	.set _ZN7rocprim17ROCPRIM_400000_NS6detail17trampoline_kernelINS0_14default_configENS1_25partition_config_selectorILNS1_17partition_subalgoE8EdNS0_10empty_typeEbEEZZNS1_14partition_implILS5_8ELb0ES3_jPKdPS6_PKS6_NS0_5tupleIJPdS6_EEENSE_IJSB_SB_EEENS0_18inequality_wrapperIN6hipcub16HIPCUB_304000_NS8EqualityEEEPlJS6_EEE10hipError_tPvRmT3_T4_T5_T6_T7_T9_mT8_P12ihipStream_tbDpT10_ENKUlT_T0_E_clISt17integral_constantIbLb0EES17_EEDaS12_S13_EUlS12_E_NS1_11comp_targetILNS1_3genE9ELNS1_11target_archE1100ELNS1_3gpuE3ELNS1_3repE0EEENS1_30default_config_static_selectorELNS0_4arch9wavefront6targetE0EEEvT1_.num_named_barrier, 0
	.set _ZN7rocprim17ROCPRIM_400000_NS6detail17trampoline_kernelINS0_14default_configENS1_25partition_config_selectorILNS1_17partition_subalgoE8EdNS0_10empty_typeEbEEZZNS1_14partition_implILS5_8ELb0ES3_jPKdPS6_PKS6_NS0_5tupleIJPdS6_EEENSE_IJSB_SB_EEENS0_18inequality_wrapperIN6hipcub16HIPCUB_304000_NS8EqualityEEEPlJS6_EEE10hipError_tPvRmT3_T4_T5_T6_T7_T9_mT8_P12ihipStream_tbDpT10_ENKUlT_T0_E_clISt17integral_constantIbLb0EES17_EEDaS12_S13_EUlS12_E_NS1_11comp_targetILNS1_3genE9ELNS1_11target_archE1100ELNS1_3gpuE3ELNS1_3repE0EEENS1_30default_config_static_selectorELNS0_4arch9wavefront6targetE0EEEvT1_.private_seg_size, 0
	.set _ZN7rocprim17ROCPRIM_400000_NS6detail17trampoline_kernelINS0_14default_configENS1_25partition_config_selectorILNS1_17partition_subalgoE8EdNS0_10empty_typeEbEEZZNS1_14partition_implILS5_8ELb0ES3_jPKdPS6_PKS6_NS0_5tupleIJPdS6_EEENSE_IJSB_SB_EEENS0_18inequality_wrapperIN6hipcub16HIPCUB_304000_NS8EqualityEEEPlJS6_EEE10hipError_tPvRmT3_T4_T5_T6_T7_T9_mT8_P12ihipStream_tbDpT10_ENKUlT_T0_E_clISt17integral_constantIbLb0EES17_EEDaS12_S13_EUlS12_E_NS1_11comp_targetILNS1_3genE9ELNS1_11target_archE1100ELNS1_3gpuE3ELNS1_3repE0EEENS1_30default_config_static_selectorELNS0_4arch9wavefront6targetE0EEEvT1_.uses_vcc, 0
	.set _ZN7rocprim17ROCPRIM_400000_NS6detail17trampoline_kernelINS0_14default_configENS1_25partition_config_selectorILNS1_17partition_subalgoE8EdNS0_10empty_typeEbEEZZNS1_14partition_implILS5_8ELb0ES3_jPKdPS6_PKS6_NS0_5tupleIJPdS6_EEENSE_IJSB_SB_EEENS0_18inequality_wrapperIN6hipcub16HIPCUB_304000_NS8EqualityEEEPlJS6_EEE10hipError_tPvRmT3_T4_T5_T6_T7_T9_mT8_P12ihipStream_tbDpT10_ENKUlT_T0_E_clISt17integral_constantIbLb0EES17_EEDaS12_S13_EUlS12_E_NS1_11comp_targetILNS1_3genE9ELNS1_11target_archE1100ELNS1_3gpuE3ELNS1_3repE0EEENS1_30default_config_static_selectorELNS0_4arch9wavefront6targetE0EEEvT1_.uses_flat_scratch, 0
	.set _ZN7rocprim17ROCPRIM_400000_NS6detail17trampoline_kernelINS0_14default_configENS1_25partition_config_selectorILNS1_17partition_subalgoE8EdNS0_10empty_typeEbEEZZNS1_14partition_implILS5_8ELb0ES3_jPKdPS6_PKS6_NS0_5tupleIJPdS6_EEENSE_IJSB_SB_EEENS0_18inequality_wrapperIN6hipcub16HIPCUB_304000_NS8EqualityEEEPlJS6_EEE10hipError_tPvRmT3_T4_T5_T6_T7_T9_mT8_P12ihipStream_tbDpT10_ENKUlT_T0_E_clISt17integral_constantIbLb0EES17_EEDaS12_S13_EUlS12_E_NS1_11comp_targetILNS1_3genE9ELNS1_11target_archE1100ELNS1_3gpuE3ELNS1_3repE0EEENS1_30default_config_static_selectorELNS0_4arch9wavefront6targetE0EEEvT1_.has_dyn_sized_stack, 0
	.set _ZN7rocprim17ROCPRIM_400000_NS6detail17trampoline_kernelINS0_14default_configENS1_25partition_config_selectorILNS1_17partition_subalgoE8EdNS0_10empty_typeEbEEZZNS1_14partition_implILS5_8ELb0ES3_jPKdPS6_PKS6_NS0_5tupleIJPdS6_EEENSE_IJSB_SB_EEENS0_18inequality_wrapperIN6hipcub16HIPCUB_304000_NS8EqualityEEEPlJS6_EEE10hipError_tPvRmT3_T4_T5_T6_T7_T9_mT8_P12ihipStream_tbDpT10_ENKUlT_T0_E_clISt17integral_constantIbLb0EES17_EEDaS12_S13_EUlS12_E_NS1_11comp_targetILNS1_3genE9ELNS1_11target_archE1100ELNS1_3gpuE3ELNS1_3repE0EEENS1_30default_config_static_selectorELNS0_4arch9wavefront6targetE0EEEvT1_.has_recursion, 0
	.set _ZN7rocprim17ROCPRIM_400000_NS6detail17trampoline_kernelINS0_14default_configENS1_25partition_config_selectorILNS1_17partition_subalgoE8EdNS0_10empty_typeEbEEZZNS1_14partition_implILS5_8ELb0ES3_jPKdPS6_PKS6_NS0_5tupleIJPdS6_EEENSE_IJSB_SB_EEENS0_18inequality_wrapperIN6hipcub16HIPCUB_304000_NS8EqualityEEEPlJS6_EEE10hipError_tPvRmT3_T4_T5_T6_T7_T9_mT8_P12ihipStream_tbDpT10_ENKUlT_T0_E_clISt17integral_constantIbLb0EES17_EEDaS12_S13_EUlS12_E_NS1_11comp_targetILNS1_3genE9ELNS1_11target_archE1100ELNS1_3gpuE3ELNS1_3repE0EEENS1_30default_config_static_selectorELNS0_4arch9wavefront6targetE0EEEvT1_.has_indirect_call, 0
	.section	.AMDGPU.csdata,"",@progbits
; Kernel info:
; codeLenInByte = 0
; TotalNumSgprs: 0
; NumVgprs: 0
; ScratchSize: 0
; MemoryBound: 0
; FloatMode: 240
; IeeeMode: 1
; LDSByteSize: 0 bytes/workgroup (compile time only)
; SGPRBlocks: 0
; VGPRBlocks: 0
; NumSGPRsForWavesPerEU: 1
; NumVGPRsForWavesPerEU: 1
; NamedBarCnt: 0
; Occupancy: 16
; WaveLimiterHint : 0
; COMPUTE_PGM_RSRC2:SCRATCH_EN: 0
; COMPUTE_PGM_RSRC2:USER_SGPR: 2
; COMPUTE_PGM_RSRC2:TRAP_HANDLER: 0
; COMPUTE_PGM_RSRC2:TGID_X_EN: 1
; COMPUTE_PGM_RSRC2:TGID_Y_EN: 0
; COMPUTE_PGM_RSRC2:TGID_Z_EN: 0
; COMPUTE_PGM_RSRC2:TIDIG_COMP_CNT: 0
	.section	.text._ZN7rocprim17ROCPRIM_400000_NS6detail17trampoline_kernelINS0_14default_configENS1_25partition_config_selectorILNS1_17partition_subalgoE8EdNS0_10empty_typeEbEEZZNS1_14partition_implILS5_8ELb0ES3_jPKdPS6_PKS6_NS0_5tupleIJPdS6_EEENSE_IJSB_SB_EEENS0_18inequality_wrapperIN6hipcub16HIPCUB_304000_NS8EqualityEEEPlJS6_EEE10hipError_tPvRmT3_T4_T5_T6_T7_T9_mT8_P12ihipStream_tbDpT10_ENKUlT_T0_E_clISt17integral_constantIbLb0EES17_EEDaS12_S13_EUlS12_E_NS1_11comp_targetILNS1_3genE8ELNS1_11target_archE1030ELNS1_3gpuE2ELNS1_3repE0EEENS1_30default_config_static_selectorELNS0_4arch9wavefront6targetE0EEEvT1_,"axG",@progbits,_ZN7rocprim17ROCPRIM_400000_NS6detail17trampoline_kernelINS0_14default_configENS1_25partition_config_selectorILNS1_17partition_subalgoE8EdNS0_10empty_typeEbEEZZNS1_14partition_implILS5_8ELb0ES3_jPKdPS6_PKS6_NS0_5tupleIJPdS6_EEENSE_IJSB_SB_EEENS0_18inequality_wrapperIN6hipcub16HIPCUB_304000_NS8EqualityEEEPlJS6_EEE10hipError_tPvRmT3_T4_T5_T6_T7_T9_mT8_P12ihipStream_tbDpT10_ENKUlT_T0_E_clISt17integral_constantIbLb0EES17_EEDaS12_S13_EUlS12_E_NS1_11comp_targetILNS1_3genE8ELNS1_11target_archE1030ELNS1_3gpuE2ELNS1_3repE0EEENS1_30default_config_static_selectorELNS0_4arch9wavefront6targetE0EEEvT1_,comdat
	.protected	_ZN7rocprim17ROCPRIM_400000_NS6detail17trampoline_kernelINS0_14default_configENS1_25partition_config_selectorILNS1_17partition_subalgoE8EdNS0_10empty_typeEbEEZZNS1_14partition_implILS5_8ELb0ES3_jPKdPS6_PKS6_NS0_5tupleIJPdS6_EEENSE_IJSB_SB_EEENS0_18inequality_wrapperIN6hipcub16HIPCUB_304000_NS8EqualityEEEPlJS6_EEE10hipError_tPvRmT3_T4_T5_T6_T7_T9_mT8_P12ihipStream_tbDpT10_ENKUlT_T0_E_clISt17integral_constantIbLb0EES17_EEDaS12_S13_EUlS12_E_NS1_11comp_targetILNS1_3genE8ELNS1_11target_archE1030ELNS1_3gpuE2ELNS1_3repE0EEENS1_30default_config_static_selectorELNS0_4arch9wavefront6targetE0EEEvT1_ ; -- Begin function _ZN7rocprim17ROCPRIM_400000_NS6detail17trampoline_kernelINS0_14default_configENS1_25partition_config_selectorILNS1_17partition_subalgoE8EdNS0_10empty_typeEbEEZZNS1_14partition_implILS5_8ELb0ES3_jPKdPS6_PKS6_NS0_5tupleIJPdS6_EEENSE_IJSB_SB_EEENS0_18inequality_wrapperIN6hipcub16HIPCUB_304000_NS8EqualityEEEPlJS6_EEE10hipError_tPvRmT3_T4_T5_T6_T7_T9_mT8_P12ihipStream_tbDpT10_ENKUlT_T0_E_clISt17integral_constantIbLb0EES17_EEDaS12_S13_EUlS12_E_NS1_11comp_targetILNS1_3genE8ELNS1_11target_archE1030ELNS1_3gpuE2ELNS1_3repE0EEENS1_30default_config_static_selectorELNS0_4arch9wavefront6targetE0EEEvT1_
	.globl	_ZN7rocprim17ROCPRIM_400000_NS6detail17trampoline_kernelINS0_14default_configENS1_25partition_config_selectorILNS1_17partition_subalgoE8EdNS0_10empty_typeEbEEZZNS1_14partition_implILS5_8ELb0ES3_jPKdPS6_PKS6_NS0_5tupleIJPdS6_EEENSE_IJSB_SB_EEENS0_18inequality_wrapperIN6hipcub16HIPCUB_304000_NS8EqualityEEEPlJS6_EEE10hipError_tPvRmT3_T4_T5_T6_T7_T9_mT8_P12ihipStream_tbDpT10_ENKUlT_T0_E_clISt17integral_constantIbLb0EES17_EEDaS12_S13_EUlS12_E_NS1_11comp_targetILNS1_3genE8ELNS1_11target_archE1030ELNS1_3gpuE2ELNS1_3repE0EEENS1_30default_config_static_selectorELNS0_4arch9wavefront6targetE0EEEvT1_
	.p2align	8
	.type	_ZN7rocprim17ROCPRIM_400000_NS6detail17trampoline_kernelINS0_14default_configENS1_25partition_config_selectorILNS1_17partition_subalgoE8EdNS0_10empty_typeEbEEZZNS1_14partition_implILS5_8ELb0ES3_jPKdPS6_PKS6_NS0_5tupleIJPdS6_EEENSE_IJSB_SB_EEENS0_18inequality_wrapperIN6hipcub16HIPCUB_304000_NS8EqualityEEEPlJS6_EEE10hipError_tPvRmT3_T4_T5_T6_T7_T9_mT8_P12ihipStream_tbDpT10_ENKUlT_T0_E_clISt17integral_constantIbLb0EES17_EEDaS12_S13_EUlS12_E_NS1_11comp_targetILNS1_3genE8ELNS1_11target_archE1030ELNS1_3gpuE2ELNS1_3repE0EEENS1_30default_config_static_selectorELNS0_4arch9wavefront6targetE0EEEvT1_,@function
_ZN7rocprim17ROCPRIM_400000_NS6detail17trampoline_kernelINS0_14default_configENS1_25partition_config_selectorILNS1_17partition_subalgoE8EdNS0_10empty_typeEbEEZZNS1_14partition_implILS5_8ELb0ES3_jPKdPS6_PKS6_NS0_5tupleIJPdS6_EEENSE_IJSB_SB_EEENS0_18inequality_wrapperIN6hipcub16HIPCUB_304000_NS8EqualityEEEPlJS6_EEE10hipError_tPvRmT3_T4_T5_T6_T7_T9_mT8_P12ihipStream_tbDpT10_ENKUlT_T0_E_clISt17integral_constantIbLb0EES17_EEDaS12_S13_EUlS12_E_NS1_11comp_targetILNS1_3genE8ELNS1_11target_archE1030ELNS1_3gpuE2ELNS1_3repE0EEENS1_30default_config_static_selectorELNS0_4arch9wavefront6targetE0EEEvT1_: ; @_ZN7rocprim17ROCPRIM_400000_NS6detail17trampoline_kernelINS0_14default_configENS1_25partition_config_selectorILNS1_17partition_subalgoE8EdNS0_10empty_typeEbEEZZNS1_14partition_implILS5_8ELb0ES3_jPKdPS6_PKS6_NS0_5tupleIJPdS6_EEENSE_IJSB_SB_EEENS0_18inequality_wrapperIN6hipcub16HIPCUB_304000_NS8EqualityEEEPlJS6_EEE10hipError_tPvRmT3_T4_T5_T6_T7_T9_mT8_P12ihipStream_tbDpT10_ENKUlT_T0_E_clISt17integral_constantIbLb0EES17_EEDaS12_S13_EUlS12_E_NS1_11comp_targetILNS1_3genE8ELNS1_11target_archE1030ELNS1_3gpuE2ELNS1_3repE0EEENS1_30default_config_static_selectorELNS0_4arch9wavefront6targetE0EEEvT1_
; %bb.0:
	.section	.rodata,"a",@progbits
	.p2align	6, 0x0
	.amdhsa_kernel _ZN7rocprim17ROCPRIM_400000_NS6detail17trampoline_kernelINS0_14default_configENS1_25partition_config_selectorILNS1_17partition_subalgoE8EdNS0_10empty_typeEbEEZZNS1_14partition_implILS5_8ELb0ES3_jPKdPS6_PKS6_NS0_5tupleIJPdS6_EEENSE_IJSB_SB_EEENS0_18inequality_wrapperIN6hipcub16HIPCUB_304000_NS8EqualityEEEPlJS6_EEE10hipError_tPvRmT3_T4_T5_T6_T7_T9_mT8_P12ihipStream_tbDpT10_ENKUlT_T0_E_clISt17integral_constantIbLb0EES17_EEDaS12_S13_EUlS12_E_NS1_11comp_targetILNS1_3genE8ELNS1_11target_archE1030ELNS1_3gpuE2ELNS1_3repE0EEENS1_30default_config_static_selectorELNS0_4arch9wavefront6targetE0EEEvT1_
		.amdhsa_group_segment_fixed_size 0
		.amdhsa_private_segment_fixed_size 0
		.amdhsa_kernarg_size 112
		.amdhsa_user_sgpr_count 2
		.amdhsa_user_sgpr_dispatch_ptr 0
		.amdhsa_user_sgpr_queue_ptr 0
		.amdhsa_user_sgpr_kernarg_segment_ptr 1
		.amdhsa_user_sgpr_dispatch_id 0
		.amdhsa_user_sgpr_kernarg_preload_length 0
		.amdhsa_user_sgpr_kernarg_preload_offset 0
		.amdhsa_user_sgpr_private_segment_size 0
		.amdhsa_wavefront_size32 1
		.amdhsa_uses_dynamic_stack 0
		.amdhsa_enable_private_segment 0
		.amdhsa_system_sgpr_workgroup_id_x 1
		.amdhsa_system_sgpr_workgroup_id_y 0
		.amdhsa_system_sgpr_workgroup_id_z 0
		.amdhsa_system_sgpr_workgroup_info 0
		.amdhsa_system_vgpr_workitem_id 0
		.amdhsa_next_free_vgpr 1
		.amdhsa_next_free_sgpr 1
		.amdhsa_named_barrier_count 0
		.amdhsa_reserve_vcc 0
		.amdhsa_float_round_mode_32 0
		.amdhsa_float_round_mode_16_64 0
		.amdhsa_float_denorm_mode_32 3
		.amdhsa_float_denorm_mode_16_64 3
		.amdhsa_fp16_overflow 0
		.amdhsa_memory_ordered 1
		.amdhsa_forward_progress 1
		.amdhsa_inst_pref_size 0
		.amdhsa_round_robin_scheduling 0
		.amdhsa_exception_fp_ieee_invalid_op 0
		.amdhsa_exception_fp_denorm_src 0
		.amdhsa_exception_fp_ieee_div_zero 0
		.amdhsa_exception_fp_ieee_overflow 0
		.amdhsa_exception_fp_ieee_underflow 0
		.amdhsa_exception_fp_ieee_inexact 0
		.amdhsa_exception_int_div_zero 0
	.end_amdhsa_kernel
	.section	.text._ZN7rocprim17ROCPRIM_400000_NS6detail17trampoline_kernelINS0_14default_configENS1_25partition_config_selectorILNS1_17partition_subalgoE8EdNS0_10empty_typeEbEEZZNS1_14partition_implILS5_8ELb0ES3_jPKdPS6_PKS6_NS0_5tupleIJPdS6_EEENSE_IJSB_SB_EEENS0_18inequality_wrapperIN6hipcub16HIPCUB_304000_NS8EqualityEEEPlJS6_EEE10hipError_tPvRmT3_T4_T5_T6_T7_T9_mT8_P12ihipStream_tbDpT10_ENKUlT_T0_E_clISt17integral_constantIbLb0EES17_EEDaS12_S13_EUlS12_E_NS1_11comp_targetILNS1_3genE8ELNS1_11target_archE1030ELNS1_3gpuE2ELNS1_3repE0EEENS1_30default_config_static_selectorELNS0_4arch9wavefront6targetE0EEEvT1_,"axG",@progbits,_ZN7rocprim17ROCPRIM_400000_NS6detail17trampoline_kernelINS0_14default_configENS1_25partition_config_selectorILNS1_17partition_subalgoE8EdNS0_10empty_typeEbEEZZNS1_14partition_implILS5_8ELb0ES3_jPKdPS6_PKS6_NS0_5tupleIJPdS6_EEENSE_IJSB_SB_EEENS0_18inequality_wrapperIN6hipcub16HIPCUB_304000_NS8EqualityEEEPlJS6_EEE10hipError_tPvRmT3_T4_T5_T6_T7_T9_mT8_P12ihipStream_tbDpT10_ENKUlT_T0_E_clISt17integral_constantIbLb0EES17_EEDaS12_S13_EUlS12_E_NS1_11comp_targetILNS1_3genE8ELNS1_11target_archE1030ELNS1_3gpuE2ELNS1_3repE0EEENS1_30default_config_static_selectorELNS0_4arch9wavefront6targetE0EEEvT1_,comdat
.Lfunc_end279:
	.size	_ZN7rocprim17ROCPRIM_400000_NS6detail17trampoline_kernelINS0_14default_configENS1_25partition_config_selectorILNS1_17partition_subalgoE8EdNS0_10empty_typeEbEEZZNS1_14partition_implILS5_8ELb0ES3_jPKdPS6_PKS6_NS0_5tupleIJPdS6_EEENSE_IJSB_SB_EEENS0_18inequality_wrapperIN6hipcub16HIPCUB_304000_NS8EqualityEEEPlJS6_EEE10hipError_tPvRmT3_T4_T5_T6_T7_T9_mT8_P12ihipStream_tbDpT10_ENKUlT_T0_E_clISt17integral_constantIbLb0EES17_EEDaS12_S13_EUlS12_E_NS1_11comp_targetILNS1_3genE8ELNS1_11target_archE1030ELNS1_3gpuE2ELNS1_3repE0EEENS1_30default_config_static_selectorELNS0_4arch9wavefront6targetE0EEEvT1_, .Lfunc_end279-_ZN7rocprim17ROCPRIM_400000_NS6detail17trampoline_kernelINS0_14default_configENS1_25partition_config_selectorILNS1_17partition_subalgoE8EdNS0_10empty_typeEbEEZZNS1_14partition_implILS5_8ELb0ES3_jPKdPS6_PKS6_NS0_5tupleIJPdS6_EEENSE_IJSB_SB_EEENS0_18inequality_wrapperIN6hipcub16HIPCUB_304000_NS8EqualityEEEPlJS6_EEE10hipError_tPvRmT3_T4_T5_T6_T7_T9_mT8_P12ihipStream_tbDpT10_ENKUlT_T0_E_clISt17integral_constantIbLb0EES17_EEDaS12_S13_EUlS12_E_NS1_11comp_targetILNS1_3genE8ELNS1_11target_archE1030ELNS1_3gpuE2ELNS1_3repE0EEENS1_30default_config_static_selectorELNS0_4arch9wavefront6targetE0EEEvT1_
                                        ; -- End function
	.set _ZN7rocprim17ROCPRIM_400000_NS6detail17trampoline_kernelINS0_14default_configENS1_25partition_config_selectorILNS1_17partition_subalgoE8EdNS0_10empty_typeEbEEZZNS1_14partition_implILS5_8ELb0ES3_jPKdPS6_PKS6_NS0_5tupleIJPdS6_EEENSE_IJSB_SB_EEENS0_18inequality_wrapperIN6hipcub16HIPCUB_304000_NS8EqualityEEEPlJS6_EEE10hipError_tPvRmT3_T4_T5_T6_T7_T9_mT8_P12ihipStream_tbDpT10_ENKUlT_T0_E_clISt17integral_constantIbLb0EES17_EEDaS12_S13_EUlS12_E_NS1_11comp_targetILNS1_3genE8ELNS1_11target_archE1030ELNS1_3gpuE2ELNS1_3repE0EEENS1_30default_config_static_selectorELNS0_4arch9wavefront6targetE0EEEvT1_.num_vgpr, 0
	.set _ZN7rocprim17ROCPRIM_400000_NS6detail17trampoline_kernelINS0_14default_configENS1_25partition_config_selectorILNS1_17partition_subalgoE8EdNS0_10empty_typeEbEEZZNS1_14partition_implILS5_8ELb0ES3_jPKdPS6_PKS6_NS0_5tupleIJPdS6_EEENSE_IJSB_SB_EEENS0_18inequality_wrapperIN6hipcub16HIPCUB_304000_NS8EqualityEEEPlJS6_EEE10hipError_tPvRmT3_T4_T5_T6_T7_T9_mT8_P12ihipStream_tbDpT10_ENKUlT_T0_E_clISt17integral_constantIbLb0EES17_EEDaS12_S13_EUlS12_E_NS1_11comp_targetILNS1_3genE8ELNS1_11target_archE1030ELNS1_3gpuE2ELNS1_3repE0EEENS1_30default_config_static_selectorELNS0_4arch9wavefront6targetE0EEEvT1_.num_agpr, 0
	.set _ZN7rocprim17ROCPRIM_400000_NS6detail17trampoline_kernelINS0_14default_configENS1_25partition_config_selectorILNS1_17partition_subalgoE8EdNS0_10empty_typeEbEEZZNS1_14partition_implILS5_8ELb0ES3_jPKdPS6_PKS6_NS0_5tupleIJPdS6_EEENSE_IJSB_SB_EEENS0_18inequality_wrapperIN6hipcub16HIPCUB_304000_NS8EqualityEEEPlJS6_EEE10hipError_tPvRmT3_T4_T5_T6_T7_T9_mT8_P12ihipStream_tbDpT10_ENKUlT_T0_E_clISt17integral_constantIbLb0EES17_EEDaS12_S13_EUlS12_E_NS1_11comp_targetILNS1_3genE8ELNS1_11target_archE1030ELNS1_3gpuE2ELNS1_3repE0EEENS1_30default_config_static_selectorELNS0_4arch9wavefront6targetE0EEEvT1_.numbered_sgpr, 0
	.set _ZN7rocprim17ROCPRIM_400000_NS6detail17trampoline_kernelINS0_14default_configENS1_25partition_config_selectorILNS1_17partition_subalgoE8EdNS0_10empty_typeEbEEZZNS1_14partition_implILS5_8ELb0ES3_jPKdPS6_PKS6_NS0_5tupleIJPdS6_EEENSE_IJSB_SB_EEENS0_18inequality_wrapperIN6hipcub16HIPCUB_304000_NS8EqualityEEEPlJS6_EEE10hipError_tPvRmT3_T4_T5_T6_T7_T9_mT8_P12ihipStream_tbDpT10_ENKUlT_T0_E_clISt17integral_constantIbLb0EES17_EEDaS12_S13_EUlS12_E_NS1_11comp_targetILNS1_3genE8ELNS1_11target_archE1030ELNS1_3gpuE2ELNS1_3repE0EEENS1_30default_config_static_selectorELNS0_4arch9wavefront6targetE0EEEvT1_.num_named_barrier, 0
	.set _ZN7rocprim17ROCPRIM_400000_NS6detail17trampoline_kernelINS0_14default_configENS1_25partition_config_selectorILNS1_17partition_subalgoE8EdNS0_10empty_typeEbEEZZNS1_14partition_implILS5_8ELb0ES3_jPKdPS6_PKS6_NS0_5tupleIJPdS6_EEENSE_IJSB_SB_EEENS0_18inequality_wrapperIN6hipcub16HIPCUB_304000_NS8EqualityEEEPlJS6_EEE10hipError_tPvRmT3_T4_T5_T6_T7_T9_mT8_P12ihipStream_tbDpT10_ENKUlT_T0_E_clISt17integral_constantIbLb0EES17_EEDaS12_S13_EUlS12_E_NS1_11comp_targetILNS1_3genE8ELNS1_11target_archE1030ELNS1_3gpuE2ELNS1_3repE0EEENS1_30default_config_static_selectorELNS0_4arch9wavefront6targetE0EEEvT1_.private_seg_size, 0
	.set _ZN7rocprim17ROCPRIM_400000_NS6detail17trampoline_kernelINS0_14default_configENS1_25partition_config_selectorILNS1_17partition_subalgoE8EdNS0_10empty_typeEbEEZZNS1_14partition_implILS5_8ELb0ES3_jPKdPS6_PKS6_NS0_5tupleIJPdS6_EEENSE_IJSB_SB_EEENS0_18inequality_wrapperIN6hipcub16HIPCUB_304000_NS8EqualityEEEPlJS6_EEE10hipError_tPvRmT3_T4_T5_T6_T7_T9_mT8_P12ihipStream_tbDpT10_ENKUlT_T0_E_clISt17integral_constantIbLb0EES17_EEDaS12_S13_EUlS12_E_NS1_11comp_targetILNS1_3genE8ELNS1_11target_archE1030ELNS1_3gpuE2ELNS1_3repE0EEENS1_30default_config_static_selectorELNS0_4arch9wavefront6targetE0EEEvT1_.uses_vcc, 0
	.set _ZN7rocprim17ROCPRIM_400000_NS6detail17trampoline_kernelINS0_14default_configENS1_25partition_config_selectorILNS1_17partition_subalgoE8EdNS0_10empty_typeEbEEZZNS1_14partition_implILS5_8ELb0ES3_jPKdPS6_PKS6_NS0_5tupleIJPdS6_EEENSE_IJSB_SB_EEENS0_18inequality_wrapperIN6hipcub16HIPCUB_304000_NS8EqualityEEEPlJS6_EEE10hipError_tPvRmT3_T4_T5_T6_T7_T9_mT8_P12ihipStream_tbDpT10_ENKUlT_T0_E_clISt17integral_constantIbLb0EES17_EEDaS12_S13_EUlS12_E_NS1_11comp_targetILNS1_3genE8ELNS1_11target_archE1030ELNS1_3gpuE2ELNS1_3repE0EEENS1_30default_config_static_selectorELNS0_4arch9wavefront6targetE0EEEvT1_.uses_flat_scratch, 0
	.set _ZN7rocprim17ROCPRIM_400000_NS6detail17trampoline_kernelINS0_14default_configENS1_25partition_config_selectorILNS1_17partition_subalgoE8EdNS0_10empty_typeEbEEZZNS1_14partition_implILS5_8ELb0ES3_jPKdPS6_PKS6_NS0_5tupleIJPdS6_EEENSE_IJSB_SB_EEENS0_18inequality_wrapperIN6hipcub16HIPCUB_304000_NS8EqualityEEEPlJS6_EEE10hipError_tPvRmT3_T4_T5_T6_T7_T9_mT8_P12ihipStream_tbDpT10_ENKUlT_T0_E_clISt17integral_constantIbLb0EES17_EEDaS12_S13_EUlS12_E_NS1_11comp_targetILNS1_3genE8ELNS1_11target_archE1030ELNS1_3gpuE2ELNS1_3repE0EEENS1_30default_config_static_selectorELNS0_4arch9wavefront6targetE0EEEvT1_.has_dyn_sized_stack, 0
	.set _ZN7rocprim17ROCPRIM_400000_NS6detail17trampoline_kernelINS0_14default_configENS1_25partition_config_selectorILNS1_17partition_subalgoE8EdNS0_10empty_typeEbEEZZNS1_14partition_implILS5_8ELb0ES3_jPKdPS6_PKS6_NS0_5tupleIJPdS6_EEENSE_IJSB_SB_EEENS0_18inequality_wrapperIN6hipcub16HIPCUB_304000_NS8EqualityEEEPlJS6_EEE10hipError_tPvRmT3_T4_T5_T6_T7_T9_mT8_P12ihipStream_tbDpT10_ENKUlT_T0_E_clISt17integral_constantIbLb0EES17_EEDaS12_S13_EUlS12_E_NS1_11comp_targetILNS1_3genE8ELNS1_11target_archE1030ELNS1_3gpuE2ELNS1_3repE0EEENS1_30default_config_static_selectorELNS0_4arch9wavefront6targetE0EEEvT1_.has_recursion, 0
	.set _ZN7rocprim17ROCPRIM_400000_NS6detail17trampoline_kernelINS0_14default_configENS1_25partition_config_selectorILNS1_17partition_subalgoE8EdNS0_10empty_typeEbEEZZNS1_14partition_implILS5_8ELb0ES3_jPKdPS6_PKS6_NS0_5tupleIJPdS6_EEENSE_IJSB_SB_EEENS0_18inequality_wrapperIN6hipcub16HIPCUB_304000_NS8EqualityEEEPlJS6_EEE10hipError_tPvRmT3_T4_T5_T6_T7_T9_mT8_P12ihipStream_tbDpT10_ENKUlT_T0_E_clISt17integral_constantIbLb0EES17_EEDaS12_S13_EUlS12_E_NS1_11comp_targetILNS1_3genE8ELNS1_11target_archE1030ELNS1_3gpuE2ELNS1_3repE0EEENS1_30default_config_static_selectorELNS0_4arch9wavefront6targetE0EEEvT1_.has_indirect_call, 0
	.section	.AMDGPU.csdata,"",@progbits
; Kernel info:
; codeLenInByte = 0
; TotalNumSgprs: 0
; NumVgprs: 0
; ScratchSize: 0
; MemoryBound: 0
; FloatMode: 240
; IeeeMode: 1
; LDSByteSize: 0 bytes/workgroup (compile time only)
; SGPRBlocks: 0
; VGPRBlocks: 0
; NumSGPRsForWavesPerEU: 1
; NumVGPRsForWavesPerEU: 1
; NamedBarCnt: 0
; Occupancy: 16
; WaveLimiterHint : 0
; COMPUTE_PGM_RSRC2:SCRATCH_EN: 0
; COMPUTE_PGM_RSRC2:USER_SGPR: 2
; COMPUTE_PGM_RSRC2:TRAP_HANDLER: 0
; COMPUTE_PGM_RSRC2:TGID_X_EN: 1
; COMPUTE_PGM_RSRC2:TGID_Y_EN: 0
; COMPUTE_PGM_RSRC2:TGID_Z_EN: 0
; COMPUTE_PGM_RSRC2:TIDIG_COMP_CNT: 0
	.section	.text._ZN7rocprim17ROCPRIM_400000_NS6detail17trampoline_kernelINS0_14default_configENS1_25partition_config_selectorILNS1_17partition_subalgoE8EdNS0_10empty_typeEbEEZZNS1_14partition_implILS5_8ELb0ES3_jPKdPS6_PKS6_NS0_5tupleIJPdS6_EEENSE_IJSB_SB_EEENS0_18inequality_wrapperIN6hipcub16HIPCUB_304000_NS8EqualityEEEPlJS6_EEE10hipError_tPvRmT3_T4_T5_T6_T7_T9_mT8_P12ihipStream_tbDpT10_ENKUlT_T0_E_clISt17integral_constantIbLb1EES17_EEDaS12_S13_EUlS12_E_NS1_11comp_targetILNS1_3genE0ELNS1_11target_archE4294967295ELNS1_3gpuE0ELNS1_3repE0EEENS1_30default_config_static_selectorELNS0_4arch9wavefront6targetE0EEEvT1_,"axG",@progbits,_ZN7rocprim17ROCPRIM_400000_NS6detail17trampoline_kernelINS0_14default_configENS1_25partition_config_selectorILNS1_17partition_subalgoE8EdNS0_10empty_typeEbEEZZNS1_14partition_implILS5_8ELb0ES3_jPKdPS6_PKS6_NS0_5tupleIJPdS6_EEENSE_IJSB_SB_EEENS0_18inequality_wrapperIN6hipcub16HIPCUB_304000_NS8EqualityEEEPlJS6_EEE10hipError_tPvRmT3_T4_T5_T6_T7_T9_mT8_P12ihipStream_tbDpT10_ENKUlT_T0_E_clISt17integral_constantIbLb1EES17_EEDaS12_S13_EUlS12_E_NS1_11comp_targetILNS1_3genE0ELNS1_11target_archE4294967295ELNS1_3gpuE0ELNS1_3repE0EEENS1_30default_config_static_selectorELNS0_4arch9wavefront6targetE0EEEvT1_,comdat
	.protected	_ZN7rocprim17ROCPRIM_400000_NS6detail17trampoline_kernelINS0_14default_configENS1_25partition_config_selectorILNS1_17partition_subalgoE8EdNS0_10empty_typeEbEEZZNS1_14partition_implILS5_8ELb0ES3_jPKdPS6_PKS6_NS0_5tupleIJPdS6_EEENSE_IJSB_SB_EEENS0_18inequality_wrapperIN6hipcub16HIPCUB_304000_NS8EqualityEEEPlJS6_EEE10hipError_tPvRmT3_T4_T5_T6_T7_T9_mT8_P12ihipStream_tbDpT10_ENKUlT_T0_E_clISt17integral_constantIbLb1EES17_EEDaS12_S13_EUlS12_E_NS1_11comp_targetILNS1_3genE0ELNS1_11target_archE4294967295ELNS1_3gpuE0ELNS1_3repE0EEENS1_30default_config_static_selectorELNS0_4arch9wavefront6targetE0EEEvT1_ ; -- Begin function _ZN7rocprim17ROCPRIM_400000_NS6detail17trampoline_kernelINS0_14default_configENS1_25partition_config_selectorILNS1_17partition_subalgoE8EdNS0_10empty_typeEbEEZZNS1_14partition_implILS5_8ELb0ES3_jPKdPS6_PKS6_NS0_5tupleIJPdS6_EEENSE_IJSB_SB_EEENS0_18inequality_wrapperIN6hipcub16HIPCUB_304000_NS8EqualityEEEPlJS6_EEE10hipError_tPvRmT3_T4_T5_T6_T7_T9_mT8_P12ihipStream_tbDpT10_ENKUlT_T0_E_clISt17integral_constantIbLb1EES17_EEDaS12_S13_EUlS12_E_NS1_11comp_targetILNS1_3genE0ELNS1_11target_archE4294967295ELNS1_3gpuE0ELNS1_3repE0EEENS1_30default_config_static_selectorELNS0_4arch9wavefront6targetE0EEEvT1_
	.globl	_ZN7rocprim17ROCPRIM_400000_NS6detail17trampoline_kernelINS0_14default_configENS1_25partition_config_selectorILNS1_17partition_subalgoE8EdNS0_10empty_typeEbEEZZNS1_14partition_implILS5_8ELb0ES3_jPKdPS6_PKS6_NS0_5tupleIJPdS6_EEENSE_IJSB_SB_EEENS0_18inequality_wrapperIN6hipcub16HIPCUB_304000_NS8EqualityEEEPlJS6_EEE10hipError_tPvRmT3_T4_T5_T6_T7_T9_mT8_P12ihipStream_tbDpT10_ENKUlT_T0_E_clISt17integral_constantIbLb1EES17_EEDaS12_S13_EUlS12_E_NS1_11comp_targetILNS1_3genE0ELNS1_11target_archE4294967295ELNS1_3gpuE0ELNS1_3repE0EEENS1_30default_config_static_selectorELNS0_4arch9wavefront6targetE0EEEvT1_
	.p2align	8
	.type	_ZN7rocprim17ROCPRIM_400000_NS6detail17trampoline_kernelINS0_14default_configENS1_25partition_config_selectorILNS1_17partition_subalgoE8EdNS0_10empty_typeEbEEZZNS1_14partition_implILS5_8ELb0ES3_jPKdPS6_PKS6_NS0_5tupleIJPdS6_EEENSE_IJSB_SB_EEENS0_18inequality_wrapperIN6hipcub16HIPCUB_304000_NS8EqualityEEEPlJS6_EEE10hipError_tPvRmT3_T4_T5_T6_T7_T9_mT8_P12ihipStream_tbDpT10_ENKUlT_T0_E_clISt17integral_constantIbLb1EES17_EEDaS12_S13_EUlS12_E_NS1_11comp_targetILNS1_3genE0ELNS1_11target_archE4294967295ELNS1_3gpuE0ELNS1_3repE0EEENS1_30default_config_static_selectorELNS0_4arch9wavefront6targetE0EEEvT1_,@function
_ZN7rocprim17ROCPRIM_400000_NS6detail17trampoline_kernelINS0_14default_configENS1_25partition_config_selectorILNS1_17partition_subalgoE8EdNS0_10empty_typeEbEEZZNS1_14partition_implILS5_8ELb0ES3_jPKdPS6_PKS6_NS0_5tupleIJPdS6_EEENSE_IJSB_SB_EEENS0_18inequality_wrapperIN6hipcub16HIPCUB_304000_NS8EqualityEEEPlJS6_EEE10hipError_tPvRmT3_T4_T5_T6_T7_T9_mT8_P12ihipStream_tbDpT10_ENKUlT_T0_E_clISt17integral_constantIbLb1EES17_EEDaS12_S13_EUlS12_E_NS1_11comp_targetILNS1_3genE0ELNS1_11target_archE4294967295ELNS1_3gpuE0ELNS1_3repE0EEENS1_30default_config_static_selectorELNS0_4arch9wavefront6targetE0EEEvT1_: ; @_ZN7rocprim17ROCPRIM_400000_NS6detail17trampoline_kernelINS0_14default_configENS1_25partition_config_selectorILNS1_17partition_subalgoE8EdNS0_10empty_typeEbEEZZNS1_14partition_implILS5_8ELb0ES3_jPKdPS6_PKS6_NS0_5tupleIJPdS6_EEENSE_IJSB_SB_EEENS0_18inequality_wrapperIN6hipcub16HIPCUB_304000_NS8EqualityEEEPlJS6_EEE10hipError_tPvRmT3_T4_T5_T6_T7_T9_mT8_P12ihipStream_tbDpT10_ENKUlT_T0_E_clISt17integral_constantIbLb1EES17_EEDaS12_S13_EUlS12_E_NS1_11comp_targetILNS1_3genE0ELNS1_11target_archE4294967295ELNS1_3gpuE0ELNS1_3repE0EEENS1_30default_config_static_selectorELNS0_4arch9wavefront6targetE0EEEvT1_
; %bb.0:
	s_endpgm
	.section	.rodata,"a",@progbits
	.p2align	6, 0x0
	.amdhsa_kernel _ZN7rocprim17ROCPRIM_400000_NS6detail17trampoline_kernelINS0_14default_configENS1_25partition_config_selectorILNS1_17partition_subalgoE8EdNS0_10empty_typeEbEEZZNS1_14partition_implILS5_8ELb0ES3_jPKdPS6_PKS6_NS0_5tupleIJPdS6_EEENSE_IJSB_SB_EEENS0_18inequality_wrapperIN6hipcub16HIPCUB_304000_NS8EqualityEEEPlJS6_EEE10hipError_tPvRmT3_T4_T5_T6_T7_T9_mT8_P12ihipStream_tbDpT10_ENKUlT_T0_E_clISt17integral_constantIbLb1EES17_EEDaS12_S13_EUlS12_E_NS1_11comp_targetILNS1_3genE0ELNS1_11target_archE4294967295ELNS1_3gpuE0ELNS1_3repE0EEENS1_30default_config_static_selectorELNS0_4arch9wavefront6targetE0EEEvT1_
		.amdhsa_group_segment_fixed_size 0
		.amdhsa_private_segment_fixed_size 0
		.amdhsa_kernarg_size 128
		.amdhsa_user_sgpr_count 2
		.amdhsa_user_sgpr_dispatch_ptr 0
		.amdhsa_user_sgpr_queue_ptr 0
		.amdhsa_user_sgpr_kernarg_segment_ptr 1
		.amdhsa_user_sgpr_dispatch_id 0
		.amdhsa_user_sgpr_kernarg_preload_length 0
		.amdhsa_user_sgpr_kernarg_preload_offset 0
		.amdhsa_user_sgpr_private_segment_size 0
		.amdhsa_wavefront_size32 1
		.amdhsa_uses_dynamic_stack 0
		.amdhsa_enable_private_segment 0
		.amdhsa_system_sgpr_workgroup_id_x 1
		.amdhsa_system_sgpr_workgroup_id_y 0
		.amdhsa_system_sgpr_workgroup_id_z 0
		.amdhsa_system_sgpr_workgroup_info 0
		.amdhsa_system_vgpr_workitem_id 0
		.amdhsa_next_free_vgpr 1
		.amdhsa_next_free_sgpr 1
		.amdhsa_named_barrier_count 0
		.amdhsa_reserve_vcc 0
		.amdhsa_float_round_mode_32 0
		.amdhsa_float_round_mode_16_64 0
		.amdhsa_float_denorm_mode_32 3
		.amdhsa_float_denorm_mode_16_64 3
		.amdhsa_fp16_overflow 0
		.amdhsa_memory_ordered 1
		.amdhsa_forward_progress 1
		.amdhsa_inst_pref_size 1
		.amdhsa_round_robin_scheduling 0
		.amdhsa_exception_fp_ieee_invalid_op 0
		.amdhsa_exception_fp_denorm_src 0
		.amdhsa_exception_fp_ieee_div_zero 0
		.amdhsa_exception_fp_ieee_overflow 0
		.amdhsa_exception_fp_ieee_underflow 0
		.amdhsa_exception_fp_ieee_inexact 0
		.amdhsa_exception_int_div_zero 0
	.end_amdhsa_kernel
	.section	.text._ZN7rocprim17ROCPRIM_400000_NS6detail17trampoline_kernelINS0_14default_configENS1_25partition_config_selectorILNS1_17partition_subalgoE8EdNS0_10empty_typeEbEEZZNS1_14partition_implILS5_8ELb0ES3_jPKdPS6_PKS6_NS0_5tupleIJPdS6_EEENSE_IJSB_SB_EEENS0_18inequality_wrapperIN6hipcub16HIPCUB_304000_NS8EqualityEEEPlJS6_EEE10hipError_tPvRmT3_T4_T5_T6_T7_T9_mT8_P12ihipStream_tbDpT10_ENKUlT_T0_E_clISt17integral_constantIbLb1EES17_EEDaS12_S13_EUlS12_E_NS1_11comp_targetILNS1_3genE0ELNS1_11target_archE4294967295ELNS1_3gpuE0ELNS1_3repE0EEENS1_30default_config_static_selectorELNS0_4arch9wavefront6targetE0EEEvT1_,"axG",@progbits,_ZN7rocprim17ROCPRIM_400000_NS6detail17trampoline_kernelINS0_14default_configENS1_25partition_config_selectorILNS1_17partition_subalgoE8EdNS0_10empty_typeEbEEZZNS1_14partition_implILS5_8ELb0ES3_jPKdPS6_PKS6_NS0_5tupleIJPdS6_EEENSE_IJSB_SB_EEENS0_18inequality_wrapperIN6hipcub16HIPCUB_304000_NS8EqualityEEEPlJS6_EEE10hipError_tPvRmT3_T4_T5_T6_T7_T9_mT8_P12ihipStream_tbDpT10_ENKUlT_T0_E_clISt17integral_constantIbLb1EES17_EEDaS12_S13_EUlS12_E_NS1_11comp_targetILNS1_3genE0ELNS1_11target_archE4294967295ELNS1_3gpuE0ELNS1_3repE0EEENS1_30default_config_static_selectorELNS0_4arch9wavefront6targetE0EEEvT1_,comdat
.Lfunc_end280:
	.size	_ZN7rocprim17ROCPRIM_400000_NS6detail17trampoline_kernelINS0_14default_configENS1_25partition_config_selectorILNS1_17partition_subalgoE8EdNS0_10empty_typeEbEEZZNS1_14partition_implILS5_8ELb0ES3_jPKdPS6_PKS6_NS0_5tupleIJPdS6_EEENSE_IJSB_SB_EEENS0_18inequality_wrapperIN6hipcub16HIPCUB_304000_NS8EqualityEEEPlJS6_EEE10hipError_tPvRmT3_T4_T5_T6_T7_T9_mT8_P12ihipStream_tbDpT10_ENKUlT_T0_E_clISt17integral_constantIbLb1EES17_EEDaS12_S13_EUlS12_E_NS1_11comp_targetILNS1_3genE0ELNS1_11target_archE4294967295ELNS1_3gpuE0ELNS1_3repE0EEENS1_30default_config_static_selectorELNS0_4arch9wavefront6targetE0EEEvT1_, .Lfunc_end280-_ZN7rocprim17ROCPRIM_400000_NS6detail17trampoline_kernelINS0_14default_configENS1_25partition_config_selectorILNS1_17partition_subalgoE8EdNS0_10empty_typeEbEEZZNS1_14partition_implILS5_8ELb0ES3_jPKdPS6_PKS6_NS0_5tupleIJPdS6_EEENSE_IJSB_SB_EEENS0_18inequality_wrapperIN6hipcub16HIPCUB_304000_NS8EqualityEEEPlJS6_EEE10hipError_tPvRmT3_T4_T5_T6_T7_T9_mT8_P12ihipStream_tbDpT10_ENKUlT_T0_E_clISt17integral_constantIbLb1EES17_EEDaS12_S13_EUlS12_E_NS1_11comp_targetILNS1_3genE0ELNS1_11target_archE4294967295ELNS1_3gpuE0ELNS1_3repE0EEENS1_30default_config_static_selectorELNS0_4arch9wavefront6targetE0EEEvT1_
                                        ; -- End function
	.set _ZN7rocprim17ROCPRIM_400000_NS6detail17trampoline_kernelINS0_14default_configENS1_25partition_config_selectorILNS1_17partition_subalgoE8EdNS0_10empty_typeEbEEZZNS1_14partition_implILS5_8ELb0ES3_jPKdPS6_PKS6_NS0_5tupleIJPdS6_EEENSE_IJSB_SB_EEENS0_18inequality_wrapperIN6hipcub16HIPCUB_304000_NS8EqualityEEEPlJS6_EEE10hipError_tPvRmT3_T4_T5_T6_T7_T9_mT8_P12ihipStream_tbDpT10_ENKUlT_T0_E_clISt17integral_constantIbLb1EES17_EEDaS12_S13_EUlS12_E_NS1_11comp_targetILNS1_3genE0ELNS1_11target_archE4294967295ELNS1_3gpuE0ELNS1_3repE0EEENS1_30default_config_static_selectorELNS0_4arch9wavefront6targetE0EEEvT1_.num_vgpr, 0
	.set _ZN7rocprim17ROCPRIM_400000_NS6detail17trampoline_kernelINS0_14default_configENS1_25partition_config_selectorILNS1_17partition_subalgoE8EdNS0_10empty_typeEbEEZZNS1_14partition_implILS5_8ELb0ES3_jPKdPS6_PKS6_NS0_5tupleIJPdS6_EEENSE_IJSB_SB_EEENS0_18inequality_wrapperIN6hipcub16HIPCUB_304000_NS8EqualityEEEPlJS6_EEE10hipError_tPvRmT3_T4_T5_T6_T7_T9_mT8_P12ihipStream_tbDpT10_ENKUlT_T0_E_clISt17integral_constantIbLb1EES17_EEDaS12_S13_EUlS12_E_NS1_11comp_targetILNS1_3genE0ELNS1_11target_archE4294967295ELNS1_3gpuE0ELNS1_3repE0EEENS1_30default_config_static_selectorELNS0_4arch9wavefront6targetE0EEEvT1_.num_agpr, 0
	.set _ZN7rocprim17ROCPRIM_400000_NS6detail17trampoline_kernelINS0_14default_configENS1_25partition_config_selectorILNS1_17partition_subalgoE8EdNS0_10empty_typeEbEEZZNS1_14partition_implILS5_8ELb0ES3_jPKdPS6_PKS6_NS0_5tupleIJPdS6_EEENSE_IJSB_SB_EEENS0_18inequality_wrapperIN6hipcub16HIPCUB_304000_NS8EqualityEEEPlJS6_EEE10hipError_tPvRmT3_T4_T5_T6_T7_T9_mT8_P12ihipStream_tbDpT10_ENKUlT_T0_E_clISt17integral_constantIbLb1EES17_EEDaS12_S13_EUlS12_E_NS1_11comp_targetILNS1_3genE0ELNS1_11target_archE4294967295ELNS1_3gpuE0ELNS1_3repE0EEENS1_30default_config_static_selectorELNS0_4arch9wavefront6targetE0EEEvT1_.numbered_sgpr, 0
	.set _ZN7rocprim17ROCPRIM_400000_NS6detail17trampoline_kernelINS0_14default_configENS1_25partition_config_selectorILNS1_17partition_subalgoE8EdNS0_10empty_typeEbEEZZNS1_14partition_implILS5_8ELb0ES3_jPKdPS6_PKS6_NS0_5tupleIJPdS6_EEENSE_IJSB_SB_EEENS0_18inequality_wrapperIN6hipcub16HIPCUB_304000_NS8EqualityEEEPlJS6_EEE10hipError_tPvRmT3_T4_T5_T6_T7_T9_mT8_P12ihipStream_tbDpT10_ENKUlT_T0_E_clISt17integral_constantIbLb1EES17_EEDaS12_S13_EUlS12_E_NS1_11comp_targetILNS1_3genE0ELNS1_11target_archE4294967295ELNS1_3gpuE0ELNS1_3repE0EEENS1_30default_config_static_selectorELNS0_4arch9wavefront6targetE0EEEvT1_.num_named_barrier, 0
	.set _ZN7rocprim17ROCPRIM_400000_NS6detail17trampoline_kernelINS0_14default_configENS1_25partition_config_selectorILNS1_17partition_subalgoE8EdNS0_10empty_typeEbEEZZNS1_14partition_implILS5_8ELb0ES3_jPKdPS6_PKS6_NS0_5tupleIJPdS6_EEENSE_IJSB_SB_EEENS0_18inequality_wrapperIN6hipcub16HIPCUB_304000_NS8EqualityEEEPlJS6_EEE10hipError_tPvRmT3_T4_T5_T6_T7_T9_mT8_P12ihipStream_tbDpT10_ENKUlT_T0_E_clISt17integral_constantIbLb1EES17_EEDaS12_S13_EUlS12_E_NS1_11comp_targetILNS1_3genE0ELNS1_11target_archE4294967295ELNS1_3gpuE0ELNS1_3repE0EEENS1_30default_config_static_selectorELNS0_4arch9wavefront6targetE0EEEvT1_.private_seg_size, 0
	.set _ZN7rocprim17ROCPRIM_400000_NS6detail17trampoline_kernelINS0_14default_configENS1_25partition_config_selectorILNS1_17partition_subalgoE8EdNS0_10empty_typeEbEEZZNS1_14partition_implILS5_8ELb0ES3_jPKdPS6_PKS6_NS0_5tupleIJPdS6_EEENSE_IJSB_SB_EEENS0_18inequality_wrapperIN6hipcub16HIPCUB_304000_NS8EqualityEEEPlJS6_EEE10hipError_tPvRmT3_T4_T5_T6_T7_T9_mT8_P12ihipStream_tbDpT10_ENKUlT_T0_E_clISt17integral_constantIbLb1EES17_EEDaS12_S13_EUlS12_E_NS1_11comp_targetILNS1_3genE0ELNS1_11target_archE4294967295ELNS1_3gpuE0ELNS1_3repE0EEENS1_30default_config_static_selectorELNS0_4arch9wavefront6targetE0EEEvT1_.uses_vcc, 0
	.set _ZN7rocprim17ROCPRIM_400000_NS6detail17trampoline_kernelINS0_14default_configENS1_25partition_config_selectorILNS1_17partition_subalgoE8EdNS0_10empty_typeEbEEZZNS1_14partition_implILS5_8ELb0ES3_jPKdPS6_PKS6_NS0_5tupleIJPdS6_EEENSE_IJSB_SB_EEENS0_18inequality_wrapperIN6hipcub16HIPCUB_304000_NS8EqualityEEEPlJS6_EEE10hipError_tPvRmT3_T4_T5_T6_T7_T9_mT8_P12ihipStream_tbDpT10_ENKUlT_T0_E_clISt17integral_constantIbLb1EES17_EEDaS12_S13_EUlS12_E_NS1_11comp_targetILNS1_3genE0ELNS1_11target_archE4294967295ELNS1_3gpuE0ELNS1_3repE0EEENS1_30default_config_static_selectorELNS0_4arch9wavefront6targetE0EEEvT1_.uses_flat_scratch, 0
	.set _ZN7rocprim17ROCPRIM_400000_NS6detail17trampoline_kernelINS0_14default_configENS1_25partition_config_selectorILNS1_17partition_subalgoE8EdNS0_10empty_typeEbEEZZNS1_14partition_implILS5_8ELb0ES3_jPKdPS6_PKS6_NS0_5tupleIJPdS6_EEENSE_IJSB_SB_EEENS0_18inequality_wrapperIN6hipcub16HIPCUB_304000_NS8EqualityEEEPlJS6_EEE10hipError_tPvRmT3_T4_T5_T6_T7_T9_mT8_P12ihipStream_tbDpT10_ENKUlT_T0_E_clISt17integral_constantIbLb1EES17_EEDaS12_S13_EUlS12_E_NS1_11comp_targetILNS1_3genE0ELNS1_11target_archE4294967295ELNS1_3gpuE0ELNS1_3repE0EEENS1_30default_config_static_selectorELNS0_4arch9wavefront6targetE0EEEvT1_.has_dyn_sized_stack, 0
	.set _ZN7rocprim17ROCPRIM_400000_NS6detail17trampoline_kernelINS0_14default_configENS1_25partition_config_selectorILNS1_17partition_subalgoE8EdNS0_10empty_typeEbEEZZNS1_14partition_implILS5_8ELb0ES3_jPKdPS6_PKS6_NS0_5tupleIJPdS6_EEENSE_IJSB_SB_EEENS0_18inequality_wrapperIN6hipcub16HIPCUB_304000_NS8EqualityEEEPlJS6_EEE10hipError_tPvRmT3_T4_T5_T6_T7_T9_mT8_P12ihipStream_tbDpT10_ENKUlT_T0_E_clISt17integral_constantIbLb1EES17_EEDaS12_S13_EUlS12_E_NS1_11comp_targetILNS1_3genE0ELNS1_11target_archE4294967295ELNS1_3gpuE0ELNS1_3repE0EEENS1_30default_config_static_selectorELNS0_4arch9wavefront6targetE0EEEvT1_.has_recursion, 0
	.set _ZN7rocprim17ROCPRIM_400000_NS6detail17trampoline_kernelINS0_14default_configENS1_25partition_config_selectorILNS1_17partition_subalgoE8EdNS0_10empty_typeEbEEZZNS1_14partition_implILS5_8ELb0ES3_jPKdPS6_PKS6_NS0_5tupleIJPdS6_EEENSE_IJSB_SB_EEENS0_18inequality_wrapperIN6hipcub16HIPCUB_304000_NS8EqualityEEEPlJS6_EEE10hipError_tPvRmT3_T4_T5_T6_T7_T9_mT8_P12ihipStream_tbDpT10_ENKUlT_T0_E_clISt17integral_constantIbLb1EES17_EEDaS12_S13_EUlS12_E_NS1_11comp_targetILNS1_3genE0ELNS1_11target_archE4294967295ELNS1_3gpuE0ELNS1_3repE0EEENS1_30default_config_static_selectorELNS0_4arch9wavefront6targetE0EEEvT1_.has_indirect_call, 0
	.section	.AMDGPU.csdata,"",@progbits
; Kernel info:
; codeLenInByte = 4
; TotalNumSgprs: 0
; NumVgprs: 0
; ScratchSize: 0
; MemoryBound: 0
; FloatMode: 240
; IeeeMode: 1
; LDSByteSize: 0 bytes/workgroup (compile time only)
; SGPRBlocks: 0
; VGPRBlocks: 0
; NumSGPRsForWavesPerEU: 1
; NumVGPRsForWavesPerEU: 1
; NamedBarCnt: 0
; Occupancy: 16
; WaveLimiterHint : 0
; COMPUTE_PGM_RSRC2:SCRATCH_EN: 0
; COMPUTE_PGM_RSRC2:USER_SGPR: 2
; COMPUTE_PGM_RSRC2:TRAP_HANDLER: 0
; COMPUTE_PGM_RSRC2:TGID_X_EN: 1
; COMPUTE_PGM_RSRC2:TGID_Y_EN: 0
; COMPUTE_PGM_RSRC2:TGID_Z_EN: 0
; COMPUTE_PGM_RSRC2:TIDIG_COMP_CNT: 0
	.section	.text._ZN7rocprim17ROCPRIM_400000_NS6detail17trampoline_kernelINS0_14default_configENS1_25partition_config_selectorILNS1_17partition_subalgoE8EdNS0_10empty_typeEbEEZZNS1_14partition_implILS5_8ELb0ES3_jPKdPS6_PKS6_NS0_5tupleIJPdS6_EEENSE_IJSB_SB_EEENS0_18inequality_wrapperIN6hipcub16HIPCUB_304000_NS8EqualityEEEPlJS6_EEE10hipError_tPvRmT3_T4_T5_T6_T7_T9_mT8_P12ihipStream_tbDpT10_ENKUlT_T0_E_clISt17integral_constantIbLb1EES17_EEDaS12_S13_EUlS12_E_NS1_11comp_targetILNS1_3genE5ELNS1_11target_archE942ELNS1_3gpuE9ELNS1_3repE0EEENS1_30default_config_static_selectorELNS0_4arch9wavefront6targetE0EEEvT1_,"axG",@progbits,_ZN7rocprim17ROCPRIM_400000_NS6detail17trampoline_kernelINS0_14default_configENS1_25partition_config_selectorILNS1_17partition_subalgoE8EdNS0_10empty_typeEbEEZZNS1_14partition_implILS5_8ELb0ES3_jPKdPS6_PKS6_NS0_5tupleIJPdS6_EEENSE_IJSB_SB_EEENS0_18inequality_wrapperIN6hipcub16HIPCUB_304000_NS8EqualityEEEPlJS6_EEE10hipError_tPvRmT3_T4_T5_T6_T7_T9_mT8_P12ihipStream_tbDpT10_ENKUlT_T0_E_clISt17integral_constantIbLb1EES17_EEDaS12_S13_EUlS12_E_NS1_11comp_targetILNS1_3genE5ELNS1_11target_archE942ELNS1_3gpuE9ELNS1_3repE0EEENS1_30default_config_static_selectorELNS0_4arch9wavefront6targetE0EEEvT1_,comdat
	.protected	_ZN7rocprim17ROCPRIM_400000_NS6detail17trampoline_kernelINS0_14default_configENS1_25partition_config_selectorILNS1_17partition_subalgoE8EdNS0_10empty_typeEbEEZZNS1_14partition_implILS5_8ELb0ES3_jPKdPS6_PKS6_NS0_5tupleIJPdS6_EEENSE_IJSB_SB_EEENS0_18inequality_wrapperIN6hipcub16HIPCUB_304000_NS8EqualityEEEPlJS6_EEE10hipError_tPvRmT3_T4_T5_T6_T7_T9_mT8_P12ihipStream_tbDpT10_ENKUlT_T0_E_clISt17integral_constantIbLb1EES17_EEDaS12_S13_EUlS12_E_NS1_11comp_targetILNS1_3genE5ELNS1_11target_archE942ELNS1_3gpuE9ELNS1_3repE0EEENS1_30default_config_static_selectorELNS0_4arch9wavefront6targetE0EEEvT1_ ; -- Begin function _ZN7rocprim17ROCPRIM_400000_NS6detail17trampoline_kernelINS0_14default_configENS1_25partition_config_selectorILNS1_17partition_subalgoE8EdNS0_10empty_typeEbEEZZNS1_14partition_implILS5_8ELb0ES3_jPKdPS6_PKS6_NS0_5tupleIJPdS6_EEENSE_IJSB_SB_EEENS0_18inequality_wrapperIN6hipcub16HIPCUB_304000_NS8EqualityEEEPlJS6_EEE10hipError_tPvRmT3_T4_T5_T6_T7_T9_mT8_P12ihipStream_tbDpT10_ENKUlT_T0_E_clISt17integral_constantIbLb1EES17_EEDaS12_S13_EUlS12_E_NS1_11comp_targetILNS1_3genE5ELNS1_11target_archE942ELNS1_3gpuE9ELNS1_3repE0EEENS1_30default_config_static_selectorELNS0_4arch9wavefront6targetE0EEEvT1_
	.globl	_ZN7rocprim17ROCPRIM_400000_NS6detail17trampoline_kernelINS0_14default_configENS1_25partition_config_selectorILNS1_17partition_subalgoE8EdNS0_10empty_typeEbEEZZNS1_14partition_implILS5_8ELb0ES3_jPKdPS6_PKS6_NS0_5tupleIJPdS6_EEENSE_IJSB_SB_EEENS0_18inequality_wrapperIN6hipcub16HIPCUB_304000_NS8EqualityEEEPlJS6_EEE10hipError_tPvRmT3_T4_T5_T6_T7_T9_mT8_P12ihipStream_tbDpT10_ENKUlT_T0_E_clISt17integral_constantIbLb1EES17_EEDaS12_S13_EUlS12_E_NS1_11comp_targetILNS1_3genE5ELNS1_11target_archE942ELNS1_3gpuE9ELNS1_3repE0EEENS1_30default_config_static_selectorELNS0_4arch9wavefront6targetE0EEEvT1_
	.p2align	8
	.type	_ZN7rocprim17ROCPRIM_400000_NS6detail17trampoline_kernelINS0_14default_configENS1_25partition_config_selectorILNS1_17partition_subalgoE8EdNS0_10empty_typeEbEEZZNS1_14partition_implILS5_8ELb0ES3_jPKdPS6_PKS6_NS0_5tupleIJPdS6_EEENSE_IJSB_SB_EEENS0_18inequality_wrapperIN6hipcub16HIPCUB_304000_NS8EqualityEEEPlJS6_EEE10hipError_tPvRmT3_T4_T5_T6_T7_T9_mT8_P12ihipStream_tbDpT10_ENKUlT_T0_E_clISt17integral_constantIbLb1EES17_EEDaS12_S13_EUlS12_E_NS1_11comp_targetILNS1_3genE5ELNS1_11target_archE942ELNS1_3gpuE9ELNS1_3repE0EEENS1_30default_config_static_selectorELNS0_4arch9wavefront6targetE0EEEvT1_,@function
_ZN7rocprim17ROCPRIM_400000_NS6detail17trampoline_kernelINS0_14default_configENS1_25partition_config_selectorILNS1_17partition_subalgoE8EdNS0_10empty_typeEbEEZZNS1_14partition_implILS5_8ELb0ES3_jPKdPS6_PKS6_NS0_5tupleIJPdS6_EEENSE_IJSB_SB_EEENS0_18inequality_wrapperIN6hipcub16HIPCUB_304000_NS8EqualityEEEPlJS6_EEE10hipError_tPvRmT3_T4_T5_T6_T7_T9_mT8_P12ihipStream_tbDpT10_ENKUlT_T0_E_clISt17integral_constantIbLb1EES17_EEDaS12_S13_EUlS12_E_NS1_11comp_targetILNS1_3genE5ELNS1_11target_archE942ELNS1_3gpuE9ELNS1_3repE0EEENS1_30default_config_static_selectorELNS0_4arch9wavefront6targetE0EEEvT1_: ; @_ZN7rocprim17ROCPRIM_400000_NS6detail17trampoline_kernelINS0_14default_configENS1_25partition_config_selectorILNS1_17partition_subalgoE8EdNS0_10empty_typeEbEEZZNS1_14partition_implILS5_8ELb0ES3_jPKdPS6_PKS6_NS0_5tupleIJPdS6_EEENSE_IJSB_SB_EEENS0_18inequality_wrapperIN6hipcub16HIPCUB_304000_NS8EqualityEEEPlJS6_EEE10hipError_tPvRmT3_T4_T5_T6_T7_T9_mT8_P12ihipStream_tbDpT10_ENKUlT_T0_E_clISt17integral_constantIbLb1EES17_EEDaS12_S13_EUlS12_E_NS1_11comp_targetILNS1_3genE5ELNS1_11target_archE942ELNS1_3gpuE9ELNS1_3repE0EEENS1_30default_config_static_selectorELNS0_4arch9wavefront6targetE0EEEvT1_
; %bb.0:
	.section	.rodata,"a",@progbits
	.p2align	6, 0x0
	.amdhsa_kernel _ZN7rocprim17ROCPRIM_400000_NS6detail17trampoline_kernelINS0_14default_configENS1_25partition_config_selectorILNS1_17partition_subalgoE8EdNS0_10empty_typeEbEEZZNS1_14partition_implILS5_8ELb0ES3_jPKdPS6_PKS6_NS0_5tupleIJPdS6_EEENSE_IJSB_SB_EEENS0_18inequality_wrapperIN6hipcub16HIPCUB_304000_NS8EqualityEEEPlJS6_EEE10hipError_tPvRmT3_T4_T5_T6_T7_T9_mT8_P12ihipStream_tbDpT10_ENKUlT_T0_E_clISt17integral_constantIbLb1EES17_EEDaS12_S13_EUlS12_E_NS1_11comp_targetILNS1_3genE5ELNS1_11target_archE942ELNS1_3gpuE9ELNS1_3repE0EEENS1_30default_config_static_selectorELNS0_4arch9wavefront6targetE0EEEvT1_
		.amdhsa_group_segment_fixed_size 0
		.amdhsa_private_segment_fixed_size 0
		.amdhsa_kernarg_size 128
		.amdhsa_user_sgpr_count 2
		.amdhsa_user_sgpr_dispatch_ptr 0
		.amdhsa_user_sgpr_queue_ptr 0
		.amdhsa_user_sgpr_kernarg_segment_ptr 1
		.amdhsa_user_sgpr_dispatch_id 0
		.amdhsa_user_sgpr_kernarg_preload_length 0
		.amdhsa_user_sgpr_kernarg_preload_offset 0
		.amdhsa_user_sgpr_private_segment_size 0
		.amdhsa_wavefront_size32 1
		.amdhsa_uses_dynamic_stack 0
		.amdhsa_enable_private_segment 0
		.amdhsa_system_sgpr_workgroup_id_x 1
		.amdhsa_system_sgpr_workgroup_id_y 0
		.amdhsa_system_sgpr_workgroup_id_z 0
		.amdhsa_system_sgpr_workgroup_info 0
		.amdhsa_system_vgpr_workitem_id 0
		.amdhsa_next_free_vgpr 1
		.amdhsa_next_free_sgpr 1
		.amdhsa_named_barrier_count 0
		.amdhsa_reserve_vcc 0
		.amdhsa_float_round_mode_32 0
		.amdhsa_float_round_mode_16_64 0
		.amdhsa_float_denorm_mode_32 3
		.amdhsa_float_denorm_mode_16_64 3
		.amdhsa_fp16_overflow 0
		.amdhsa_memory_ordered 1
		.amdhsa_forward_progress 1
		.amdhsa_inst_pref_size 0
		.amdhsa_round_robin_scheduling 0
		.amdhsa_exception_fp_ieee_invalid_op 0
		.amdhsa_exception_fp_denorm_src 0
		.amdhsa_exception_fp_ieee_div_zero 0
		.amdhsa_exception_fp_ieee_overflow 0
		.amdhsa_exception_fp_ieee_underflow 0
		.amdhsa_exception_fp_ieee_inexact 0
		.amdhsa_exception_int_div_zero 0
	.end_amdhsa_kernel
	.section	.text._ZN7rocprim17ROCPRIM_400000_NS6detail17trampoline_kernelINS0_14default_configENS1_25partition_config_selectorILNS1_17partition_subalgoE8EdNS0_10empty_typeEbEEZZNS1_14partition_implILS5_8ELb0ES3_jPKdPS6_PKS6_NS0_5tupleIJPdS6_EEENSE_IJSB_SB_EEENS0_18inequality_wrapperIN6hipcub16HIPCUB_304000_NS8EqualityEEEPlJS6_EEE10hipError_tPvRmT3_T4_T5_T6_T7_T9_mT8_P12ihipStream_tbDpT10_ENKUlT_T0_E_clISt17integral_constantIbLb1EES17_EEDaS12_S13_EUlS12_E_NS1_11comp_targetILNS1_3genE5ELNS1_11target_archE942ELNS1_3gpuE9ELNS1_3repE0EEENS1_30default_config_static_selectorELNS0_4arch9wavefront6targetE0EEEvT1_,"axG",@progbits,_ZN7rocprim17ROCPRIM_400000_NS6detail17trampoline_kernelINS0_14default_configENS1_25partition_config_selectorILNS1_17partition_subalgoE8EdNS0_10empty_typeEbEEZZNS1_14partition_implILS5_8ELb0ES3_jPKdPS6_PKS6_NS0_5tupleIJPdS6_EEENSE_IJSB_SB_EEENS0_18inequality_wrapperIN6hipcub16HIPCUB_304000_NS8EqualityEEEPlJS6_EEE10hipError_tPvRmT3_T4_T5_T6_T7_T9_mT8_P12ihipStream_tbDpT10_ENKUlT_T0_E_clISt17integral_constantIbLb1EES17_EEDaS12_S13_EUlS12_E_NS1_11comp_targetILNS1_3genE5ELNS1_11target_archE942ELNS1_3gpuE9ELNS1_3repE0EEENS1_30default_config_static_selectorELNS0_4arch9wavefront6targetE0EEEvT1_,comdat
.Lfunc_end281:
	.size	_ZN7rocprim17ROCPRIM_400000_NS6detail17trampoline_kernelINS0_14default_configENS1_25partition_config_selectorILNS1_17partition_subalgoE8EdNS0_10empty_typeEbEEZZNS1_14partition_implILS5_8ELb0ES3_jPKdPS6_PKS6_NS0_5tupleIJPdS6_EEENSE_IJSB_SB_EEENS0_18inequality_wrapperIN6hipcub16HIPCUB_304000_NS8EqualityEEEPlJS6_EEE10hipError_tPvRmT3_T4_T5_T6_T7_T9_mT8_P12ihipStream_tbDpT10_ENKUlT_T0_E_clISt17integral_constantIbLb1EES17_EEDaS12_S13_EUlS12_E_NS1_11comp_targetILNS1_3genE5ELNS1_11target_archE942ELNS1_3gpuE9ELNS1_3repE0EEENS1_30default_config_static_selectorELNS0_4arch9wavefront6targetE0EEEvT1_, .Lfunc_end281-_ZN7rocprim17ROCPRIM_400000_NS6detail17trampoline_kernelINS0_14default_configENS1_25partition_config_selectorILNS1_17partition_subalgoE8EdNS0_10empty_typeEbEEZZNS1_14partition_implILS5_8ELb0ES3_jPKdPS6_PKS6_NS0_5tupleIJPdS6_EEENSE_IJSB_SB_EEENS0_18inequality_wrapperIN6hipcub16HIPCUB_304000_NS8EqualityEEEPlJS6_EEE10hipError_tPvRmT3_T4_T5_T6_T7_T9_mT8_P12ihipStream_tbDpT10_ENKUlT_T0_E_clISt17integral_constantIbLb1EES17_EEDaS12_S13_EUlS12_E_NS1_11comp_targetILNS1_3genE5ELNS1_11target_archE942ELNS1_3gpuE9ELNS1_3repE0EEENS1_30default_config_static_selectorELNS0_4arch9wavefront6targetE0EEEvT1_
                                        ; -- End function
	.set _ZN7rocprim17ROCPRIM_400000_NS6detail17trampoline_kernelINS0_14default_configENS1_25partition_config_selectorILNS1_17partition_subalgoE8EdNS0_10empty_typeEbEEZZNS1_14partition_implILS5_8ELb0ES3_jPKdPS6_PKS6_NS0_5tupleIJPdS6_EEENSE_IJSB_SB_EEENS0_18inequality_wrapperIN6hipcub16HIPCUB_304000_NS8EqualityEEEPlJS6_EEE10hipError_tPvRmT3_T4_T5_T6_T7_T9_mT8_P12ihipStream_tbDpT10_ENKUlT_T0_E_clISt17integral_constantIbLb1EES17_EEDaS12_S13_EUlS12_E_NS1_11comp_targetILNS1_3genE5ELNS1_11target_archE942ELNS1_3gpuE9ELNS1_3repE0EEENS1_30default_config_static_selectorELNS0_4arch9wavefront6targetE0EEEvT1_.num_vgpr, 0
	.set _ZN7rocprim17ROCPRIM_400000_NS6detail17trampoline_kernelINS0_14default_configENS1_25partition_config_selectorILNS1_17partition_subalgoE8EdNS0_10empty_typeEbEEZZNS1_14partition_implILS5_8ELb0ES3_jPKdPS6_PKS6_NS0_5tupleIJPdS6_EEENSE_IJSB_SB_EEENS0_18inequality_wrapperIN6hipcub16HIPCUB_304000_NS8EqualityEEEPlJS6_EEE10hipError_tPvRmT3_T4_T5_T6_T7_T9_mT8_P12ihipStream_tbDpT10_ENKUlT_T0_E_clISt17integral_constantIbLb1EES17_EEDaS12_S13_EUlS12_E_NS1_11comp_targetILNS1_3genE5ELNS1_11target_archE942ELNS1_3gpuE9ELNS1_3repE0EEENS1_30default_config_static_selectorELNS0_4arch9wavefront6targetE0EEEvT1_.num_agpr, 0
	.set _ZN7rocprim17ROCPRIM_400000_NS6detail17trampoline_kernelINS0_14default_configENS1_25partition_config_selectorILNS1_17partition_subalgoE8EdNS0_10empty_typeEbEEZZNS1_14partition_implILS5_8ELb0ES3_jPKdPS6_PKS6_NS0_5tupleIJPdS6_EEENSE_IJSB_SB_EEENS0_18inequality_wrapperIN6hipcub16HIPCUB_304000_NS8EqualityEEEPlJS6_EEE10hipError_tPvRmT3_T4_T5_T6_T7_T9_mT8_P12ihipStream_tbDpT10_ENKUlT_T0_E_clISt17integral_constantIbLb1EES17_EEDaS12_S13_EUlS12_E_NS1_11comp_targetILNS1_3genE5ELNS1_11target_archE942ELNS1_3gpuE9ELNS1_3repE0EEENS1_30default_config_static_selectorELNS0_4arch9wavefront6targetE0EEEvT1_.numbered_sgpr, 0
	.set _ZN7rocprim17ROCPRIM_400000_NS6detail17trampoline_kernelINS0_14default_configENS1_25partition_config_selectorILNS1_17partition_subalgoE8EdNS0_10empty_typeEbEEZZNS1_14partition_implILS5_8ELb0ES3_jPKdPS6_PKS6_NS0_5tupleIJPdS6_EEENSE_IJSB_SB_EEENS0_18inequality_wrapperIN6hipcub16HIPCUB_304000_NS8EqualityEEEPlJS6_EEE10hipError_tPvRmT3_T4_T5_T6_T7_T9_mT8_P12ihipStream_tbDpT10_ENKUlT_T0_E_clISt17integral_constantIbLb1EES17_EEDaS12_S13_EUlS12_E_NS1_11comp_targetILNS1_3genE5ELNS1_11target_archE942ELNS1_3gpuE9ELNS1_3repE0EEENS1_30default_config_static_selectorELNS0_4arch9wavefront6targetE0EEEvT1_.num_named_barrier, 0
	.set _ZN7rocprim17ROCPRIM_400000_NS6detail17trampoline_kernelINS0_14default_configENS1_25partition_config_selectorILNS1_17partition_subalgoE8EdNS0_10empty_typeEbEEZZNS1_14partition_implILS5_8ELb0ES3_jPKdPS6_PKS6_NS0_5tupleIJPdS6_EEENSE_IJSB_SB_EEENS0_18inequality_wrapperIN6hipcub16HIPCUB_304000_NS8EqualityEEEPlJS6_EEE10hipError_tPvRmT3_T4_T5_T6_T7_T9_mT8_P12ihipStream_tbDpT10_ENKUlT_T0_E_clISt17integral_constantIbLb1EES17_EEDaS12_S13_EUlS12_E_NS1_11comp_targetILNS1_3genE5ELNS1_11target_archE942ELNS1_3gpuE9ELNS1_3repE0EEENS1_30default_config_static_selectorELNS0_4arch9wavefront6targetE0EEEvT1_.private_seg_size, 0
	.set _ZN7rocprim17ROCPRIM_400000_NS6detail17trampoline_kernelINS0_14default_configENS1_25partition_config_selectorILNS1_17partition_subalgoE8EdNS0_10empty_typeEbEEZZNS1_14partition_implILS5_8ELb0ES3_jPKdPS6_PKS6_NS0_5tupleIJPdS6_EEENSE_IJSB_SB_EEENS0_18inequality_wrapperIN6hipcub16HIPCUB_304000_NS8EqualityEEEPlJS6_EEE10hipError_tPvRmT3_T4_T5_T6_T7_T9_mT8_P12ihipStream_tbDpT10_ENKUlT_T0_E_clISt17integral_constantIbLb1EES17_EEDaS12_S13_EUlS12_E_NS1_11comp_targetILNS1_3genE5ELNS1_11target_archE942ELNS1_3gpuE9ELNS1_3repE0EEENS1_30default_config_static_selectorELNS0_4arch9wavefront6targetE0EEEvT1_.uses_vcc, 0
	.set _ZN7rocprim17ROCPRIM_400000_NS6detail17trampoline_kernelINS0_14default_configENS1_25partition_config_selectorILNS1_17partition_subalgoE8EdNS0_10empty_typeEbEEZZNS1_14partition_implILS5_8ELb0ES3_jPKdPS6_PKS6_NS0_5tupleIJPdS6_EEENSE_IJSB_SB_EEENS0_18inequality_wrapperIN6hipcub16HIPCUB_304000_NS8EqualityEEEPlJS6_EEE10hipError_tPvRmT3_T4_T5_T6_T7_T9_mT8_P12ihipStream_tbDpT10_ENKUlT_T0_E_clISt17integral_constantIbLb1EES17_EEDaS12_S13_EUlS12_E_NS1_11comp_targetILNS1_3genE5ELNS1_11target_archE942ELNS1_3gpuE9ELNS1_3repE0EEENS1_30default_config_static_selectorELNS0_4arch9wavefront6targetE0EEEvT1_.uses_flat_scratch, 0
	.set _ZN7rocprim17ROCPRIM_400000_NS6detail17trampoline_kernelINS0_14default_configENS1_25partition_config_selectorILNS1_17partition_subalgoE8EdNS0_10empty_typeEbEEZZNS1_14partition_implILS5_8ELb0ES3_jPKdPS6_PKS6_NS0_5tupleIJPdS6_EEENSE_IJSB_SB_EEENS0_18inequality_wrapperIN6hipcub16HIPCUB_304000_NS8EqualityEEEPlJS6_EEE10hipError_tPvRmT3_T4_T5_T6_T7_T9_mT8_P12ihipStream_tbDpT10_ENKUlT_T0_E_clISt17integral_constantIbLb1EES17_EEDaS12_S13_EUlS12_E_NS1_11comp_targetILNS1_3genE5ELNS1_11target_archE942ELNS1_3gpuE9ELNS1_3repE0EEENS1_30default_config_static_selectorELNS0_4arch9wavefront6targetE0EEEvT1_.has_dyn_sized_stack, 0
	.set _ZN7rocprim17ROCPRIM_400000_NS6detail17trampoline_kernelINS0_14default_configENS1_25partition_config_selectorILNS1_17partition_subalgoE8EdNS0_10empty_typeEbEEZZNS1_14partition_implILS5_8ELb0ES3_jPKdPS6_PKS6_NS0_5tupleIJPdS6_EEENSE_IJSB_SB_EEENS0_18inequality_wrapperIN6hipcub16HIPCUB_304000_NS8EqualityEEEPlJS6_EEE10hipError_tPvRmT3_T4_T5_T6_T7_T9_mT8_P12ihipStream_tbDpT10_ENKUlT_T0_E_clISt17integral_constantIbLb1EES17_EEDaS12_S13_EUlS12_E_NS1_11comp_targetILNS1_3genE5ELNS1_11target_archE942ELNS1_3gpuE9ELNS1_3repE0EEENS1_30default_config_static_selectorELNS0_4arch9wavefront6targetE0EEEvT1_.has_recursion, 0
	.set _ZN7rocprim17ROCPRIM_400000_NS6detail17trampoline_kernelINS0_14default_configENS1_25partition_config_selectorILNS1_17partition_subalgoE8EdNS0_10empty_typeEbEEZZNS1_14partition_implILS5_8ELb0ES3_jPKdPS6_PKS6_NS0_5tupleIJPdS6_EEENSE_IJSB_SB_EEENS0_18inequality_wrapperIN6hipcub16HIPCUB_304000_NS8EqualityEEEPlJS6_EEE10hipError_tPvRmT3_T4_T5_T6_T7_T9_mT8_P12ihipStream_tbDpT10_ENKUlT_T0_E_clISt17integral_constantIbLb1EES17_EEDaS12_S13_EUlS12_E_NS1_11comp_targetILNS1_3genE5ELNS1_11target_archE942ELNS1_3gpuE9ELNS1_3repE0EEENS1_30default_config_static_selectorELNS0_4arch9wavefront6targetE0EEEvT1_.has_indirect_call, 0
	.section	.AMDGPU.csdata,"",@progbits
; Kernel info:
; codeLenInByte = 0
; TotalNumSgprs: 0
; NumVgprs: 0
; ScratchSize: 0
; MemoryBound: 0
; FloatMode: 240
; IeeeMode: 1
; LDSByteSize: 0 bytes/workgroup (compile time only)
; SGPRBlocks: 0
; VGPRBlocks: 0
; NumSGPRsForWavesPerEU: 1
; NumVGPRsForWavesPerEU: 1
; NamedBarCnt: 0
; Occupancy: 16
; WaveLimiterHint : 0
; COMPUTE_PGM_RSRC2:SCRATCH_EN: 0
; COMPUTE_PGM_RSRC2:USER_SGPR: 2
; COMPUTE_PGM_RSRC2:TRAP_HANDLER: 0
; COMPUTE_PGM_RSRC2:TGID_X_EN: 1
; COMPUTE_PGM_RSRC2:TGID_Y_EN: 0
; COMPUTE_PGM_RSRC2:TGID_Z_EN: 0
; COMPUTE_PGM_RSRC2:TIDIG_COMP_CNT: 0
	.section	.text._ZN7rocprim17ROCPRIM_400000_NS6detail17trampoline_kernelINS0_14default_configENS1_25partition_config_selectorILNS1_17partition_subalgoE8EdNS0_10empty_typeEbEEZZNS1_14partition_implILS5_8ELb0ES3_jPKdPS6_PKS6_NS0_5tupleIJPdS6_EEENSE_IJSB_SB_EEENS0_18inequality_wrapperIN6hipcub16HIPCUB_304000_NS8EqualityEEEPlJS6_EEE10hipError_tPvRmT3_T4_T5_T6_T7_T9_mT8_P12ihipStream_tbDpT10_ENKUlT_T0_E_clISt17integral_constantIbLb1EES17_EEDaS12_S13_EUlS12_E_NS1_11comp_targetILNS1_3genE4ELNS1_11target_archE910ELNS1_3gpuE8ELNS1_3repE0EEENS1_30default_config_static_selectorELNS0_4arch9wavefront6targetE0EEEvT1_,"axG",@progbits,_ZN7rocprim17ROCPRIM_400000_NS6detail17trampoline_kernelINS0_14default_configENS1_25partition_config_selectorILNS1_17partition_subalgoE8EdNS0_10empty_typeEbEEZZNS1_14partition_implILS5_8ELb0ES3_jPKdPS6_PKS6_NS0_5tupleIJPdS6_EEENSE_IJSB_SB_EEENS0_18inequality_wrapperIN6hipcub16HIPCUB_304000_NS8EqualityEEEPlJS6_EEE10hipError_tPvRmT3_T4_T5_T6_T7_T9_mT8_P12ihipStream_tbDpT10_ENKUlT_T0_E_clISt17integral_constantIbLb1EES17_EEDaS12_S13_EUlS12_E_NS1_11comp_targetILNS1_3genE4ELNS1_11target_archE910ELNS1_3gpuE8ELNS1_3repE0EEENS1_30default_config_static_selectorELNS0_4arch9wavefront6targetE0EEEvT1_,comdat
	.protected	_ZN7rocprim17ROCPRIM_400000_NS6detail17trampoline_kernelINS0_14default_configENS1_25partition_config_selectorILNS1_17partition_subalgoE8EdNS0_10empty_typeEbEEZZNS1_14partition_implILS5_8ELb0ES3_jPKdPS6_PKS6_NS0_5tupleIJPdS6_EEENSE_IJSB_SB_EEENS0_18inequality_wrapperIN6hipcub16HIPCUB_304000_NS8EqualityEEEPlJS6_EEE10hipError_tPvRmT3_T4_T5_T6_T7_T9_mT8_P12ihipStream_tbDpT10_ENKUlT_T0_E_clISt17integral_constantIbLb1EES17_EEDaS12_S13_EUlS12_E_NS1_11comp_targetILNS1_3genE4ELNS1_11target_archE910ELNS1_3gpuE8ELNS1_3repE0EEENS1_30default_config_static_selectorELNS0_4arch9wavefront6targetE0EEEvT1_ ; -- Begin function _ZN7rocprim17ROCPRIM_400000_NS6detail17trampoline_kernelINS0_14default_configENS1_25partition_config_selectorILNS1_17partition_subalgoE8EdNS0_10empty_typeEbEEZZNS1_14partition_implILS5_8ELb0ES3_jPKdPS6_PKS6_NS0_5tupleIJPdS6_EEENSE_IJSB_SB_EEENS0_18inequality_wrapperIN6hipcub16HIPCUB_304000_NS8EqualityEEEPlJS6_EEE10hipError_tPvRmT3_T4_T5_T6_T7_T9_mT8_P12ihipStream_tbDpT10_ENKUlT_T0_E_clISt17integral_constantIbLb1EES17_EEDaS12_S13_EUlS12_E_NS1_11comp_targetILNS1_3genE4ELNS1_11target_archE910ELNS1_3gpuE8ELNS1_3repE0EEENS1_30default_config_static_selectorELNS0_4arch9wavefront6targetE0EEEvT1_
	.globl	_ZN7rocprim17ROCPRIM_400000_NS6detail17trampoline_kernelINS0_14default_configENS1_25partition_config_selectorILNS1_17partition_subalgoE8EdNS0_10empty_typeEbEEZZNS1_14partition_implILS5_8ELb0ES3_jPKdPS6_PKS6_NS0_5tupleIJPdS6_EEENSE_IJSB_SB_EEENS0_18inequality_wrapperIN6hipcub16HIPCUB_304000_NS8EqualityEEEPlJS6_EEE10hipError_tPvRmT3_T4_T5_T6_T7_T9_mT8_P12ihipStream_tbDpT10_ENKUlT_T0_E_clISt17integral_constantIbLb1EES17_EEDaS12_S13_EUlS12_E_NS1_11comp_targetILNS1_3genE4ELNS1_11target_archE910ELNS1_3gpuE8ELNS1_3repE0EEENS1_30default_config_static_selectorELNS0_4arch9wavefront6targetE0EEEvT1_
	.p2align	8
	.type	_ZN7rocprim17ROCPRIM_400000_NS6detail17trampoline_kernelINS0_14default_configENS1_25partition_config_selectorILNS1_17partition_subalgoE8EdNS0_10empty_typeEbEEZZNS1_14partition_implILS5_8ELb0ES3_jPKdPS6_PKS6_NS0_5tupleIJPdS6_EEENSE_IJSB_SB_EEENS0_18inequality_wrapperIN6hipcub16HIPCUB_304000_NS8EqualityEEEPlJS6_EEE10hipError_tPvRmT3_T4_T5_T6_T7_T9_mT8_P12ihipStream_tbDpT10_ENKUlT_T0_E_clISt17integral_constantIbLb1EES17_EEDaS12_S13_EUlS12_E_NS1_11comp_targetILNS1_3genE4ELNS1_11target_archE910ELNS1_3gpuE8ELNS1_3repE0EEENS1_30default_config_static_selectorELNS0_4arch9wavefront6targetE0EEEvT1_,@function
_ZN7rocprim17ROCPRIM_400000_NS6detail17trampoline_kernelINS0_14default_configENS1_25partition_config_selectorILNS1_17partition_subalgoE8EdNS0_10empty_typeEbEEZZNS1_14partition_implILS5_8ELb0ES3_jPKdPS6_PKS6_NS0_5tupleIJPdS6_EEENSE_IJSB_SB_EEENS0_18inequality_wrapperIN6hipcub16HIPCUB_304000_NS8EqualityEEEPlJS6_EEE10hipError_tPvRmT3_T4_T5_T6_T7_T9_mT8_P12ihipStream_tbDpT10_ENKUlT_T0_E_clISt17integral_constantIbLb1EES17_EEDaS12_S13_EUlS12_E_NS1_11comp_targetILNS1_3genE4ELNS1_11target_archE910ELNS1_3gpuE8ELNS1_3repE0EEENS1_30default_config_static_selectorELNS0_4arch9wavefront6targetE0EEEvT1_: ; @_ZN7rocprim17ROCPRIM_400000_NS6detail17trampoline_kernelINS0_14default_configENS1_25partition_config_selectorILNS1_17partition_subalgoE8EdNS0_10empty_typeEbEEZZNS1_14partition_implILS5_8ELb0ES3_jPKdPS6_PKS6_NS0_5tupleIJPdS6_EEENSE_IJSB_SB_EEENS0_18inequality_wrapperIN6hipcub16HIPCUB_304000_NS8EqualityEEEPlJS6_EEE10hipError_tPvRmT3_T4_T5_T6_T7_T9_mT8_P12ihipStream_tbDpT10_ENKUlT_T0_E_clISt17integral_constantIbLb1EES17_EEDaS12_S13_EUlS12_E_NS1_11comp_targetILNS1_3genE4ELNS1_11target_archE910ELNS1_3gpuE8ELNS1_3repE0EEENS1_30default_config_static_selectorELNS0_4arch9wavefront6targetE0EEEvT1_
; %bb.0:
	.section	.rodata,"a",@progbits
	.p2align	6, 0x0
	.amdhsa_kernel _ZN7rocprim17ROCPRIM_400000_NS6detail17trampoline_kernelINS0_14default_configENS1_25partition_config_selectorILNS1_17partition_subalgoE8EdNS0_10empty_typeEbEEZZNS1_14partition_implILS5_8ELb0ES3_jPKdPS6_PKS6_NS0_5tupleIJPdS6_EEENSE_IJSB_SB_EEENS0_18inequality_wrapperIN6hipcub16HIPCUB_304000_NS8EqualityEEEPlJS6_EEE10hipError_tPvRmT3_T4_T5_T6_T7_T9_mT8_P12ihipStream_tbDpT10_ENKUlT_T0_E_clISt17integral_constantIbLb1EES17_EEDaS12_S13_EUlS12_E_NS1_11comp_targetILNS1_3genE4ELNS1_11target_archE910ELNS1_3gpuE8ELNS1_3repE0EEENS1_30default_config_static_selectorELNS0_4arch9wavefront6targetE0EEEvT1_
		.amdhsa_group_segment_fixed_size 0
		.amdhsa_private_segment_fixed_size 0
		.amdhsa_kernarg_size 128
		.amdhsa_user_sgpr_count 2
		.amdhsa_user_sgpr_dispatch_ptr 0
		.amdhsa_user_sgpr_queue_ptr 0
		.amdhsa_user_sgpr_kernarg_segment_ptr 1
		.amdhsa_user_sgpr_dispatch_id 0
		.amdhsa_user_sgpr_kernarg_preload_length 0
		.amdhsa_user_sgpr_kernarg_preload_offset 0
		.amdhsa_user_sgpr_private_segment_size 0
		.amdhsa_wavefront_size32 1
		.amdhsa_uses_dynamic_stack 0
		.amdhsa_enable_private_segment 0
		.amdhsa_system_sgpr_workgroup_id_x 1
		.amdhsa_system_sgpr_workgroup_id_y 0
		.amdhsa_system_sgpr_workgroup_id_z 0
		.amdhsa_system_sgpr_workgroup_info 0
		.amdhsa_system_vgpr_workitem_id 0
		.amdhsa_next_free_vgpr 1
		.amdhsa_next_free_sgpr 1
		.amdhsa_named_barrier_count 0
		.amdhsa_reserve_vcc 0
		.amdhsa_float_round_mode_32 0
		.amdhsa_float_round_mode_16_64 0
		.amdhsa_float_denorm_mode_32 3
		.amdhsa_float_denorm_mode_16_64 3
		.amdhsa_fp16_overflow 0
		.amdhsa_memory_ordered 1
		.amdhsa_forward_progress 1
		.amdhsa_inst_pref_size 0
		.amdhsa_round_robin_scheduling 0
		.amdhsa_exception_fp_ieee_invalid_op 0
		.amdhsa_exception_fp_denorm_src 0
		.amdhsa_exception_fp_ieee_div_zero 0
		.amdhsa_exception_fp_ieee_overflow 0
		.amdhsa_exception_fp_ieee_underflow 0
		.amdhsa_exception_fp_ieee_inexact 0
		.amdhsa_exception_int_div_zero 0
	.end_amdhsa_kernel
	.section	.text._ZN7rocprim17ROCPRIM_400000_NS6detail17trampoline_kernelINS0_14default_configENS1_25partition_config_selectorILNS1_17partition_subalgoE8EdNS0_10empty_typeEbEEZZNS1_14partition_implILS5_8ELb0ES3_jPKdPS6_PKS6_NS0_5tupleIJPdS6_EEENSE_IJSB_SB_EEENS0_18inequality_wrapperIN6hipcub16HIPCUB_304000_NS8EqualityEEEPlJS6_EEE10hipError_tPvRmT3_T4_T5_T6_T7_T9_mT8_P12ihipStream_tbDpT10_ENKUlT_T0_E_clISt17integral_constantIbLb1EES17_EEDaS12_S13_EUlS12_E_NS1_11comp_targetILNS1_3genE4ELNS1_11target_archE910ELNS1_3gpuE8ELNS1_3repE0EEENS1_30default_config_static_selectorELNS0_4arch9wavefront6targetE0EEEvT1_,"axG",@progbits,_ZN7rocprim17ROCPRIM_400000_NS6detail17trampoline_kernelINS0_14default_configENS1_25partition_config_selectorILNS1_17partition_subalgoE8EdNS0_10empty_typeEbEEZZNS1_14partition_implILS5_8ELb0ES3_jPKdPS6_PKS6_NS0_5tupleIJPdS6_EEENSE_IJSB_SB_EEENS0_18inequality_wrapperIN6hipcub16HIPCUB_304000_NS8EqualityEEEPlJS6_EEE10hipError_tPvRmT3_T4_T5_T6_T7_T9_mT8_P12ihipStream_tbDpT10_ENKUlT_T0_E_clISt17integral_constantIbLb1EES17_EEDaS12_S13_EUlS12_E_NS1_11comp_targetILNS1_3genE4ELNS1_11target_archE910ELNS1_3gpuE8ELNS1_3repE0EEENS1_30default_config_static_selectorELNS0_4arch9wavefront6targetE0EEEvT1_,comdat
.Lfunc_end282:
	.size	_ZN7rocprim17ROCPRIM_400000_NS6detail17trampoline_kernelINS0_14default_configENS1_25partition_config_selectorILNS1_17partition_subalgoE8EdNS0_10empty_typeEbEEZZNS1_14partition_implILS5_8ELb0ES3_jPKdPS6_PKS6_NS0_5tupleIJPdS6_EEENSE_IJSB_SB_EEENS0_18inequality_wrapperIN6hipcub16HIPCUB_304000_NS8EqualityEEEPlJS6_EEE10hipError_tPvRmT3_T4_T5_T6_T7_T9_mT8_P12ihipStream_tbDpT10_ENKUlT_T0_E_clISt17integral_constantIbLb1EES17_EEDaS12_S13_EUlS12_E_NS1_11comp_targetILNS1_3genE4ELNS1_11target_archE910ELNS1_3gpuE8ELNS1_3repE0EEENS1_30default_config_static_selectorELNS0_4arch9wavefront6targetE0EEEvT1_, .Lfunc_end282-_ZN7rocprim17ROCPRIM_400000_NS6detail17trampoline_kernelINS0_14default_configENS1_25partition_config_selectorILNS1_17partition_subalgoE8EdNS0_10empty_typeEbEEZZNS1_14partition_implILS5_8ELb0ES3_jPKdPS6_PKS6_NS0_5tupleIJPdS6_EEENSE_IJSB_SB_EEENS0_18inequality_wrapperIN6hipcub16HIPCUB_304000_NS8EqualityEEEPlJS6_EEE10hipError_tPvRmT3_T4_T5_T6_T7_T9_mT8_P12ihipStream_tbDpT10_ENKUlT_T0_E_clISt17integral_constantIbLb1EES17_EEDaS12_S13_EUlS12_E_NS1_11comp_targetILNS1_3genE4ELNS1_11target_archE910ELNS1_3gpuE8ELNS1_3repE0EEENS1_30default_config_static_selectorELNS0_4arch9wavefront6targetE0EEEvT1_
                                        ; -- End function
	.set _ZN7rocprim17ROCPRIM_400000_NS6detail17trampoline_kernelINS0_14default_configENS1_25partition_config_selectorILNS1_17partition_subalgoE8EdNS0_10empty_typeEbEEZZNS1_14partition_implILS5_8ELb0ES3_jPKdPS6_PKS6_NS0_5tupleIJPdS6_EEENSE_IJSB_SB_EEENS0_18inequality_wrapperIN6hipcub16HIPCUB_304000_NS8EqualityEEEPlJS6_EEE10hipError_tPvRmT3_T4_T5_T6_T7_T9_mT8_P12ihipStream_tbDpT10_ENKUlT_T0_E_clISt17integral_constantIbLb1EES17_EEDaS12_S13_EUlS12_E_NS1_11comp_targetILNS1_3genE4ELNS1_11target_archE910ELNS1_3gpuE8ELNS1_3repE0EEENS1_30default_config_static_selectorELNS0_4arch9wavefront6targetE0EEEvT1_.num_vgpr, 0
	.set _ZN7rocprim17ROCPRIM_400000_NS6detail17trampoline_kernelINS0_14default_configENS1_25partition_config_selectorILNS1_17partition_subalgoE8EdNS0_10empty_typeEbEEZZNS1_14partition_implILS5_8ELb0ES3_jPKdPS6_PKS6_NS0_5tupleIJPdS6_EEENSE_IJSB_SB_EEENS0_18inequality_wrapperIN6hipcub16HIPCUB_304000_NS8EqualityEEEPlJS6_EEE10hipError_tPvRmT3_T4_T5_T6_T7_T9_mT8_P12ihipStream_tbDpT10_ENKUlT_T0_E_clISt17integral_constantIbLb1EES17_EEDaS12_S13_EUlS12_E_NS1_11comp_targetILNS1_3genE4ELNS1_11target_archE910ELNS1_3gpuE8ELNS1_3repE0EEENS1_30default_config_static_selectorELNS0_4arch9wavefront6targetE0EEEvT1_.num_agpr, 0
	.set _ZN7rocprim17ROCPRIM_400000_NS6detail17trampoline_kernelINS0_14default_configENS1_25partition_config_selectorILNS1_17partition_subalgoE8EdNS0_10empty_typeEbEEZZNS1_14partition_implILS5_8ELb0ES3_jPKdPS6_PKS6_NS0_5tupleIJPdS6_EEENSE_IJSB_SB_EEENS0_18inequality_wrapperIN6hipcub16HIPCUB_304000_NS8EqualityEEEPlJS6_EEE10hipError_tPvRmT3_T4_T5_T6_T7_T9_mT8_P12ihipStream_tbDpT10_ENKUlT_T0_E_clISt17integral_constantIbLb1EES17_EEDaS12_S13_EUlS12_E_NS1_11comp_targetILNS1_3genE4ELNS1_11target_archE910ELNS1_3gpuE8ELNS1_3repE0EEENS1_30default_config_static_selectorELNS0_4arch9wavefront6targetE0EEEvT1_.numbered_sgpr, 0
	.set _ZN7rocprim17ROCPRIM_400000_NS6detail17trampoline_kernelINS0_14default_configENS1_25partition_config_selectorILNS1_17partition_subalgoE8EdNS0_10empty_typeEbEEZZNS1_14partition_implILS5_8ELb0ES3_jPKdPS6_PKS6_NS0_5tupleIJPdS6_EEENSE_IJSB_SB_EEENS0_18inequality_wrapperIN6hipcub16HIPCUB_304000_NS8EqualityEEEPlJS6_EEE10hipError_tPvRmT3_T4_T5_T6_T7_T9_mT8_P12ihipStream_tbDpT10_ENKUlT_T0_E_clISt17integral_constantIbLb1EES17_EEDaS12_S13_EUlS12_E_NS1_11comp_targetILNS1_3genE4ELNS1_11target_archE910ELNS1_3gpuE8ELNS1_3repE0EEENS1_30default_config_static_selectorELNS0_4arch9wavefront6targetE0EEEvT1_.num_named_barrier, 0
	.set _ZN7rocprim17ROCPRIM_400000_NS6detail17trampoline_kernelINS0_14default_configENS1_25partition_config_selectorILNS1_17partition_subalgoE8EdNS0_10empty_typeEbEEZZNS1_14partition_implILS5_8ELb0ES3_jPKdPS6_PKS6_NS0_5tupleIJPdS6_EEENSE_IJSB_SB_EEENS0_18inequality_wrapperIN6hipcub16HIPCUB_304000_NS8EqualityEEEPlJS6_EEE10hipError_tPvRmT3_T4_T5_T6_T7_T9_mT8_P12ihipStream_tbDpT10_ENKUlT_T0_E_clISt17integral_constantIbLb1EES17_EEDaS12_S13_EUlS12_E_NS1_11comp_targetILNS1_3genE4ELNS1_11target_archE910ELNS1_3gpuE8ELNS1_3repE0EEENS1_30default_config_static_selectorELNS0_4arch9wavefront6targetE0EEEvT1_.private_seg_size, 0
	.set _ZN7rocprim17ROCPRIM_400000_NS6detail17trampoline_kernelINS0_14default_configENS1_25partition_config_selectorILNS1_17partition_subalgoE8EdNS0_10empty_typeEbEEZZNS1_14partition_implILS5_8ELb0ES3_jPKdPS6_PKS6_NS0_5tupleIJPdS6_EEENSE_IJSB_SB_EEENS0_18inequality_wrapperIN6hipcub16HIPCUB_304000_NS8EqualityEEEPlJS6_EEE10hipError_tPvRmT3_T4_T5_T6_T7_T9_mT8_P12ihipStream_tbDpT10_ENKUlT_T0_E_clISt17integral_constantIbLb1EES17_EEDaS12_S13_EUlS12_E_NS1_11comp_targetILNS1_3genE4ELNS1_11target_archE910ELNS1_3gpuE8ELNS1_3repE0EEENS1_30default_config_static_selectorELNS0_4arch9wavefront6targetE0EEEvT1_.uses_vcc, 0
	.set _ZN7rocprim17ROCPRIM_400000_NS6detail17trampoline_kernelINS0_14default_configENS1_25partition_config_selectorILNS1_17partition_subalgoE8EdNS0_10empty_typeEbEEZZNS1_14partition_implILS5_8ELb0ES3_jPKdPS6_PKS6_NS0_5tupleIJPdS6_EEENSE_IJSB_SB_EEENS0_18inequality_wrapperIN6hipcub16HIPCUB_304000_NS8EqualityEEEPlJS6_EEE10hipError_tPvRmT3_T4_T5_T6_T7_T9_mT8_P12ihipStream_tbDpT10_ENKUlT_T0_E_clISt17integral_constantIbLb1EES17_EEDaS12_S13_EUlS12_E_NS1_11comp_targetILNS1_3genE4ELNS1_11target_archE910ELNS1_3gpuE8ELNS1_3repE0EEENS1_30default_config_static_selectorELNS0_4arch9wavefront6targetE0EEEvT1_.uses_flat_scratch, 0
	.set _ZN7rocprim17ROCPRIM_400000_NS6detail17trampoline_kernelINS0_14default_configENS1_25partition_config_selectorILNS1_17partition_subalgoE8EdNS0_10empty_typeEbEEZZNS1_14partition_implILS5_8ELb0ES3_jPKdPS6_PKS6_NS0_5tupleIJPdS6_EEENSE_IJSB_SB_EEENS0_18inequality_wrapperIN6hipcub16HIPCUB_304000_NS8EqualityEEEPlJS6_EEE10hipError_tPvRmT3_T4_T5_T6_T7_T9_mT8_P12ihipStream_tbDpT10_ENKUlT_T0_E_clISt17integral_constantIbLb1EES17_EEDaS12_S13_EUlS12_E_NS1_11comp_targetILNS1_3genE4ELNS1_11target_archE910ELNS1_3gpuE8ELNS1_3repE0EEENS1_30default_config_static_selectorELNS0_4arch9wavefront6targetE0EEEvT1_.has_dyn_sized_stack, 0
	.set _ZN7rocprim17ROCPRIM_400000_NS6detail17trampoline_kernelINS0_14default_configENS1_25partition_config_selectorILNS1_17partition_subalgoE8EdNS0_10empty_typeEbEEZZNS1_14partition_implILS5_8ELb0ES3_jPKdPS6_PKS6_NS0_5tupleIJPdS6_EEENSE_IJSB_SB_EEENS0_18inequality_wrapperIN6hipcub16HIPCUB_304000_NS8EqualityEEEPlJS6_EEE10hipError_tPvRmT3_T4_T5_T6_T7_T9_mT8_P12ihipStream_tbDpT10_ENKUlT_T0_E_clISt17integral_constantIbLb1EES17_EEDaS12_S13_EUlS12_E_NS1_11comp_targetILNS1_3genE4ELNS1_11target_archE910ELNS1_3gpuE8ELNS1_3repE0EEENS1_30default_config_static_selectorELNS0_4arch9wavefront6targetE0EEEvT1_.has_recursion, 0
	.set _ZN7rocprim17ROCPRIM_400000_NS6detail17trampoline_kernelINS0_14default_configENS1_25partition_config_selectorILNS1_17partition_subalgoE8EdNS0_10empty_typeEbEEZZNS1_14partition_implILS5_8ELb0ES3_jPKdPS6_PKS6_NS0_5tupleIJPdS6_EEENSE_IJSB_SB_EEENS0_18inequality_wrapperIN6hipcub16HIPCUB_304000_NS8EqualityEEEPlJS6_EEE10hipError_tPvRmT3_T4_T5_T6_T7_T9_mT8_P12ihipStream_tbDpT10_ENKUlT_T0_E_clISt17integral_constantIbLb1EES17_EEDaS12_S13_EUlS12_E_NS1_11comp_targetILNS1_3genE4ELNS1_11target_archE910ELNS1_3gpuE8ELNS1_3repE0EEENS1_30default_config_static_selectorELNS0_4arch9wavefront6targetE0EEEvT1_.has_indirect_call, 0
	.section	.AMDGPU.csdata,"",@progbits
; Kernel info:
; codeLenInByte = 0
; TotalNumSgprs: 0
; NumVgprs: 0
; ScratchSize: 0
; MemoryBound: 0
; FloatMode: 240
; IeeeMode: 1
; LDSByteSize: 0 bytes/workgroup (compile time only)
; SGPRBlocks: 0
; VGPRBlocks: 0
; NumSGPRsForWavesPerEU: 1
; NumVGPRsForWavesPerEU: 1
; NamedBarCnt: 0
; Occupancy: 16
; WaveLimiterHint : 0
; COMPUTE_PGM_RSRC2:SCRATCH_EN: 0
; COMPUTE_PGM_RSRC2:USER_SGPR: 2
; COMPUTE_PGM_RSRC2:TRAP_HANDLER: 0
; COMPUTE_PGM_RSRC2:TGID_X_EN: 1
; COMPUTE_PGM_RSRC2:TGID_Y_EN: 0
; COMPUTE_PGM_RSRC2:TGID_Z_EN: 0
; COMPUTE_PGM_RSRC2:TIDIG_COMP_CNT: 0
	.section	.text._ZN7rocprim17ROCPRIM_400000_NS6detail17trampoline_kernelINS0_14default_configENS1_25partition_config_selectorILNS1_17partition_subalgoE8EdNS0_10empty_typeEbEEZZNS1_14partition_implILS5_8ELb0ES3_jPKdPS6_PKS6_NS0_5tupleIJPdS6_EEENSE_IJSB_SB_EEENS0_18inequality_wrapperIN6hipcub16HIPCUB_304000_NS8EqualityEEEPlJS6_EEE10hipError_tPvRmT3_T4_T5_T6_T7_T9_mT8_P12ihipStream_tbDpT10_ENKUlT_T0_E_clISt17integral_constantIbLb1EES17_EEDaS12_S13_EUlS12_E_NS1_11comp_targetILNS1_3genE3ELNS1_11target_archE908ELNS1_3gpuE7ELNS1_3repE0EEENS1_30default_config_static_selectorELNS0_4arch9wavefront6targetE0EEEvT1_,"axG",@progbits,_ZN7rocprim17ROCPRIM_400000_NS6detail17trampoline_kernelINS0_14default_configENS1_25partition_config_selectorILNS1_17partition_subalgoE8EdNS0_10empty_typeEbEEZZNS1_14partition_implILS5_8ELb0ES3_jPKdPS6_PKS6_NS0_5tupleIJPdS6_EEENSE_IJSB_SB_EEENS0_18inequality_wrapperIN6hipcub16HIPCUB_304000_NS8EqualityEEEPlJS6_EEE10hipError_tPvRmT3_T4_T5_T6_T7_T9_mT8_P12ihipStream_tbDpT10_ENKUlT_T0_E_clISt17integral_constantIbLb1EES17_EEDaS12_S13_EUlS12_E_NS1_11comp_targetILNS1_3genE3ELNS1_11target_archE908ELNS1_3gpuE7ELNS1_3repE0EEENS1_30default_config_static_selectorELNS0_4arch9wavefront6targetE0EEEvT1_,comdat
	.protected	_ZN7rocprim17ROCPRIM_400000_NS6detail17trampoline_kernelINS0_14default_configENS1_25partition_config_selectorILNS1_17partition_subalgoE8EdNS0_10empty_typeEbEEZZNS1_14partition_implILS5_8ELb0ES3_jPKdPS6_PKS6_NS0_5tupleIJPdS6_EEENSE_IJSB_SB_EEENS0_18inequality_wrapperIN6hipcub16HIPCUB_304000_NS8EqualityEEEPlJS6_EEE10hipError_tPvRmT3_T4_T5_T6_T7_T9_mT8_P12ihipStream_tbDpT10_ENKUlT_T0_E_clISt17integral_constantIbLb1EES17_EEDaS12_S13_EUlS12_E_NS1_11comp_targetILNS1_3genE3ELNS1_11target_archE908ELNS1_3gpuE7ELNS1_3repE0EEENS1_30default_config_static_selectorELNS0_4arch9wavefront6targetE0EEEvT1_ ; -- Begin function _ZN7rocprim17ROCPRIM_400000_NS6detail17trampoline_kernelINS0_14default_configENS1_25partition_config_selectorILNS1_17partition_subalgoE8EdNS0_10empty_typeEbEEZZNS1_14partition_implILS5_8ELb0ES3_jPKdPS6_PKS6_NS0_5tupleIJPdS6_EEENSE_IJSB_SB_EEENS0_18inequality_wrapperIN6hipcub16HIPCUB_304000_NS8EqualityEEEPlJS6_EEE10hipError_tPvRmT3_T4_T5_T6_T7_T9_mT8_P12ihipStream_tbDpT10_ENKUlT_T0_E_clISt17integral_constantIbLb1EES17_EEDaS12_S13_EUlS12_E_NS1_11comp_targetILNS1_3genE3ELNS1_11target_archE908ELNS1_3gpuE7ELNS1_3repE0EEENS1_30default_config_static_selectorELNS0_4arch9wavefront6targetE0EEEvT1_
	.globl	_ZN7rocprim17ROCPRIM_400000_NS6detail17trampoline_kernelINS0_14default_configENS1_25partition_config_selectorILNS1_17partition_subalgoE8EdNS0_10empty_typeEbEEZZNS1_14partition_implILS5_8ELb0ES3_jPKdPS6_PKS6_NS0_5tupleIJPdS6_EEENSE_IJSB_SB_EEENS0_18inequality_wrapperIN6hipcub16HIPCUB_304000_NS8EqualityEEEPlJS6_EEE10hipError_tPvRmT3_T4_T5_T6_T7_T9_mT8_P12ihipStream_tbDpT10_ENKUlT_T0_E_clISt17integral_constantIbLb1EES17_EEDaS12_S13_EUlS12_E_NS1_11comp_targetILNS1_3genE3ELNS1_11target_archE908ELNS1_3gpuE7ELNS1_3repE0EEENS1_30default_config_static_selectorELNS0_4arch9wavefront6targetE0EEEvT1_
	.p2align	8
	.type	_ZN7rocprim17ROCPRIM_400000_NS6detail17trampoline_kernelINS0_14default_configENS1_25partition_config_selectorILNS1_17partition_subalgoE8EdNS0_10empty_typeEbEEZZNS1_14partition_implILS5_8ELb0ES3_jPKdPS6_PKS6_NS0_5tupleIJPdS6_EEENSE_IJSB_SB_EEENS0_18inequality_wrapperIN6hipcub16HIPCUB_304000_NS8EqualityEEEPlJS6_EEE10hipError_tPvRmT3_T4_T5_T6_T7_T9_mT8_P12ihipStream_tbDpT10_ENKUlT_T0_E_clISt17integral_constantIbLb1EES17_EEDaS12_S13_EUlS12_E_NS1_11comp_targetILNS1_3genE3ELNS1_11target_archE908ELNS1_3gpuE7ELNS1_3repE0EEENS1_30default_config_static_selectorELNS0_4arch9wavefront6targetE0EEEvT1_,@function
_ZN7rocprim17ROCPRIM_400000_NS6detail17trampoline_kernelINS0_14default_configENS1_25partition_config_selectorILNS1_17partition_subalgoE8EdNS0_10empty_typeEbEEZZNS1_14partition_implILS5_8ELb0ES3_jPKdPS6_PKS6_NS0_5tupleIJPdS6_EEENSE_IJSB_SB_EEENS0_18inequality_wrapperIN6hipcub16HIPCUB_304000_NS8EqualityEEEPlJS6_EEE10hipError_tPvRmT3_T4_T5_T6_T7_T9_mT8_P12ihipStream_tbDpT10_ENKUlT_T0_E_clISt17integral_constantIbLb1EES17_EEDaS12_S13_EUlS12_E_NS1_11comp_targetILNS1_3genE3ELNS1_11target_archE908ELNS1_3gpuE7ELNS1_3repE0EEENS1_30default_config_static_selectorELNS0_4arch9wavefront6targetE0EEEvT1_: ; @_ZN7rocprim17ROCPRIM_400000_NS6detail17trampoline_kernelINS0_14default_configENS1_25partition_config_selectorILNS1_17partition_subalgoE8EdNS0_10empty_typeEbEEZZNS1_14partition_implILS5_8ELb0ES3_jPKdPS6_PKS6_NS0_5tupleIJPdS6_EEENSE_IJSB_SB_EEENS0_18inequality_wrapperIN6hipcub16HIPCUB_304000_NS8EqualityEEEPlJS6_EEE10hipError_tPvRmT3_T4_T5_T6_T7_T9_mT8_P12ihipStream_tbDpT10_ENKUlT_T0_E_clISt17integral_constantIbLb1EES17_EEDaS12_S13_EUlS12_E_NS1_11comp_targetILNS1_3genE3ELNS1_11target_archE908ELNS1_3gpuE7ELNS1_3repE0EEENS1_30default_config_static_selectorELNS0_4arch9wavefront6targetE0EEEvT1_
; %bb.0:
	.section	.rodata,"a",@progbits
	.p2align	6, 0x0
	.amdhsa_kernel _ZN7rocprim17ROCPRIM_400000_NS6detail17trampoline_kernelINS0_14default_configENS1_25partition_config_selectorILNS1_17partition_subalgoE8EdNS0_10empty_typeEbEEZZNS1_14partition_implILS5_8ELb0ES3_jPKdPS6_PKS6_NS0_5tupleIJPdS6_EEENSE_IJSB_SB_EEENS0_18inequality_wrapperIN6hipcub16HIPCUB_304000_NS8EqualityEEEPlJS6_EEE10hipError_tPvRmT3_T4_T5_T6_T7_T9_mT8_P12ihipStream_tbDpT10_ENKUlT_T0_E_clISt17integral_constantIbLb1EES17_EEDaS12_S13_EUlS12_E_NS1_11comp_targetILNS1_3genE3ELNS1_11target_archE908ELNS1_3gpuE7ELNS1_3repE0EEENS1_30default_config_static_selectorELNS0_4arch9wavefront6targetE0EEEvT1_
		.amdhsa_group_segment_fixed_size 0
		.amdhsa_private_segment_fixed_size 0
		.amdhsa_kernarg_size 128
		.amdhsa_user_sgpr_count 2
		.amdhsa_user_sgpr_dispatch_ptr 0
		.amdhsa_user_sgpr_queue_ptr 0
		.amdhsa_user_sgpr_kernarg_segment_ptr 1
		.amdhsa_user_sgpr_dispatch_id 0
		.amdhsa_user_sgpr_kernarg_preload_length 0
		.amdhsa_user_sgpr_kernarg_preload_offset 0
		.amdhsa_user_sgpr_private_segment_size 0
		.amdhsa_wavefront_size32 1
		.amdhsa_uses_dynamic_stack 0
		.amdhsa_enable_private_segment 0
		.amdhsa_system_sgpr_workgroup_id_x 1
		.amdhsa_system_sgpr_workgroup_id_y 0
		.amdhsa_system_sgpr_workgroup_id_z 0
		.amdhsa_system_sgpr_workgroup_info 0
		.amdhsa_system_vgpr_workitem_id 0
		.amdhsa_next_free_vgpr 1
		.amdhsa_next_free_sgpr 1
		.amdhsa_named_barrier_count 0
		.amdhsa_reserve_vcc 0
		.amdhsa_float_round_mode_32 0
		.amdhsa_float_round_mode_16_64 0
		.amdhsa_float_denorm_mode_32 3
		.amdhsa_float_denorm_mode_16_64 3
		.amdhsa_fp16_overflow 0
		.amdhsa_memory_ordered 1
		.amdhsa_forward_progress 1
		.amdhsa_inst_pref_size 0
		.amdhsa_round_robin_scheduling 0
		.amdhsa_exception_fp_ieee_invalid_op 0
		.amdhsa_exception_fp_denorm_src 0
		.amdhsa_exception_fp_ieee_div_zero 0
		.amdhsa_exception_fp_ieee_overflow 0
		.amdhsa_exception_fp_ieee_underflow 0
		.amdhsa_exception_fp_ieee_inexact 0
		.amdhsa_exception_int_div_zero 0
	.end_amdhsa_kernel
	.section	.text._ZN7rocprim17ROCPRIM_400000_NS6detail17trampoline_kernelINS0_14default_configENS1_25partition_config_selectorILNS1_17partition_subalgoE8EdNS0_10empty_typeEbEEZZNS1_14partition_implILS5_8ELb0ES3_jPKdPS6_PKS6_NS0_5tupleIJPdS6_EEENSE_IJSB_SB_EEENS0_18inequality_wrapperIN6hipcub16HIPCUB_304000_NS8EqualityEEEPlJS6_EEE10hipError_tPvRmT3_T4_T5_T6_T7_T9_mT8_P12ihipStream_tbDpT10_ENKUlT_T0_E_clISt17integral_constantIbLb1EES17_EEDaS12_S13_EUlS12_E_NS1_11comp_targetILNS1_3genE3ELNS1_11target_archE908ELNS1_3gpuE7ELNS1_3repE0EEENS1_30default_config_static_selectorELNS0_4arch9wavefront6targetE0EEEvT1_,"axG",@progbits,_ZN7rocprim17ROCPRIM_400000_NS6detail17trampoline_kernelINS0_14default_configENS1_25partition_config_selectorILNS1_17partition_subalgoE8EdNS0_10empty_typeEbEEZZNS1_14partition_implILS5_8ELb0ES3_jPKdPS6_PKS6_NS0_5tupleIJPdS6_EEENSE_IJSB_SB_EEENS0_18inequality_wrapperIN6hipcub16HIPCUB_304000_NS8EqualityEEEPlJS6_EEE10hipError_tPvRmT3_T4_T5_T6_T7_T9_mT8_P12ihipStream_tbDpT10_ENKUlT_T0_E_clISt17integral_constantIbLb1EES17_EEDaS12_S13_EUlS12_E_NS1_11comp_targetILNS1_3genE3ELNS1_11target_archE908ELNS1_3gpuE7ELNS1_3repE0EEENS1_30default_config_static_selectorELNS0_4arch9wavefront6targetE0EEEvT1_,comdat
.Lfunc_end283:
	.size	_ZN7rocprim17ROCPRIM_400000_NS6detail17trampoline_kernelINS0_14default_configENS1_25partition_config_selectorILNS1_17partition_subalgoE8EdNS0_10empty_typeEbEEZZNS1_14partition_implILS5_8ELb0ES3_jPKdPS6_PKS6_NS0_5tupleIJPdS6_EEENSE_IJSB_SB_EEENS0_18inequality_wrapperIN6hipcub16HIPCUB_304000_NS8EqualityEEEPlJS6_EEE10hipError_tPvRmT3_T4_T5_T6_T7_T9_mT8_P12ihipStream_tbDpT10_ENKUlT_T0_E_clISt17integral_constantIbLb1EES17_EEDaS12_S13_EUlS12_E_NS1_11comp_targetILNS1_3genE3ELNS1_11target_archE908ELNS1_3gpuE7ELNS1_3repE0EEENS1_30default_config_static_selectorELNS0_4arch9wavefront6targetE0EEEvT1_, .Lfunc_end283-_ZN7rocprim17ROCPRIM_400000_NS6detail17trampoline_kernelINS0_14default_configENS1_25partition_config_selectorILNS1_17partition_subalgoE8EdNS0_10empty_typeEbEEZZNS1_14partition_implILS5_8ELb0ES3_jPKdPS6_PKS6_NS0_5tupleIJPdS6_EEENSE_IJSB_SB_EEENS0_18inequality_wrapperIN6hipcub16HIPCUB_304000_NS8EqualityEEEPlJS6_EEE10hipError_tPvRmT3_T4_T5_T6_T7_T9_mT8_P12ihipStream_tbDpT10_ENKUlT_T0_E_clISt17integral_constantIbLb1EES17_EEDaS12_S13_EUlS12_E_NS1_11comp_targetILNS1_3genE3ELNS1_11target_archE908ELNS1_3gpuE7ELNS1_3repE0EEENS1_30default_config_static_selectorELNS0_4arch9wavefront6targetE0EEEvT1_
                                        ; -- End function
	.set _ZN7rocprim17ROCPRIM_400000_NS6detail17trampoline_kernelINS0_14default_configENS1_25partition_config_selectorILNS1_17partition_subalgoE8EdNS0_10empty_typeEbEEZZNS1_14partition_implILS5_8ELb0ES3_jPKdPS6_PKS6_NS0_5tupleIJPdS6_EEENSE_IJSB_SB_EEENS0_18inequality_wrapperIN6hipcub16HIPCUB_304000_NS8EqualityEEEPlJS6_EEE10hipError_tPvRmT3_T4_T5_T6_T7_T9_mT8_P12ihipStream_tbDpT10_ENKUlT_T0_E_clISt17integral_constantIbLb1EES17_EEDaS12_S13_EUlS12_E_NS1_11comp_targetILNS1_3genE3ELNS1_11target_archE908ELNS1_3gpuE7ELNS1_3repE0EEENS1_30default_config_static_selectorELNS0_4arch9wavefront6targetE0EEEvT1_.num_vgpr, 0
	.set _ZN7rocprim17ROCPRIM_400000_NS6detail17trampoline_kernelINS0_14default_configENS1_25partition_config_selectorILNS1_17partition_subalgoE8EdNS0_10empty_typeEbEEZZNS1_14partition_implILS5_8ELb0ES3_jPKdPS6_PKS6_NS0_5tupleIJPdS6_EEENSE_IJSB_SB_EEENS0_18inequality_wrapperIN6hipcub16HIPCUB_304000_NS8EqualityEEEPlJS6_EEE10hipError_tPvRmT3_T4_T5_T6_T7_T9_mT8_P12ihipStream_tbDpT10_ENKUlT_T0_E_clISt17integral_constantIbLb1EES17_EEDaS12_S13_EUlS12_E_NS1_11comp_targetILNS1_3genE3ELNS1_11target_archE908ELNS1_3gpuE7ELNS1_3repE0EEENS1_30default_config_static_selectorELNS0_4arch9wavefront6targetE0EEEvT1_.num_agpr, 0
	.set _ZN7rocprim17ROCPRIM_400000_NS6detail17trampoline_kernelINS0_14default_configENS1_25partition_config_selectorILNS1_17partition_subalgoE8EdNS0_10empty_typeEbEEZZNS1_14partition_implILS5_8ELb0ES3_jPKdPS6_PKS6_NS0_5tupleIJPdS6_EEENSE_IJSB_SB_EEENS0_18inequality_wrapperIN6hipcub16HIPCUB_304000_NS8EqualityEEEPlJS6_EEE10hipError_tPvRmT3_T4_T5_T6_T7_T9_mT8_P12ihipStream_tbDpT10_ENKUlT_T0_E_clISt17integral_constantIbLb1EES17_EEDaS12_S13_EUlS12_E_NS1_11comp_targetILNS1_3genE3ELNS1_11target_archE908ELNS1_3gpuE7ELNS1_3repE0EEENS1_30default_config_static_selectorELNS0_4arch9wavefront6targetE0EEEvT1_.numbered_sgpr, 0
	.set _ZN7rocprim17ROCPRIM_400000_NS6detail17trampoline_kernelINS0_14default_configENS1_25partition_config_selectorILNS1_17partition_subalgoE8EdNS0_10empty_typeEbEEZZNS1_14partition_implILS5_8ELb0ES3_jPKdPS6_PKS6_NS0_5tupleIJPdS6_EEENSE_IJSB_SB_EEENS0_18inequality_wrapperIN6hipcub16HIPCUB_304000_NS8EqualityEEEPlJS6_EEE10hipError_tPvRmT3_T4_T5_T6_T7_T9_mT8_P12ihipStream_tbDpT10_ENKUlT_T0_E_clISt17integral_constantIbLb1EES17_EEDaS12_S13_EUlS12_E_NS1_11comp_targetILNS1_3genE3ELNS1_11target_archE908ELNS1_3gpuE7ELNS1_3repE0EEENS1_30default_config_static_selectorELNS0_4arch9wavefront6targetE0EEEvT1_.num_named_barrier, 0
	.set _ZN7rocprim17ROCPRIM_400000_NS6detail17trampoline_kernelINS0_14default_configENS1_25partition_config_selectorILNS1_17partition_subalgoE8EdNS0_10empty_typeEbEEZZNS1_14partition_implILS5_8ELb0ES3_jPKdPS6_PKS6_NS0_5tupleIJPdS6_EEENSE_IJSB_SB_EEENS0_18inequality_wrapperIN6hipcub16HIPCUB_304000_NS8EqualityEEEPlJS6_EEE10hipError_tPvRmT3_T4_T5_T6_T7_T9_mT8_P12ihipStream_tbDpT10_ENKUlT_T0_E_clISt17integral_constantIbLb1EES17_EEDaS12_S13_EUlS12_E_NS1_11comp_targetILNS1_3genE3ELNS1_11target_archE908ELNS1_3gpuE7ELNS1_3repE0EEENS1_30default_config_static_selectorELNS0_4arch9wavefront6targetE0EEEvT1_.private_seg_size, 0
	.set _ZN7rocprim17ROCPRIM_400000_NS6detail17trampoline_kernelINS0_14default_configENS1_25partition_config_selectorILNS1_17partition_subalgoE8EdNS0_10empty_typeEbEEZZNS1_14partition_implILS5_8ELb0ES3_jPKdPS6_PKS6_NS0_5tupleIJPdS6_EEENSE_IJSB_SB_EEENS0_18inequality_wrapperIN6hipcub16HIPCUB_304000_NS8EqualityEEEPlJS6_EEE10hipError_tPvRmT3_T4_T5_T6_T7_T9_mT8_P12ihipStream_tbDpT10_ENKUlT_T0_E_clISt17integral_constantIbLb1EES17_EEDaS12_S13_EUlS12_E_NS1_11comp_targetILNS1_3genE3ELNS1_11target_archE908ELNS1_3gpuE7ELNS1_3repE0EEENS1_30default_config_static_selectorELNS0_4arch9wavefront6targetE0EEEvT1_.uses_vcc, 0
	.set _ZN7rocprim17ROCPRIM_400000_NS6detail17trampoline_kernelINS0_14default_configENS1_25partition_config_selectorILNS1_17partition_subalgoE8EdNS0_10empty_typeEbEEZZNS1_14partition_implILS5_8ELb0ES3_jPKdPS6_PKS6_NS0_5tupleIJPdS6_EEENSE_IJSB_SB_EEENS0_18inequality_wrapperIN6hipcub16HIPCUB_304000_NS8EqualityEEEPlJS6_EEE10hipError_tPvRmT3_T4_T5_T6_T7_T9_mT8_P12ihipStream_tbDpT10_ENKUlT_T0_E_clISt17integral_constantIbLb1EES17_EEDaS12_S13_EUlS12_E_NS1_11comp_targetILNS1_3genE3ELNS1_11target_archE908ELNS1_3gpuE7ELNS1_3repE0EEENS1_30default_config_static_selectorELNS0_4arch9wavefront6targetE0EEEvT1_.uses_flat_scratch, 0
	.set _ZN7rocprim17ROCPRIM_400000_NS6detail17trampoline_kernelINS0_14default_configENS1_25partition_config_selectorILNS1_17partition_subalgoE8EdNS0_10empty_typeEbEEZZNS1_14partition_implILS5_8ELb0ES3_jPKdPS6_PKS6_NS0_5tupleIJPdS6_EEENSE_IJSB_SB_EEENS0_18inequality_wrapperIN6hipcub16HIPCUB_304000_NS8EqualityEEEPlJS6_EEE10hipError_tPvRmT3_T4_T5_T6_T7_T9_mT8_P12ihipStream_tbDpT10_ENKUlT_T0_E_clISt17integral_constantIbLb1EES17_EEDaS12_S13_EUlS12_E_NS1_11comp_targetILNS1_3genE3ELNS1_11target_archE908ELNS1_3gpuE7ELNS1_3repE0EEENS1_30default_config_static_selectorELNS0_4arch9wavefront6targetE0EEEvT1_.has_dyn_sized_stack, 0
	.set _ZN7rocprim17ROCPRIM_400000_NS6detail17trampoline_kernelINS0_14default_configENS1_25partition_config_selectorILNS1_17partition_subalgoE8EdNS0_10empty_typeEbEEZZNS1_14partition_implILS5_8ELb0ES3_jPKdPS6_PKS6_NS0_5tupleIJPdS6_EEENSE_IJSB_SB_EEENS0_18inequality_wrapperIN6hipcub16HIPCUB_304000_NS8EqualityEEEPlJS6_EEE10hipError_tPvRmT3_T4_T5_T6_T7_T9_mT8_P12ihipStream_tbDpT10_ENKUlT_T0_E_clISt17integral_constantIbLb1EES17_EEDaS12_S13_EUlS12_E_NS1_11comp_targetILNS1_3genE3ELNS1_11target_archE908ELNS1_3gpuE7ELNS1_3repE0EEENS1_30default_config_static_selectorELNS0_4arch9wavefront6targetE0EEEvT1_.has_recursion, 0
	.set _ZN7rocprim17ROCPRIM_400000_NS6detail17trampoline_kernelINS0_14default_configENS1_25partition_config_selectorILNS1_17partition_subalgoE8EdNS0_10empty_typeEbEEZZNS1_14partition_implILS5_8ELb0ES3_jPKdPS6_PKS6_NS0_5tupleIJPdS6_EEENSE_IJSB_SB_EEENS0_18inequality_wrapperIN6hipcub16HIPCUB_304000_NS8EqualityEEEPlJS6_EEE10hipError_tPvRmT3_T4_T5_T6_T7_T9_mT8_P12ihipStream_tbDpT10_ENKUlT_T0_E_clISt17integral_constantIbLb1EES17_EEDaS12_S13_EUlS12_E_NS1_11comp_targetILNS1_3genE3ELNS1_11target_archE908ELNS1_3gpuE7ELNS1_3repE0EEENS1_30default_config_static_selectorELNS0_4arch9wavefront6targetE0EEEvT1_.has_indirect_call, 0
	.section	.AMDGPU.csdata,"",@progbits
; Kernel info:
; codeLenInByte = 0
; TotalNumSgprs: 0
; NumVgprs: 0
; ScratchSize: 0
; MemoryBound: 0
; FloatMode: 240
; IeeeMode: 1
; LDSByteSize: 0 bytes/workgroup (compile time only)
; SGPRBlocks: 0
; VGPRBlocks: 0
; NumSGPRsForWavesPerEU: 1
; NumVGPRsForWavesPerEU: 1
; NamedBarCnt: 0
; Occupancy: 16
; WaveLimiterHint : 0
; COMPUTE_PGM_RSRC2:SCRATCH_EN: 0
; COMPUTE_PGM_RSRC2:USER_SGPR: 2
; COMPUTE_PGM_RSRC2:TRAP_HANDLER: 0
; COMPUTE_PGM_RSRC2:TGID_X_EN: 1
; COMPUTE_PGM_RSRC2:TGID_Y_EN: 0
; COMPUTE_PGM_RSRC2:TGID_Z_EN: 0
; COMPUTE_PGM_RSRC2:TIDIG_COMP_CNT: 0
	.section	.text._ZN7rocprim17ROCPRIM_400000_NS6detail17trampoline_kernelINS0_14default_configENS1_25partition_config_selectorILNS1_17partition_subalgoE8EdNS0_10empty_typeEbEEZZNS1_14partition_implILS5_8ELb0ES3_jPKdPS6_PKS6_NS0_5tupleIJPdS6_EEENSE_IJSB_SB_EEENS0_18inequality_wrapperIN6hipcub16HIPCUB_304000_NS8EqualityEEEPlJS6_EEE10hipError_tPvRmT3_T4_T5_T6_T7_T9_mT8_P12ihipStream_tbDpT10_ENKUlT_T0_E_clISt17integral_constantIbLb1EES17_EEDaS12_S13_EUlS12_E_NS1_11comp_targetILNS1_3genE2ELNS1_11target_archE906ELNS1_3gpuE6ELNS1_3repE0EEENS1_30default_config_static_selectorELNS0_4arch9wavefront6targetE0EEEvT1_,"axG",@progbits,_ZN7rocprim17ROCPRIM_400000_NS6detail17trampoline_kernelINS0_14default_configENS1_25partition_config_selectorILNS1_17partition_subalgoE8EdNS0_10empty_typeEbEEZZNS1_14partition_implILS5_8ELb0ES3_jPKdPS6_PKS6_NS0_5tupleIJPdS6_EEENSE_IJSB_SB_EEENS0_18inequality_wrapperIN6hipcub16HIPCUB_304000_NS8EqualityEEEPlJS6_EEE10hipError_tPvRmT3_T4_T5_T6_T7_T9_mT8_P12ihipStream_tbDpT10_ENKUlT_T0_E_clISt17integral_constantIbLb1EES17_EEDaS12_S13_EUlS12_E_NS1_11comp_targetILNS1_3genE2ELNS1_11target_archE906ELNS1_3gpuE6ELNS1_3repE0EEENS1_30default_config_static_selectorELNS0_4arch9wavefront6targetE0EEEvT1_,comdat
	.protected	_ZN7rocprim17ROCPRIM_400000_NS6detail17trampoline_kernelINS0_14default_configENS1_25partition_config_selectorILNS1_17partition_subalgoE8EdNS0_10empty_typeEbEEZZNS1_14partition_implILS5_8ELb0ES3_jPKdPS6_PKS6_NS0_5tupleIJPdS6_EEENSE_IJSB_SB_EEENS0_18inequality_wrapperIN6hipcub16HIPCUB_304000_NS8EqualityEEEPlJS6_EEE10hipError_tPvRmT3_T4_T5_T6_T7_T9_mT8_P12ihipStream_tbDpT10_ENKUlT_T0_E_clISt17integral_constantIbLb1EES17_EEDaS12_S13_EUlS12_E_NS1_11comp_targetILNS1_3genE2ELNS1_11target_archE906ELNS1_3gpuE6ELNS1_3repE0EEENS1_30default_config_static_selectorELNS0_4arch9wavefront6targetE0EEEvT1_ ; -- Begin function _ZN7rocprim17ROCPRIM_400000_NS6detail17trampoline_kernelINS0_14default_configENS1_25partition_config_selectorILNS1_17partition_subalgoE8EdNS0_10empty_typeEbEEZZNS1_14partition_implILS5_8ELb0ES3_jPKdPS6_PKS6_NS0_5tupleIJPdS6_EEENSE_IJSB_SB_EEENS0_18inequality_wrapperIN6hipcub16HIPCUB_304000_NS8EqualityEEEPlJS6_EEE10hipError_tPvRmT3_T4_T5_T6_T7_T9_mT8_P12ihipStream_tbDpT10_ENKUlT_T0_E_clISt17integral_constantIbLb1EES17_EEDaS12_S13_EUlS12_E_NS1_11comp_targetILNS1_3genE2ELNS1_11target_archE906ELNS1_3gpuE6ELNS1_3repE0EEENS1_30default_config_static_selectorELNS0_4arch9wavefront6targetE0EEEvT1_
	.globl	_ZN7rocprim17ROCPRIM_400000_NS6detail17trampoline_kernelINS0_14default_configENS1_25partition_config_selectorILNS1_17partition_subalgoE8EdNS0_10empty_typeEbEEZZNS1_14partition_implILS5_8ELb0ES3_jPKdPS6_PKS6_NS0_5tupleIJPdS6_EEENSE_IJSB_SB_EEENS0_18inequality_wrapperIN6hipcub16HIPCUB_304000_NS8EqualityEEEPlJS6_EEE10hipError_tPvRmT3_T4_T5_T6_T7_T9_mT8_P12ihipStream_tbDpT10_ENKUlT_T0_E_clISt17integral_constantIbLb1EES17_EEDaS12_S13_EUlS12_E_NS1_11comp_targetILNS1_3genE2ELNS1_11target_archE906ELNS1_3gpuE6ELNS1_3repE0EEENS1_30default_config_static_selectorELNS0_4arch9wavefront6targetE0EEEvT1_
	.p2align	8
	.type	_ZN7rocprim17ROCPRIM_400000_NS6detail17trampoline_kernelINS0_14default_configENS1_25partition_config_selectorILNS1_17partition_subalgoE8EdNS0_10empty_typeEbEEZZNS1_14partition_implILS5_8ELb0ES3_jPKdPS6_PKS6_NS0_5tupleIJPdS6_EEENSE_IJSB_SB_EEENS0_18inequality_wrapperIN6hipcub16HIPCUB_304000_NS8EqualityEEEPlJS6_EEE10hipError_tPvRmT3_T4_T5_T6_T7_T9_mT8_P12ihipStream_tbDpT10_ENKUlT_T0_E_clISt17integral_constantIbLb1EES17_EEDaS12_S13_EUlS12_E_NS1_11comp_targetILNS1_3genE2ELNS1_11target_archE906ELNS1_3gpuE6ELNS1_3repE0EEENS1_30default_config_static_selectorELNS0_4arch9wavefront6targetE0EEEvT1_,@function
_ZN7rocprim17ROCPRIM_400000_NS6detail17trampoline_kernelINS0_14default_configENS1_25partition_config_selectorILNS1_17partition_subalgoE8EdNS0_10empty_typeEbEEZZNS1_14partition_implILS5_8ELb0ES3_jPKdPS6_PKS6_NS0_5tupleIJPdS6_EEENSE_IJSB_SB_EEENS0_18inequality_wrapperIN6hipcub16HIPCUB_304000_NS8EqualityEEEPlJS6_EEE10hipError_tPvRmT3_T4_T5_T6_T7_T9_mT8_P12ihipStream_tbDpT10_ENKUlT_T0_E_clISt17integral_constantIbLb1EES17_EEDaS12_S13_EUlS12_E_NS1_11comp_targetILNS1_3genE2ELNS1_11target_archE906ELNS1_3gpuE6ELNS1_3repE0EEENS1_30default_config_static_selectorELNS0_4arch9wavefront6targetE0EEEvT1_: ; @_ZN7rocprim17ROCPRIM_400000_NS6detail17trampoline_kernelINS0_14default_configENS1_25partition_config_selectorILNS1_17partition_subalgoE8EdNS0_10empty_typeEbEEZZNS1_14partition_implILS5_8ELb0ES3_jPKdPS6_PKS6_NS0_5tupleIJPdS6_EEENSE_IJSB_SB_EEENS0_18inequality_wrapperIN6hipcub16HIPCUB_304000_NS8EqualityEEEPlJS6_EEE10hipError_tPvRmT3_T4_T5_T6_T7_T9_mT8_P12ihipStream_tbDpT10_ENKUlT_T0_E_clISt17integral_constantIbLb1EES17_EEDaS12_S13_EUlS12_E_NS1_11comp_targetILNS1_3genE2ELNS1_11target_archE906ELNS1_3gpuE6ELNS1_3repE0EEENS1_30default_config_static_selectorELNS0_4arch9wavefront6targetE0EEEvT1_
; %bb.0:
	.section	.rodata,"a",@progbits
	.p2align	6, 0x0
	.amdhsa_kernel _ZN7rocprim17ROCPRIM_400000_NS6detail17trampoline_kernelINS0_14default_configENS1_25partition_config_selectorILNS1_17partition_subalgoE8EdNS0_10empty_typeEbEEZZNS1_14partition_implILS5_8ELb0ES3_jPKdPS6_PKS6_NS0_5tupleIJPdS6_EEENSE_IJSB_SB_EEENS0_18inequality_wrapperIN6hipcub16HIPCUB_304000_NS8EqualityEEEPlJS6_EEE10hipError_tPvRmT3_T4_T5_T6_T7_T9_mT8_P12ihipStream_tbDpT10_ENKUlT_T0_E_clISt17integral_constantIbLb1EES17_EEDaS12_S13_EUlS12_E_NS1_11comp_targetILNS1_3genE2ELNS1_11target_archE906ELNS1_3gpuE6ELNS1_3repE0EEENS1_30default_config_static_selectorELNS0_4arch9wavefront6targetE0EEEvT1_
		.amdhsa_group_segment_fixed_size 0
		.amdhsa_private_segment_fixed_size 0
		.amdhsa_kernarg_size 128
		.amdhsa_user_sgpr_count 2
		.amdhsa_user_sgpr_dispatch_ptr 0
		.amdhsa_user_sgpr_queue_ptr 0
		.amdhsa_user_sgpr_kernarg_segment_ptr 1
		.amdhsa_user_sgpr_dispatch_id 0
		.amdhsa_user_sgpr_kernarg_preload_length 0
		.amdhsa_user_sgpr_kernarg_preload_offset 0
		.amdhsa_user_sgpr_private_segment_size 0
		.amdhsa_wavefront_size32 1
		.amdhsa_uses_dynamic_stack 0
		.amdhsa_enable_private_segment 0
		.amdhsa_system_sgpr_workgroup_id_x 1
		.amdhsa_system_sgpr_workgroup_id_y 0
		.amdhsa_system_sgpr_workgroup_id_z 0
		.amdhsa_system_sgpr_workgroup_info 0
		.amdhsa_system_vgpr_workitem_id 0
		.amdhsa_next_free_vgpr 1
		.amdhsa_next_free_sgpr 1
		.amdhsa_named_barrier_count 0
		.amdhsa_reserve_vcc 0
		.amdhsa_float_round_mode_32 0
		.amdhsa_float_round_mode_16_64 0
		.amdhsa_float_denorm_mode_32 3
		.amdhsa_float_denorm_mode_16_64 3
		.amdhsa_fp16_overflow 0
		.amdhsa_memory_ordered 1
		.amdhsa_forward_progress 1
		.amdhsa_inst_pref_size 0
		.amdhsa_round_robin_scheduling 0
		.amdhsa_exception_fp_ieee_invalid_op 0
		.amdhsa_exception_fp_denorm_src 0
		.amdhsa_exception_fp_ieee_div_zero 0
		.amdhsa_exception_fp_ieee_overflow 0
		.amdhsa_exception_fp_ieee_underflow 0
		.amdhsa_exception_fp_ieee_inexact 0
		.amdhsa_exception_int_div_zero 0
	.end_amdhsa_kernel
	.section	.text._ZN7rocprim17ROCPRIM_400000_NS6detail17trampoline_kernelINS0_14default_configENS1_25partition_config_selectorILNS1_17partition_subalgoE8EdNS0_10empty_typeEbEEZZNS1_14partition_implILS5_8ELb0ES3_jPKdPS6_PKS6_NS0_5tupleIJPdS6_EEENSE_IJSB_SB_EEENS0_18inequality_wrapperIN6hipcub16HIPCUB_304000_NS8EqualityEEEPlJS6_EEE10hipError_tPvRmT3_T4_T5_T6_T7_T9_mT8_P12ihipStream_tbDpT10_ENKUlT_T0_E_clISt17integral_constantIbLb1EES17_EEDaS12_S13_EUlS12_E_NS1_11comp_targetILNS1_3genE2ELNS1_11target_archE906ELNS1_3gpuE6ELNS1_3repE0EEENS1_30default_config_static_selectorELNS0_4arch9wavefront6targetE0EEEvT1_,"axG",@progbits,_ZN7rocprim17ROCPRIM_400000_NS6detail17trampoline_kernelINS0_14default_configENS1_25partition_config_selectorILNS1_17partition_subalgoE8EdNS0_10empty_typeEbEEZZNS1_14partition_implILS5_8ELb0ES3_jPKdPS6_PKS6_NS0_5tupleIJPdS6_EEENSE_IJSB_SB_EEENS0_18inequality_wrapperIN6hipcub16HIPCUB_304000_NS8EqualityEEEPlJS6_EEE10hipError_tPvRmT3_T4_T5_T6_T7_T9_mT8_P12ihipStream_tbDpT10_ENKUlT_T0_E_clISt17integral_constantIbLb1EES17_EEDaS12_S13_EUlS12_E_NS1_11comp_targetILNS1_3genE2ELNS1_11target_archE906ELNS1_3gpuE6ELNS1_3repE0EEENS1_30default_config_static_selectorELNS0_4arch9wavefront6targetE0EEEvT1_,comdat
.Lfunc_end284:
	.size	_ZN7rocprim17ROCPRIM_400000_NS6detail17trampoline_kernelINS0_14default_configENS1_25partition_config_selectorILNS1_17partition_subalgoE8EdNS0_10empty_typeEbEEZZNS1_14partition_implILS5_8ELb0ES3_jPKdPS6_PKS6_NS0_5tupleIJPdS6_EEENSE_IJSB_SB_EEENS0_18inequality_wrapperIN6hipcub16HIPCUB_304000_NS8EqualityEEEPlJS6_EEE10hipError_tPvRmT3_T4_T5_T6_T7_T9_mT8_P12ihipStream_tbDpT10_ENKUlT_T0_E_clISt17integral_constantIbLb1EES17_EEDaS12_S13_EUlS12_E_NS1_11comp_targetILNS1_3genE2ELNS1_11target_archE906ELNS1_3gpuE6ELNS1_3repE0EEENS1_30default_config_static_selectorELNS0_4arch9wavefront6targetE0EEEvT1_, .Lfunc_end284-_ZN7rocprim17ROCPRIM_400000_NS6detail17trampoline_kernelINS0_14default_configENS1_25partition_config_selectorILNS1_17partition_subalgoE8EdNS0_10empty_typeEbEEZZNS1_14partition_implILS5_8ELb0ES3_jPKdPS6_PKS6_NS0_5tupleIJPdS6_EEENSE_IJSB_SB_EEENS0_18inequality_wrapperIN6hipcub16HIPCUB_304000_NS8EqualityEEEPlJS6_EEE10hipError_tPvRmT3_T4_T5_T6_T7_T9_mT8_P12ihipStream_tbDpT10_ENKUlT_T0_E_clISt17integral_constantIbLb1EES17_EEDaS12_S13_EUlS12_E_NS1_11comp_targetILNS1_3genE2ELNS1_11target_archE906ELNS1_3gpuE6ELNS1_3repE0EEENS1_30default_config_static_selectorELNS0_4arch9wavefront6targetE0EEEvT1_
                                        ; -- End function
	.set _ZN7rocprim17ROCPRIM_400000_NS6detail17trampoline_kernelINS0_14default_configENS1_25partition_config_selectorILNS1_17partition_subalgoE8EdNS0_10empty_typeEbEEZZNS1_14partition_implILS5_8ELb0ES3_jPKdPS6_PKS6_NS0_5tupleIJPdS6_EEENSE_IJSB_SB_EEENS0_18inequality_wrapperIN6hipcub16HIPCUB_304000_NS8EqualityEEEPlJS6_EEE10hipError_tPvRmT3_T4_T5_T6_T7_T9_mT8_P12ihipStream_tbDpT10_ENKUlT_T0_E_clISt17integral_constantIbLb1EES17_EEDaS12_S13_EUlS12_E_NS1_11comp_targetILNS1_3genE2ELNS1_11target_archE906ELNS1_3gpuE6ELNS1_3repE0EEENS1_30default_config_static_selectorELNS0_4arch9wavefront6targetE0EEEvT1_.num_vgpr, 0
	.set _ZN7rocprim17ROCPRIM_400000_NS6detail17trampoline_kernelINS0_14default_configENS1_25partition_config_selectorILNS1_17partition_subalgoE8EdNS0_10empty_typeEbEEZZNS1_14partition_implILS5_8ELb0ES3_jPKdPS6_PKS6_NS0_5tupleIJPdS6_EEENSE_IJSB_SB_EEENS0_18inequality_wrapperIN6hipcub16HIPCUB_304000_NS8EqualityEEEPlJS6_EEE10hipError_tPvRmT3_T4_T5_T6_T7_T9_mT8_P12ihipStream_tbDpT10_ENKUlT_T0_E_clISt17integral_constantIbLb1EES17_EEDaS12_S13_EUlS12_E_NS1_11comp_targetILNS1_3genE2ELNS1_11target_archE906ELNS1_3gpuE6ELNS1_3repE0EEENS1_30default_config_static_selectorELNS0_4arch9wavefront6targetE0EEEvT1_.num_agpr, 0
	.set _ZN7rocprim17ROCPRIM_400000_NS6detail17trampoline_kernelINS0_14default_configENS1_25partition_config_selectorILNS1_17partition_subalgoE8EdNS0_10empty_typeEbEEZZNS1_14partition_implILS5_8ELb0ES3_jPKdPS6_PKS6_NS0_5tupleIJPdS6_EEENSE_IJSB_SB_EEENS0_18inequality_wrapperIN6hipcub16HIPCUB_304000_NS8EqualityEEEPlJS6_EEE10hipError_tPvRmT3_T4_T5_T6_T7_T9_mT8_P12ihipStream_tbDpT10_ENKUlT_T0_E_clISt17integral_constantIbLb1EES17_EEDaS12_S13_EUlS12_E_NS1_11comp_targetILNS1_3genE2ELNS1_11target_archE906ELNS1_3gpuE6ELNS1_3repE0EEENS1_30default_config_static_selectorELNS0_4arch9wavefront6targetE0EEEvT1_.numbered_sgpr, 0
	.set _ZN7rocprim17ROCPRIM_400000_NS6detail17trampoline_kernelINS0_14default_configENS1_25partition_config_selectorILNS1_17partition_subalgoE8EdNS0_10empty_typeEbEEZZNS1_14partition_implILS5_8ELb0ES3_jPKdPS6_PKS6_NS0_5tupleIJPdS6_EEENSE_IJSB_SB_EEENS0_18inequality_wrapperIN6hipcub16HIPCUB_304000_NS8EqualityEEEPlJS6_EEE10hipError_tPvRmT3_T4_T5_T6_T7_T9_mT8_P12ihipStream_tbDpT10_ENKUlT_T0_E_clISt17integral_constantIbLb1EES17_EEDaS12_S13_EUlS12_E_NS1_11comp_targetILNS1_3genE2ELNS1_11target_archE906ELNS1_3gpuE6ELNS1_3repE0EEENS1_30default_config_static_selectorELNS0_4arch9wavefront6targetE0EEEvT1_.num_named_barrier, 0
	.set _ZN7rocprim17ROCPRIM_400000_NS6detail17trampoline_kernelINS0_14default_configENS1_25partition_config_selectorILNS1_17partition_subalgoE8EdNS0_10empty_typeEbEEZZNS1_14partition_implILS5_8ELb0ES3_jPKdPS6_PKS6_NS0_5tupleIJPdS6_EEENSE_IJSB_SB_EEENS0_18inequality_wrapperIN6hipcub16HIPCUB_304000_NS8EqualityEEEPlJS6_EEE10hipError_tPvRmT3_T4_T5_T6_T7_T9_mT8_P12ihipStream_tbDpT10_ENKUlT_T0_E_clISt17integral_constantIbLb1EES17_EEDaS12_S13_EUlS12_E_NS1_11comp_targetILNS1_3genE2ELNS1_11target_archE906ELNS1_3gpuE6ELNS1_3repE0EEENS1_30default_config_static_selectorELNS0_4arch9wavefront6targetE0EEEvT1_.private_seg_size, 0
	.set _ZN7rocprim17ROCPRIM_400000_NS6detail17trampoline_kernelINS0_14default_configENS1_25partition_config_selectorILNS1_17partition_subalgoE8EdNS0_10empty_typeEbEEZZNS1_14partition_implILS5_8ELb0ES3_jPKdPS6_PKS6_NS0_5tupleIJPdS6_EEENSE_IJSB_SB_EEENS0_18inequality_wrapperIN6hipcub16HIPCUB_304000_NS8EqualityEEEPlJS6_EEE10hipError_tPvRmT3_T4_T5_T6_T7_T9_mT8_P12ihipStream_tbDpT10_ENKUlT_T0_E_clISt17integral_constantIbLb1EES17_EEDaS12_S13_EUlS12_E_NS1_11comp_targetILNS1_3genE2ELNS1_11target_archE906ELNS1_3gpuE6ELNS1_3repE0EEENS1_30default_config_static_selectorELNS0_4arch9wavefront6targetE0EEEvT1_.uses_vcc, 0
	.set _ZN7rocprim17ROCPRIM_400000_NS6detail17trampoline_kernelINS0_14default_configENS1_25partition_config_selectorILNS1_17partition_subalgoE8EdNS0_10empty_typeEbEEZZNS1_14partition_implILS5_8ELb0ES3_jPKdPS6_PKS6_NS0_5tupleIJPdS6_EEENSE_IJSB_SB_EEENS0_18inequality_wrapperIN6hipcub16HIPCUB_304000_NS8EqualityEEEPlJS6_EEE10hipError_tPvRmT3_T4_T5_T6_T7_T9_mT8_P12ihipStream_tbDpT10_ENKUlT_T0_E_clISt17integral_constantIbLb1EES17_EEDaS12_S13_EUlS12_E_NS1_11comp_targetILNS1_3genE2ELNS1_11target_archE906ELNS1_3gpuE6ELNS1_3repE0EEENS1_30default_config_static_selectorELNS0_4arch9wavefront6targetE0EEEvT1_.uses_flat_scratch, 0
	.set _ZN7rocprim17ROCPRIM_400000_NS6detail17trampoline_kernelINS0_14default_configENS1_25partition_config_selectorILNS1_17partition_subalgoE8EdNS0_10empty_typeEbEEZZNS1_14partition_implILS5_8ELb0ES3_jPKdPS6_PKS6_NS0_5tupleIJPdS6_EEENSE_IJSB_SB_EEENS0_18inequality_wrapperIN6hipcub16HIPCUB_304000_NS8EqualityEEEPlJS6_EEE10hipError_tPvRmT3_T4_T5_T6_T7_T9_mT8_P12ihipStream_tbDpT10_ENKUlT_T0_E_clISt17integral_constantIbLb1EES17_EEDaS12_S13_EUlS12_E_NS1_11comp_targetILNS1_3genE2ELNS1_11target_archE906ELNS1_3gpuE6ELNS1_3repE0EEENS1_30default_config_static_selectorELNS0_4arch9wavefront6targetE0EEEvT1_.has_dyn_sized_stack, 0
	.set _ZN7rocprim17ROCPRIM_400000_NS6detail17trampoline_kernelINS0_14default_configENS1_25partition_config_selectorILNS1_17partition_subalgoE8EdNS0_10empty_typeEbEEZZNS1_14partition_implILS5_8ELb0ES3_jPKdPS6_PKS6_NS0_5tupleIJPdS6_EEENSE_IJSB_SB_EEENS0_18inequality_wrapperIN6hipcub16HIPCUB_304000_NS8EqualityEEEPlJS6_EEE10hipError_tPvRmT3_T4_T5_T6_T7_T9_mT8_P12ihipStream_tbDpT10_ENKUlT_T0_E_clISt17integral_constantIbLb1EES17_EEDaS12_S13_EUlS12_E_NS1_11comp_targetILNS1_3genE2ELNS1_11target_archE906ELNS1_3gpuE6ELNS1_3repE0EEENS1_30default_config_static_selectorELNS0_4arch9wavefront6targetE0EEEvT1_.has_recursion, 0
	.set _ZN7rocprim17ROCPRIM_400000_NS6detail17trampoline_kernelINS0_14default_configENS1_25partition_config_selectorILNS1_17partition_subalgoE8EdNS0_10empty_typeEbEEZZNS1_14partition_implILS5_8ELb0ES3_jPKdPS6_PKS6_NS0_5tupleIJPdS6_EEENSE_IJSB_SB_EEENS0_18inequality_wrapperIN6hipcub16HIPCUB_304000_NS8EqualityEEEPlJS6_EEE10hipError_tPvRmT3_T4_T5_T6_T7_T9_mT8_P12ihipStream_tbDpT10_ENKUlT_T0_E_clISt17integral_constantIbLb1EES17_EEDaS12_S13_EUlS12_E_NS1_11comp_targetILNS1_3genE2ELNS1_11target_archE906ELNS1_3gpuE6ELNS1_3repE0EEENS1_30default_config_static_selectorELNS0_4arch9wavefront6targetE0EEEvT1_.has_indirect_call, 0
	.section	.AMDGPU.csdata,"",@progbits
; Kernel info:
; codeLenInByte = 0
; TotalNumSgprs: 0
; NumVgprs: 0
; ScratchSize: 0
; MemoryBound: 0
; FloatMode: 240
; IeeeMode: 1
; LDSByteSize: 0 bytes/workgroup (compile time only)
; SGPRBlocks: 0
; VGPRBlocks: 0
; NumSGPRsForWavesPerEU: 1
; NumVGPRsForWavesPerEU: 1
; NamedBarCnt: 0
; Occupancy: 16
; WaveLimiterHint : 0
; COMPUTE_PGM_RSRC2:SCRATCH_EN: 0
; COMPUTE_PGM_RSRC2:USER_SGPR: 2
; COMPUTE_PGM_RSRC2:TRAP_HANDLER: 0
; COMPUTE_PGM_RSRC2:TGID_X_EN: 1
; COMPUTE_PGM_RSRC2:TGID_Y_EN: 0
; COMPUTE_PGM_RSRC2:TGID_Z_EN: 0
; COMPUTE_PGM_RSRC2:TIDIG_COMP_CNT: 0
	.section	.text._ZN7rocprim17ROCPRIM_400000_NS6detail17trampoline_kernelINS0_14default_configENS1_25partition_config_selectorILNS1_17partition_subalgoE8EdNS0_10empty_typeEbEEZZNS1_14partition_implILS5_8ELb0ES3_jPKdPS6_PKS6_NS0_5tupleIJPdS6_EEENSE_IJSB_SB_EEENS0_18inequality_wrapperIN6hipcub16HIPCUB_304000_NS8EqualityEEEPlJS6_EEE10hipError_tPvRmT3_T4_T5_T6_T7_T9_mT8_P12ihipStream_tbDpT10_ENKUlT_T0_E_clISt17integral_constantIbLb1EES17_EEDaS12_S13_EUlS12_E_NS1_11comp_targetILNS1_3genE10ELNS1_11target_archE1200ELNS1_3gpuE4ELNS1_3repE0EEENS1_30default_config_static_selectorELNS0_4arch9wavefront6targetE0EEEvT1_,"axG",@progbits,_ZN7rocprim17ROCPRIM_400000_NS6detail17trampoline_kernelINS0_14default_configENS1_25partition_config_selectorILNS1_17partition_subalgoE8EdNS0_10empty_typeEbEEZZNS1_14partition_implILS5_8ELb0ES3_jPKdPS6_PKS6_NS0_5tupleIJPdS6_EEENSE_IJSB_SB_EEENS0_18inequality_wrapperIN6hipcub16HIPCUB_304000_NS8EqualityEEEPlJS6_EEE10hipError_tPvRmT3_T4_T5_T6_T7_T9_mT8_P12ihipStream_tbDpT10_ENKUlT_T0_E_clISt17integral_constantIbLb1EES17_EEDaS12_S13_EUlS12_E_NS1_11comp_targetILNS1_3genE10ELNS1_11target_archE1200ELNS1_3gpuE4ELNS1_3repE0EEENS1_30default_config_static_selectorELNS0_4arch9wavefront6targetE0EEEvT1_,comdat
	.protected	_ZN7rocprim17ROCPRIM_400000_NS6detail17trampoline_kernelINS0_14default_configENS1_25partition_config_selectorILNS1_17partition_subalgoE8EdNS0_10empty_typeEbEEZZNS1_14partition_implILS5_8ELb0ES3_jPKdPS6_PKS6_NS0_5tupleIJPdS6_EEENSE_IJSB_SB_EEENS0_18inequality_wrapperIN6hipcub16HIPCUB_304000_NS8EqualityEEEPlJS6_EEE10hipError_tPvRmT3_T4_T5_T6_T7_T9_mT8_P12ihipStream_tbDpT10_ENKUlT_T0_E_clISt17integral_constantIbLb1EES17_EEDaS12_S13_EUlS12_E_NS1_11comp_targetILNS1_3genE10ELNS1_11target_archE1200ELNS1_3gpuE4ELNS1_3repE0EEENS1_30default_config_static_selectorELNS0_4arch9wavefront6targetE0EEEvT1_ ; -- Begin function _ZN7rocprim17ROCPRIM_400000_NS6detail17trampoline_kernelINS0_14default_configENS1_25partition_config_selectorILNS1_17partition_subalgoE8EdNS0_10empty_typeEbEEZZNS1_14partition_implILS5_8ELb0ES3_jPKdPS6_PKS6_NS0_5tupleIJPdS6_EEENSE_IJSB_SB_EEENS0_18inequality_wrapperIN6hipcub16HIPCUB_304000_NS8EqualityEEEPlJS6_EEE10hipError_tPvRmT3_T4_T5_T6_T7_T9_mT8_P12ihipStream_tbDpT10_ENKUlT_T0_E_clISt17integral_constantIbLb1EES17_EEDaS12_S13_EUlS12_E_NS1_11comp_targetILNS1_3genE10ELNS1_11target_archE1200ELNS1_3gpuE4ELNS1_3repE0EEENS1_30default_config_static_selectorELNS0_4arch9wavefront6targetE0EEEvT1_
	.globl	_ZN7rocprim17ROCPRIM_400000_NS6detail17trampoline_kernelINS0_14default_configENS1_25partition_config_selectorILNS1_17partition_subalgoE8EdNS0_10empty_typeEbEEZZNS1_14partition_implILS5_8ELb0ES3_jPKdPS6_PKS6_NS0_5tupleIJPdS6_EEENSE_IJSB_SB_EEENS0_18inequality_wrapperIN6hipcub16HIPCUB_304000_NS8EqualityEEEPlJS6_EEE10hipError_tPvRmT3_T4_T5_T6_T7_T9_mT8_P12ihipStream_tbDpT10_ENKUlT_T0_E_clISt17integral_constantIbLb1EES17_EEDaS12_S13_EUlS12_E_NS1_11comp_targetILNS1_3genE10ELNS1_11target_archE1200ELNS1_3gpuE4ELNS1_3repE0EEENS1_30default_config_static_selectorELNS0_4arch9wavefront6targetE0EEEvT1_
	.p2align	8
	.type	_ZN7rocprim17ROCPRIM_400000_NS6detail17trampoline_kernelINS0_14default_configENS1_25partition_config_selectorILNS1_17partition_subalgoE8EdNS0_10empty_typeEbEEZZNS1_14partition_implILS5_8ELb0ES3_jPKdPS6_PKS6_NS0_5tupleIJPdS6_EEENSE_IJSB_SB_EEENS0_18inequality_wrapperIN6hipcub16HIPCUB_304000_NS8EqualityEEEPlJS6_EEE10hipError_tPvRmT3_T4_T5_T6_T7_T9_mT8_P12ihipStream_tbDpT10_ENKUlT_T0_E_clISt17integral_constantIbLb1EES17_EEDaS12_S13_EUlS12_E_NS1_11comp_targetILNS1_3genE10ELNS1_11target_archE1200ELNS1_3gpuE4ELNS1_3repE0EEENS1_30default_config_static_selectorELNS0_4arch9wavefront6targetE0EEEvT1_,@function
_ZN7rocprim17ROCPRIM_400000_NS6detail17trampoline_kernelINS0_14default_configENS1_25partition_config_selectorILNS1_17partition_subalgoE8EdNS0_10empty_typeEbEEZZNS1_14partition_implILS5_8ELb0ES3_jPKdPS6_PKS6_NS0_5tupleIJPdS6_EEENSE_IJSB_SB_EEENS0_18inequality_wrapperIN6hipcub16HIPCUB_304000_NS8EqualityEEEPlJS6_EEE10hipError_tPvRmT3_T4_T5_T6_T7_T9_mT8_P12ihipStream_tbDpT10_ENKUlT_T0_E_clISt17integral_constantIbLb1EES17_EEDaS12_S13_EUlS12_E_NS1_11comp_targetILNS1_3genE10ELNS1_11target_archE1200ELNS1_3gpuE4ELNS1_3repE0EEENS1_30default_config_static_selectorELNS0_4arch9wavefront6targetE0EEEvT1_: ; @_ZN7rocprim17ROCPRIM_400000_NS6detail17trampoline_kernelINS0_14default_configENS1_25partition_config_selectorILNS1_17partition_subalgoE8EdNS0_10empty_typeEbEEZZNS1_14partition_implILS5_8ELb0ES3_jPKdPS6_PKS6_NS0_5tupleIJPdS6_EEENSE_IJSB_SB_EEENS0_18inequality_wrapperIN6hipcub16HIPCUB_304000_NS8EqualityEEEPlJS6_EEE10hipError_tPvRmT3_T4_T5_T6_T7_T9_mT8_P12ihipStream_tbDpT10_ENKUlT_T0_E_clISt17integral_constantIbLb1EES17_EEDaS12_S13_EUlS12_E_NS1_11comp_targetILNS1_3genE10ELNS1_11target_archE1200ELNS1_3gpuE4ELNS1_3repE0EEENS1_30default_config_static_selectorELNS0_4arch9wavefront6targetE0EEEvT1_
; %bb.0:
	.section	.rodata,"a",@progbits
	.p2align	6, 0x0
	.amdhsa_kernel _ZN7rocprim17ROCPRIM_400000_NS6detail17trampoline_kernelINS0_14default_configENS1_25partition_config_selectorILNS1_17partition_subalgoE8EdNS0_10empty_typeEbEEZZNS1_14partition_implILS5_8ELb0ES3_jPKdPS6_PKS6_NS0_5tupleIJPdS6_EEENSE_IJSB_SB_EEENS0_18inequality_wrapperIN6hipcub16HIPCUB_304000_NS8EqualityEEEPlJS6_EEE10hipError_tPvRmT3_T4_T5_T6_T7_T9_mT8_P12ihipStream_tbDpT10_ENKUlT_T0_E_clISt17integral_constantIbLb1EES17_EEDaS12_S13_EUlS12_E_NS1_11comp_targetILNS1_3genE10ELNS1_11target_archE1200ELNS1_3gpuE4ELNS1_3repE0EEENS1_30default_config_static_selectorELNS0_4arch9wavefront6targetE0EEEvT1_
		.amdhsa_group_segment_fixed_size 0
		.amdhsa_private_segment_fixed_size 0
		.amdhsa_kernarg_size 128
		.amdhsa_user_sgpr_count 2
		.amdhsa_user_sgpr_dispatch_ptr 0
		.amdhsa_user_sgpr_queue_ptr 0
		.amdhsa_user_sgpr_kernarg_segment_ptr 1
		.amdhsa_user_sgpr_dispatch_id 0
		.amdhsa_user_sgpr_kernarg_preload_length 0
		.amdhsa_user_sgpr_kernarg_preload_offset 0
		.amdhsa_user_sgpr_private_segment_size 0
		.amdhsa_wavefront_size32 1
		.amdhsa_uses_dynamic_stack 0
		.amdhsa_enable_private_segment 0
		.amdhsa_system_sgpr_workgroup_id_x 1
		.amdhsa_system_sgpr_workgroup_id_y 0
		.amdhsa_system_sgpr_workgroup_id_z 0
		.amdhsa_system_sgpr_workgroup_info 0
		.amdhsa_system_vgpr_workitem_id 0
		.amdhsa_next_free_vgpr 1
		.amdhsa_next_free_sgpr 1
		.amdhsa_named_barrier_count 0
		.amdhsa_reserve_vcc 0
		.amdhsa_float_round_mode_32 0
		.amdhsa_float_round_mode_16_64 0
		.amdhsa_float_denorm_mode_32 3
		.amdhsa_float_denorm_mode_16_64 3
		.amdhsa_fp16_overflow 0
		.amdhsa_memory_ordered 1
		.amdhsa_forward_progress 1
		.amdhsa_inst_pref_size 0
		.amdhsa_round_robin_scheduling 0
		.amdhsa_exception_fp_ieee_invalid_op 0
		.amdhsa_exception_fp_denorm_src 0
		.amdhsa_exception_fp_ieee_div_zero 0
		.amdhsa_exception_fp_ieee_overflow 0
		.amdhsa_exception_fp_ieee_underflow 0
		.amdhsa_exception_fp_ieee_inexact 0
		.amdhsa_exception_int_div_zero 0
	.end_amdhsa_kernel
	.section	.text._ZN7rocprim17ROCPRIM_400000_NS6detail17trampoline_kernelINS0_14default_configENS1_25partition_config_selectorILNS1_17partition_subalgoE8EdNS0_10empty_typeEbEEZZNS1_14partition_implILS5_8ELb0ES3_jPKdPS6_PKS6_NS0_5tupleIJPdS6_EEENSE_IJSB_SB_EEENS0_18inequality_wrapperIN6hipcub16HIPCUB_304000_NS8EqualityEEEPlJS6_EEE10hipError_tPvRmT3_T4_T5_T6_T7_T9_mT8_P12ihipStream_tbDpT10_ENKUlT_T0_E_clISt17integral_constantIbLb1EES17_EEDaS12_S13_EUlS12_E_NS1_11comp_targetILNS1_3genE10ELNS1_11target_archE1200ELNS1_3gpuE4ELNS1_3repE0EEENS1_30default_config_static_selectorELNS0_4arch9wavefront6targetE0EEEvT1_,"axG",@progbits,_ZN7rocprim17ROCPRIM_400000_NS6detail17trampoline_kernelINS0_14default_configENS1_25partition_config_selectorILNS1_17partition_subalgoE8EdNS0_10empty_typeEbEEZZNS1_14partition_implILS5_8ELb0ES3_jPKdPS6_PKS6_NS0_5tupleIJPdS6_EEENSE_IJSB_SB_EEENS0_18inequality_wrapperIN6hipcub16HIPCUB_304000_NS8EqualityEEEPlJS6_EEE10hipError_tPvRmT3_T4_T5_T6_T7_T9_mT8_P12ihipStream_tbDpT10_ENKUlT_T0_E_clISt17integral_constantIbLb1EES17_EEDaS12_S13_EUlS12_E_NS1_11comp_targetILNS1_3genE10ELNS1_11target_archE1200ELNS1_3gpuE4ELNS1_3repE0EEENS1_30default_config_static_selectorELNS0_4arch9wavefront6targetE0EEEvT1_,comdat
.Lfunc_end285:
	.size	_ZN7rocprim17ROCPRIM_400000_NS6detail17trampoline_kernelINS0_14default_configENS1_25partition_config_selectorILNS1_17partition_subalgoE8EdNS0_10empty_typeEbEEZZNS1_14partition_implILS5_8ELb0ES3_jPKdPS6_PKS6_NS0_5tupleIJPdS6_EEENSE_IJSB_SB_EEENS0_18inequality_wrapperIN6hipcub16HIPCUB_304000_NS8EqualityEEEPlJS6_EEE10hipError_tPvRmT3_T4_T5_T6_T7_T9_mT8_P12ihipStream_tbDpT10_ENKUlT_T0_E_clISt17integral_constantIbLb1EES17_EEDaS12_S13_EUlS12_E_NS1_11comp_targetILNS1_3genE10ELNS1_11target_archE1200ELNS1_3gpuE4ELNS1_3repE0EEENS1_30default_config_static_selectorELNS0_4arch9wavefront6targetE0EEEvT1_, .Lfunc_end285-_ZN7rocprim17ROCPRIM_400000_NS6detail17trampoline_kernelINS0_14default_configENS1_25partition_config_selectorILNS1_17partition_subalgoE8EdNS0_10empty_typeEbEEZZNS1_14partition_implILS5_8ELb0ES3_jPKdPS6_PKS6_NS0_5tupleIJPdS6_EEENSE_IJSB_SB_EEENS0_18inequality_wrapperIN6hipcub16HIPCUB_304000_NS8EqualityEEEPlJS6_EEE10hipError_tPvRmT3_T4_T5_T6_T7_T9_mT8_P12ihipStream_tbDpT10_ENKUlT_T0_E_clISt17integral_constantIbLb1EES17_EEDaS12_S13_EUlS12_E_NS1_11comp_targetILNS1_3genE10ELNS1_11target_archE1200ELNS1_3gpuE4ELNS1_3repE0EEENS1_30default_config_static_selectorELNS0_4arch9wavefront6targetE0EEEvT1_
                                        ; -- End function
	.set _ZN7rocprim17ROCPRIM_400000_NS6detail17trampoline_kernelINS0_14default_configENS1_25partition_config_selectorILNS1_17partition_subalgoE8EdNS0_10empty_typeEbEEZZNS1_14partition_implILS5_8ELb0ES3_jPKdPS6_PKS6_NS0_5tupleIJPdS6_EEENSE_IJSB_SB_EEENS0_18inequality_wrapperIN6hipcub16HIPCUB_304000_NS8EqualityEEEPlJS6_EEE10hipError_tPvRmT3_T4_T5_T6_T7_T9_mT8_P12ihipStream_tbDpT10_ENKUlT_T0_E_clISt17integral_constantIbLb1EES17_EEDaS12_S13_EUlS12_E_NS1_11comp_targetILNS1_3genE10ELNS1_11target_archE1200ELNS1_3gpuE4ELNS1_3repE0EEENS1_30default_config_static_selectorELNS0_4arch9wavefront6targetE0EEEvT1_.num_vgpr, 0
	.set _ZN7rocprim17ROCPRIM_400000_NS6detail17trampoline_kernelINS0_14default_configENS1_25partition_config_selectorILNS1_17partition_subalgoE8EdNS0_10empty_typeEbEEZZNS1_14partition_implILS5_8ELb0ES3_jPKdPS6_PKS6_NS0_5tupleIJPdS6_EEENSE_IJSB_SB_EEENS0_18inequality_wrapperIN6hipcub16HIPCUB_304000_NS8EqualityEEEPlJS6_EEE10hipError_tPvRmT3_T4_T5_T6_T7_T9_mT8_P12ihipStream_tbDpT10_ENKUlT_T0_E_clISt17integral_constantIbLb1EES17_EEDaS12_S13_EUlS12_E_NS1_11comp_targetILNS1_3genE10ELNS1_11target_archE1200ELNS1_3gpuE4ELNS1_3repE0EEENS1_30default_config_static_selectorELNS0_4arch9wavefront6targetE0EEEvT1_.num_agpr, 0
	.set _ZN7rocprim17ROCPRIM_400000_NS6detail17trampoline_kernelINS0_14default_configENS1_25partition_config_selectorILNS1_17partition_subalgoE8EdNS0_10empty_typeEbEEZZNS1_14partition_implILS5_8ELb0ES3_jPKdPS6_PKS6_NS0_5tupleIJPdS6_EEENSE_IJSB_SB_EEENS0_18inequality_wrapperIN6hipcub16HIPCUB_304000_NS8EqualityEEEPlJS6_EEE10hipError_tPvRmT3_T4_T5_T6_T7_T9_mT8_P12ihipStream_tbDpT10_ENKUlT_T0_E_clISt17integral_constantIbLb1EES17_EEDaS12_S13_EUlS12_E_NS1_11comp_targetILNS1_3genE10ELNS1_11target_archE1200ELNS1_3gpuE4ELNS1_3repE0EEENS1_30default_config_static_selectorELNS0_4arch9wavefront6targetE0EEEvT1_.numbered_sgpr, 0
	.set _ZN7rocprim17ROCPRIM_400000_NS6detail17trampoline_kernelINS0_14default_configENS1_25partition_config_selectorILNS1_17partition_subalgoE8EdNS0_10empty_typeEbEEZZNS1_14partition_implILS5_8ELb0ES3_jPKdPS6_PKS6_NS0_5tupleIJPdS6_EEENSE_IJSB_SB_EEENS0_18inequality_wrapperIN6hipcub16HIPCUB_304000_NS8EqualityEEEPlJS6_EEE10hipError_tPvRmT3_T4_T5_T6_T7_T9_mT8_P12ihipStream_tbDpT10_ENKUlT_T0_E_clISt17integral_constantIbLb1EES17_EEDaS12_S13_EUlS12_E_NS1_11comp_targetILNS1_3genE10ELNS1_11target_archE1200ELNS1_3gpuE4ELNS1_3repE0EEENS1_30default_config_static_selectorELNS0_4arch9wavefront6targetE0EEEvT1_.num_named_barrier, 0
	.set _ZN7rocprim17ROCPRIM_400000_NS6detail17trampoline_kernelINS0_14default_configENS1_25partition_config_selectorILNS1_17partition_subalgoE8EdNS0_10empty_typeEbEEZZNS1_14partition_implILS5_8ELb0ES3_jPKdPS6_PKS6_NS0_5tupleIJPdS6_EEENSE_IJSB_SB_EEENS0_18inequality_wrapperIN6hipcub16HIPCUB_304000_NS8EqualityEEEPlJS6_EEE10hipError_tPvRmT3_T4_T5_T6_T7_T9_mT8_P12ihipStream_tbDpT10_ENKUlT_T0_E_clISt17integral_constantIbLb1EES17_EEDaS12_S13_EUlS12_E_NS1_11comp_targetILNS1_3genE10ELNS1_11target_archE1200ELNS1_3gpuE4ELNS1_3repE0EEENS1_30default_config_static_selectorELNS0_4arch9wavefront6targetE0EEEvT1_.private_seg_size, 0
	.set _ZN7rocprim17ROCPRIM_400000_NS6detail17trampoline_kernelINS0_14default_configENS1_25partition_config_selectorILNS1_17partition_subalgoE8EdNS0_10empty_typeEbEEZZNS1_14partition_implILS5_8ELb0ES3_jPKdPS6_PKS6_NS0_5tupleIJPdS6_EEENSE_IJSB_SB_EEENS0_18inequality_wrapperIN6hipcub16HIPCUB_304000_NS8EqualityEEEPlJS6_EEE10hipError_tPvRmT3_T4_T5_T6_T7_T9_mT8_P12ihipStream_tbDpT10_ENKUlT_T0_E_clISt17integral_constantIbLb1EES17_EEDaS12_S13_EUlS12_E_NS1_11comp_targetILNS1_3genE10ELNS1_11target_archE1200ELNS1_3gpuE4ELNS1_3repE0EEENS1_30default_config_static_selectorELNS0_4arch9wavefront6targetE0EEEvT1_.uses_vcc, 0
	.set _ZN7rocprim17ROCPRIM_400000_NS6detail17trampoline_kernelINS0_14default_configENS1_25partition_config_selectorILNS1_17partition_subalgoE8EdNS0_10empty_typeEbEEZZNS1_14partition_implILS5_8ELb0ES3_jPKdPS6_PKS6_NS0_5tupleIJPdS6_EEENSE_IJSB_SB_EEENS0_18inequality_wrapperIN6hipcub16HIPCUB_304000_NS8EqualityEEEPlJS6_EEE10hipError_tPvRmT3_T4_T5_T6_T7_T9_mT8_P12ihipStream_tbDpT10_ENKUlT_T0_E_clISt17integral_constantIbLb1EES17_EEDaS12_S13_EUlS12_E_NS1_11comp_targetILNS1_3genE10ELNS1_11target_archE1200ELNS1_3gpuE4ELNS1_3repE0EEENS1_30default_config_static_selectorELNS0_4arch9wavefront6targetE0EEEvT1_.uses_flat_scratch, 0
	.set _ZN7rocprim17ROCPRIM_400000_NS6detail17trampoline_kernelINS0_14default_configENS1_25partition_config_selectorILNS1_17partition_subalgoE8EdNS0_10empty_typeEbEEZZNS1_14partition_implILS5_8ELb0ES3_jPKdPS6_PKS6_NS0_5tupleIJPdS6_EEENSE_IJSB_SB_EEENS0_18inequality_wrapperIN6hipcub16HIPCUB_304000_NS8EqualityEEEPlJS6_EEE10hipError_tPvRmT3_T4_T5_T6_T7_T9_mT8_P12ihipStream_tbDpT10_ENKUlT_T0_E_clISt17integral_constantIbLb1EES17_EEDaS12_S13_EUlS12_E_NS1_11comp_targetILNS1_3genE10ELNS1_11target_archE1200ELNS1_3gpuE4ELNS1_3repE0EEENS1_30default_config_static_selectorELNS0_4arch9wavefront6targetE0EEEvT1_.has_dyn_sized_stack, 0
	.set _ZN7rocprim17ROCPRIM_400000_NS6detail17trampoline_kernelINS0_14default_configENS1_25partition_config_selectorILNS1_17partition_subalgoE8EdNS0_10empty_typeEbEEZZNS1_14partition_implILS5_8ELb0ES3_jPKdPS6_PKS6_NS0_5tupleIJPdS6_EEENSE_IJSB_SB_EEENS0_18inequality_wrapperIN6hipcub16HIPCUB_304000_NS8EqualityEEEPlJS6_EEE10hipError_tPvRmT3_T4_T5_T6_T7_T9_mT8_P12ihipStream_tbDpT10_ENKUlT_T0_E_clISt17integral_constantIbLb1EES17_EEDaS12_S13_EUlS12_E_NS1_11comp_targetILNS1_3genE10ELNS1_11target_archE1200ELNS1_3gpuE4ELNS1_3repE0EEENS1_30default_config_static_selectorELNS0_4arch9wavefront6targetE0EEEvT1_.has_recursion, 0
	.set _ZN7rocprim17ROCPRIM_400000_NS6detail17trampoline_kernelINS0_14default_configENS1_25partition_config_selectorILNS1_17partition_subalgoE8EdNS0_10empty_typeEbEEZZNS1_14partition_implILS5_8ELb0ES3_jPKdPS6_PKS6_NS0_5tupleIJPdS6_EEENSE_IJSB_SB_EEENS0_18inequality_wrapperIN6hipcub16HIPCUB_304000_NS8EqualityEEEPlJS6_EEE10hipError_tPvRmT3_T4_T5_T6_T7_T9_mT8_P12ihipStream_tbDpT10_ENKUlT_T0_E_clISt17integral_constantIbLb1EES17_EEDaS12_S13_EUlS12_E_NS1_11comp_targetILNS1_3genE10ELNS1_11target_archE1200ELNS1_3gpuE4ELNS1_3repE0EEENS1_30default_config_static_selectorELNS0_4arch9wavefront6targetE0EEEvT1_.has_indirect_call, 0
	.section	.AMDGPU.csdata,"",@progbits
; Kernel info:
; codeLenInByte = 0
; TotalNumSgprs: 0
; NumVgprs: 0
; ScratchSize: 0
; MemoryBound: 0
; FloatMode: 240
; IeeeMode: 1
; LDSByteSize: 0 bytes/workgroup (compile time only)
; SGPRBlocks: 0
; VGPRBlocks: 0
; NumSGPRsForWavesPerEU: 1
; NumVGPRsForWavesPerEU: 1
; NamedBarCnt: 0
; Occupancy: 16
; WaveLimiterHint : 0
; COMPUTE_PGM_RSRC2:SCRATCH_EN: 0
; COMPUTE_PGM_RSRC2:USER_SGPR: 2
; COMPUTE_PGM_RSRC2:TRAP_HANDLER: 0
; COMPUTE_PGM_RSRC2:TGID_X_EN: 1
; COMPUTE_PGM_RSRC2:TGID_Y_EN: 0
; COMPUTE_PGM_RSRC2:TGID_Z_EN: 0
; COMPUTE_PGM_RSRC2:TIDIG_COMP_CNT: 0
	.section	.text._ZN7rocprim17ROCPRIM_400000_NS6detail17trampoline_kernelINS0_14default_configENS1_25partition_config_selectorILNS1_17partition_subalgoE8EdNS0_10empty_typeEbEEZZNS1_14partition_implILS5_8ELb0ES3_jPKdPS6_PKS6_NS0_5tupleIJPdS6_EEENSE_IJSB_SB_EEENS0_18inequality_wrapperIN6hipcub16HIPCUB_304000_NS8EqualityEEEPlJS6_EEE10hipError_tPvRmT3_T4_T5_T6_T7_T9_mT8_P12ihipStream_tbDpT10_ENKUlT_T0_E_clISt17integral_constantIbLb1EES17_EEDaS12_S13_EUlS12_E_NS1_11comp_targetILNS1_3genE9ELNS1_11target_archE1100ELNS1_3gpuE3ELNS1_3repE0EEENS1_30default_config_static_selectorELNS0_4arch9wavefront6targetE0EEEvT1_,"axG",@progbits,_ZN7rocprim17ROCPRIM_400000_NS6detail17trampoline_kernelINS0_14default_configENS1_25partition_config_selectorILNS1_17partition_subalgoE8EdNS0_10empty_typeEbEEZZNS1_14partition_implILS5_8ELb0ES3_jPKdPS6_PKS6_NS0_5tupleIJPdS6_EEENSE_IJSB_SB_EEENS0_18inequality_wrapperIN6hipcub16HIPCUB_304000_NS8EqualityEEEPlJS6_EEE10hipError_tPvRmT3_T4_T5_T6_T7_T9_mT8_P12ihipStream_tbDpT10_ENKUlT_T0_E_clISt17integral_constantIbLb1EES17_EEDaS12_S13_EUlS12_E_NS1_11comp_targetILNS1_3genE9ELNS1_11target_archE1100ELNS1_3gpuE3ELNS1_3repE0EEENS1_30default_config_static_selectorELNS0_4arch9wavefront6targetE0EEEvT1_,comdat
	.protected	_ZN7rocprim17ROCPRIM_400000_NS6detail17trampoline_kernelINS0_14default_configENS1_25partition_config_selectorILNS1_17partition_subalgoE8EdNS0_10empty_typeEbEEZZNS1_14partition_implILS5_8ELb0ES3_jPKdPS6_PKS6_NS0_5tupleIJPdS6_EEENSE_IJSB_SB_EEENS0_18inequality_wrapperIN6hipcub16HIPCUB_304000_NS8EqualityEEEPlJS6_EEE10hipError_tPvRmT3_T4_T5_T6_T7_T9_mT8_P12ihipStream_tbDpT10_ENKUlT_T0_E_clISt17integral_constantIbLb1EES17_EEDaS12_S13_EUlS12_E_NS1_11comp_targetILNS1_3genE9ELNS1_11target_archE1100ELNS1_3gpuE3ELNS1_3repE0EEENS1_30default_config_static_selectorELNS0_4arch9wavefront6targetE0EEEvT1_ ; -- Begin function _ZN7rocprim17ROCPRIM_400000_NS6detail17trampoline_kernelINS0_14default_configENS1_25partition_config_selectorILNS1_17partition_subalgoE8EdNS0_10empty_typeEbEEZZNS1_14partition_implILS5_8ELb0ES3_jPKdPS6_PKS6_NS0_5tupleIJPdS6_EEENSE_IJSB_SB_EEENS0_18inequality_wrapperIN6hipcub16HIPCUB_304000_NS8EqualityEEEPlJS6_EEE10hipError_tPvRmT3_T4_T5_T6_T7_T9_mT8_P12ihipStream_tbDpT10_ENKUlT_T0_E_clISt17integral_constantIbLb1EES17_EEDaS12_S13_EUlS12_E_NS1_11comp_targetILNS1_3genE9ELNS1_11target_archE1100ELNS1_3gpuE3ELNS1_3repE0EEENS1_30default_config_static_selectorELNS0_4arch9wavefront6targetE0EEEvT1_
	.globl	_ZN7rocprim17ROCPRIM_400000_NS6detail17trampoline_kernelINS0_14default_configENS1_25partition_config_selectorILNS1_17partition_subalgoE8EdNS0_10empty_typeEbEEZZNS1_14partition_implILS5_8ELb0ES3_jPKdPS6_PKS6_NS0_5tupleIJPdS6_EEENSE_IJSB_SB_EEENS0_18inequality_wrapperIN6hipcub16HIPCUB_304000_NS8EqualityEEEPlJS6_EEE10hipError_tPvRmT3_T4_T5_T6_T7_T9_mT8_P12ihipStream_tbDpT10_ENKUlT_T0_E_clISt17integral_constantIbLb1EES17_EEDaS12_S13_EUlS12_E_NS1_11comp_targetILNS1_3genE9ELNS1_11target_archE1100ELNS1_3gpuE3ELNS1_3repE0EEENS1_30default_config_static_selectorELNS0_4arch9wavefront6targetE0EEEvT1_
	.p2align	8
	.type	_ZN7rocprim17ROCPRIM_400000_NS6detail17trampoline_kernelINS0_14default_configENS1_25partition_config_selectorILNS1_17partition_subalgoE8EdNS0_10empty_typeEbEEZZNS1_14partition_implILS5_8ELb0ES3_jPKdPS6_PKS6_NS0_5tupleIJPdS6_EEENSE_IJSB_SB_EEENS0_18inequality_wrapperIN6hipcub16HIPCUB_304000_NS8EqualityEEEPlJS6_EEE10hipError_tPvRmT3_T4_T5_T6_T7_T9_mT8_P12ihipStream_tbDpT10_ENKUlT_T0_E_clISt17integral_constantIbLb1EES17_EEDaS12_S13_EUlS12_E_NS1_11comp_targetILNS1_3genE9ELNS1_11target_archE1100ELNS1_3gpuE3ELNS1_3repE0EEENS1_30default_config_static_selectorELNS0_4arch9wavefront6targetE0EEEvT1_,@function
_ZN7rocprim17ROCPRIM_400000_NS6detail17trampoline_kernelINS0_14default_configENS1_25partition_config_selectorILNS1_17partition_subalgoE8EdNS0_10empty_typeEbEEZZNS1_14partition_implILS5_8ELb0ES3_jPKdPS6_PKS6_NS0_5tupleIJPdS6_EEENSE_IJSB_SB_EEENS0_18inequality_wrapperIN6hipcub16HIPCUB_304000_NS8EqualityEEEPlJS6_EEE10hipError_tPvRmT3_T4_T5_T6_T7_T9_mT8_P12ihipStream_tbDpT10_ENKUlT_T0_E_clISt17integral_constantIbLb1EES17_EEDaS12_S13_EUlS12_E_NS1_11comp_targetILNS1_3genE9ELNS1_11target_archE1100ELNS1_3gpuE3ELNS1_3repE0EEENS1_30default_config_static_selectorELNS0_4arch9wavefront6targetE0EEEvT1_: ; @_ZN7rocprim17ROCPRIM_400000_NS6detail17trampoline_kernelINS0_14default_configENS1_25partition_config_selectorILNS1_17partition_subalgoE8EdNS0_10empty_typeEbEEZZNS1_14partition_implILS5_8ELb0ES3_jPKdPS6_PKS6_NS0_5tupleIJPdS6_EEENSE_IJSB_SB_EEENS0_18inequality_wrapperIN6hipcub16HIPCUB_304000_NS8EqualityEEEPlJS6_EEE10hipError_tPvRmT3_T4_T5_T6_T7_T9_mT8_P12ihipStream_tbDpT10_ENKUlT_T0_E_clISt17integral_constantIbLb1EES17_EEDaS12_S13_EUlS12_E_NS1_11comp_targetILNS1_3genE9ELNS1_11target_archE1100ELNS1_3gpuE3ELNS1_3repE0EEENS1_30default_config_static_selectorELNS0_4arch9wavefront6targetE0EEEvT1_
; %bb.0:
	.section	.rodata,"a",@progbits
	.p2align	6, 0x0
	.amdhsa_kernel _ZN7rocprim17ROCPRIM_400000_NS6detail17trampoline_kernelINS0_14default_configENS1_25partition_config_selectorILNS1_17partition_subalgoE8EdNS0_10empty_typeEbEEZZNS1_14partition_implILS5_8ELb0ES3_jPKdPS6_PKS6_NS0_5tupleIJPdS6_EEENSE_IJSB_SB_EEENS0_18inequality_wrapperIN6hipcub16HIPCUB_304000_NS8EqualityEEEPlJS6_EEE10hipError_tPvRmT3_T4_T5_T6_T7_T9_mT8_P12ihipStream_tbDpT10_ENKUlT_T0_E_clISt17integral_constantIbLb1EES17_EEDaS12_S13_EUlS12_E_NS1_11comp_targetILNS1_3genE9ELNS1_11target_archE1100ELNS1_3gpuE3ELNS1_3repE0EEENS1_30default_config_static_selectorELNS0_4arch9wavefront6targetE0EEEvT1_
		.amdhsa_group_segment_fixed_size 0
		.amdhsa_private_segment_fixed_size 0
		.amdhsa_kernarg_size 128
		.amdhsa_user_sgpr_count 2
		.amdhsa_user_sgpr_dispatch_ptr 0
		.amdhsa_user_sgpr_queue_ptr 0
		.amdhsa_user_sgpr_kernarg_segment_ptr 1
		.amdhsa_user_sgpr_dispatch_id 0
		.amdhsa_user_sgpr_kernarg_preload_length 0
		.amdhsa_user_sgpr_kernarg_preload_offset 0
		.amdhsa_user_sgpr_private_segment_size 0
		.amdhsa_wavefront_size32 1
		.amdhsa_uses_dynamic_stack 0
		.amdhsa_enable_private_segment 0
		.amdhsa_system_sgpr_workgroup_id_x 1
		.amdhsa_system_sgpr_workgroup_id_y 0
		.amdhsa_system_sgpr_workgroup_id_z 0
		.amdhsa_system_sgpr_workgroup_info 0
		.amdhsa_system_vgpr_workitem_id 0
		.amdhsa_next_free_vgpr 1
		.amdhsa_next_free_sgpr 1
		.amdhsa_named_barrier_count 0
		.amdhsa_reserve_vcc 0
		.amdhsa_float_round_mode_32 0
		.amdhsa_float_round_mode_16_64 0
		.amdhsa_float_denorm_mode_32 3
		.amdhsa_float_denorm_mode_16_64 3
		.amdhsa_fp16_overflow 0
		.amdhsa_memory_ordered 1
		.amdhsa_forward_progress 1
		.amdhsa_inst_pref_size 0
		.amdhsa_round_robin_scheduling 0
		.amdhsa_exception_fp_ieee_invalid_op 0
		.amdhsa_exception_fp_denorm_src 0
		.amdhsa_exception_fp_ieee_div_zero 0
		.amdhsa_exception_fp_ieee_overflow 0
		.amdhsa_exception_fp_ieee_underflow 0
		.amdhsa_exception_fp_ieee_inexact 0
		.amdhsa_exception_int_div_zero 0
	.end_amdhsa_kernel
	.section	.text._ZN7rocprim17ROCPRIM_400000_NS6detail17trampoline_kernelINS0_14default_configENS1_25partition_config_selectorILNS1_17partition_subalgoE8EdNS0_10empty_typeEbEEZZNS1_14partition_implILS5_8ELb0ES3_jPKdPS6_PKS6_NS0_5tupleIJPdS6_EEENSE_IJSB_SB_EEENS0_18inequality_wrapperIN6hipcub16HIPCUB_304000_NS8EqualityEEEPlJS6_EEE10hipError_tPvRmT3_T4_T5_T6_T7_T9_mT8_P12ihipStream_tbDpT10_ENKUlT_T0_E_clISt17integral_constantIbLb1EES17_EEDaS12_S13_EUlS12_E_NS1_11comp_targetILNS1_3genE9ELNS1_11target_archE1100ELNS1_3gpuE3ELNS1_3repE0EEENS1_30default_config_static_selectorELNS0_4arch9wavefront6targetE0EEEvT1_,"axG",@progbits,_ZN7rocprim17ROCPRIM_400000_NS6detail17trampoline_kernelINS0_14default_configENS1_25partition_config_selectorILNS1_17partition_subalgoE8EdNS0_10empty_typeEbEEZZNS1_14partition_implILS5_8ELb0ES3_jPKdPS6_PKS6_NS0_5tupleIJPdS6_EEENSE_IJSB_SB_EEENS0_18inequality_wrapperIN6hipcub16HIPCUB_304000_NS8EqualityEEEPlJS6_EEE10hipError_tPvRmT3_T4_T5_T6_T7_T9_mT8_P12ihipStream_tbDpT10_ENKUlT_T0_E_clISt17integral_constantIbLb1EES17_EEDaS12_S13_EUlS12_E_NS1_11comp_targetILNS1_3genE9ELNS1_11target_archE1100ELNS1_3gpuE3ELNS1_3repE0EEENS1_30default_config_static_selectorELNS0_4arch9wavefront6targetE0EEEvT1_,comdat
.Lfunc_end286:
	.size	_ZN7rocprim17ROCPRIM_400000_NS6detail17trampoline_kernelINS0_14default_configENS1_25partition_config_selectorILNS1_17partition_subalgoE8EdNS0_10empty_typeEbEEZZNS1_14partition_implILS5_8ELb0ES3_jPKdPS6_PKS6_NS0_5tupleIJPdS6_EEENSE_IJSB_SB_EEENS0_18inequality_wrapperIN6hipcub16HIPCUB_304000_NS8EqualityEEEPlJS6_EEE10hipError_tPvRmT3_T4_T5_T6_T7_T9_mT8_P12ihipStream_tbDpT10_ENKUlT_T0_E_clISt17integral_constantIbLb1EES17_EEDaS12_S13_EUlS12_E_NS1_11comp_targetILNS1_3genE9ELNS1_11target_archE1100ELNS1_3gpuE3ELNS1_3repE0EEENS1_30default_config_static_selectorELNS0_4arch9wavefront6targetE0EEEvT1_, .Lfunc_end286-_ZN7rocprim17ROCPRIM_400000_NS6detail17trampoline_kernelINS0_14default_configENS1_25partition_config_selectorILNS1_17partition_subalgoE8EdNS0_10empty_typeEbEEZZNS1_14partition_implILS5_8ELb0ES3_jPKdPS6_PKS6_NS0_5tupleIJPdS6_EEENSE_IJSB_SB_EEENS0_18inequality_wrapperIN6hipcub16HIPCUB_304000_NS8EqualityEEEPlJS6_EEE10hipError_tPvRmT3_T4_T5_T6_T7_T9_mT8_P12ihipStream_tbDpT10_ENKUlT_T0_E_clISt17integral_constantIbLb1EES17_EEDaS12_S13_EUlS12_E_NS1_11comp_targetILNS1_3genE9ELNS1_11target_archE1100ELNS1_3gpuE3ELNS1_3repE0EEENS1_30default_config_static_selectorELNS0_4arch9wavefront6targetE0EEEvT1_
                                        ; -- End function
	.set _ZN7rocprim17ROCPRIM_400000_NS6detail17trampoline_kernelINS0_14default_configENS1_25partition_config_selectorILNS1_17partition_subalgoE8EdNS0_10empty_typeEbEEZZNS1_14partition_implILS5_8ELb0ES3_jPKdPS6_PKS6_NS0_5tupleIJPdS6_EEENSE_IJSB_SB_EEENS0_18inequality_wrapperIN6hipcub16HIPCUB_304000_NS8EqualityEEEPlJS6_EEE10hipError_tPvRmT3_T4_T5_T6_T7_T9_mT8_P12ihipStream_tbDpT10_ENKUlT_T0_E_clISt17integral_constantIbLb1EES17_EEDaS12_S13_EUlS12_E_NS1_11comp_targetILNS1_3genE9ELNS1_11target_archE1100ELNS1_3gpuE3ELNS1_3repE0EEENS1_30default_config_static_selectorELNS0_4arch9wavefront6targetE0EEEvT1_.num_vgpr, 0
	.set _ZN7rocprim17ROCPRIM_400000_NS6detail17trampoline_kernelINS0_14default_configENS1_25partition_config_selectorILNS1_17partition_subalgoE8EdNS0_10empty_typeEbEEZZNS1_14partition_implILS5_8ELb0ES3_jPKdPS6_PKS6_NS0_5tupleIJPdS6_EEENSE_IJSB_SB_EEENS0_18inequality_wrapperIN6hipcub16HIPCUB_304000_NS8EqualityEEEPlJS6_EEE10hipError_tPvRmT3_T4_T5_T6_T7_T9_mT8_P12ihipStream_tbDpT10_ENKUlT_T0_E_clISt17integral_constantIbLb1EES17_EEDaS12_S13_EUlS12_E_NS1_11comp_targetILNS1_3genE9ELNS1_11target_archE1100ELNS1_3gpuE3ELNS1_3repE0EEENS1_30default_config_static_selectorELNS0_4arch9wavefront6targetE0EEEvT1_.num_agpr, 0
	.set _ZN7rocprim17ROCPRIM_400000_NS6detail17trampoline_kernelINS0_14default_configENS1_25partition_config_selectorILNS1_17partition_subalgoE8EdNS0_10empty_typeEbEEZZNS1_14partition_implILS5_8ELb0ES3_jPKdPS6_PKS6_NS0_5tupleIJPdS6_EEENSE_IJSB_SB_EEENS0_18inequality_wrapperIN6hipcub16HIPCUB_304000_NS8EqualityEEEPlJS6_EEE10hipError_tPvRmT3_T4_T5_T6_T7_T9_mT8_P12ihipStream_tbDpT10_ENKUlT_T0_E_clISt17integral_constantIbLb1EES17_EEDaS12_S13_EUlS12_E_NS1_11comp_targetILNS1_3genE9ELNS1_11target_archE1100ELNS1_3gpuE3ELNS1_3repE0EEENS1_30default_config_static_selectorELNS0_4arch9wavefront6targetE0EEEvT1_.numbered_sgpr, 0
	.set _ZN7rocprim17ROCPRIM_400000_NS6detail17trampoline_kernelINS0_14default_configENS1_25partition_config_selectorILNS1_17partition_subalgoE8EdNS0_10empty_typeEbEEZZNS1_14partition_implILS5_8ELb0ES3_jPKdPS6_PKS6_NS0_5tupleIJPdS6_EEENSE_IJSB_SB_EEENS0_18inequality_wrapperIN6hipcub16HIPCUB_304000_NS8EqualityEEEPlJS6_EEE10hipError_tPvRmT3_T4_T5_T6_T7_T9_mT8_P12ihipStream_tbDpT10_ENKUlT_T0_E_clISt17integral_constantIbLb1EES17_EEDaS12_S13_EUlS12_E_NS1_11comp_targetILNS1_3genE9ELNS1_11target_archE1100ELNS1_3gpuE3ELNS1_3repE0EEENS1_30default_config_static_selectorELNS0_4arch9wavefront6targetE0EEEvT1_.num_named_barrier, 0
	.set _ZN7rocprim17ROCPRIM_400000_NS6detail17trampoline_kernelINS0_14default_configENS1_25partition_config_selectorILNS1_17partition_subalgoE8EdNS0_10empty_typeEbEEZZNS1_14partition_implILS5_8ELb0ES3_jPKdPS6_PKS6_NS0_5tupleIJPdS6_EEENSE_IJSB_SB_EEENS0_18inequality_wrapperIN6hipcub16HIPCUB_304000_NS8EqualityEEEPlJS6_EEE10hipError_tPvRmT3_T4_T5_T6_T7_T9_mT8_P12ihipStream_tbDpT10_ENKUlT_T0_E_clISt17integral_constantIbLb1EES17_EEDaS12_S13_EUlS12_E_NS1_11comp_targetILNS1_3genE9ELNS1_11target_archE1100ELNS1_3gpuE3ELNS1_3repE0EEENS1_30default_config_static_selectorELNS0_4arch9wavefront6targetE0EEEvT1_.private_seg_size, 0
	.set _ZN7rocprim17ROCPRIM_400000_NS6detail17trampoline_kernelINS0_14default_configENS1_25partition_config_selectorILNS1_17partition_subalgoE8EdNS0_10empty_typeEbEEZZNS1_14partition_implILS5_8ELb0ES3_jPKdPS6_PKS6_NS0_5tupleIJPdS6_EEENSE_IJSB_SB_EEENS0_18inequality_wrapperIN6hipcub16HIPCUB_304000_NS8EqualityEEEPlJS6_EEE10hipError_tPvRmT3_T4_T5_T6_T7_T9_mT8_P12ihipStream_tbDpT10_ENKUlT_T0_E_clISt17integral_constantIbLb1EES17_EEDaS12_S13_EUlS12_E_NS1_11comp_targetILNS1_3genE9ELNS1_11target_archE1100ELNS1_3gpuE3ELNS1_3repE0EEENS1_30default_config_static_selectorELNS0_4arch9wavefront6targetE0EEEvT1_.uses_vcc, 0
	.set _ZN7rocprim17ROCPRIM_400000_NS6detail17trampoline_kernelINS0_14default_configENS1_25partition_config_selectorILNS1_17partition_subalgoE8EdNS0_10empty_typeEbEEZZNS1_14partition_implILS5_8ELb0ES3_jPKdPS6_PKS6_NS0_5tupleIJPdS6_EEENSE_IJSB_SB_EEENS0_18inequality_wrapperIN6hipcub16HIPCUB_304000_NS8EqualityEEEPlJS6_EEE10hipError_tPvRmT3_T4_T5_T6_T7_T9_mT8_P12ihipStream_tbDpT10_ENKUlT_T0_E_clISt17integral_constantIbLb1EES17_EEDaS12_S13_EUlS12_E_NS1_11comp_targetILNS1_3genE9ELNS1_11target_archE1100ELNS1_3gpuE3ELNS1_3repE0EEENS1_30default_config_static_selectorELNS0_4arch9wavefront6targetE0EEEvT1_.uses_flat_scratch, 0
	.set _ZN7rocprim17ROCPRIM_400000_NS6detail17trampoline_kernelINS0_14default_configENS1_25partition_config_selectorILNS1_17partition_subalgoE8EdNS0_10empty_typeEbEEZZNS1_14partition_implILS5_8ELb0ES3_jPKdPS6_PKS6_NS0_5tupleIJPdS6_EEENSE_IJSB_SB_EEENS0_18inequality_wrapperIN6hipcub16HIPCUB_304000_NS8EqualityEEEPlJS6_EEE10hipError_tPvRmT3_T4_T5_T6_T7_T9_mT8_P12ihipStream_tbDpT10_ENKUlT_T0_E_clISt17integral_constantIbLb1EES17_EEDaS12_S13_EUlS12_E_NS1_11comp_targetILNS1_3genE9ELNS1_11target_archE1100ELNS1_3gpuE3ELNS1_3repE0EEENS1_30default_config_static_selectorELNS0_4arch9wavefront6targetE0EEEvT1_.has_dyn_sized_stack, 0
	.set _ZN7rocprim17ROCPRIM_400000_NS6detail17trampoline_kernelINS0_14default_configENS1_25partition_config_selectorILNS1_17partition_subalgoE8EdNS0_10empty_typeEbEEZZNS1_14partition_implILS5_8ELb0ES3_jPKdPS6_PKS6_NS0_5tupleIJPdS6_EEENSE_IJSB_SB_EEENS0_18inequality_wrapperIN6hipcub16HIPCUB_304000_NS8EqualityEEEPlJS6_EEE10hipError_tPvRmT3_T4_T5_T6_T7_T9_mT8_P12ihipStream_tbDpT10_ENKUlT_T0_E_clISt17integral_constantIbLb1EES17_EEDaS12_S13_EUlS12_E_NS1_11comp_targetILNS1_3genE9ELNS1_11target_archE1100ELNS1_3gpuE3ELNS1_3repE0EEENS1_30default_config_static_selectorELNS0_4arch9wavefront6targetE0EEEvT1_.has_recursion, 0
	.set _ZN7rocprim17ROCPRIM_400000_NS6detail17trampoline_kernelINS0_14default_configENS1_25partition_config_selectorILNS1_17partition_subalgoE8EdNS0_10empty_typeEbEEZZNS1_14partition_implILS5_8ELb0ES3_jPKdPS6_PKS6_NS0_5tupleIJPdS6_EEENSE_IJSB_SB_EEENS0_18inequality_wrapperIN6hipcub16HIPCUB_304000_NS8EqualityEEEPlJS6_EEE10hipError_tPvRmT3_T4_T5_T6_T7_T9_mT8_P12ihipStream_tbDpT10_ENKUlT_T0_E_clISt17integral_constantIbLb1EES17_EEDaS12_S13_EUlS12_E_NS1_11comp_targetILNS1_3genE9ELNS1_11target_archE1100ELNS1_3gpuE3ELNS1_3repE0EEENS1_30default_config_static_selectorELNS0_4arch9wavefront6targetE0EEEvT1_.has_indirect_call, 0
	.section	.AMDGPU.csdata,"",@progbits
; Kernel info:
; codeLenInByte = 0
; TotalNumSgprs: 0
; NumVgprs: 0
; ScratchSize: 0
; MemoryBound: 0
; FloatMode: 240
; IeeeMode: 1
; LDSByteSize: 0 bytes/workgroup (compile time only)
; SGPRBlocks: 0
; VGPRBlocks: 0
; NumSGPRsForWavesPerEU: 1
; NumVGPRsForWavesPerEU: 1
; NamedBarCnt: 0
; Occupancy: 16
; WaveLimiterHint : 0
; COMPUTE_PGM_RSRC2:SCRATCH_EN: 0
; COMPUTE_PGM_RSRC2:USER_SGPR: 2
; COMPUTE_PGM_RSRC2:TRAP_HANDLER: 0
; COMPUTE_PGM_RSRC2:TGID_X_EN: 1
; COMPUTE_PGM_RSRC2:TGID_Y_EN: 0
; COMPUTE_PGM_RSRC2:TGID_Z_EN: 0
; COMPUTE_PGM_RSRC2:TIDIG_COMP_CNT: 0
	.section	.text._ZN7rocprim17ROCPRIM_400000_NS6detail17trampoline_kernelINS0_14default_configENS1_25partition_config_selectorILNS1_17partition_subalgoE8EdNS0_10empty_typeEbEEZZNS1_14partition_implILS5_8ELb0ES3_jPKdPS6_PKS6_NS0_5tupleIJPdS6_EEENSE_IJSB_SB_EEENS0_18inequality_wrapperIN6hipcub16HIPCUB_304000_NS8EqualityEEEPlJS6_EEE10hipError_tPvRmT3_T4_T5_T6_T7_T9_mT8_P12ihipStream_tbDpT10_ENKUlT_T0_E_clISt17integral_constantIbLb1EES17_EEDaS12_S13_EUlS12_E_NS1_11comp_targetILNS1_3genE8ELNS1_11target_archE1030ELNS1_3gpuE2ELNS1_3repE0EEENS1_30default_config_static_selectorELNS0_4arch9wavefront6targetE0EEEvT1_,"axG",@progbits,_ZN7rocprim17ROCPRIM_400000_NS6detail17trampoline_kernelINS0_14default_configENS1_25partition_config_selectorILNS1_17partition_subalgoE8EdNS0_10empty_typeEbEEZZNS1_14partition_implILS5_8ELb0ES3_jPKdPS6_PKS6_NS0_5tupleIJPdS6_EEENSE_IJSB_SB_EEENS0_18inequality_wrapperIN6hipcub16HIPCUB_304000_NS8EqualityEEEPlJS6_EEE10hipError_tPvRmT3_T4_T5_T6_T7_T9_mT8_P12ihipStream_tbDpT10_ENKUlT_T0_E_clISt17integral_constantIbLb1EES17_EEDaS12_S13_EUlS12_E_NS1_11comp_targetILNS1_3genE8ELNS1_11target_archE1030ELNS1_3gpuE2ELNS1_3repE0EEENS1_30default_config_static_selectorELNS0_4arch9wavefront6targetE0EEEvT1_,comdat
	.protected	_ZN7rocprim17ROCPRIM_400000_NS6detail17trampoline_kernelINS0_14default_configENS1_25partition_config_selectorILNS1_17partition_subalgoE8EdNS0_10empty_typeEbEEZZNS1_14partition_implILS5_8ELb0ES3_jPKdPS6_PKS6_NS0_5tupleIJPdS6_EEENSE_IJSB_SB_EEENS0_18inequality_wrapperIN6hipcub16HIPCUB_304000_NS8EqualityEEEPlJS6_EEE10hipError_tPvRmT3_T4_T5_T6_T7_T9_mT8_P12ihipStream_tbDpT10_ENKUlT_T0_E_clISt17integral_constantIbLb1EES17_EEDaS12_S13_EUlS12_E_NS1_11comp_targetILNS1_3genE8ELNS1_11target_archE1030ELNS1_3gpuE2ELNS1_3repE0EEENS1_30default_config_static_selectorELNS0_4arch9wavefront6targetE0EEEvT1_ ; -- Begin function _ZN7rocprim17ROCPRIM_400000_NS6detail17trampoline_kernelINS0_14default_configENS1_25partition_config_selectorILNS1_17partition_subalgoE8EdNS0_10empty_typeEbEEZZNS1_14partition_implILS5_8ELb0ES3_jPKdPS6_PKS6_NS0_5tupleIJPdS6_EEENSE_IJSB_SB_EEENS0_18inequality_wrapperIN6hipcub16HIPCUB_304000_NS8EqualityEEEPlJS6_EEE10hipError_tPvRmT3_T4_T5_T6_T7_T9_mT8_P12ihipStream_tbDpT10_ENKUlT_T0_E_clISt17integral_constantIbLb1EES17_EEDaS12_S13_EUlS12_E_NS1_11comp_targetILNS1_3genE8ELNS1_11target_archE1030ELNS1_3gpuE2ELNS1_3repE0EEENS1_30default_config_static_selectorELNS0_4arch9wavefront6targetE0EEEvT1_
	.globl	_ZN7rocprim17ROCPRIM_400000_NS6detail17trampoline_kernelINS0_14default_configENS1_25partition_config_selectorILNS1_17partition_subalgoE8EdNS0_10empty_typeEbEEZZNS1_14partition_implILS5_8ELb0ES3_jPKdPS6_PKS6_NS0_5tupleIJPdS6_EEENSE_IJSB_SB_EEENS0_18inequality_wrapperIN6hipcub16HIPCUB_304000_NS8EqualityEEEPlJS6_EEE10hipError_tPvRmT3_T4_T5_T6_T7_T9_mT8_P12ihipStream_tbDpT10_ENKUlT_T0_E_clISt17integral_constantIbLb1EES17_EEDaS12_S13_EUlS12_E_NS1_11comp_targetILNS1_3genE8ELNS1_11target_archE1030ELNS1_3gpuE2ELNS1_3repE0EEENS1_30default_config_static_selectorELNS0_4arch9wavefront6targetE0EEEvT1_
	.p2align	8
	.type	_ZN7rocprim17ROCPRIM_400000_NS6detail17trampoline_kernelINS0_14default_configENS1_25partition_config_selectorILNS1_17partition_subalgoE8EdNS0_10empty_typeEbEEZZNS1_14partition_implILS5_8ELb0ES3_jPKdPS6_PKS6_NS0_5tupleIJPdS6_EEENSE_IJSB_SB_EEENS0_18inequality_wrapperIN6hipcub16HIPCUB_304000_NS8EqualityEEEPlJS6_EEE10hipError_tPvRmT3_T4_T5_T6_T7_T9_mT8_P12ihipStream_tbDpT10_ENKUlT_T0_E_clISt17integral_constantIbLb1EES17_EEDaS12_S13_EUlS12_E_NS1_11comp_targetILNS1_3genE8ELNS1_11target_archE1030ELNS1_3gpuE2ELNS1_3repE0EEENS1_30default_config_static_selectorELNS0_4arch9wavefront6targetE0EEEvT1_,@function
_ZN7rocprim17ROCPRIM_400000_NS6detail17trampoline_kernelINS0_14default_configENS1_25partition_config_selectorILNS1_17partition_subalgoE8EdNS0_10empty_typeEbEEZZNS1_14partition_implILS5_8ELb0ES3_jPKdPS6_PKS6_NS0_5tupleIJPdS6_EEENSE_IJSB_SB_EEENS0_18inequality_wrapperIN6hipcub16HIPCUB_304000_NS8EqualityEEEPlJS6_EEE10hipError_tPvRmT3_T4_T5_T6_T7_T9_mT8_P12ihipStream_tbDpT10_ENKUlT_T0_E_clISt17integral_constantIbLb1EES17_EEDaS12_S13_EUlS12_E_NS1_11comp_targetILNS1_3genE8ELNS1_11target_archE1030ELNS1_3gpuE2ELNS1_3repE0EEENS1_30default_config_static_selectorELNS0_4arch9wavefront6targetE0EEEvT1_: ; @_ZN7rocprim17ROCPRIM_400000_NS6detail17trampoline_kernelINS0_14default_configENS1_25partition_config_selectorILNS1_17partition_subalgoE8EdNS0_10empty_typeEbEEZZNS1_14partition_implILS5_8ELb0ES3_jPKdPS6_PKS6_NS0_5tupleIJPdS6_EEENSE_IJSB_SB_EEENS0_18inequality_wrapperIN6hipcub16HIPCUB_304000_NS8EqualityEEEPlJS6_EEE10hipError_tPvRmT3_T4_T5_T6_T7_T9_mT8_P12ihipStream_tbDpT10_ENKUlT_T0_E_clISt17integral_constantIbLb1EES17_EEDaS12_S13_EUlS12_E_NS1_11comp_targetILNS1_3genE8ELNS1_11target_archE1030ELNS1_3gpuE2ELNS1_3repE0EEENS1_30default_config_static_selectorELNS0_4arch9wavefront6targetE0EEEvT1_
; %bb.0:
	.section	.rodata,"a",@progbits
	.p2align	6, 0x0
	.amdhsa_kernel _ZN7rocprim17ROCPRIM_400000_NS6detail17trampoline_kernelINS0_14default_configENS1_25partition_config_selectorILNS1_17partition_subalgoE8EdNS0_10empty_typeEbEEZZNS1_14partition_implILS5_8ELb0ES3_jPKdPS6_PKS6_NS0_5tupleIJPdS6_EEENSE_IJSB_SB_EEENS0_18inequality_wrapperIN6hipcub16HIPCUB_304000_NS8EqualityEEEPlJS6_EEE10hipError_tPvRmT3_T4_T5_T6_T7_T9_mT8_P12ihipStream_tbDpT10_ENKUlT_T0_E_clISt17integral_constantIbLb1EES17_EEDaS12_S13_EUlS12_E_NS1_11comp_targetILNS1_3genE8ELNS1_11target_archE1030ELNS1_3gpuE2ELNS1_3repE0EEENS1_30default_config_static_selectorELNS0_4arch9wavefront6targetE0EEEvT1_
		.amdhsa_group_segment_fixed_size 0
		.amdhsa_private_segment_fixed_size 0
		.amdhsa_kernarg_size 128
		.amdhsa_user_sgpr_count 2
		.amdhsa_user_sgpr_dispatch_ptr 0
		.amdhsa_user_sgpr_queue_ptr 0
		.amdhsa_user_sgpr_kernarg_segment_ptr 1
		.amdhsa_user_sgpr_dispatch_id 0
		.amdhsa_user_sgpr_kernarg_preload_length 0
		.amdhsa_user_sgpr_kernarg_preload_offset 0
		.amdhsa_user_sgpr_private_segment_size 0
		.amdhsa_wavefront_size32 1
		.amdhsa_uses_dynamic_stack 0
		.amdhsa_enable_private_segment 0
		.amdhsa_system_sgpr_workgroup_id_x 1
		.amdhsa_system_sgpr_workgroup_id_y 0
		.amdhsa_system_sgpr_workgroup_id_z 0
		.amdhsa_system_sgpr_workgroup_info 0
		.amdhsa_system_vgpr_workitem_id 0
		.amdhsa_next_free_vgpr 1
		.amdhsa_next_free_sgpr 1
		.amdhsa_named_barrier_count 0
		.amdhsa_reserve_vcc 0
		.amdhsa_float_round_mode_32 0
		.amdhsa_float_round_mode_16_64 0
		.amdhsa_float_denorm_mode_32 3
		.amdhsa_float_denorm_mode_16_64 3
		.amdhsa_fp16_overflow 0
		.amdhsa_memory_ordered 1
		.amdhsa_forward_progress 1
		.amdhsa_inst_pref_size 0
		.amdhsa_round_robin_scheduling 0
		.amdhsa_exception_fp_ieee_invalid_op 0
		.amdhsa_exception_fp_denorm_src 0
		.amdhsa_exception_fp_ieee_div_zero 0
		.amdhsa_exception_fp_ieee_overflow 0
		.amdhsa_exception_fp_ieee_underflow 0
		.amdhsa_exception_fp_ieee_inexact 0
		.amdhsa_exception_int_div_zero 0
	.end_amdhsa_kernel
	.section	.text._ZN7rocprim17ROCPRIM_400000_NS6detail17trampoline_kernelINS0_14default_configENS1_25partition_config_selectorILNS1_17partition_subalgoE8EdNS0_10empty_typeEbEEZZNS1_14partition_implILS5_8ELb0ES3_jPKdPS6_PKS6_NS0_5tupleIJPdS6_EEENSE_IJSB_SB_EEENS0_18inequality_wrapperIN6hipcub16HIPCUB_304000_NS8EqualityEEEPlJS6_EEE10hipError_tPvRmT3_T4_T5_T6_T7_T9_mT8_P12ihipStream_tbDpT10_ENKUlT_T0_E_clISt17integral_constantIbLb1EES17_EEDaS12_S13_EUlS12_E_NS1_11comp_targetILNS1_3genE8ELNS1_11target_archE1030ELNS1_3gpuE2ELNS1_3repE0EEENS1_30default_config_static_selectorELNS0_4arch9wavefront6targetE0EEEvT1_,"axG",@progbits,_ZN7rocprim17ROCPRIM_400000_NS6detail17trampoline_kernelINS0_14default_configENS1_25partition_config_selectorILNS1_17partition_subalgoE8EdNS0_10empty_typeEbEEZZNS1_14partition_implILS5_8ELb0ES3_jPKdPS6_PKS6_NS0_5tupleIJPdS6_EEENSE_IJSB_SB_EEENS0_18inequality_wrapperIN6hipcub16HIPCUB_304000_NS8EqualityEEEPlJS6_EEE10hipError_tPvRmT3_T4_T5_T6_T7_T9_mT8_P12ihipStream_tbDpT10_ENKUlT_T0_E_clISt17integral_constantIbLb1EES17_EEDaS12_S13_EUlS12_E_NS1_11comp_targetILNS1_3genE8ELNS1_11target_archE1030ELNS1_3gpuE2ELNS1_3repE0EEENS1_30default_config_static_selectorELNS0_4arch9wavefront6targetE0EEEvT1_,comdat
.Lfunc_end287:
	.size	_ZN7rocprim17ROCPRIM_400000_NS6detail17trampoline_kernelINS0_14default_configENS1_25partition_config_selectorILNS1_17partition_subalgoE8EdNS0_10empty_typeEbEEZZNS1_14partition_implILS5_8ELb0ES3_jPKdPS6_PKS6_NS0_5tupleIJPdS6_EEENSE_IJSB_SB_EEENS0_18inequality_wrapperIN6hipcub16HIPCUB_304000_NS8EqualityEEEPlJS6_EEE10hipError_tPvRmT3_T4_T5_T6_T7_T9_mT8_P12ihipStream_tbDpT10_ENKUlT_T0_E_clISt17integral_constantIbLb1EES17_EEDaS12_S13_EUlS12_E_NS1_11comp_targetILNS1_3genE8ELNS1_11target_archE1030ELNS1_3gpuE2ELNS1_3repE0EEENS1_30default_config_static_selectorELNS0_4arch9wavefront6targetE0EEEvT1_, .Lfunc_end287-_ZN7rocprim17ROCPRIM_400000_NS6detail17trampoline_kernelINS0_14default_configENS1_25partition_config_selectorILNS1_17partition_subalgoE8EdNS0_10empty_typeEbEEZZNS1_14partition_implILS5_8ELb0ES3_jPKdPS6_PKS6_NS0_5tupleIJPdS6_EEENSE_IJSB_SB_EEENS0_18inequality_wrapperIN6hipcub16HIPCUB_304000_NS8EqualityEEEPlJS6_EEE10hipError_tPvRmT3_T4_T5_T6_T7_T9_mT8_P12ihipStream_tbDpT10_ENKUlT_T0_E_clISt17integral_constantIbLb1EES17_EEDaS12_S13_EUlS12_E_NS1_11comp_targetILNS1_3genE8ELNS1_11target_archE1030ELNS1_3gpuE2ELNS1_3repE0EEENS1_30default_config_static_selectorELNS0_4arch9wavefront6targetE0EEEvT1_
                                        ; -- End function
	.set _ZN7rocprim17ROCPRIM_400000_NS6detail17trampoline_kernelINS0_14default_configENS1_25partition_config_selectorILNS1_17partition_subalgoE8EdNS0_10empty_typeEbEEZZNS1_14partition_implILS5_8ELb0ES3_jPKdPS6_PKS6_NS0_5tupleIJPdS6_EEENSE_IJSB_SB_EEENS0_18inequality_wrapperIN6hipcub16HIPCUB_304000_NS8EqualityEEEPlJS6_EEE10hipError_tPvRmT3_T4_T5_T6_T7_T9_mT8_P12ihipStream_tbDpT10_ENKUlT_T0_E_clISt17integral_constantIbLb1EES17_EEDaS12_S13_EUlS12_E_NS1_11comp_targetILNS1_3genE8ELNS1_11target_archE1030ELNS1_3gpuE2ELNS1_3repE0EEENS1_30default_config_static_selectorELNS0_4arch9wavefront6targetE0EEEvT1_.num_vgpr, 0
	.set _ZN7rocprim17ROCPRIM_400000_NS6detail17trampoline_kernelINS0_14default_configENS1_25partition_config_selectorILNS1_17partition_subalgoE8EdNS0_10empty_typeEbEEZZNS1_14partition_implILS5_8ELb0ES3_jPKdPS6_PKS6_NS0_5tupleIJPdS6_EEENSE_IJSB_SB_EEENS0_18inequality_wrapperIN6hipcub16HIPCUB_304000_NS8EqualityEEEPlJS6_EEE10hipError_tPvRmT3_T4_T5_T6_T7_T9_mT8_P12ihipStream_tbDpT10_ENKUlT_T0_E_clISt17integral_constantIbLb1EES17_EEDaS12_S13_EUlS12_E_NS1_11comp_targetILNS1_3genE8ELNS1_11target_archE1030ELNS1_3gpuE2ELNS1_3repE0EEENS1_30default_config_static_selectorELNS0_4arch9wavefront6targetE0EEEvT1_.num_agpr, 0
	.set _ZN7rocprim17ROCPRIM_400000_NS6detail17trampoline_kernelINS0_14default_configENS1_25partition_config_selectorILNS1_17partition_subalgoE8EdNS0_10empty_typeEbEEZZNS1_14partition_implILS5_8ELb0ES3_jPKdPS6_PKS6_NS0_5tupleIJPdS6_EEENSE_IJSB_SB_EEENS0_18inequality_wrapperIN6hipcub16HIPCUB_304000_NS8EqualityEEEPlJS6_EEE10hipError_tPvRmT3_T4_T5_T6_T7_T9_mT8_P12ihipStream_tbDpT10_ENKUlT_T0_E_clISt17integral_constantIbLb1EES17_EEDaS12_S13_EUlS12_E_NS1_11comp_targetILNS1_3genE8ELNS1_11target_archE1030ELNS1_3gpuE2ELNS1_3repE0EEENS1_30default_config_static_selectorELNS0_4arch9wavefront6targetE0EEEvT1_.numbered_sgpr, 0
	.set _ZN7rocprim17ROCPRIM_400000_NS6detail17trampoline_kernelINS0_14default_configENS1_25partition_config_selectorILNS1_17partition_subalgoE8EdNS0_10empty_typeEbEEZZNS1_14partition_implILS5_8ELb0ES3_jPKdPS6_PKS6_NS0_5tupleIJPdS6_EEENSE_IJSB_SB_EEENS0_18inequality_wrapperIN6hipcub16HIPCUB_304000_NS8EqualityEEEPlJS6_EEE10hipError_tPvRmT3_T4_T5_T6_T7_T9_mT8_P12ihipStream_tbDpT10_ENKUlT_T0_E_clISt17integral_constantIbLb1EES17_EEDaS12_S13_EUlS12_E_NS1_11comp_targetILNS1_3genE8ELNS1_11target_archE1030ELNS1_3gpuE2ELNS1_3repE0EEENS1_30default_config_static_selectorELNS0_4arch9wavefront6targetE0EEEvT1_.num_named_barrier, 0
	.set _ZN7rocprim17ROCPRIM_400000_NS6detail17trampoline_kernelINS0_14default_configENS1_25partition_config_selectorILNS1_17partition_subalgoE8EdNS0_10empty_typeEbEEZZNS1_14partition_implILS5_8ELb0ES3_jPKdPS6_PKS6_NS0_5tupleIJPdS6_EEENSE_IJSB_SB_EEENS0_18inequality_wrapperIN6hipcub16HIPCUB_304000_NS8EqualityEEEPlJS6_EEE10hipError_tPvRmT3_T4_T5_T6_T7_T9_mT8_P12ihipStream_tbDpT10_ENKUlT_T0_E_clISt17integral_constantIbLb1EES17_EEDaS12_S13_EUlS12_E_NS1_11comp_targetILNS1_3genE8ELNS1_11target_archE1030ELNS1_3gpuE2ELNS1_3repE0EEENS1_30default_config_static_selectorELNS0_4arch9wavefront6targetE0EEEvT1_.private_seg_size, 0
	.set _ZN7rocprim17ROCPRIM_400000_NS6detail17trampoline_kernelINS0_14default_configENS1_25partition_config_selectorILNS1_17partition_subalgoE8EdNS0_10empty_typeEbEEZZNS1_14partition_implILS5_8ELb0ES3_jPKdPS6_PKS6_NS0_5tupleIJPdS6_EEENSE_IJSB_SB_EEENS0_18inequality_wrapperIN6hipcub16HIPCUB_304000_NS8EqualityEEEPlJS6_EEE10hipError_tPvRmT3_T4_T5_T6_T7_T9_mT8_P12ihipStream_tbDpT10_ENKUlT_T0_E_clISt17integral_constantIbLb1EES17_EEDaS12_S13_EUlS12_E_NS1_11comp_targetILNS1_3genE8ELNS1_11target_archE1030ELNS1_3gpuE2ELNS1_3repE0EEENS1_30default_config_static_selectorELNS0_4arch9wavefront6targetE0EEEvT1_.uses_vcc, 0
	.set _ZN7rocprim17ROCPRIM_400000_NS6detail17trampoline_kernelINS0_14default_configENS1_25partition_config_selectorILNS1_17partition_subalgoE8EdNS0_10empty_typeEbEEZZNS1_14partition_implILS5_8ELb0ES3_jPKdPS6_PKS6_NS0_5tupleIJPdS6_EEENSE_IJSB_SB_EEENS0_18inequality_wrapperIN6hipcub16HIPCUB_304000_NS8EqualityEEEPlJS6_EEE10hipError_tPvRmT3_T4_T5_T6_T7_T9_mT8_P12ihipStream_tbDpT10_ENKUlT_T0_E_clISt17integral_constantIbLb1EES17_EEDaS12_S13_EUlS12_E_NS1_11comp_targetILNS1_3genE8ELNS1_11target_archE1030ELNS1_3gpuE2ELNS1_3repE0EEENS1_30default_config_static_selectorELNS0_4arch9wavefront6targetE0EEEvT1_.uses_flat_scratch, 0
	.set _ZN7rocprim17ROCPRIM_400000_NS6detail17trampoline_kernelINS0_14default_configENS1_25partition_config_selectorILNS1_17partition_subalgoE8EdNS0_10empty_typeEbEEZZNS1_14partition_implILS5_8ELb0ES3_jPKdPS6_PKS6_NS0_5tupleIJPdS6_EEENSE_IJSB_SB_EEENS0_18inequality_wrapperIN6hipcub16HIPCUB_304000_NS8EqualityEEEPlJS6_EEE10hipError_tPvRmT3_T4_T5_T6_T7_T9_mT8_P12ihipStream_tbDpT10_ENKUlT_T0_E_clISt17integral_constantIbLb1EES17_EEDaS12_S13_EUlS12_E_NS1_11comp_targetILNS1_3genE8ELNS1_11target_archE1030ELNS1_3gpuE2ELNS1_3repE0EEENS1_30default_config_static_selectorELNS0_4arch9wavefront6targetE0EEEvT1_.has_dyn_sized_stack, 0
	.set _ZN7rocprim17ROCPRIM_400000_NS6detail17trampoline_kernelINS0_14default_configENS1_25partition_config_selectorILNS1_17partition_subalgoE8EdNS0_10empty_typeEbEEZZNS1_14partition_implILS5_8ELb0ES3_jPKdPS6_PKS6_NS0_5tupleIJPdS6_EEENSE_IJSB_SB_EEENS0_18inequality_wrapperIN6hipcub16HIPCUB_304000_NS8EqualityEEEPlJS6_EEE10hipError_tPvRmT3_T4_T5_T6_T7_T9_mT8_P12ihipStream_tbDpT10_ENKUlT_T0_E_clISt17integral_constantIbLb1EES17_EEDaS12_S13_EUlS12_E_NS1_11comp_targetILNS1_3genE8ELNS1_11target_archE1030ELNS1_3gpuE2ELNS1_3repE0EEENS1_30default_config_static_selectorELNS0_4arch9wavefront6targetE0EEEvT1_.has_recursion, 0
	.set _ZN7rocprim17ROCPRIM_400000_NS6detail17trampoline_kernelINS0_14default_configENS1_25partition_config_selectorILNS1_17partition_subalgoE8EdNS0_10empty_typeEbEEZZNS1_14partition_implILS5_8ELb0ES3_jPKdPS6_PKS6_NS0_5tupleIJPdS6_EEENSE_IJSB_SB_EEENS0_18inequality_wrapperIN6hipcub16HIPCUB_304000_NS8EqualityEEEPlJS6_EEE10hipError_tPvRmT3_T4_T5_T6_T7_T9_mT8_P12ihipStream_tbDpT10_ENKUlT_T0_E_clISt17integral_constantIbLb1EES17_EEDaS12_S13_EUlS12_E_NS1_11comp_targetILNS1_3genE8ELNS1_11target_archE1030ELNS1_3gpuE2ELNS1_3repE0EEENS1_30default_config_static_selectorELNS0_4arch9wavefront6targetE0EEEvT1_.has_indirect_call, 0
	.section	.AMDGPU.csdata,"",@progbits
; Kernel info:
; codeLenInByte = 0
; TotalNumSgprs: 0
; NumVgprs: 0
; ScratchSize: 0
; MemoryBound: 0
; FloatMode: 240
; IeeeMode: 1
; LDSByteSize: 0 bytes/workgroup (compile time only)
; SGPRBlocks: 0
; VGPRBlocks: 0
; NumSGPRsForWavesPerEU: 1
; NumVGPRsForWavesPerEU: 1
; NamedBarCnt: 0
; Occupancy: 16
; WaveLimiterHint : 0
; COMPUTE_PGM_RSRC2:SCRATCH_EN: 0
; COMPUTE_PGM_RSRC2:USER_SGPR: 2
; COMPUTE_PGM_RSRC2:TRAP_HANDLER: 0
; COMPUTE_PGM_RSRC2:TGID_X_EN: 1
; COMPUTE_PGM_RSRC2:TGID_Y_EN: 0
; COMPUTE_PGM_RSRC2:TGID_Z_EN: 0
; COMPUTE_PGM_RSRC2:TIDIG_COMP_CNT: 0
	.section	.text._ZN7rocprim17ROCPRIM_400000_NS6detail17trampoline_kernelINS0_14default_configENS1_25partition_config_selectorILNS1_17partition_subalgoE8EdNS0_10empty_typeEbEEZZNS1_14partition_implILS5_8ELb0ES3_jPKdPS6_PKS6_NS0_5tupleIJPdS6_EEENSE_IJSB_SB_EEENS0_18inequality_wrapperIN6hipcub16HIPCUB_304000_NS8EqualityEEEPlJS6_EEE10hipError_tPvRmT3_T4_T5_T6_T7_T9_mT8_P12ihipStream_tbDpT10_ENKUlT_T0_E_clISt17integral_constantIbLb1EES16_IbLb0EEEEDaS12_S13_EUlS12_E_NS1_11comp_targetILNS1_3genE0ELNS1_11target_archE4294967295ELNS1_3gpuE0ELNS1_3repE0EEENS1_30default_config_static_selectorELNS0_4arch9wavefront6targetE0EEEvT1_,"axG",@progbits,_ZN7rocprim17ROCPRIM_400000_NS6detail17trampoline_kernelINS0_14default_configENS1_25partition_config_selectorILNS1_17partition_subalgoE8EdNS0_10empty_typeEbEEZZNS1_14partition_implILS5_8ELb0ES3_jPKdPS6_PKS6_NS0_5tupleIJPdS6_EEENSE_IJSB_SB_EEENS0_18inequality_wrapperIN6hipcub16HIPCUB_304000_NS8EqualityEEEPlJS6_EEE10hipError_tPvRmT3_T4_T5_T6_T7_T9_mT8_P12ihipStream_tbDpT10_ENKUlT_T0_E_clISt17integral_constantIbLb1EES16_IbLb0EEEEDaS12_S13_EUlS12_E_NS1_11comp_targetILNS1_3genE0ELNS1_11target_archE4294967295ELNS1_3gpuE0ELNS1_3repE0EEENS1_30default_config_static_selectorELNS0_4arch9wavefront6targetE0EEEvT1_,comdat
	.protected	_ZN7rocprim17ROCPRIM_400000_NS6detail17trampoline_kernelINS0_14default_configENS1_25partition_config_selectorILNS1_17partition_subalgoE8EdNS0_10empty_typeEbEEZZNS1_14partition_implILS5_8ELb0ES3_jPKdPS6_PKS6_NS0_5tupleIJPdS6_EEENSE_IJSB_SB_EEENS0_18inequality_wrapperIN6hipcub16HIPCUB_304000_NS8EqualityEEEPlJS6_EEE10hipError_tPvRmT3_T4_T5_T6_T7_T9_mT8_P12ihipStream_tbDpT10_ENKUlT_T0_E_clISt17integral_constantIbLb1EES16_IbLb0EEEEDaS12_S13_EUlS12_E_NS1_11comp_targetILNS1_3genE0ELNS1_11target_archE4294967295ELNS1_3gpuE0ELNS1_3repE0EEENS1_30default_config_static_selectorELNS0_4arch9wavefront6targetE0EEEvT1_ ; -- Begin function _ZN7rocprim17ROCPRIM_400000_NS6detail17trampoline_kernelINS0_14default_configENS1_25partition_config_selectorILNS1_17partition_subalgoE8EdNS0_10empty_typeEbEEZZNS1_14partition_implILS5_8ELb0ES3_jPKdPS6_PKS6_NS0_5tupleIJPdS6_EEENSE_IJSB_SB_EEENS0_18inequality_wrapperIN6hipcub16HIPCUB_304000_NS8EqualityEEEPlJS6_EEE10hipError_tPvRmT3_T4_T5_T6_T7_T9_mT8_P12ihipStream_tbDpT10_ENKUlT_T0_E_clISt17integral_constantIbLb1EES16_IbLb0EEEEDaS12_S13_EUlS12_E_NS1_11comp_targetILNS1_3genE0ELNS1_11target_archE4294967295ELNS1_3gpuE0ELNS1_3repE0EEENS1_30default_config_static_selectorELNS0_4arch9wavefront6targetE0EEEvT1_
	.globl	_ZN7rocprim17ROCPRIM_400000_NS6detail17trampoline_kernelINS0_14default_configENS1_25partition_config_selectorILNS1_17partition_subalgoE8EdNS0_10empty_typeEbEEZZNS1_14partition_implILS5_8ELb0ES3_jPKdPS6_PKS6_NS0_5tupleIJPdS6_EEENSE_IJSB_SB_EEENS0_18inequality_wrapperIN6hipcub16HIPCUB_304000_NS8EqualityEEEPlJS6_EEE10hipError_tPvRmT3_T4_T5_T6_T7_T9_mT8_P12ihipStream_tbDpT10_ENKUlT_T0_E_clISt17integral_constantIbLb1EES16_IbLb0EEEEDaS12_S13_EUlS12_E_NS1_11comp_targetILNS1_3genE0ELNS1_11target_archE4294967295ELNS1_3gpuE0ELNS1_3repE0EEENS1_30default_config_static_selectorELNS0_4arch9wavefront6targetE0EEEvT1_
	.p2align	8
	.type	_ZN7rocprim17ROCPRIM_400000_NS6detail17trampoline_kernelINS0_14default_configENS1_25partition_config_selectorILNS1_17partition_subalgoE8EdNS0_10empty_typeEbEEZZNS1_14partition_implILS5_8ELb0ES3_jPKdPS6_PKS6_NS0_5tupleIJPdS6_EEENSE_IJSB_SB_EEENS0_18inequality_wrapperIN6hipcub16HIPCUB_304000_NS8EqualityEEEPlJS6_EEE10hipError_tPvRmT3_T4_T5_T6_T7_T9_mT8_P12ihipStream_tbDpT10_ENKUlT_T0_E_clISt17integral_constantIbLb1EES16_IbLb0EEEEDaS12_S13_EUlS12_E_NS1_11comp_targetILNS1_3genE0ELNS1_11target_archE4294967295ELNS1_3gpuE0ELNS1_3repE0EEENS1_30default_config_static_selectorELNS0_4arch9wavefront6targetE0EEEvT1_,@function
_ZN7rocprim17ROCPRIM_400000_NS6detail17trampoline_kernelINS0_14default_configENS1_25partition_config_selectorILNS1_17partition_subalgoE8EdNS0_10empty_typeEbEEZZNS1_14partition_implILS5_8ELb0ES3_jPKdPS6_PKS6_NS0_5tupleIJPdS6_EEENSE_IJSB_SB_EEENS0_18inequality_wrapperIN6hipcub16HIPCUB_304000_NS8EqualityEEEPlJS6_EEE10hipError_tPvRmT3_T4_T5_T6_T7_T9_mT8_P12ihipStream_tbDpT10_ENKUlT_T0_E_clISt17integral_constantIbLb1EES16_IbLb0EEEEDaS12_S13_EUlS12_E_NS1_11comp_targetILNS1_3genE0ELNS1_11target_archE4294967295ELNS1_3gpuE0ELNS1_3repE0EEENS1_30default_config_static_selectorELNS0_4arch9wavefront6targetE0EEEvT1_: ; @_ZN7rocprim17ROCPRIM_400000_NS6detail17trampoline_kernelINS0_14default_configENS1_25partition_config_selectorILNS1_17partition_subalgoE8EdNS0_10empty_typeEbEEZZNS1_14partition_implILS5_8ELb0ES3_jPKdPS6_PKS6_NS0_5tupleIJPdS6_EEENSE_IJSB_SB_EEENS0_18inequality_wrapperIN6hipcub16HIPCUB_304000_NS8EqualityEEEPlJS6_EEE10hipError_tPvRmT3_T4_T5_T6_T7_T9_mT8_P12ihipStream_tbDpT10_ENKUlT_T0_E_clISt17integral_constantIbLb1EES16_IbLb0EEEEDaS12_S13_EUlS12_E_NS1_11comp_targetILNS1_3genE0ELNS1_11target_archE4294967295ELNS1_3gpuE0ELNS1_3repE0EEENS1_30default_config_static_selectorELNS0_4arch9wavefront6targetE0EEEvT1_
; %bb.0:
	s_endpgm
	.section	.rodata,"a",@progbits
	.p2align	6, 0x0
	.amdhsa_kernel _ZN7rocprim17ROCPRIM_400000_NS6detail17trampoline_kernelINS0_14default_configENS1_25partition_config_selectorILNS1_17partition_subalgoE8EdNS0_10empty_typeEbEEZZNS1_14partition_implILS5_8ELb0ES3_jPKdPS6_PKS6_NS0_5tupleIJPdS6_EEENSE_IJSB_SB_EEENS0_18inequality_wrapperIN6hipcub16HIPCUB_304000_NS8EqualityEEEPlJS6_EEE10hipError_tPvRmT3_T4_T5_T6_T7_T9_mT8_P12ihipStream_tbDpT10_ENKUlT_T0_E_clISt17integral_constantIbLb1EES16_IbLb0EEEEDaS12_S13_EUlS12_E_NS1_11comp_targetILNS1_3genE0ELNS1_11target_archE4294967295ELNS1_3gpuE0ELNS1_3repE0EEENS1_30default_config_static_selectorELNS0_4arch9wavefront6targetE0EEEvT1_
		.amdhsa_group_segment_fixed_size 0
		.amdhsa_private_segment_fixed_size 0
		.amdhsa_kernarg_size 112
		.amdhsa_user_sgpr_count 2
		.amdhsa_user_sgpr_dispatch_ptr 0
		.amdhsa_user_sgpr_queue_ptr 0
		.amdhsa_user_sgpr_kernarg_segment_ptr 1
		.amdhsa_user_sgpr_dispatch_id 0
		.amdhsa_user_sgpr_kernarg_preload_length 0
		.amdhsa_user_sgpr_kernarg_preload_offset 0
		.amdhsa_user_sgpr_private_segment_size 0
		.amdhsa_wavefront_size32 1
		.amdhsa_uses_dynamic_stack 0
		.amdhsa_enable_private_segment 0
		.amdhsa_system_sgpr_workgroup_id_x 1
		.amdhsa_system_sgpr_workgroup_id_y 0
		.amdhsa_system_sgpr_workgroup_id_z 0
		.amdhsa_system_sgpr_workgroup_info 0
		.amdhsa_system_vgpr_workitem_id 0
		.amdhsa_next_free_vgpr 1
		.amdhsa_next_free_sgpr 1
		.amdhsa_named_barrier_count 0
		.amdhsa_reserve_vcc 0
		.amdhsa_float_round_mode_32 0
		.amdhsa_float_round_mode_16_64 0
		.amdhsa_float_denorm_mode_32 3
		.amdhsa_float_denorm_mode_16_64 3
		.amdhsa_fp16_overflow 0
		.amdhsa_memory_ordered 1
		.amdhsa_forward_progress 1
		.amdhsa_inst_pref_size 1
		.amdhsa_round_robin_scheduling 0
		.amdhsa_exception_fp_ieee_invalid_op 0
		.amdhsa_exception_fp_denorm_src 0
		.amdhsa_exception_fp_ieee_div_zero 0
		.amdhsa_exception_fp_ieee_overflow 0
		.amdhsa_exception_fp_ieee_underflow 0
		.amdhsa_exception_fp_ieee_inexact 0
		.amdhsa_exception_int_div_zero 0
	.end_amdhsa_kernel
	.section	.text._ZN7rocprim17ROCPRIM_400000_NS6detail17trampoline_kernelINS0_14default_configENS1_25partition_config_selectorILNS1_17partition_subalgoE8EdNS0_10empty_typeEbEEZZNS1_14partition_implILS5_8ELb0ES3_jPKdPS6_PKS6_NS0_5tupleIJPdS6_EEENSE_IJSB_SB_EEENS0_18inequality_wrapperIN6hipcub16HIPCUB_304000_NS8EqualityEEEPlJS6_EEE10hipError_tPvRmT3_T4_T5_T6_T7_T9_mT8_P12ihipStream_tbDpT10_ENKUlT_T0_E_clISt17integral_constantIbLb1EES16_IbLb0EEEEDaS12_S13_EUlS12_E_NS1_11comp_targetILNS1_3genE0ELNS1_11target_archE4294967295ELNS1_3gpuE0ELNS1_3repE0EEENS1_30default_config_static_selectorELNS0_4arch9wavefront6targetE0EEEvT1_,"axG",@progbits,_ZN7rocprim17ROCPRIM_400000_NS6detail17trampoline_kernelINS0_14default_configENS1_25partition_config_selectorILNS1_17partition_subalgoE8EdNS0_10empty_typeEbEEZZNS1_14partition_implILS5_8ELb0ES3_jPKdPS6_PKS6_NS0_5tupleIJPdS6_EEENSE_IJSB_SB_EEENS0_18inequality_wrapperIN6hipcub16HIPCUB_304000_NS8EqualityEEEPlJS6_EEE10hipError_tPvRmT3_T4_T5_T6_T7_T9_mT8_P12ihipStream_tbDpT10_ENKUlT_T0_E_clISt17integral_constantIbLb1EES16_IbLb0EEEEDaS12_S13_EUlS12_E_NS1_11comp_targetILNS1_3genE0ELNS1_11target_archE4294967295ELNS1_3gpuE0ELNS1_3repE0EEENS1_30default_config_static_selectorELNS0_4arch9wavefront6targetE0EEEvT1_,comdat
.Lfunc_end288:
	.size	_ZN7rocprim17ROCPRIM_400000_NS6detail17trampoline_kernelINS0_14default_configENS1_25partition_config_selectorILNS1_17partition_subalgoE8EdNS0_10empty_typeEbEEZZNS1_14partition_implILS5_8ELb0ES3_jPKdPS6_PKS6_NS0_5tupleIJPdS6_EEENSE_IJSB_SB_EEENS0_18inequality_wrapperIN6hipcub16HIPCUB_304000_NS8EqualityEEEPlJS6_EEE10hipError_tPvRmT3_T4_T5_T6_T7_T9_mT8_P12ihipStream_tbDpT10_ENKUlT_T0_E_clISt17integral_constantIbLb1EES16_IbLb0EEEEDaS12_S13_EUlS12_E_NS1_11comp_targetILNS1_3genE0ELNS1_11target_archE4294967295ELNS1_3gpuE0ELNS1_3repE0EEENS1_30default_config_static_selectorELNS0_4arch9wavefront6targetE0EEEvT1_, .Lfunc_end288-_ZN7rocprim17ROCPRIM_400000_NS6detail17trampoline_kernelINS0_14default_configENS1_25partition_config_selectorILNS1_17partition_subalgoE8EdNS0_10empty_typeEbEEZZNS1_14partition_implILS5_8ELb0ES3_jPKdPS6_PKS6_NS0_5tupleIJPdS6_EEENSE_IJSB_SB_EEENS0_18inequality_wrapperIN6hipcub16HIPCUB_304000_NS8EqualityEEEPlJS6_EEE10hipError_tPvRmT3_T4_T5_T6_T7_T9_mT8_P12ihipStream_tbDpT10_ENKUlT_T0_E_clISt17integral_constantIbLb1EES16_IbLb0EEEEDaS12_S13_EUlS12_E_NS1_11comp_targetILNS1_3genE0ELNS1_11target_archE4294967295ELNS1_3gpuE0ELNS1_3repE0EEENS1_30default_config_static_selectorELNS0_4arch9wavefront6targetE0EEEvT1_
                                        ; -- End function
	.set _ZN7rocprim17ROCPRIM_400000_NS6detail17trampoline_kernelINS0_14default_configENS1_25partition_config_selectorILNS1_17partition_subalgoE8EdNS0_10empty_typeEbEEZZNS1_14partition_implILS5_8ELb0ES3_jPKdPS6_PKS6_NS0_5tupleIJPdS6_EEENSE_IJSB_SB_EEENS0_18inequality_wrapperIN6hipcub16HIPCUB_304000_NS8EqualityEEEPlJS6_EEE10hipError_tPvRmT3_T4_T5_T6_T7_T9_mT8_P12ihipStream_tbDpT10_ENKUlT_T0_E_clISt17integral_constantIbLb1EES16_IbLb0EEEEDaS12_S13_EUlS12_E_NS1_11comp_targetILNS1_3genE0ELNS1_11target_archE4294967295ELNS1_3gpuE0ELNS1_3repE0EEENS1_30default_config_static_selectorELNS0_4arch9wavefront6targetE0EEEvT1_.num_vgpr, 0
	.set _ZN7rocprim17ROCPRIM_400000_NS6detail17trampoline_kernelINS0_14default_configENS1_25partition_config_selectorILNS1_17partition_subalgoE8EdNS0_10empty_typeEbEEZZNS1_14partition_implILS5_8ELb0ES3_jPKdPS6_PKS6_NS0_5tupleIJPdS6_EEENSE_IJSB_SB_EEENS0_18inequality_wrapperIN6hipcub16HIPCUB_304000_NS8EqualityEEEPlJS6_EEE10hipError_tPvRmT3_T4_T5_T6_T7_T9_mT8_P12ihipStream_tbDpT10_ENKUlT_T0_E_clISt17integral_constantIbLb1EES16_IbLb0EEEEDaS12_S13_EUlS12_E_NS1_11comp_targetILNS1_3genE0ELNS1_11target_archE4294967295ELNS1_3gpuE0ELNS1_3repE0EEENS1_30default_config_static_selectorELNS0_4arch9wavefront6targetE0EEEvT1_.num_agpr, 0
	.set _ZN7rocprim17ROCPRIM_400000_NS6detail17trampoline_kernelINS0_14default_configENS1_25partition_config_selectorILNS1_17partition_subalgoE8EdNS0_10empty_typeEbEEZZNS1_14partition_implILS5_8ELb0ES3_jPKdPS6_PKS6_NS0_5tupleIJPdS6_EEENSE_IJSB_SB_EEENS0_18inequality_wrapperIN6hipcub16HIPCUB_304000_NS8EqualityEEEPlJS6_EEE10hipError_tPvRmT3_T4_T5_T6_T7_T9_mT8_P12ihipStream_tbDpT10_ENKUlT_T0_E_clISt17integral_constantIbLb1EES16_IbLb0EEEEDaS12_S13_EUlS12_E_NS1_11comp_targetILNS1_3genE0ELNS1_11target_archE4294967295ELNS1_3gpuE0ELNS1_3repE0EEENS1_30default_config_static_selectorELNS0_4arch9wavefront6targetE0EEEvT1_.numbered_sgpr, 0
	.set _ZN7rocprim17ROCPRIM_400000_NS6detail17trampoline_kernelINS0_14default_configENS1_25partition_config_selectorILNS1_17partition_subalgoE8EdNS0_10empty_typeEbEEZZNS1_14partition_implILS5_8ELb0ES3_jPKdPS6_PKS6_NS0_5tupleIJPdS6_EEENSE_IJSB_SB_EEENS0_18inequality_wrapperIN6hipcub16HIPCUB_304000_NS8EqualityEEEPlJS6_EEE10hipError_tPvRmT3_T4_T5_T6_T7_T9_mT8_P12ihipStream_tbDpT10_ENKUlT_T0_E_clISt17integral_constantIbLb1EES16_IbLb0EEEEDaS12_S13_EUlS12_E_NS1_11comp_targetILNS1_3genE0ELNS1_11target_archE4294967295ELNS1_3gpuE0ELNS1_3repE0EEENS1_30default_config_static_selectorELNS0_4arch9wavefront6targetE0EEEvT1_.num_named_barrier, 0
	.set _ZN7rocprim17ROCPRIM_400000_NS6detail17trampoline_kernelINS0_14default_configENS1_25partition_config_selectorILNS1_17partition_subalgoE8EdNS0_10empty_typeEbEEZZNS1_14partition_implILS5_8ELb0ES3_jPKdPS6_PKS6_NS0_5tupleIJPdS6_EEENSE_IJSB_SB_EEENS0_18inequality_wrapperIN6hipcub16HIPCUB_304000_NS8EqualityEEEPlJS6_EEE10hipError_tPvRmT3_T4_T5_T6_T7_T9_mT8_P12ihipStream_tbDpT10_ENKUlT_T0_E_clISt17integral_constantIbLb1EES16_IbLb0EEEEDaS12_S13_EUlS12_E_NS1_11comp_targetILNS1_3genE0ELNS1_11target_archE4294967295ELNS1_3gpuE0ELNS1_3repE0EEENS1_30default_config_static_selectorELNS0_4arch9wavefront6targetE0EEEvT1_.private_seg_size, 0
	.set _ZN7rocprim17ROCPRIM_400000_NS6detail17trampoline_kernelINS0_14default_configENS1_25partition_config_selectorILNS1_17partition_subalgoE8EdNS0_10empty_typeEbEEZZNS1_14partition_implILS5_8ELb0ES3_jPKdPS6_PKS6_NS0_5tupleIJPdS6_EEENSE_IJSB_SB_EEENS0_18inequality_wrapperIN6hipcub16HIPCUB_304000_NS8EqualityEEEPlJS6_EEE10hipError_tPvRmT3_T4_T5_T6_T7_T9_mT8_P12ihipStream_tbDpT10_ENKUlT_T0_E_clISt17integral_constantIbLb1EES16_IbLb0EEEEDaS12_S13_EUlS12_E_NS1_11comp_targetILNS1_3genE0ELNS1_11target_archE4294967295ELNS1_3gpuE0ELNS1_3repE0EEENS1_30default_config_static_selectorELNS0_4arch9wavefront6targetE0EEEvT1_.uses_vcc, 0
	.set _ZN7rocprim17ROCPRIM_400000_NS6detail17trampoline_kernelINS0_14default_configENS1_25partition_config_selectorILNS1_17partition_subalgoE8EdNS0_10empty_typeEbEEZZNS1_14partition_implILS5_8ELb0ES3_jPKdPS6_PKS6_NS0_5tupleIJPdS6_EEENSE_IJSB_SB_EEENS0_18inequality_wrapperIN6hipcub16HIPCUB_304000_NS8EqualityEEEPlJS6_EEE10hipError_tPvRmT3_T4_T5_T6_T7_T9_mT8_P12ihipStream_tbDpT10_ENKUlT_T0_E_clISt17integral_constantIbLb1EES16_IbLb0EEEEDaS12_S13_EUlS12_E_NS1_11comp_targetILNS1_3genE0ELNS1_11target_archE4294967295ELNS1_3gpuE0ELNS1_3repE0EEENS1_30default_config_static_selectorELNS0_4arch9wavefront6targetE0EEEvT1_.uses_flat_scratch, 0
	.set _ZN7rocprim17ROCPRIM_400000_NS6detail17trampoline_kernelINS0_14default_configENS1_25partition_config_selectorILNS1_17partition_subalgoE8EdNS0_10empty_typeEbEEZZNS1_14partition_implILS5_8ELb0ES3_jPKdPS6_PKS6_NS0_5tupleIJPdS6_EEENSE_IJSB_SB_EEENS0_18inequality_wrapperIN6hipcub16HIPCUB_304000_NS8EqualityEEEPlJS6_EEE10hipError_tPvRmT3_T4_T5_T6_T7_T9_mT8_P12ihipStream_tbDpT10_ENKUlT_T0_E_clISt17integral_constantIbLb1EES16_IbLb0EEEEDaS12_S13_EUlS12_E_NS1_11comp_targetILNS1_3genE0ELNS1_11target_archE4294967295ELNS1_3gpuE0ELNS1_3repE0EEENS1_30default_config_static_selectorELNS0_4arch9wavefront6targetE0EEEvT1_.has_dyn_sized_stack, 0
	.set _ZN7rocprim17ROCPRIM_400000_NS6detail17trampoline_kernelINS0_14default_configENS1_25partition_config_selectorILNS1_17partition_subalgoE8EdNS0_10empty_typeEbEEZZNS1_14partition_implILS5_8ELb0ES3_jPKdPS6_PKS6_NS0_5tupleIJPdS6_EEENSE_IJSB_SB_EEENS0_18inequality_wrapperIN6hipcub16HIPCUB_304000_NS8EqualityEEEPlJS6_EEE10hipError_tPvRmT3_T4_T5_T6_T7_T9_mT8_P12ihipStream_tbDpT10_ENKUlT_T0_E_clISt17integral_constantIbLb1EES16_IbLb0EEEEDaS12_S13_EUlS12_E_NS1_11comp_targetILNS1_3genE0ELNS1_11target_archE4294967295ELNS1_3gpuE0ELNS1_3repE0EEENS1_30default_config_static_selectorELNS0_4arch9wavefront6targetE0EEEvT1_.has_recursion, 0
	.set _ZN7rocprim17ROCPRIM_400000_NS6detail17trampoline_kernelINS0_14default_configENS1_25partition_config_selectorILNS1_17partition_subalgoE8EdNS0_10empty_typeEbEEZZNS1_14partition_implILS5_8ELb0ES3_jPKdPS6_PKS6_NS0_5tupleIJPdS6_EEENSE_IJSB_SB_EEENS0_18inequality_wrapperIN6hipcub16HIPCUB_304000_NS8EqualityEEEPlJS6_EEE10hipError_tPvRmT3_T4_T5_T6_T7_T9_mT8_P12ihipStream_tbDpT10_ENKUlT_T0_E_clISt17integral_constantIbLb1EES16_IbLb0EEEEDaS12_S13_EUlS12_E_NS1_11comp_targetILNS1_3genE0ELNS1_11target_archE4294967295ELNS1_3gpuE0ELNS1_3repE0EEENS1_30default_config_static_selectorELNS0_4arch9wavefront6targetE0EEEvT1_.has_indirect_call, 0
	.section	.AMDGPU.csdata,"",@progbits
; Kernel info:
; codeLenInByte = 4
; TotalNumSgprs: 0
; NumVgprs: 0
; ScratchSize: 0
; MemoryBound: 0
; FloatMode: 240
; IeeeMode: 1
; LDSByteSize: 0 bytes/workgroup (compile time only)
; SGPRBlocks: 0
; VGPRBlocks: 0
; NumSGPRsForWavesPerEU: 1
; NumVGPRsForWavesPerEU: 1
; NamedBarCnt: 0
; Occupancy: 16
; WaveLimiterHint : 0
; COMPUTE_PGM_RSRC2:SCRATCH_EN: 0
; COMPUTE_PGM_RSRC2:USER_SGPR: 2
; COMPUTE_PGM_RSRC2:TRAP_HANDLER: 0
; COMPUTE_PGM_RSRC2:TGID_X_EN: 1
; COMPUTE_PGM_RSRC2:TGID_Y_EN: 0
; COMPUTE_PGM_RSRC2:TGID_Z_EN: 0
; COMPUTE_PGM_RSRC2:TIDIG_COMP_CNT: 0
	.section	.text._ZN7rocprim17ROCPRIM_400000_NS6detail17trampoline_kernelINS0_14default_configENS1_25partition_config_selectorILNS1_17partition_subalgoE8EdNS0_10empty_typeEbEEZZNS1_14partition_implILS5_8ELb0ES3_jPKdPS6_PKS6_NS0_5tupleIJPdS6_EEENSE_IJSB_SB_EEENS0_18inequality_wrapperIN6hipcub16HIPCUB_304000_NS8EqualityEEEPlJS6_EEE10hipError_tPvRmT3_T4_T5_T6_T7_T9_mT8_P12ihipStream_tbDpT10_ENKUlT_T0_E_clISt17integral_constantIbLb1EES16_IbLb0EEEEDaS12_S13_EUlS12_E_NS1_11comp_targetILNS1_3genE5ELNS1_11target_archE942ELNS1_3gpuE9ELNS1_3repE0EEENS1_30default_config_static_selectorELNS0_4arch9wavefront6targetE0EEEvT1_,"axG",@progbits,_ZN7rocprim17ROCPRIM_400000_NS6detail17trampoline_kernelINS0_14default_configENS1_25partition_config_selectorILNS1_17partition_subalgoE8EdNS0_10empty_typeEbEEZZNS1_14partition_implILS5_8ELb0ES3_jPKdPS6_PKS6_NS0_5tupleIJPdS6_EEENSE_IJSB_SB_EEENS0_18inequality_wrapperIN6hipcub16HIPCUB_304000_NS8EqualityEEEPlJS6_EEE10hipError_tPvRmT3_T4_T5_T6_T7_T9_mT8_P12ihipStream_tbDpT10_ENKUlT_T0_E_clISt17integral_constantIbLb1EES16_IbLb0EEEEDaS12_S13_EUlS12_E_NS1_11comp_targetILNS1_3genE5ELNS1_11target_archE942ELNS1_3gpuE9ELNS1_3repE0EEENS1_30default_config_static_selectorELNS0_4arch9wavefront6targetE0EEEvT1_,comdat
	.protected	_ZN7rocprim17ROCPRIM_400000_NS6detail17trampoline_kernelINS0_14default_configENS1_25partition_config_selectorILNS1_17partition_subalgoE8EdNS0_10empty_typeEbEEZZNS1_14partition_implILS5_8ELb0ES3_jPKdPS6_PKS6_NS0_5tupleIJPdS6_EEENSE_IJSB_SB_EEENS0_18inequality_wrapperIN6hipcub16HIPCUB_304000_NS8EqualityEEEPlJS6_EEE10hipError_tPvRmT3_T4_T5_T6_T7_T9_mT8_P12ihipStream_tbDpT10_ENKUlT_T0_E_clISt17integral_constantIbLb1EES16_IbLb0EEEEDaS12_S13_EUlS12_E_NS1_11comp_targetILNS1_3genE5ELNS1_11target_archE942ELNS1_3gpuE9ELNS1_3repE0EEENS1_30default_config_static_selectorELNS0_4arch9wavefront6targetE0EEEvT1_ ; -- Begin function _ZN7rocprim17ROCPRIM_400000_NS6detail17trampoline_kernelINS0_14default_configENS1_25partition_config_selectorILNS1_17partition_subalgoE8EdNS0_10empty_typeEbEEZZNS1_14partition_implILS5_8ELb0ES3_jPKdPS6_PKS6_NS0_5tupleIJPdS6_EEENSE_IJSB_SB_EEENS0_18inequality_wrapperIN6hipcub16HIPCUB_304000_NS8EqualityEEEPlJS6_EEE10hipError_tPvRmT3_T4_T5_T6_T7_T9_mT8_P12ihipStream_tbDpT10_ENKUlT_T0_E_clISt17integral_constantIbLb1EES16_IbLb0EEEEDaS12_S13_EUlS12_E_NS1_11comp_targetILNS1_3genE5ELNS1_11target_archE942ELNS1_3gpuE9ELNS1_3repE0EEENS1_30default_config_static_selectorELNS0_4arch9wavefront6targetE0EEEvT1_
	.globl	_ZN7rocprim17ROCPRIM_400000_NS6detail17trampoline_kernelINS0_14default_configENS1_25partition_config_selectorILNS1_17partition_subalgoE8EdNS0_10empty_typeEbEEZZNS1_14partition_implILS5_8ELb0ES3_jPKdPS6_PKS6_NS0_5tupleIJPdS6_EEENSE_IJSB_SB_EEENS0_18inequality_wrapperIN6hipcub16HIPCUB_304000_NS8EqualityEEEPlJS6_EEE10hipError_tPvRmT3_T4_T5_T6_T7_T9_mT8_P12ihipStream_tbDpT10_ENKUlT_T0_E_clISt17integral_constantIbLb1EES16_IbLb0EEEEDaS12_S13_EUlS12_E_NS1_11comp_targetILNS1_3genE5ELNS1_11target_archE942ELNS1_3gpuE9ELNS1_3repE0EEENS1_30default_config_static_selectorELNS0_4arch9wavefront6targetE0EEEvT1_
	.p2align	8
	.type	_ZN7rocprim17ROCPRIM_400000_NS6detail17trampoline_kernelINS0_14default_configENS1_25partition_config_selectorILNS1_17partition_subalgoE8EdNS0_10empty_typeEbEEZZNS1_14partition_implILS5_8ELb0ES3_jPKdPS6_PKS6_NS0_5tupleIJPdS6_EEENSE_IJSB_SB_EEENS0_18inequality_wrapperIN6hipcub16HIPCUB_304000_NS8EqualityEEEPlJS6_EEE10hipError_tPvRmT3_T4_T5_T6_T7_T9_mT8_P12ihipStream_tbDpT10_ENKUlT_T0_E_clISt17integral_constantIbLb1EES16_IbLb0EEEEDaS12_S13_EUlS12_E_NS1_11comp_targetILNS1_3genE5ELNS1_11target_archE942ELNS1_3gpuE9ELNS1_3repE0EEENS1_30default_config_static_selectorELNS0_4arch9wavefront6targetE0EEEvT1_,@function
_ZN7rocprim17ROCPRIM_400000_NS6detail17trampoline_kernelINS0_14default_configENS1_25partition_config_selectorILNS1_17partition_subalgoE8EdNS0_10empty_typeEbEEZZNS1_14partition_implILS5_8ELb0ES3_jPKdPS6_PKS6_NS0_5tupleIJPdS6_EEENSE_IJSB_SB_EEENS0_18inequality_wrapperIN6hipcub16HIPCUB_304000_NS8EqualityEEEPlJS6_EEE10hipError_tPvRmT3_T4_T5_T6_T7_T9_mT8_P12ihipStream_tbDpT10_ENKUlT_T0_E_clISt17integral_constantIbLb1EES16_IbLb0EEEEDaS12_S13_EUlS12_E_NS1_11comp_targetILNS1_3genE5ELNS1_11target_archE942ELNS1_3gpuE9ELNS1_3repE0EEENS1_30default_config_static_selectorELNS0_4arch9wavefront6targetE0EEEvT1_: ; @_ZN7rocprim17ROCPRIM_400000_NS6detail17trampoline_kernelINS0_14default_configENS1_25partition_config_selectorILNS1_17partition_subalgoE8EdNS0_10empty_typeEbEEZZNS1_14partition_implILS5_8ELb0ES3_jPKdPS6_PKS6_NS0_5tupleIJPdS6_EEENSE_IJSB_SB_EEENS0_18inequality_wrapperIN6hipcub16HIPCUB_304000_NS8EqualityEEEPlJS6_EEE10hipError_tPvRmT3_T4_T5_T6_T7_T9_mT8_P12ihipStream_tbDpT10_ENKUlT_T0_E_clISt17integral_constantIbLb1EES16_IbLb0EEEEDaS12_S13_EUlS12_E_NS1_11comp_targetILNS1_3genE5ELNS1_11target_archE942ELNS1_3gpuE9ELNS1_3repE0EEENS1_30default_config_static_selectorELNS0_4arch9wavefront6targetE0EEEvT1_
; %bb.0:
	.section	.rodata,"a",@progbits
	.p2align	6, 0x0
	.amdhsa_kernel _ZN7rocprim17ROCPRIM_400000_NS6detail17trampoline_kernelINS0_14default_configENS1_25partition_config_selectorILNS1_17partition_subalgoE8EdNS0_10empty_typeEbEEZZNS1_14partition_implILS5_8ELb0ES3_jPKdPS6_PKS6_NS0_5tupleIJPdS6_EEENSE_IJSB_SB_EEENS0_18inequality_wrapperIN6hipcub16HIPCUB_304000_NS8EqualityEEEPlJS6_EEE10hipError_tPvRmT3_T4_T5_T6_T7_T9_mT8_P12ihipStream_tbDpT10_ENKUlT_T0_E_clISt17integral_constantIbLb1EES16_IbLb0EEEEDaS12_S13_EUlS12_E_NS1_11comp_targetILNS1_3genE5ELNS1_11target_archE942ELNS1_3gpuE9ELNS1_3repE0EEENS1_30default_config_static_selectorELNS0_4arch9wavefront6targetE0EEEvT1_
		.amdhsa_group_segment_fixed_size 0
		.amdhsa_private_segment_fixed_size 0
		.amdhsa_kernarg_size 112
		.amdhsa_user_sgpr_count 2
		.amdhsa_user_sgpr_dispatch_ptr 0
		.amdhsa_user_sgpr_queue_ptr 0
		.amdhsa_user_sgpr_kernarg_segment_ptr 1
		.amdhsa_user_sgpr_dispatch_id 0
		.amdhsa_user_sgpr_kernarg_preload_length 0
		.amdhsa_user_sgpr_kernarg_preload_offset 0
		.amdhsa_user_sgpr_private_segment_size 0
		.amdhsa_wavefront_size32 1
		.amdhsa_uses_dynamic_stack 0
		.amdhsa_enable_private_segment 0
		.amdhsa_system_sgpr_workgroup_id_x 1
		.amdhsa_system_sgpr_workgroup_id_y 0
		.amdhsa_system_sgpr_workgroup_id_z 0
		.amdhsa_system_sgpr_workgroup_info 0
		.amdhsa_system_vgpr_workitem_id 0
		.amdhsa_next_free_vgpr 1
		.amdhsa_next_free_sgpr 1
		.amdhsa_named_barrier_count 0
		.amdhsa_reserve_vcc 0
		.amdhsa_float_round_mode_32 0
		.amdhsa_float_round_mode_16_64 0
		.amdhsa_float_denorm_mode_32 3
		.amdhsa_float_denorm_mode_16_64 3
		.amdhsa_fp16_overflow 0
		.amdhsa_memory_ordered 1
		.amdhsa_forward_progress 1
		.amdhsa_inst_pref_size 0
		.amdhsa_round_robin_scheduling 0
		.amdhsa_exception_fp_ieee_invalid_op 0
		.amdhsa_exception_fp_denorm_src 0
		.amdhsa_exception_fp_ieee_div_zero 0
		.amdhsa_exception_fp_ieee_overflow 0
		.amdhsa_exception_fp_ieee_underflow 0
		.amdhsa_exception_fp_ieee_inexact 0
		.amdhsa_exception_int_div_zero 0
	.end_amdhsa_kernel
	.section	.text._ZN7rocprim17ROCPRIM_400000_NS6detail17trampoline_kernelINS0_14default_configENS1_25partition_config_selectorILNS1_17partition_subalgoE8EdNS0_10empty_typeEbEEZZNS1_14partition_implILS5_8ELb0ES3_jPKdPS6_PKS6_NS0_5tupleIJPdS6_EEENSE_IJSB_SB_EEENS0_18inequality_wrapperIN6hipcub16HIPCUB_304000_NS8EqualityEEEPlJS6_EEE10hipError_tPvRmT3_T4_T5_T6_T7_T9_mT8_P12ihipStream_tbDpT10_ENKUlT_T0_E_clISt17integral_constantIbLb1EES16_IbLb0EEEEDaS12_S13_EUlS12_E_NS1_11comp_targetILNS1_3genE5ELNS1_11target_archE942ELNS1_3gpuE9ELNS1_3repE0EEENS1_30default_config_static_selectorELNS0_4arch9wavefront6targetE0EEEvT1_,"axG",@progbits,_ZN7rocprim17ROCPRIM_400000_NS6detail17trampoline_kernelINS0_14default_configENS1_25partition_config_selectorILNS1_17partition_subalgoE8EdNS0_10empty_typeEbEEZZNS1_14partition_implILS5_8ELb0ES3_jPKdPS6_PKS6_NS0_5tupleIJPdS6_EEENSE_IJSB_SB_EEENS0_18inequality_wrapperIN6hipcub16HIPCUB_304000_NS8EqualityEEEPlJS6_EEE10hipError_tPvRmT3_T4_T5_T6_T7_T9_mT8_P12ihipStream_tbDpT10_ENKUlT_T0_E_clISt17integral_constantIbLb1EES16_IbLb0EEEEDaS12_S13_EUlS12_E_NS1_11comp_targetILNS1_3genE5ELNS1_11target_archE942ELNS1_3gpuE9ELNS1_3repE0EEENS1_30default_config_static_selectorELNS0_4arch9wavefront6targetE0EEEvT1_,comdat
.Lfunc_end289:
	.size	_ZN7rocprim17ROCPRIM_400000_NS6detail17trampoline_kernelINS0_14default_configENS1_25partition_config_selectorILNS1_17partition_subalgoE8EdNS0_10empty_typeEbEEZZNS1_14partition_implILS5_8ELb0ES3_jPKdPS6_PKS6_NS0_5tupleIJPdS6_EEENSE_IJSB_SB_EEENS0_18inequality_wrapperIN6hipcub16HIPCUB_304000_NS8EqualityEEEPlJS6_EEE10hipError_tPvRmT3_T4_T5_T6_T7_T9_mT8_P12ihipStream_tbDpT10_ENKUlT_T0_E_clISt17integral_constantIbLb1EES16_IbLb0EEEEDaS12_S13_EUlS12_E_NS1_11comp_targetILNS1_3genE5ELNS1_11target_archE942ELNS1_3gpuE9ELNS1_3repE0EEENS1_30default_config_static_selectorELNS0_4arch9wavefront6targetE0EEEvT1_, .Lfunc_end289-_ZN7rocprim17ROCPRIM_400000_NS6detail17trampoline_kernelINS0_14default_configENS1_25partition_config_selectorILNS1_17partition_subalgoE8EdNS0_10empty_typeEbEEZZNS1_14partition_implILS5_8ELb0ES3_jPKdPS6_PKS6_NS0_5tupleIJPdS6_EEENSE_IJSB_SB_EEENS0_18inequality_wrapperIN6hipcub16HIPCUB_304000_NS8EqualityEEEPlJS6_EEE10hipError_tPvRmT3_T4_T5_T6_T7_T9_mT8_P12ihipStream_tbDpT10_ENKUlT_T0_E_clISt17integral_constantIbLb1EES16_IbLb0EEEEDaS12_S13_EUlS12_E_NS1_11comp_targetILNS1_3genE5ELNS1_11target_archE942ELNS1_3gpuE9ELNS1_3repE0EEENS1_30default_config_static_selectorELNS0_4arch9wavefront6targetE0EEEvT1_
                                        ; -- End function
	.set _ZN7rocprim17ROCPRIM_400000_NS6detail17trampoline_kernelINS0_14default_configENS1_25partition_config_selectorILNS1_17partition_subalgoE8EdNS0_10empty_typeEbEEZZNS1_14partition_implILS5_8ELb0ES3_jPKdPS6_PKS6_NS0_5tupleIJPdS6_EEENSE_IJSB_SB_EEENS0_18inequality_wrapperIN6hipcub16HIPCUB_304000_NS8EqualityEEEPlJS6_EEE10hipError_tPvRmT3_T4_T5_T6_T7_T9_mT8_P12ihipStream_tbDpT10_ENKUlT_T0_E_clISt17integral_constantIbLb1EES16_IbLb0EEEEDaS12_S13_EUlS12_E_NS1_11comp_targetILNS1_3genE5ELNS1_11target_archE942ELNS1_3gpuE9ELNS1_3repE0EEENS1_30default_config_static_selectorELNS0_4arch9wavefront6targetE0EEEvT1_.num_vgpr, 0
	.set _ZN7rocprim17ROCPRIM_400000_NS6detail17trampoline_kernelINS0_14default_configENS1_25partition_config_selectorILNS1_17partition_subalgoE8EdNS0_10empty_typeEbEEZZNS1_14partition_implILS5_8ELb0ES3_jPKdPS6_PKS6_NS0_5tupleIJPdS6_EEENSE_IJSB_SB_EEENS0_18inequality_wrapperIN6hipcub16HIPCUB_304000_NS8EqualityEEEPlJS6_EEE10hipError_tPvRmT3_T4_T5_T6_T7_T9_mT8_P12ihipStream_tbDpT10_ENKUlT_T0_E_clISt17integral_constantIbLb1EES16_IbLb0EEEEDaS12_S13_EUlS12_E_NS1_11comp_targetILNS1_3genE5ELNS1_11target_archE942ELNS1_3gpuE9ELNS1_3repE0EEENS1_30default_config_static_selectorELNS0_4arch9wavefront6targetE0EEEvT1_.num_agpr, 0
	.set _ZN7rocprim17ROCPRIM_400000_NS6detail17trampoline_kernelINS0_14default_configENS1_25partition_config_selectorILNS1_17partition_subalgoE8EdNS0_10empty_typeEbEEZZNS1_14partition_implILS5_8ELb0ES3_jPKdPS6_PKS6_NS0_5tupleIJPdS6_EEENSE_IJSB_SB_EEENS0_18inequality_wrapperIN6hipcub16HIPCUB_304000_NS8EqualityEEEPlJS6_EEE10hipError_tPvRmT3_T4_T5_T6_T7_T9_mT8_P12ihipStream_tbDpT10_ENKUlT_T0_E_clISt17integral_constantIbLb1EES16_IbLb0EEEEDaS12_S13_EUlS12_E_NS1_11comp_targetILNS1_3genE5ELNS1_11target_archE942ELNS1_3gpuE9ELNS1_3repE0EEENS1_30default_config_static_selectorELNS0_4arch9wavefront6targetE0EEEvT1_.numbered_sgpr, 0
	.set _ZN7rocprim17ROCPRIM_400000_NS6detail17trampoline_kernelINS0_14default_configENS1_25partition_config_selectorILNS1_17partition_subalgoE8EdNS0_10empty_typeEbEEZZNS1_14partition_implILS5_8ELb0ES3_jPKdPS6_PKS6_NS0_5tupleIJPdS6_EEENSE_IJSB_SB_EEENS0_18inequality_wrapperIN6hipcub16HIPCUB_304000_NS8EqualityEEEPlJS6_EEE10hipError_tPvRmT3_T4_T5_T6_T7_T9_mT8_P12ihipStream_tbDpT10_ENKUlT_T0_E_clISt17integral_constantIbLb1EES16_IbLb0EEEEDaS12_S13_EUlS12_E_NS1_11comp_targetILNS1_3genE5ELNS1_11target_archE942ELNS1_3gpuE9ELNS1_3repE0EEENS1_30default_config_static_selectorELNS0_4arch9wavefront6targetE0EEEvT1_.num_named_barrier, 0
	.set _ZN7rocprim17ROCPRIM_400000_NS6detail17trampoline_kernelINS0_14default_configENS1_25partition_config_selectorILNS1_17partition_subalgoE8EdNS0_10empty_typeEbEEZZNS1_14partition_implILS5_8ELb0ES3_jPKdPS6_PKS6_NS0_5tupleIJPdS6_EEENSE_IJSB_SB_EEENS0_18inequality_wrapperIN6hipcub16HIPCUB_304000_NS8EqualityEEEPlJS6_EEE10hipError_tPvRmT3_T4_T5_T6_T7_T9_mT8_P12ihipStream_tbDpT10_ENKUlT_T0_E_clISt17integral_constantIbLb1EES16_IbLb0EEEEDaS12_S13_EUlS12_E_NS1_11comp_targetILNS1_3genE5ELNS1_11target_archE942ELNS1_3gpuE9ELNS1_3repE0EEENS1_30default_config_static_selectorELNS0_4arch9wavefront6targetE0EEEvT1_.private_seg_size, 0
	.set _ZN7rocprim17ROCPRIM_400000_NS6detail17trampoline_kernelINS0_14default_configENS1_25partition_config_selectorILNS1_17partition_subalgoE8EdNS0_10empty_typeEbEEZZNS1_14partition_implILS5_8ELb0ES3_jPKdPS6_PKS6_NS0_5tupleIJPdS6_EEENSE_IJSB_SB_EEENS0_18inequality_wrapperIN6hipcub16HIPCUB_304000_NS8EqualityEEEPlJS6_EEE10hipError_tPvRmT3_T4_T5_T6_T7_T9_mT8_P12ihipStream_tbDpT10_ENKUlT_T0_E_clISt17integral_constantIbLb1EES16_IbLb0EEEEDaS12_S13_EUlS12_E_NS1_11comp_targetILNS1_3genE5ELNS1_11target_archE942ELNS1_3gpuE9ELNS1_3repE0EEENS1_30default_config_static_selectorELNS0_4arch9wavefront6targetE0EEEvT1_.uses_vcc, 0
	.set _ZN7rocprim17ROCPRIM_400000_NS6detail17trampoline_kernelINS0_14default_configENS1_25partition_config_selectorILNS1_17partition_subalgoE8EdNS0_10empty_typeEbEEZZNS1_14partition_implILS5_8ELb0ES3_jPKdPS6_PKS6_NS0_5tupleIJPdS6_EEENSE_IJSB_SB_EEENS0_18inequality_wrapperIN6hipcub16HIPCUB_304000_NS8EqualityEEEPlJS6_EEE10hipError_tPvRmT3_T4_T5_T6_T7_T9_mT8_P12ihipStream_tbDpT10_ENKUlT_T0_E_clISt17integral_constantIbLb1EES16_IbLb0EEEEDaS12_S13_EUlS12_E_NS1_11comp_targetILNS1_3genE5ELNS1_11target_archE942ELNS1_3gpuE9ELNS1_3repE0EEENS1_30default_config_static_selectorELNS0_4arch9wavefront6targetE0EEEvT1_.uses_flat_scratch, 0
	.set _ZN7rocprim17ROCPRIM_400000_NS6detail17trampoline_kernelINS0_14default_configENS1_25partition_config_selectorILNS1_17partition_subalgoE8EdNS0_10empty_typeEbEEZZNS1_14partition_implILS5_8ELb0ES3_jPKdPS6_PKS6_NS0_5tupleIJPdS6_EEENSE_IJSB_SB_EEENS0_18inequality_wrapperIN6hipcub16HIPCUB_304000_NS8EqualityEEEPlJS6_EEE10hipError_tPvRmT3_T4_T5_T6_T7_T9_mT8_P12ihipStream_tbDpT10_ENKUlT_T0_E_clISt17integral_constantIbLb1EES16_IbLb0EEEEDaS12_S13_EUlS12_E_NS1_11comp_targetILNS1_3genE5ELNS1_11target_archE942ELNS1_3gpuE9ELNS1_3repE0EEENS1_30default_config_static_selectorELNS0_4arch9wavefront6targetE0EEEvT1_.has_dyn_sized_stack, 0
	.set _ZN7rocprim17ROCPRIM_400000_NS6detail17trampoline_kernelINS0_14default_configENS1_25partition_config_selectorILNS1_17partition_subalgoE8EdNS0_10empty_typeEbEEZZNS1_14partition_implILS5_8ELb0ES3_jPKdPS6_PKS6_NS0_5tupleIJPdS6_EEENSE_IJSB_SB_EEENS0_18inequality_wrapperIN6hipcub16HIPCUB_304000_NS8EqualityEEEPlJS6_EEE10hipError_tPvRmT3_T4_T5_T6_T7_T9_mT8_P12ihipStream_tbDpT10_ENKUlT_T0_E_clISt17integral_constantIbLb1EES16_IbLb0EEEEDaS12_S13_EUlS12_E_NS1_11comp_targetILNS1_3genE5ELNS1_11target_archE942ELNS1_3gpuE9ELNS1_3repE0EEENS1_30default_config_static_selectorELNS0_4arch9wavefront6targetE0EEEvT1_.has_recursion, 0
	.set _ZN7rocprim17ROCPRIM_400000_NS6detail17trampoline_kernelINS0_14default_configENS1_25partition_config_selectorILNS1_17partition_subalgoE8EdNS0_10empty_typeEbEEZZNS1_14partition_implILS5_8ELb0ES3_jPKdPS6_PKS6_NS0_5tupleIJPdS6_EEENSE_IJSB_SB_EEENS0_18inequality_wrapperIN6hipcub16HIPCUB_304000_NS8EqualityEEEPlJS6_EEE10hipError_tPvRmT3_T4_T5_T6_T7_T9_mT8_P12ihipStream_tbDpT10_ENKUlT_T0_E_clISt17integral_constantIbLb1EES16_IbLb0EEEEDaS12_S13_EUlS12_E_NS1_11comp_targetILNS1_3genE5ELNS1_11target_archE942ELNS1_3gpuE9ELNS1_3repE0EEENS1_30default_config_static_selectorELNS0_4arch9wavefront6targetE0EEEvT1_.has_indirect_call, 0
	.section	.AMDGPU.csdata,"",@progbits
; Kernel info:
; codeLenInByte = 0
; TotalNumSgprs: 0
; NumVgprs: 0
; ScratchSize: 0
; MemoryBound: 0
; FloatMode: 240
; IeeeMode: 1
; LDSByteSize: 0 bytes/workgroup (compile time only)
; SGPRBlocks: 0
; VGPRBlocks: 0
; NumSGPRsForWavesPerEU: 1
; NumVGPRsForWavesPerEU: 1
; NamedBarCnt: 0
; Occupancy: 16
; WaveLimiterHint : 0
; COMPUTE_PGM_RSRC2:SCRATCH_EN: 0
; COMPUTE_PGM_RSRC2:USER_SGPR: 2
; COMPUTE_PGM_RSRC2:TRAP_HANDLER: 0
; COMPUTE_PGM_RSRC2:TGID_X_EN: 1
; COMPUTE_PGM_RSRC2:TGID_Y_EN: 0
; COMPUTE_PGM_RSRC2:TGID_Z_EN: 0
; COMPUTE_PGM_RSRC2:TIDIG_COMP_CNT: 0
	.section	.text._ZN7rocprim17ROCPRIM_400000_NS6detail17trampoline_kernelINS0_14default_configENS1_25partition_config_selectorILNS1_17partition_subalgoE8EdNS0_10empty_typeEbEEZZNS1_14partition_implILS5_8ELb0ES3_jPKdPS6_PKS6_NS0_5tupleIJPdS6_EEENSE_IJSB_SB_EEENS0_18inequality_wrapperIN6hipcub16HIPCUB_304000_NS8EqualityEEEPlJS6_EEE10hipError_tPvRmT3_T4_T5_T6_T7_T9_mT8_P12ihipStream_tbDpT10_ENKUlT_T0_E_clISt17integral_constantIbLb1EES16_IbLb0EEEEDaS12_S13_EUlS12_E_NS1_11comp_targetILNS1_3genE4ELNS1_11target_archE910ELNS1_3gpuE8ELNS1_3repE0EEENS1_30default_config_static_selectorELNS0_4arch9wavefront6targetE0EEEvT1_,"axG",@progbits,_ZN7rocprim17ROCPRIM_400000_NS6detail17trampoline_kernelINS0_14default_configENS1_25partition_config_selectorILNS1_17partition_subalgoE8EdNS0_10empty_typeEbEEZZNS1_14partition_implILS5_8ELb0ES3_jPKdPS6_PKS6_NS0_5tupleIJPdS6_EEENSE_IJSB_SB_EEENS0_18inequality_wrapperIN6hipcub16HIPCUB_304000_NS8EqualityEEEPlJS6_EEE10hipError_tPvRmT3_T4_T5_T6_T7_T9_mT8_P12ihipStream_tbDpT10_ENKUlT_T0_E_clISt17integral_constantIbLb1EES16_IbLb0EEEEDaS12_S13_EUlS12_E_NS1_11comp_targetILNS1_3genE4ELNS1_11target_archE910ELNS1_3gpuE8ELNS1_3repE0EEENS1_30default_config_static_selectorELNS0_4arch9wavefront6targetE0EEEvT1_,comdat
	.protected	_ZN7rocprim17ROCPRIM_400000_NS6detail17trampoline_kernelINS0_14default_configENS1_25partition_config_selectorILNS1_17partition_subalgoE8EdNS0_10empty_typeEbEEZZNS1_14partition_implILS5_8ELb0ES3_jPKdPS6_PKS6_NS0_5tupleIJPdS6_EEENSE_IJSB_SB_EEENS0_18inequality_wrapperIN6hipcub16HIPCUB_304000_NS8EqualityEEEPlJS6_EEE10hipError_tPvRmT3_T4_T5_T6_T7_T9_mT8_P12ihipStream_tbDpT10_ENKUlT_T0_E_clISt17integral_constantIbLb1EES16_IbLb0EEEEDaS12_S13_EUlS12_E_NS1_11comp_targetILNS1_3genE4ELNS1_11target_archE910ELNS1_3gpuE8ELNS1_3repE0EEENS1_30default_config_static_selectorELNS0_4arch9wavefront6targetE0EEEvT1_ ; -- Begin function _ZN7rocprim17ROCPRIM_400000_NS6detail17trampoline_kernelINS0_14default_configENS1_25partition_config_selectorILNS1_17partition_subalgoE8EdNS0_10empty_typeEbEEZZNS1_14partition_implILS5_8ELb0ES3_jPKdPS6_PKS6_NS0_5tupleIJPdS6_EEENSE_IJSB_SB_EEENS0_18inequality_wrapperIN6hipcub16HIPCUB_304000_NS8EqualityEEEPlJS6_EEE10hipError_tPvRmT3_T4_T5_T6_T7_T9_mT8_P12ihipStream_tbDpT10_ENKUlT_T0_E_clISt17integral_constantIbLb1EES16_IbLb0EEEEDaS12_S13_EUlS12_E_NS1_11comp_targetILNS1_3genE4ELNS1_11target_archE910ELNS1_3gpuE8ELNS1_3repE0EEENS1_30default_config_static_selectorELNS0_4arch9wavefront6targetE0EEEvT1_
	.globl	_ZN7rocprim17ROCPRIM_400000_NS6detail17trampoline_kernelINS0_14default_configENS1_25partition_config_selectorILNS1_17partition_subalgoE8EdNS0_10empty_typeEbEEZZNS1_14partition_implILS5_8ELb0ES3_jPKdPS6_PKS6_NS0_5tupleIJPdS6_EEENSE_IJSB_SB_EEENS0_18inequality_wrapperIN6hipcub16HIPCUB_304000_NS8EqualityEEEPlJS6_EEE10hipError_tPvRmT3_T4_T5_T6_T7_T9_mT8_P12ihipStream_tbDpT10_ENKUlT_T0_E_clISt17integral_constantIbLb1EES16_IbLb0EEEEDaS12_S13_EUlS12_E_NS1_11comp_targetILNS1_3genE4ELNS1_11target_archE910ELNS1_3gpuE8ELNS1_3repE0EEENS1_30default_config_static_selectorELNS0_4arch9wavefront6targetE0EEEvT1_
	.p2align	8
	.type	_ZN7rocprim17ROCPRIM_400000_NS6detail17trampoline_kernelINS0_14default_configENS1_25partition_config_selectorILNS1_17partition_subalgoE8EdNS0_10empty_typeEbEEZZNS1_14partition_implILS5_8ELb0ES3_jPKdPS6_PKS6_NS0_5tupleIJPdS6_EEENSE_IJSB_SB_EEENS0_18inequality_wrapperIN6hipcub16HIPCUB_304000_NS8EqualityEEEPlJS6_EEE10hipError_tPvRmT3_T4_T5_T6_T7_T9_mT8_P12ihipStream_tbDpT10_ENKUlT_T0_E_clISt17integral_constantIbLb1EES16_IbLb0EEEEDaS12_S13_EUlS12_E_NS1_11comp_targetILNS1_3genE4ELNS1_11target_archE910ELNS1_3gpuE8ELNS1_3repE0EEENS1_30default_config_static_selectorELNS0_4arch9wavefront6targetE0EEEvT1_,@function
_ZN7rocprim17ROCPRIM_400000_NS6detail17trampoline_kernelINS0_14default_configENS1_25partition_config_selectorILNS1_17partition_subalgoE8EdNS0_10empty_typeEbEEZZNS1_14partition_implILS5_8ELb0ES3_jPKdPS6_PKS6_NS0_5tupleIJPdS6_EEENSE_IJSB_SB_EEENS0_18inequality_wrapperIN6hipcub16HIPCUB_304000_NS8EqualityEEEPlJS6_EEE10hipError_tPvRmT3_T4_T5_T6_T7_T9_mT8_P12ihipStream_tbDpT10_ENKUlT_T0_E_clISt17integral_constantIbLb1EES16_IbLb0EEEEDaS12_S13_EUlS12_E_NS1_11comp_targetILNS1_3genE4ELNS1_11target_archE910ELNS1_3gpuE8ELNS1_3repE0EEENS1_30default_config_static_selectorELNS0_4arch9wavefront6targetE0EEEvT1_: ; @_ZN7rocprim17ROCPRIM_400000_NS6detail17trampoline_kernelINS0_14default_configENS1_25partition_config_selectorILNS1_17partition_subalgoE8EdNS0_10empty_typeEbEEZZNS1_14partition_implILS5_8ELb0ES3_jPKdPS6_PKS6_NS0_5tupleIJPdS6_EEENSE_IJSB_SB_EEENS0_18inequality_wrapperIN6hipcub16HIPCUB_304000_NS8EqualityEEEPlJS6_EEE10hipError_tPvRmT3_T4_T5_T6_T7_T9_mT8_P12ihipStream_tbDpT10_ENKUlT_T0_E_clISt17integral_constantIbLb1EES16_IbLb0EEEEDaS12_S13_EUlS12_E_NS1_11comp_targetILNS1_3genE4ELNS1_11target_archE910ELNS1_3gpuE8ELNS1_3repE0EEENS1_30default_config_static_selectorELNS0_4arch9wavefront6targetE0EEEvT1_
; %bb.0:
	.section	.rodata,"a",@progbits
	.p2align	6, 0x0
	.amdhsa_kernel _ZN7rocprim17ROCPRIM_400000_NS6detail17trampoline_kernelINS0_14default_configENS1_25partition_config_selectorILNS1_17partition_subalgoE8EdNS0_10empty_typeEbEEZZNS1_14partition_implILS5_8ELb0ES3_jPKdPS6_PKS6_NS0_5tupleIJPdS6_EEENSE_IJSB_SB_EEENS0_18inequality_wrapperIN6hipcub16HIPCUB_304000_NS8EqualityEEEPlJS6_EEE10hipError_tPvRmT3_T4_T5_T6_T7_T9_mT8_P12ihipStream_tbDpT10_ENKUlT_T0_E_clISt17integral_constantIbLb1EES16_IbLb0EEEEDaS12_S13_EUlS12_E_NS1_11comp_targetILNS1_3genE4ELNS1_11target_archE910ELNS1_3gpuE8ELNS1_3repE0EEENS1_30default_config_static_selectorELNS0_4arch9wavefront6targetE0EEEvT1_
		.amdhsa_group_segment_fixed_size 0
		.amdhsa_private_segment_fixed_size 0
		.amdhsa_kernarg_size 112
		.amdhsa_user_sgpr_count 2
		.amdhsa_user_sgpr_dispatch_ptr 0
		.amdhsa_user_sgpr_queue_ptr 0
		.amdhsa_user_sgpr_kernarg_segment_ptr 1
		.amdhsa_user_sgpr_dispatch_id 0
		.amdhsa_user_sgpr_kernarg_preload_length 0
		.amdhsa_user_sgpr_kernarg_preload_offset 0
		.amdhsa_user_sgpr_private_segment_size 0
		.amdhsa_wavefront_size32 1
		.amdhsa_uses_dynamic_stack 0
		.amdhsa_enable_private_segment 0
		.amdhsa_system_sgpr_workgroup_id_x 1
		.amdhsa_system_sgpr_workgroup_id_y 0
		.amdhsa_system_sgpr_workgroup_id_z 0
		.amdhsa_system_sgpr_workgroup_info 0
		.amdhsa_system_vgpr_workitem_id 0
		.amdhsa_next_free_vgpr 1
		.amdhsa_next_free_sgpr 1
		.amdhsa_named_barrier_count 0
		.amdhsa_reserve_vcc 0
		.amdhsa_float_round_mode_32 0
		.amdhsa_float_round_mode_16_64 0
		.amdhsa_float_denorm_mode_32 3
		.amdhsa_float_denorm_mode_16_64 3
		.amdhsa_fp16_overflow 0
		.amdhsa_memory_ordered 1
		.amdhsa_forward_progress 1
		.amdhsa_inst_pref_size 0
		.amdhsa_round_robin_scheduling 0
		.amdhsa_exception_fp_ieee_invalid_op 0
		.amdhsa_exception_fp_denorm_src 0
		.amdhsa_exception_fp_ieee_div_zero 0
		.amdhsa_exception_fp_ieee_overflow 0
		.amdhsa_exception_fp_ieee_underflow 0
		.amdhsa_exception_fp_ieee_inexact 0
		.amdhsa_exception_int_div_zero 0
	.end_amdhsa_kernel
	.section	.text._ZN7rocprim17ROCPRIM_400000_NS6detail17trampoline_kernelINS0_14default_configENS1_25partition_config_selectorILNS1_17partition_subalgoE8EdNS0_10empty_typeEbEEZZNS1_14partition_implILS5_8ELb0ES3_jPKdPS6_PKS6_NS0_5tupleIJPdS6_EEENSE_IJSB_SB_EEENS0_18inequality_wrapperIN6hipcub16HIPCUB_304000_NS8EqualityEEEPlJS6_EEE10hipError_tPvRmT3_T4_T5_T6_T7_T9_mT8_P12ihipStream_tbDpT10_ENKUlT_T0_E_clISt17integral_constantIbLb1EES16_IbLb0EEEEDaS12_S13_EUlS12_E_NS1_11comp_targetILNS1_3genE4ELNS1_11target_archE910ELNS1_3gpuE8ELNS1_3repE0EEENS1_30default_config_static_selectorELNS0_4arch9wavefront6targetE0EEEvT1_,"axG",@progbits,_ZN7rocprim17ROCPRIM_400000_NS6detail17trampoline_kernelINS0_14default_configENS1_25partition_config_selectorILNS1_17partition_subalgoE8EdNS0_10empty_typeEbEEZZNS1_14partition_implILS5_8ELb0ES3_jPKdPS6_PKS6_NS0_5tupleIJPdS6_EEENSE_IJSB_SB_EEENS0_18inequality_wrapperIN6hipcub16HIPCUB_304000_NS8EqualityEEEPlJS6_EEE10hipError_tPvRmT3_T4_T5_T6_T7_T9_mT8_P12ihipStream_tbDpT10_ENKUlT_T0_E_clISt17integral_constantIbLb1EES16_IbLb0EEEEDaS12_S13_EUlS12_E_NS1_11comp_targetILNS1_3genE4ELNS1_11target_archE910ELNS1_3gpuE8ELNS1_3repE0EEENS1_30default_config_static_selectorELNS0_4arch9wavefront6targetE0EEEvT1_,comdat
.Lfunc_end290:
	.size	_ZN7rocprim17ROCPRIM_400000_NS6detail17trampoline_kernelINS0_14default_configENS1_25partition_config_selectorILNS1_17partition_subalgoE8EdNS0_10empty_typeEbEEZZNS1_14partition_implILS5_8ELb0ES3_jPKdPS6_PKS6_NS0_5tupleIJPdS6_EEENSE_IJSB_SB_EEENS0_18inequality_wrapperIN6hipcub16HIPCUB_304000_NS8EqualityEEEPlJS6_EEE10hipError_tPvRmT3_T4_T5_T6_T7_T9_mT8_P12ihipStream_tbDpT10_ENKUlT_T0_E_clISt17integral_constantIbLb1EES16_IbLb0EEEEDaS12_S13_EUlS12_E_NS1_11comp_targetILNS1_3genE4ELNS1_11target_archE910ELNS1_3gpuE8ELNS1_3repE0EEENS1_30default_config_static_selectorELNS0_4arch9wavefront6targetE0EEEvT1_, .Lfunc_end290-_ZN7rocprim17ROCPRIM_400000_NS6detail17trampoline_kernelINS0_14default_configENS1_25partition_config_selectorILNS1_17partition_subalgoE8EdNS0_10empty_typeEbEEZZNS1_14partition_implILS5_8ELb0ES3_jPKdPS6_PKS6_NS0_5tupleIJPdS6_EEENSE_IJSB_SB_EEENS0_18inequality_wrapperIN6hipcub16HIPCUB_304000_NS8EqualityEEEPlJS6_EEE10hipError_tPvRmT3_T4_T5_T6_T7_T9_mT8_P12ihipStream_tbDpT10_ENKUlT_T0_E_clISt17integral_constantIbLb1EES16_IbLb0EEEEDaS12_S13_EUlS12_E_NS1_11comp_targetILNS1_3genE4ELNS1_11target_archE910ELNS1_3gpuE8ELNS1_3repE0EEENS1_30default_config_static_selectorELNS0_4arch9wavefront6targetE0EEEvT1_
                                        ; -- End function
	.set _ZN7rocprim17ROCPRIM_400000_NS6detail17trampoline_kernelINS0_14default_configENS1_25partition_config_selectorILNS1_17partition_subalgoE8EdNS0_10empty_typeEbEEZZNS1_14partition_implILS5_8ELb0ES3_jPKdPS6_PKS6_NS0_5tupleIJPdS6_EEENSE_IJSB_SB_EEENS0_18inequality_wrapperIN6hipcub16HIPCUB_304000_NS8EqualityEEEPlJS6_EEE10hipError_tPvRmT3_T4_T5_T6_T7_T9_mT8_P12ihipStream_tbDpT10_ENKUlT_T0_E_clISt17integral_constantIbLb1EES16_IbLb0EEEEDaS12_S13_EUlS12_E_NS1_11comp_targetILNS1_3genE4ELNS1_11target_archE910ELNS1_3gpuE8ELNS1_3repE0EEENS1_30default_config_static_selectorELNS0_4arch9wavefront6targetE0EEEvT1_.num_vgpr, 0
	.set _ZN7rocprim17ROCPRIM_400000_NS6detail17trampoline_kernelINS0_14default_configENS1_25partition_config_selectorILNS1_17partition_subalgoE8EdNS0_10empty_typeEbEEZZNS1_14partition_implILS5_8ELb0ES3_jPKdPS6_PKS6_NS0_5tupleIJPdS6_EEENSE_IJSB_SB_EEENS0_18inequality_wrapperIN6hipcub16HIPCUB_304000_NS8EqualityEEEPlJS6_EEE10hipError_tPvRmT3_T4_T5_T6_T7_T9_mT8_P12ihipStream_tbDpT10_ENKUlT_T0_E_clISt17integral_constantIbLb1EES16_IbLb0EEEEDaS12_S13_EUlS12_E_NS1_11comp_targetILNS1_3genE4ELNS1_11target_archE910ELNS1_3gpuE8ELNS1_3repE0EEENS1_30default_config_static_selectorELNS0_4arch9wavefront6targetE0EEEvT1_.num_agpr, 0
	.set _ZN7rocprim17ROCPRIM_400000_NS6detail17trampoline_kernelINS0_14default_configENS1_25partition_config_selectorILNS1_17partition_subalgoE8EdNS0_10empty_typeEbEEZZNS1_14partition_implILS5_8ELb0ES3_jPKdPS6_PKS6_NS0_5tupleIJPdS6_EEENSE_IJSB_SB_EEENS0_18inequality_wrapperIN6hipcub16HIPCUB_304000_NS8EqualityEEEPlJS6_EEE10hipError_tPvRmT3_T4_T5_T6_T7_T9_mT8_P12ihipStream_tbDpT10_ENKUlT_T0_E_clISt17integral_constantIbLb1EES16_IbLb0EEEEDaS12_S13_EUlS12_E_NS1_11comp_targetILNS1_3genE4ELNS1_11target_archE910ELNS1_3gpuE8ELNS1_3repE0EEENS1_30default_config_static_selectorELNS0_4arch9wavefront6targetE0EEEvT1_.numbered_sgpr, 0
	.set _ZN7rocprim17ROCPRIM_400000_NS6detail17trampoline_kernelINS0_14default_configENS1_25partition_config_selectorILNS1_17partition_subalgoE8EdNS0_10empty_typeEbEEZZNS1_14partition_implILS5_8ELb0ES3_jPKdPS6_PKS6_NS0_5tupleIJPdS6_EEENSE_IJSB_SB_EEENS0_18inequality_wrapperIN6hipcub16HIPCUB_304000_NS8EqualityEEEPlJS6_EEE10hipError_tPvRmT3_T4_T5_T6_T7_T9_mT8_P12ihipStream_tbDpT10_ENKUlT_T0_E_clISt17integral_constantIbLb1EES16_IbLb0EEEEDaS12_S13_EUlS12_E_NS1_11comp_targetILNS1_3genE4ELNS1_11target_archE910ELNS1_3gpuE8ELNS1_3repE0EEENS1_30default_config_static_selectorELNS0_4arch9wavefront6targetE0EEEvT1_.num_named_barrier, 0
	.set _ZN7rocprim17ROCPRIM_400000_NS6detail17trampoline_kernelINS0_14default_configENS1_25partition_config_selectorILNS1_17partition_subalgoE8EdNS0_10empty_typeEbEEZZNS1_14partition_implILS5_8ELb0ES3_jPKdPS6_PKS6_NS0_5tupleIJPdS6_EEENSE_IJSB_SB_EEENS0_18inequality_wrapperIN6hipcub16HIPCUB_304000_NS8EqualityEEEPlJS6_EEE10hipError_tPvRmT3_T4_T5_T6_T7_T9_mT8_P12ihipStream_tbDpT10_ENKUlT_T0_E_clISt17integral_constantIbLb1EES16_IbLb0EEEEDaS12_S13_EUlS12_E_NS1_11comp_targetILNS1_3genE4ELNS1_11target_archE910ELNS1_3gpuE8ELNS1_3repE0EEENS1_30default_config_static_selectorELNS0_4arch9wavefront6targetE0EEEvT1_.private_seg_size, 0
	.set _ZN7rocprim17ROCPRIM_400000_NS6detail17trampoline_kernelINS0_14default_configENS1_25partition_config_selectorILNS1_17partition_subalgoE8EdNS0_10empty_typeEbEEZZNS1_14partition_implILS5_8ELb0ES3_jPKdPS6_PKS6_NS0_5tupleIJPdS6_EEENSE_IJSB_SB_EEENS0_18inequality_wrapperIN6hipcub16HIPCUB_304000_NS8EqualityEEEPlJS6_EEE10hipError_tPvRmT3_T4_T5_T6_T7_T9_mT8_P12ihipStream_tbDpT10_ENKUlT_T0_E_clISt17integral_constantIbLb1EES16_IbLb0EEEEDaS12_S13_EUlS12_E_NS1_11comp_targetILNS1_3genE4ELNS1_11target_archE910ELNS1_3gpuE8ELNS1_3repE0EEENS1_30default_config_static_selectorELNS0_4arch9wavefront6targetE0EEEvT1_.uses_vcc, 0
	.set _ZN7rocprim17ROCPRIM_400000_NS6detail17trampoline_kernelINS0_14default_configENS1_25partition_config_selectorILNS1_17partition_subalgoE8EdNS0_10empty_typeEbEEZZNS1_14partition_implILS5_8ELb0ES3_jPKdPS6_PKS6_NS0_5tupleIJPdS6_EEENSE_IJSB_SB_EEENS0_18inequality_wrapperIN6hipcub16HIPCUB_304000_NS8EqualityEEEPlJS6_EEE10hipError_tPvRmT3_T4_T5_T6_T7_T9_mT8_P12ihipStream_tbDpT10_ENKUlT_T0_E_clISt17integral_constantIbLb1EES16_IbLb0EEEEDaS12_S13_EUlS12_E_NS1_11comp_targetILNS1_3genE4ELNS1_11target_archE910ELNS1_3gpuE8ELNS1_3repE0EEENS1_30default_config_static_selectorELNS0_4arch9wavefront6targetE0EEEvT1_.uses_flat_scratch, 0
	.set _ZN7rocprim17ROCPRIM_400000_NS6detail17trampoline_kernelINS0_14default_configENS1_25partition_config_selectorILNS1_17partition_subalgoE8EdNS0_10empty_typeEbEEZZNS1_14partition_implILS5_8ELb0ES3_jPKdPS6_PKS6_NS0_5tupleIJPdS6_EEENSE_IJSB_SB_EEENS0_18inequality_wrapperIN6hipcub16HIPCUB_304000_NS8EqualityEEEPlJS6_EEE10hipError_tPvRmT3_T4_T5_T6_T7_T9_mT8_P12ihipStream_tbDpT10_ENKUlT_T0_E_clISt17integral_constantIbLb1EES16_IbLb0EEEEDaS12_S13_EUlS12_E_NS1_11comp_targetILNS1_3genE4ELNS1_11target_archE910ELNS1_3gpuE8ELNS1_3repE0EEENS1_30default_config_static_selectorELNS0_4arch9wavefront6targetE0EEEvT1_.has_dyn_sized_stack, 0
	.set _ZN7rocprim17ROCPRIM_400000_NS6detail17trampoline_kernelINS0_14default_configENS1_25partition_config_selectorILNS1_17partition_subalgoE8EdNS0_10empty_typeEbEEZZNS1_14partition_implILS5_8ELb0ES3_jPKdPS6_PKS6_NS0_5tupleIJPdS6_EEENSE_IJSB_SB_EEENS0_18inequality_wrapperIN6hipcub16HIPCUB_304000_NS8EqualityEEEPlJS6_EEE10hipError_tPvRmT3_T4_T5_T6_T7_T9_mT8_P12ihipStream_tbDpT10_ENKUlT_T0_E_clISt17integral_constantIbLb1EES16_IbLb0EEEEDaS12_S13_EUlS12_E_NS1_11comp_targetILNS1_3genE4ELNS1_11target_archE910ELNS1_3gpuE8ELNS1_3repE0EEENS1_30default_config_static_selectorELNS0_4arch9wavefront6targetE0EEEvT1_.has_recursion, 0
	.set _ZN7rocprim17ROCPRIM_400000_NS6detail17trampoline_kernelINS0_14default_configENS1_25partition_config_selectorILNS1_17partition_subalgoE8EdNS0_10empty_typeEbEEZZNS1_14partition_implILS5_8ELb0ES3_jPKdPS6_PKS6_NS0_5tupleIJPdS6_EEENSE_IJSB_SB_EEENS0_18inequality_wrapperIN6hipcub16HIPCUB_304000_NS8EqualityEEEPlJS6_EEE10hipError_tPvRmT3_T4_T5_T6_T7_T9_mT8_P12ihipStream_tbDpT10_ENKUlT_T0_E_clISt17integral_constantIbLb1EES16_IbLb0EEEEDaS12_S13_EUlS12_E_NS1_11comp_targetILNS1_3genE4ELNS1_11target_archE910ELNS1_3gpuE8ELNS1_3repE0EEENS1_30default_config_static_selectorELNS0_4arch9wavefront6targetE0EEEvT1_.has_indirect_call, 0
	.section	.AMDGPU.csdata,"",@progbits
; Kernel info:
; codeLenInByte = 0
; TotalNumSgprs: 0
; NumVgprs: 0
; ScratchSize: 0
; MemoryBound: 0
; FloatMode: 240
; IeeeMode: 1
; LDSByteSize: 0 bytes/workgroup (compile time only)
; SGPRBlocks: 0
; VGPRBlocks: 0
; NumSGPRsForWavesPerEU: 1
; NumVGPRsForWavesPerEU: 1
; NamedBarCnt: 0
; Occupancy: 16
; WaveLimiterHint : 0
; COMPUTE_PGM_RSRC2:SCRATCH_EN: 0
; COMPUTE_PGM_RSRC2:USER_SGPR: 2
; COMPUTE_PGM_RSRC2:TRAP_HANDLER: 0
; COMPUTE_PGM_RSRC2:TGID_X_EN: 1
; COMPUTE_PGM_RSRC2:TGID_Y_EN: 0
; COMPUTE_PGM_RSRC2:TGID_Z_EN: 0
; COMPUTE_PGM_RSRC2:TIDIG_COMP_CNT: 0
	.section	.text._ZN7rocprim17ROCPRIM_400000_NS6detail17trampoline_kernelINS0_14default_configENS1_25partition_config_selectorILNS1_17partition_subalgoE8EdNS0_10empty_typeEbEEZZNS1_14partition_implILS5_8ELb0ES3_jPKdPS6_PKS6_NS0_5tupleIJPdS6_EEENSE_IJSB_SB_EEENS0_18inequality_wrapperIN6hipcub16HIPCUB_304000_NS8EqualityEEEPlJS6_EEE10hipError_tPvRmT3_T4_T5_T6_T7_T9_mT8_P12ihipStream_tbDpT10_ENKUlT_T0_E_clISt17integral_constantIbLb1EES16_IbLb0EEEEDaS12_S13_EUlS12_E_NS1_11comp_targetILNS1_3genE3ELNS1_11target_archE908ELNS1_3gpuE7ELNS1_3repE0EEENS1_30default_config_static_selectorELNS0_4arch9wavefront6targetE0EEEvT1_,"axG",@progbits,_ZN7rocprim17ROCPRIM_400000_NS6detail17trampoline_kernelINS0_14default_configENS1_25partition_config_selectorILNS1_17partition_subalgoE8EdNS0_10empty_typeEbEEZZNS1_14partition_implILS5_8ELb0ES3_jPKdPS6_PKS6_NS0_5tupleIJPdS6_EEENSE_IJSB_SB_EEENS0_18inequality_wrapperIN6hipcub16HIPCUB_304000_NS8EqualityEEEPlJS6_EEE10hipError_tPvRmT3_T4_T5_T6_T7_T9_mT8_P12ihipStream_tbDpT10_ENKUlT_T0_E_clISt17integral_constantIbLb1EES16_IbLb0EEEEDaS12_S13_EUlS12_E_NS1_11comp_targetILNS1_3genE3ELNS1_11target_archE908ELNS1_3gpuE7ELNS1_3repE0EEENS1_30default_config_static_selectorELNS0_4arch9wavefront6targetE0EEEvT1_,comdat
	.protected	_ZN7rocprim17ROCPRIM_400000_NS6detail17trampoline_kernelINS0_14default_configENS1_25partition_config_selectorILNS1_17partition_subalgoE8EdNS0_10empty_typeEbEEZZNS1_14partition_implILS5_8ELb0ES3_jPKdPS6_PKS6_NS0_5tupleIJPdS6_EEENSE_IJSB_SB_EEENS0_18inequality_wrapperIN6hipcub16HIPCUB_304000_NS8EqualityEEEPlJS6_EEE10hipError_tPvRmT3_T4_T5_T6_T7_T9_mT8_P12ihipStream_tbDpT10_ENKUlT_T0_E_clISt17integral_constantIbLb1EES16_IbLb0EEEEDaS12_S13_EUlS12_E_NS1_11comp_targetILNS1_3genE3ELNS1_11target_archE908ELNS1_3gpuE7ELNS1_3repE0EEENS1_30default_config_static_selectorELNS0_4arch9wavefront6targetE0EEEvT1_ ; -- Begin function _ZN7rocprim17ROCPRIM_400000_NS6detail17trampoline_kernelINS0_14default_configENS1_25partition_config_selectorILNS1_17partition_subalgoE8EdNS0_10empty_typeEbEEZZNS1_14partition_implILS5_8ELb0ES3_jPKdPS6_PKS6_NS0_5tupleIJPdS6_EEENSE_IJSB_SB_EEENS0_18inequality_wrapperIN6hipcub16HIPCUB_304000_NS8EqualityEEEPlJS6_EEE10hipError_tPvRmT3_T4_T5_T6_T7_T9_mT8_P12ihipStream_tbDpT10_ENKUlT_T0_E_clISt17integral_constantIbLb1EES16_IbLb0EEEEDaS12_S13_EUlS12_E_NS1_11comp_targetILNS1_3genE3ELNS1_11target_archE908ELNS1_3gpuE7ELNS1_3repE0EEENS1_30default_config_static_selectorELNS0_4arch9wavefront6targetE0EEEvT1_
	.globl	_ZN7rocprim17ROCPRIM_400000_NS6detail17trampoline_kernelINS0_14default_configENS1_25partition_config_selectorILNS1_17partition_subalgoE8EdNS0_10empty_typeEbEEZZNS1_14partition_implILS5_8ELb0ES3_jPKdPS6_PKS6_NS0_5tupleIJPdS6_EEENSE_IJSB_SB_EEENS0_18inequality_wrapperIN6hipcub16HIPCUB_304000_NS8EqualityEEEPlJS6_EEE10hipError_tPvRmT3_T4_T5_T6_T7_T9_mT8_P12ihipStream_tbDpT10_ENKUlT_T0_E_clISt17integral_constantIbLb1EES16_IbLb0EEEEDaS12_S13_EUlS12_E_NS1_11comp_targetILNS1_3genE3ELNS1_11target_archE908ELNS1_3gpuE7ELNS1_3repE0EEENS1_30default_config_static_selectorELNS0_4arch9wavefront6targetE0EEEvT1_
	.p2align	8
	.type	_ZN7rocprim17ROCPRIM_400000_NS6detail17trampoline_kernelINS0_14default_configENS1_25partition_config_selectorILNS1_17partition_subalgoE8EdNS0_10empty_typeEbEEZZNS1_14partition_implILS5_8ELb0ES3_jPKdPS6_PKS6_NS0_5tupleIJPdS6_EEENSE_IJSB_SB_EEENS0_18inequality_wrapperIN6hipcub16HIPCUB_304000_NS8EqualityEEEPlJS6_EEE10hipError_tPvRmT3_T4_T5_T6_T7_T9_mT8_P12ihipStream_tbDpT10_ENKUlT_T0_E_clISt17integral_constantIbLb1EES16_IbLb0EEEEDaS12_S13_EUlS12_E_NS1_11comp_targetILNS1_3genE3ELNS1_11target_archE908ELNS1_3gpuE7ELNS1_3repE0EEENS1_30default_config_static_selectorELNS0_4arch9wavefront6targetE0EEEvT1_,@function
_ZN7rocprim17ROCPRIM_400000_NS6detail17trampoline_kernelINS0_14default_configENS1_25partition_config_selectorILNS1_17partition_subalgoE8EdNS0_10empty_typeEbEEZZNS1_14partition_implILS5_8ELb0ES3_jPKdPS6_PKS6_NS0_5tupleIJPdS6_EEENSE_IJSB_SB_EEENS0_18inequality_wrapperIN6hipcub16HIPCUB_304000_NS8EqualityEEEPlJS6_EEE10hipError_tPvRmT3_T4_T5_T6_T7_T9_mT8_P12ihipStream_tbDpT10_ENKUlT_T0_E_clISt17integral_constantIbLb1EES16_IbLb0EEEEDaS12_S13_EUlS12_E_NS1_11comp_targetILNS1_3genE3ELNS1_11target_archE908ELNS1_3gpuE7ELNS1_3repE0EEENS1_30default_config_static_selectorELNS0_4arch9wavefront6targetE0EEEvT1_: ; @_ZN7rocprim17ROCPRIM_400000_NS6detail17trampoline_kernelINS0_14default_configENS1_25partition_config_selectorILNS1_17partition_subalgoE8EdNS0_10empty_typeEbEEZZNS1_14partition_implILS5_8ELb0ES3_jPKdPS6_PKS6_NS0_5tupleIJPdS6_EEENSE_IJSB_SB_EEENS0_18inequality_wrapperIN6hipcub16HIPCUB_304000_NS8EqualityEEEPlJS6_EEE10hipError_tPvRmT3_T4_T5_T6_T7_T9_mT8_P12ihipStream_tbDpT10_ENKUlT_T0_E_clISt17integral_constantIbLb1EES16_IbLb0EEEEDaS12_S13_EUlS12_E_NS1_11comp_targetILNS1_3genE3ELNS1_11target_archE908ELNS1_3gpuE7ELNS1_3repE0EEENS1_30default_config_static_selectorELNS0_4arch9wavefront6targetE0EEEvT1_
; %bb.0:
	.section	.rodata,"a",@progbits
	.p2align	6, 0x0
	.amdhsa_kernel _ZN7rocprim17ROCPRIM_400000_NS6detail17trampoline_kernelINS0_14default_configENS1_25partition_config_selectorILNS1_17partition_subalgoE8EdNS0_10empty_typeEbEEZZNS1_14partition_implILS5_8ELb0ES3_jPKdPS6_PKS6_NS0_5tupleIJPdS6_EEENSE_IJSB_SB_EEENS0_18inequality_wrapperIN6hipcub16HIPCUB_304000_NS8EqualityEEEPlJS6_EEE10hipError_tPvRmT3_T4_T5_T6_T7_T9_mT8_P12ihipStream_tbDpT10_ENKUlT_T0_E_clISt17integral_constantIbLb1EES16_IbLb0EEEEDaS12_S13_EUlS12_E_NS1_11comp_targetILNS1_3genE3ELNS1_11target_archE908ELNS1_3gpuE7ELNS1_3repE0EEENS1_30default_config_static_selectorELNS0_4arch9wavefront6targetE0EEEvT1_
		.amdhsa_group_segment_fixed_size 0
		.amdhsa_private_segment_fixed_size 0
		.amdhsa_kernarg_size 112
		.amdhsa_user_sgpr_count 2
		.amdhsa_user_sgpr_dispatch_ptr 0
		.amdhsa_user_sgpr_queue_ptr 0
		.amdhsa_user_sgpr_kernarg_segment_ptr 1
		.amdhsa_user_sgpr_dispatch_id 0
		.amdhsa_user_sgpr_kernarg_preload_length 0
		.amdhsa_user_sgpr_kernarg_preload_offset 0
		.amdhsa_user_sgpr_private_segment_size 0
		.amdhsa_wavefront_size32 1
		.amdhsa_uses_dynamic_stack 0
		.amdhsa_enable_private_segment 0
		.amdhsa_system_sgpr_workgroup_id_x 1
		.amdhsa_system_sgpr_workgroup_id_y 0
		.amdhsa_system_sgpr_workgroup_id_z 0
		.amdhsa_system_sgpr_workgroup_info 0
		.amdhsa_system_vgpr_workitem_id 0
		.amdhsa_next_free_vgpr 1
		.amdhsa_next_free_sgpr 1
		.amdhsa_named_barrier_count 0
		.amdhsa_reserve_vcc 0
		.amdhsa_float_round_mode_32 0
		.amdhsa_float_round_mode_16_64 0
		.amdhsa_float_denorm_mode_32 3
		.amdhsa_float_denorm_mode_16_64 3
		.amdhsa_fp16_overflow 0
		.amdhsa_memory_ordered 1
		.amdhsa_forward_progress 1
		.amdhsa_inst_pref_size 0
		.amdhsa_round_robin_scheduling 0
		.amdhsa_exception_fp_ieee_invalid_op 0
		.amdhsa_exception_fp_denorm_src 0
		.amdhsa_exception_fp_ieee_div_zero 0
		.amdhsa_exception_fp_ieee_overflow 0
		.amdhsa_exception_fp_ieee_underflow 0
		.amdhsa_exception_fp_ieee_inexact 0
		.amdhsa_exception_int_div_zero 0
	.end_amdhsa_kernel
	.section	.text._ZN7rocprim17ROCPRIM_400000_NS6detail17trampoline_kernelINS0_14default_configENS1_25partition_config_selectorILNS1_17partition_subalgoE8EdNS0_10empty_typeEbEEZZNS1_14partition_implILS5_8ELb0ES3_jPKdPS6_PKS6_NS0_5tupleIJPdS6_EEENSE_IJSB_SB_EEENS0_18inequality_wrapperIN6hipcub16HIPCUB_304000_NS8EqualityEEEPlJS6_EEE10hipError_tPvRmT3_T4_T5_T6_T7_T9_mT8_P12ihipStream_tbDpT10_ENKUlT_T0_E_clISt17integral_constantIbLb1EES16_IbLb0EEEEDaS12_S13_EUlS12_E_NS1_11comp_targetILNS1_3genE3ELNS1_11target_archE908ELNS1_3gpuE7ELNS1_3repE0EEENS1_30default_config_static_selectorELNS0_4arch9wavefront6targetE0EEEvT1_,"axG",@progbits,_ZN7rocprim17ROCPRIM_400000_NS6detail17trampoline_kernelINS0_14default_configENS1_25partition_config_selectorILNS1_17partition_subalgoE8EdNS0_10empty_typeEbEEZZNS1_14partition_implILS5_8ELb0ES3_jPKdPS6_PKS6_NS0_5tupleIJPdS6_EEENSE_IJSB_SB_EEENS0_18inequality_wrapperIN6hipcub16HIPCUB_304000_NS8EqualityEEEPlJS6_EEE10hipError_tPvRmT3_T4_T5_T6_T7_T9_mT8_P12ihipStream_tbDpT10_ENKUlT_T0_E_clISt17integral_constantIbLb1EES16_IbLb0EEEEDaS12_S13_EUlS12_E_NS1_11comp_targetILNS1_3genE3ELNS1_11target_archE908ELNS1_3gpuE7ELNS1_3repE0EEENS1_30default_config_static_selectorELNS0_4arch9wavefront6targetE0EEEvT1_,comdat
.Lfunc_end291:
	.size	_ZN7rocprim17ROCPRIM_400000_NS6detail17trampoline_kernelINS0_14default_configENS1_25partition_config_selectorILNS1_17partition_subalgoE8EdNS0_10empty_typeEbEEZZNS1_14partition_implILS5_8ELb0ES3_jPKdPS6_PKS6_NS0_5tupleIJPdS6_EEENSE_IJSB_SB_EEENS0_18inequality_wrapperIN6hipcub16HIPCUB_304000_NS8EqualityEEEPlJS6_EEE10hipError_tPvRmT3_T4_T5_T6_T7_T9_mT8_P12ihipStream_tbDpT10_ENKUlT_T0_E_clISt17integral_constantIbLb1EES16_IbLb0EEEEDaS12_S13_EUlS12_E_NS1_11comp_targetILNS1_3genE3ELNS1_11target_archE908ELNS1_3gpuE7ELNS1_3repE0EEENS1_30default_config_static_selectorELNS0_4arch9wavefront6targetE0EEEvT1_, .Lfunc_end291-_ZN7rocprim17ROCPRIM_400000_NS6detail17trampoline_kernelINS0_14default_configENS1_25partition_config_selectorILNS1_17partition_subalgoE8EdNS0_10empty_typeEbEEZZNS1_14partition_implILS5_8ELb0ES3_jPKdPS6_PKS6_NS0_5tupleIJPdS6_EEENSE_IJSB_SB_EEENS0_18inequality_wrapperIN6hipcub16HIPCUB_304000_NS8EqualityEEEPlJS6_EEE10hipError_tPvRmT3_T4_T5_T6_T7_T9_mT8_P12ihipStream_tbDpT10_ENKUlT_T0_E_clISt17integral_constantIbLb1EES16_IbLb0EEEEDaS12_S13_EUlS12_E_NS1_11comp_targetILNS1_3genE3ELNS1_11target_archE908ELNS1_3gpuE7ELNS1_3repE0EEENS1_30default_config_static_selectorELNS0_4arch9wavefront6targetE0EEEvT1_
                                        ; -- End function
	.set _ZN7rocprim17ROCPRIM_400000_NS6detail17trampoline_kernelINS0_14default_configENS1_25partition_config_selectorILNS1_17partition_subalgoE8EdNS0_10empty_typeEbEEZZNS1_14partition_implILS5_8ELb0ES3_jPKdPS6_PKS6_NS0_5tupleIJPdS6_EEENSE_IJSB_SB_EEENS0_18inequality_wrapperIN6hipcub16HIPCUB_304000_NS8EqualityEEEPlJS6_EEE10hipError_tPvRmT3_T4_T5_T6_T7_T9_mT8_P12ihipStream_tbDpT10_ENKUlT_T0_E_clISt17integral_constantIbLb1EES16_IbLb0EEEEDaS12_S13_EUlS12_E_NS1_11comp_targetILNS1_3genE3ELNS1_11target_archE908ELNS1_3gpuE7ELNS1_3repE0EEENS1_30default_config_static_selectorELNS0_4arch9wavefront6targetE0EEEvT1_.num_vgpr, 0
	.set _ZN7rocprim17ROCPRIM_400000_NS6detail17trampoline_kernelINS0_14default_configENS1_25partition_config_selectorILNS1_17partition_subalgoE8EdNS0_10empty_typeEbEEZZNS1_14partition_implILS5_8ELb0ES3_jPKdPS6_PKS6_NS0_5tupleIJPdS6_EEENSE_IJSB_SB_EEENS0_18inequality_wrapperIN6hipcub16HIPCUB_304000_NS8EqualityEEEPlJS6_EEE10hipError_tPvRmT3_T4_T5_T6_T7_T9_mT8_P12ihipStream_tbDpT10_ENKUlT_T0_E_clISt17integral_constantIbLb1EES16_IbLb0EEEEDaS12_S13_EUlS12_E_NS1_11comp_targetILNS1_3genE3ELNS1_11target_archE908ELNS1_3gpuE7ELNS1_3repE0EEENS1_30default_config_static_selectorELNS0_4arch9wavefront6targetE0EEEvT1_.num_agpr, 0
	.set _ZN7rocprim17ROCPRIM_400000_NS6detail17trampoline_kernelINS0_14default_configENS1_25partition_config_selectorILNS1_17partition_subalgoE8EdNS0_10empty_typeEbEEZZNS1_14partition_implILS5_8ELb0ES3_jPKdPS6_PKS6_NS0_5tupleIJPdS6_EEENSE_IJSB_SB_EEENS0_18inequality_wrapperIN6hipcub16HIPCUB_304000_NS8EqualityEEEPlJS6_EEE10hipError_tPvRmT3_T4_T5_T6_T7_T9_mT8_P12ihipStream_tbDpT10_ENKUlT_T0_E_clISt17integral_constantIbLb1EES16_IbLb0EEEEDaS12_S13_EUlS12_E_NS1_11comp_targetILNS1_3genE3ELNS1_11target_archE908ELNS1_3gpuE7ELNS1_3repE0EEENS1_30default_config_static_selectorELNS0_4arch9wavefront6targetE0EEEvT1_.numbered_sgpr, 0
	.set _ZN7rocprim17ROCPRIM_400000_NS6detail17trampoline_kernelINS0_14default_configENS1_25partition_config_selectorILNS1_17partition_subalgoE8EdNS0_10empty_typeEbEEZZNS1_14partition_implILS5_8ELb0ES3_jPKdPS6_PKS6_NS0_5tupleIJPdS6_EEENSE_IJSB_SB_EEENS0_18inequality_wrapperIN6hipcub16HIPCUB_304000_NS8EqualityEEEPlJS6_EEE10hipError_tPvRmT3_T4_T5_T6_T7_T9_mT8_P12ihipStream_tbDpT10_ENKUlT_T0_E_clISt17integral_constantIbLb1EES16_IbLb0EEEEDaS12_S13_EUlS12_E_NS1_11comp_targetILNS1_3genE3ELNS1_11target_archE908ELNS1_3gpuE7ELNS1_3repE0EEENS1_30default_config_static_selectorELNS0_4arch9wavefront6targetE0EEEvT1_.num_named_barrier, 0
	.set _ZN7rocprim17ROCPRIM_400000_NS6detail17trampoline_kernelINS0_14default_configENS1_25partition_config_selectorILNS1_17partition_subalgoE8EdNS0_10empty_typeEbEEZZNS1_14partition_implILS5_8ELb0ES3_jPKdPS6_PKS6_NS0_5tupleIJPdS6_EEENSE_IJSB_SB_EEENS0_18inequality_wrapperIN6hipcub16HIPCUB_304000_NS8EqualityEEEPlJS6_EEE10hipError_tPvRmT3_T4_T5_T6_T7_T9_mT8_P12ihipStream_tbDpT10_ENKUlT_T0_E_clISt17integral_constantIbLb1EES16_IbLb0EEEEDaS12_S13_EUlS12_E_NS1_11comp_targetILNS1_3genE3ELNS1_11target_archE908ELNS1_3gpuE7ELNS1_3repE0EEENS1_30default_config_static_selectorELNS0_4arch9wavefront6targetE0EEEvT1_.private_seg_size, 0
	.set _ZN7rocprim17ROCPRIM_400000_NS6detail17trampoline_kernelINS0_14default_configENS1_25partition_config_selectorILNS1_17partition_subalgoE8EdNS0_10empty_typeEbEEZZNS1_14partition_implILS5_8ELb0ES3_jPKdPS6_PKS6_NS0_5tupleIJPdS6_EEENSE_IJSB_SB_EEENS0_18inequality_wrapperIN6hipcub16HIPCUB_304000_NS8EqualityEEEPlJS6_EEE10hipError_tPvRmT3_T4_T5_T6_T7_T9_mT8_P12ihipStream_tbDpT10_ENKUlT_T0_E_clISt17integral_constantIbLb1EES16_IbLb0EEEEDaS12_S13_EUlS12_E_NS1_11comp_targetILNS1_3genE3ELNS1_11target_archE908ELNS1_3gpuE7ELNS1_3repE0EEENS1_30default_config_static_selectorELNS0_4arch9wavefront6targetE0EEEvT1_.uses_vcc, 0
	.set _ZN7rocprim17ROCPRIM_400000_NS6detail17trampoline_kernelINS0_14default_configENS1_25partition_config_selectorILNS1_17partition_subalgoE8EdNS0_10empty_typeEbEEZZNS1_14partition_implILS5_8ELb0ES3_jPKdPS6_PKS6_NS0_5tupleIJPdS6_EEENSE_IJSB_SB_EEENS0_18inequality_wrapperIN6hipcub16HIPCUB_304000_NS8EqualityEEEPlJS6_EEE10hipError_tPvRmT3_T4_T5_T6_T7_T9_mT8_P12ihipStream_tbDpT10_ENKUlT_T0_E_clISt17integral_constantIbLb1EES16_IbLb0EEEEDaS12_S13_EUlS12_E_NS1_11comp_targetILNS1_3genE3ELNS1_11target_archE908ELNS1_3gpuE7ELNS1_3repE0EEENS1_30default_config_static_selectorELNS0_4arch9wavefront6targetE0EEEvT1_.uses_flat_scratch, 0
	.set _ZN7rocprim17ROCPRIM_400000_NS6detail17trampoline_kernelINS0_14default_configENS1_25partition_config_selectorILNS1_17partition_subalgoE8EdNS0_10empty_typeEbEEZZNS1_14partition_implILS5_8ELb0ES3_jPKdPS6_PKS6_NS0_5tupleIJPdS6_EEENSE_IJSB_SB_EEENS0_18inequality_wrapperIN6hipcub16HIPCUB_304000_NS8EqualityEEEPlJS6_EEE10hipError_tPvRmT3_T4_T5_T6_T7_T9_mT8_P12ihipStream_tbDpT10_ENKUlT_T0_E_clISt17integral_constantIbLb1EES16_IbLb0EEEEDaS12_S13_EUlS12_E_NS1_11comp_targetILNS1_3genE3ELNS1_11target_archE908ELNS1_3gpuE7ELNS1_3repE0EEENS1_30default_config_static_selectorELNS0_4arch9wavefront6targetE0EEEvT1_.has_dyn_sized_stack, 0
	.set _ZN7rocprim17ROCPRIM_400000_NS6detail17trampoline_kernelINS0_14default_configENS1_25partition_config_selectorILNS1_17partition_subalgoE8EdNS0_10empty_typeEbEEZZNS1_14partition_implILS5_8ELb0ES3_jPKdPS6_PKS6_NS0_5tupleIJPdS6_EEENSE_IJSB_SB_EEENS0_18inequality_wrapperIN6hipcub16HIPCUB_304000_NS8EqualityEEEPlJS6_EEE10hipError_tPvRmT3_T4_T5_T6_T7_T9_mT8_P12ihipStream_tbDpT10_ENKUlT_T0_E_clISt17integral_constantIbLb1EES16_IbLb0EEEEDaS12_S13_EUlS12_E_NS1_11comp_targetILNS1_3genE3ELNS1_11target_archE908ELNS1_3gpuE7ELNS1_3repE0EEENS1_30default_config_static_selectorELNS0_4arch9wavefront6targetE0EEEvT1_.has_recursion, 0
	.set _ZN7rocprim17ROCPRIM_400000_NS6detail17trampoline_kernelINS0_14default_configENS1_25partition_config_selectorILNS1_17partition_subalgoE8EdNS0_10empty_typeEbEEZZNS1_14partition_implILS5_8ELb0ES3_jPKdPS6_PKS6_NS0_5tupleIJPdS6_EEENSE_IJSB_SB_EEENS0_18inequality_wrapperIN6hipcub16HIPCUB_304000_NS8EqualityEEEPlJS6_EEE10hipError_tPvRmT3_T4_T5_T6_T7_T9_mT8_P12ihipStream_tbDpT10_ENKUlT_T0_E_clISt17integral_constantIbLb1EES16_IbLb0EEEEDaS12_S13_EUlS12_E_NS1_11comp_targetILNS1_3genE3ELNS1_11target_archE908ELNS1_3gpuE7ELNS1_3repE0EEENS1_30default_config_static_selectorELNS0_4arch9wavefront6targetE0EEEvT1_.has_indirect_call, 0
	.section	.AMDGPU.csdata,"",@progbits
; Kernel info:
; codeLenInByte = 0
; TotalNumSgprs: 0
; NumVgprs: 0
; ScratchSize: 0
; MemoryBound: 0
; FloatMode: 240
; IeeeMode: 1
; LDSByteSize: 0 bytes/workgroup (compile time only)
; SGPRBlocks: 0
; VGPRBlocks: 0
; NumSGPRsForWavesPerEU: 1
; NumVGPRsForWavesPerEU: 1
; NamedBarCnt: 0
; Occupancy: 16
; WaveLimiterHint : 0
; COMPUTE_PGM_RSRC2:SCRATCH_EN: 0
; COMPUTE_PGM_RSRC2:USER_SGPR: 2
; COMPUTE_PGM_RSRC2:TRAP_HANDLER: 0
; COMPUTE_PGM_RSRC2:TGID_X_EN: 1
; COMPUTE_PGM_RSRC2:TGID_Y_EN: 0
; COMPUTE_PGM_RSRC2:TGID_Z_EN: 0
; COMPUTE_PGM_RSRC2:TIDIG_COMP_CNT: 0
	.section	.text._ZN7rocprim17ROCPRIM_400000_NS6detail17trampoline_kernelINS0_14default_configENS1_25partition_config_selectorILNS1_17partition_subalgoE8EdNS0_10empty_typeEbEEZZNS1_14partition_implILS5_8ELb0ES3_jPKdPS6_PKS6_NS0_5tupleIJPdS6_EEENSE_IJSB_SB_EEENS0_18inequality_wrapperIN6hipcub16HIPCUB_304000_NS8EqualityEEEPlJS6_EEE10hipError_tPvRmT3_T4_T5_T6_T7_T9_mT8_P12ihipStream_tbDpT10_ENKUlT_T0_E_clISt17integral_constantIbLb1EES16_IbLb0EEEEDaS12_S13_EUlS12_E_NS1_11comp_targetILNS1_3genE2ELNS1_11target_archE906ELNS1_3gpuE6ELNS1_3repE0EEENS1_30default_config_static_selectorELNS0_4arch9wavefront6targetE0EEEvT1_,"axG",@progbits,_ZN7rocprim17ROCPRIM_400000_NS6detail17trampoline_kernelINS0_14default_configENS1_25partition_config_selectorILNS1_17partition_subalgoE8EdNS0_10empty_typeEbEEZZNS1_14partition_implILS5_8ELb0ES3_jPKdPS6_PKS6_NS0_5tupleIJPdS6_EEENSE_IJSB_SB_EEENS0_18inequality_wrapperIN6hipcub16HIPCUB_304000_NS8EqualityEEEPlJS6_EEE10hipError_tPvRmT3_T4_T5_T6_T7_T9_mT8_P12ihipStream_tbDpT10_ENKUlT_T0_E_clISt17integral_constantIbLb1EES16_IbLb0EEEEDaS12_S13_EUlS12_E_NS1_11comp_targetILNS1_3genE2ELNS1_11target_archE906ELNS1_3gpuE6ELNS1_3repE0EEENS1_30default_config_static_selectorELNS0_4arch9wavefront6targetE0EEEvT1_,comdat
	.protected	_ZN7rocprim17ROCPRIM_400000_NS6detail17trampoline_kernelINS0_14default_configENS1_25partition_config_selectorILNS1_17partition_subalgoE8EdNS0_10empty_typeEbEEZZNS1_14partition_implILS5_8ELb0ES3_jPKdPS6_PKS6_NS0_5tupleIJPdS6_EEENSE_IJSB_SB_EEENS0_18inequality_wrapperIN6hipcub16HIPCUB_304000_NS8EqualityEEEPlJS6_EEE10hipError_tPvRmT3_T4_T5_T6_T7_T9_mT8_P12ihipStream_tbDpT10_ENKUlT_T0_E_clISt17integral_constantIbLb1EES16_IbLb0EEEEDaS12_S13_EUlS12_E_NS1_11comp_targetILNS1_3genE2ELNS1_11target_archE906ELNS1_3gpuE6ELNS1_3repE0EEENS1_30default_config_static_selectorELNS0_4arch9wavefront6targetE0EEEvT1_ ; -- Begin function _ZN7rocprim17ROCPRIM_400000_NS6detail17trampoline_kernelINS0_14default_configENS1_25partition_config_selectorILNS1_17partition_subalgoE8EdNS0_10empty_typeEbEEZZNS1_14partition_implILS5_8ELb0ES3_jPKdPS6_PKS6_NS0_5tupleIJPdS6_EEENSE_IJSB_SB_EEENS0_18inequality_wrapperIN6hipcub16HIPCUB_304000_NS8EqualityEEEPlJS6_EEE10hipError_tPvRmT3_T4_T5_T6_T7_T9_mT8_P12ihipStream_tbDpT10_ENKUlT_T0_E_clISt17integral_constantIbLb1EES16_IbLb0EEEEDaS12_S13_EUlS12_E_NS1_11comp_targetILNS1_3genE2ELNS1_11target_archE906ELNS1_3gpuE6ELNS1_3repE0EEENS1_30default_config_static_selectorELNS0_4arch9wavefront6targetE0EEEvT1_
	.globl	_ZN7rocprim17ROCPRIM_400000_NS6detail17trampoline_kernelINS0_14default_configENS1_25partition_config_selectorILNS1_17partition_subalgoE8EdNS0_10empty_typeEbEEZZNS1_14partition_implILS5_8ELb0ES3_jPKdPS6_PKS6_NS0_5tupleIJPdS6_EEENSE_IJSB_SB_EEENS0_18inequality_wrapperIN6hipcub16HIPCUB_304000_NS8EqualityEEEPlJS6_EEE10hipError_tPvRmT3_T4_T5_T6_T7_T9_mT8_P12ihipStream_tbDpT10_ENKUlT_T0_E_clISt17integral_constantIbLb1EES16_IbLb0EEEEDaS12_S13_EUlS12_E_NS1_11comp_targetILNS1_3genE2ELNS1_11target_archE906ELNS1_3gpuE6ELNS1_3repE0EEENS1_30default_config_static_selectorELNS0_4arch9wavefront6targetE0EEEvT1_
	.p2align	8
	.type	_ZN7rocprim17ROCPRIM_400000_NS6detail17trampoline_kernelINS0_14default_configENS1_25partition_config_selectorILNS1_17partition_subalgoE8EdNS0_10empty_typeEbEEZZNS1_14partition_implILS5_8ELb0ES3_jPKdPS6_PKS6_NS0_5tupleIJPdS6_EEENSE_IJSB_SB_EEENS0_18inequality_wrapperIN6hipcub16HIPCUB_304000_NS8EqualityEEEPlJS6_EEE10hipError_tPvRmT3_T4_T5_T6_T7_T9_mT8_P12ihipStream_tbDpT10_ENKUlT_T0_E_clISt17integral_constantIbLb1EES16_IbLb0EEEEDaS12_S13_EUlS12_E_NS1_11comp_targetILNS1_3genE2ELNS1_11target_archE906ELNS1_3gpuE6ELNS1_3repE0EEENS1_30default_config_static_selectorELNS0_4arch9wavefront6targetE0EEEvT1_,@function
_ZN7rocprim17ROCPRIM_400000_NS6detail17trampoline_kernelINS0_14default_configENS1_25partition_config_selectorILNS1_17partition_subalgoE8EdNS0_10empty_typeEbEEZZNS1_14partition_implILS5_8ELb0ES3_jPKdPS6_PKS6_NS0_5tupleIJPdS6_EEENSE_IJSB_SB_EEENS0_18inequality_wrapperIN6hipcub16HIPCUB_304000_NS8EqualityEEEPlJS6_EEE10hipError_tPvRmT3_T4_T5_T6_T7_T9_mT8_P12ihipStream_tbDpT10_ENKUlT_T0_E_clISt17integral_constantIbLb1EES16_IbLb0EEEEDaS12_S13_EUlS12_E_NS1_11comp_targetILNS1_3genE2ELNS1_11target_archE906ELNS1_3gpuE6ELNS1_3repE0EEENS1_30default_config_static_selectorELNS0_4arch9wavefront6targetE0EEEvT1_: ; @_ZN7rocprim17ROCPRIM_400000_NS6detail17trampoline_kernelINS0_14default_configENS1_25partition_config_selectorILNS1_17partition_subalgoE8EdNS0_10empty_typeEbEEZZNS1_14partition_implILS5_8ELb0ES3_jPKdPS6_PKS6_NS0_5tupleIJPdS6_EEENSE_IJSB_SB_EEENS0_18inequality_wrapperIN6hipcub16HIPCUB_304000_NS8EqualityEEEPlJS6_EEE10hipError_tPvRmT3_T4_T5_T6_T7_T9_mT8_P12ihipStream_tbDpT10_ENKUlT_T0_E_clISt17integral_constantIbLb1EES16_IbLb0EEEEDaS12_S13_EUlS12_E_NS1_11comp_targetILNS1_3genE2ELNS1_11target_archE906ELNS1_3gpuE6ELNS1_3repE0EEENS1_30default_config_static_selectorELNS0_4arch9wavefront6targetE0EEEvT1_
; %bb.0:
	.section	.rodata,"a",@progbits
	.p2align	6, 0x0
	.amdhsa_kernel _ZN7rocprim17ROCPRIM_400000_NS6detail17trampoline_kernelINS0_14default_configENS1_25partition_config_selectorILNS1_17partition_subalgoE8EdNS0_10empty_typeEbEEZZNS1_14partition_implILS5_8ELb0ES3_jPKdPS6_PKS6_NS0_5tupleIJPdS6_EEENSE_IJSB_SB_EEENS0_18inequality_wrapperIN6hipcub16HIPCUB_304000_NS8EqualityEEEPlJS6_EEE10hipError_tPvRmT3_T4_T5_T6_T7_T9_mT8_P12ihipStream_tbDpT10_ENKUlT_T0_E_clISt17integral_constantIbLb1EES16_IbLb0EEEEDaS12_S13_EUlS12_E_NS1_11comp_targetILNS1_3genE2ELNS1_11target_archE906ELNS1_3gpuE6ELNS1_3repE0EEENS1_30default_config_static_selectorELNS0_4arch9wavefront6targetE0EEEvT1_
		.amdhsa_group_segment_fixed_size 0
		.amdhsa_private_segment_fixed_size 0
		.amdhsa_kernarg_size 112
		.amdhsa_user_sgpr_count 2
		.amdhsa_user_sgpr_dispatch_ptr 0
		.amdhsa_user_sgpr_queue_ptr 0
		.amdhsa_user_sgpr_kernarg_segment_ptr 1
		.amdhsa_user_sgpr_dispatch_id 0
		.amdhsa_user_sgpr_kernarg_preload_length 0
		.amdhsa_user_sgpr_kernarg_preload_offset 0
		.amdhsa_user_sgpr_private_segment_size 0
		.amdhsa_wavefront_size32 1
		.amdhsa_uses_dynamic_stack 0
		.amdhsa_enable_private_segment 0
		.amdhsa_system_sgpr_workgroup_id_x 1
		.amdhsa_system_sgpr_workgroup_id_y 0
		.amdhsa_system_sgpr_workgroup_id_z 0
		.amdhsa_system_sgpr_workgroup_info 0
		.amdhsa_system_vgpr_workitem_id 0
		.amdhsa_next_free_vgpr 1
		.amdhsa_next_free_sgpr 1
		.amdhsa_named_barrier_count 0
		.amdhsa_reserve_vcc 0
		.amdhsa_float_round_mode_32 0
		.amdhsa_float_round_mode_16_64 0
		.amdhsa_float_denorm_mode_32 3
		.amdhsa_float_denorm_mode_16_64 3
		.amdhsa_fp16_overflow 0
		.amdhsa_memory_ordered 1
		.amdhsa_forward_progress 1
		.amdhsa_inst_pref_size 0
		.amdhsa_round_robin_scheduling 0
		.amdhsa_exception_fp_ieee_invalid_op 0
		.amdhsa_exception_fp_denorm_src 0
		.amdhsa_exception_fp_ieee_div_zero 0
		.amdhsa_exception_fp_ieee_overflow 0
		.amdhsa_exception_fp_ieee_underflow 0
		.amdhsa_exception_fp_ieee_inexact 0
		.amdhsa_exception_int_div_zero 0
	.end_amdhsa_kernel
	.section	.text._ZN7rocprim17ROCPRIM_400000_NS6detail17trampoline_kernelINS0_14default_configENS1_25partition_config_selectorILNS1_17partition_subalgoE8EdNS0_10empty_typeEbEEZZNS1_14partition_implILS5_8ELb0ES3_jPKdPS6_PKS6_NS0_5tupleIJPdS6_EEENSE_IJSB_SB_EEENS0_18inequality_wrapperIN6hipcub16HIPCUB_304000_NS8EqualityEEEPlJS6_EEE10hipError_tPvRmT3_T4_T5_T6_T7_T9_mT8_P12ihipStream_tbDpT10_ENKUlT_T0_E_clISt17integral_constantIbLb1EES16_IbLb0EEEEDaS12_S13_EUlS12_E_NS1_11comp_targetILNS1_3genE2ELNS1_11target_archE906ELNS1_3gpuE6ELNS1_3repE0EEENS1_30default_config_static_selectorELNS0_4arch9wavefront6targetE0EEEvT1_,"axG",@progbits,_ZN7rocprim17ROCPRIM_400000_NS6detail17trampoline_kernelINS0_14default_configENS1_25partition_config_selectorILNS1_17partition_subalgoE8EdNS0_10empty_typeEbEEZZNS1_14partition_implILS5_8ELb0ES3_jPKdPS6_PKS6_NS0_5tupleIJPdS6_EEENSE_IJSB_SB_EEENS0_18inequality_wrapperIN6hipcub16HIPCUB_304000_NS8EqualityEEEPlJS6_EEE10hipError_tPvRmT3_T4_T5_T6_T7_T9_mT8_P12ihipStream_tbDpT10_ENKUlT_T0_E_clISt17integral_constantIbLb1EES16_IbLb0EEEEDaS12_S13_EUlS12_E_NS1_11comp_targetILNS1_3genE2ELNS1_11target_archE906ELNS1_3gpuE6ELNS1_3repE0EEENS1_30default_config_static_selectorELNS0_4arch9wavefront6targetE0EEEvT1_,comdat
.Lfunc_end292:
	.size	_ZN7rocprim17ROCPRIM_400000_NS6detail17trampoline_kernelINS0_14default_configENS1_25partition_config_selectorILNS1_17partition_subalgoE8EdNS0_10empty_typeEbEEZZNS1_14partition_implILS5_8ELb0ES3_jPKdPS6_PKS6_NS0_5tupleIJPdS6_EEENSE_IJSB_SB_EEENS0_18inequality_wrapperIN6hipcub16HIPCUB_304000_NS8EqualityEEEPlJS6_EEE10hipError_tPvRmT3_T4_T5_T6_T7_T9_mT8_P12ihipStream_tbDpT10_ENKUlT_T0_E_clISt17integral_constantIbLb1EES16_IbLb0EEEEDaS12_S13_EUlS12_E_NS1_11comp_targetILNS1_3genE2ELNS1_11target_archE906ELNS1_3gpuE6ELNS1_3repE0EEENS1_30default_config_static_selectorELNS0_4arch9wavefront6targetE0EEEvT1_, .Lfunc_end292-_ZN7rocprim17ROCPRIM_400000_NS6detail17trampoline_kernelINS0_14default_configENS1_25partition_config_selectorILNS1_17partition_subalgoE8EdNS0_10empty_typeEbEEZZNS1_14partition_implILS5_8ELb0ES3_jPKdPS6_PKS6_NS0_5tupleIJPdS6_EEENSE_IJSB_SB_EEENS0_18inequality_wrapperIN6hipcub16HIPCUB_304000_NS8EqualityEEEPlJS6_EEE10hipError_tPvRmT3_T4_T5_T6_T7_T9_mT8_P12ihipStream_tbDpT10_ENKUlT_T0_E_clISt17integral_constantIbLb1EES16_IbLb0EEEEDaS12_S13_EUlS12_E_NS1_11comp_targetILNS1_3genE2ELNS1_11target_archE906ELNS1_3gpuE6ELNS1_3repE0EEENS1_30default_config_static_selectorELNS0_4arch9wavefront6targetE0EEEvT1_
                                        ; -- End function
	.set _ZN7rocprim17ROCPRIM_400000_NS6detail17trampoline_kernelINS0_14default_configENS1_25partition_config_selectorILNS1_17partition_subalgoE8EdNS0_10empty_typeEbEEZZNS1_14partition_implILS5_8ELb0ES3_jPKdPS6_PKS6_NS0_5tupleIJPdS6_EEENSE_IJSB_SB_EEENS0_18inequality_wrapperIN6hipcub16HIPCUB_304000_NS8EqualityEEEPlJS6_EEE10hipError_tPvRmT3_T4_T5_T6_T7_T9_mT8_P12ihipStream_tbDpT10_ENKUlT_T0_E_clISt17integral_constantIbLb1EES16_IbLb0EEEEDaS12_S13_EUlS12_E_NS1_11comp_targetILNS1_3genE2ELNS1_11target_archE906ELNS1_3gpuE6ELNS1_3repE0EEENS1_30default_config_static_selectorELNS0_4arch9wavefront6targetE0EEEvT1_.num_vgpr, 0
	.set _ZN7rocprim17ROCPRIM_400000_NS6detail17trampoline_kernelINS0_14default_configENS1_25partition_config_selectorILNS1_17partition_subalgoE8EdNS0_10empty_typeEbEEZZNS1_14partition_implILS5_8ELb0ES3_jPKdPS6_PKS6_NS0_5tupleIJPdS6_EEENSE_IJSB_SB_EEENS0_18inequality_wrapperIN6hipcub16HIPCUB_304000_NS8EqualityEEEPlJS6_EEE10hipError_tPvRmT3_T4_T5_T6_T7_T9_mT8_P12ihipStream_tbDpT10_ENKUlT_T0_E_clISt17integral_constantIbLb1EES16_IbLb0EEEEDaS12_S13_EUlS12_E_NS1_11comp_targetILNS1_3genE2ELNS1_11target_archE906ELNS1_3gpuE6ELNS1_3repE0EEENS1_30default_config_static_selectorELNS0_4arch9wavefront6targetE0EEEvT1_.num_agpr, 0
	.set _ZN7rocprim17ROCPRIM_400000_NS6detail17trampoline_kernelINS0_14default_configENS1_25partition_config_selectorILNS1_17partition_subalgoE8EdNS0_10empty_typeEbEEZZNS1_14partition_implILS5_8ELb0ES3_jPKdPS6_PKS6_NS0_5tupleIJPdS6_EEENSE_IJSB_SB_EEENS0_18inequality_wrapperIN6hipcub16HIPCUB_304000_NS8EqualityEEEPlJS6_EEE10hipError_tPvRmT3_T4_T5_T6_T7_T9_mT8_P12ihipStream_tbDpT10_ENKUlT_T0_E_clISt17integral_constantIbLb1EES16_IbLb0EEEEDaS12_S13_EUlS12_E_NS1_11comp_targetILNS1_3genE2ELNS1_11target_archE906ELNS1_3gpuE6ELNS1_3repE0EEENS1_30default_config_static_selectorELNS0_4arch9wavefront6targetE0EEEvT1_.numbered_sgpr, 0
	.set _ZN7rocprim17ROCPRIM_400000_NS6detail17trampoline_kernelINS0_14default_configENS1_25partition_config_selectorILNS1_17partition_subalgoE8EdNS0_10empty_typeEbEEZZNS1_14partition_implILS5_8ELb0ES3_jPKdPS6_PKS6_NS0_5tupleIJPdS6_EEENSE_IJSB_SB_EEENS0_18inequality_wrapperIN6hipcub16HIPCUB_304000_NS8EqualityEEEPlJS6_EEE10hipError_tPvRmT3_T4_T5_T6_T7_T9_mT8_P12ihipStream_tbDpT10_ENKUlT_T0_E_clISt17integral_constantIbLb1EES16_IbLb0EEEEDaS12_S13_EUlS12_E_NS1_11comp_targetILNS1_3genE2ELNS1_11target_archE906ELNS1_3gpuE6ELNS1_3repE0EEENS1_30default_config_static_selectorELNS0_4arch9wavefront6targetE0EEEvT1_.num_named_barrier, 0
	.set _ZN7rocprim17ROCPRIM_400000_NS6detail17trampoline_kernelINS0_14default_configENS1_25partition_config_selectorILNS1_17partition_subalgoE8EdNS0_10empty_typeEbEEZZNS1_14partition_implILS5_8ELb0ES3_jPKdPS6_PKS6_NS0_5tupleIJPdS6_EEENSE_IJSB_SB_EEENS0_18inequality_wrapperIN6hipcub16HIPCUB_304000_NS8EqualityEEEPlJS6_EEE10hipError_tPvRmT3_T4_T5_T6_T7_T9_mT8_P12ihipStream_tbDpT10_ENKUlT_T0_E_clISt17integral_constantIbLb1EES16_IbLb0EEEEDaS12_S13_EUlS12_E_NS1_11comp_targetILNS1_3genE2ELNS1_11target_archE906ELNS1_3gpuE6ELNS1_3repE0EEENS1_30default_config_static_selectorELNS0_4arch9wavefront6targetE0EEEvT1_.private_seg_size, 0
	.set _ZN7rocprim17ROCPRIM_400000_NS6detail17trampoline_kernelINS0_14default_configENS1_25partition_config_selectorILNS1_17partition_subalgoE8EdNS0_10empty_typeEbEEZZNS1_14partition_implILS5_8ELb0ES3_jPKdPS6_PKS6_NS0_5tupleIJPdS6_EEENSE_IJSB_SB_EEENS0_18inequality_wrapperIN6hipcub16HIPCUB_304000_NS8EqualityEEEPlJS6_EEE10hipError_tPvRmT3_T4_T5_T6_T7_T9_mT8_P12ihipStream_tbDpT10_ENKUlT_T0_E_clISt17integral_constantIbLb1EES16_IbLb0EEEEDaS12_S13_EUlS12_E_NS1_11comp_targetILNS1_3genE2ELNS1_11target_archE906ELNS1_3gpuE6ELNS1_3repE0EEENS1_30default_config_static_selectorELNS0_4arch9wavefront6targetE0EEEvT1_.uses_vcc, 0
	.set _ZN7rocprim17ROCPRIM_400000_NS6detail17trampoline_kernelINS0_14default_configENS1_25partition_config_selectorILNS1_17partition_subalgoE8EdNS0_10empty_typeEbEEZZNS1_14partition_implILS5_8ELb0ES3_jPKdPS6_PKS6_NS0_5tupleIJPdS6_EEENSE_IJSB_SB_EEENS0_18inequality_wrapperIN6hipcub16HIPCUB_304000_NS8EqualityEEEPlJS6_EEE10hipError_tPvRmT3_T4_T5_T6_T7_T9_mT8_P12ihipStream_tbDpT10_ENKUlT_T0_E_clISt17integral_constantIbLb1EES16_IbLb0EEEEDaS12_S13_EUlS12_E_NS1_11comp_targetILNS1_3genE2ELNS1_11target_archE906ELNS1_3gpuE6ELNS1_3repE0EEENS1_30default_config_static_selectorELNS0_4arch9wavefront6targetE0EEEvT1_.uses_flat_scratch, 0
	.set _ZN7rocprim17ROCPRIM_400000_NS6detail17trampoline_kernelINS0_14default_configENS1_25partition_config_selectorILNS1_17partition_subalgoE8EdNS0_10empty_typeEbEEZZNS1_14partition_implILS5_8ELb0ES3_jPKdPS6_PKS6_NS0_5tupleIJPdS6_EEENSE_IJSB_SB_EEENS0_18inequality_wrapperIN6hipcub16HIPCUB_304000_NS8EqualityEEEPlJS6_EEE10hipError_tPvRmT3_T4_T5_T6_T7_T9_mT8_P12ihipStream_tbDpT10_ENKUlT_T0_E_clISt17integral_constantIbLb1EES16_IbLb0EEEEDaS12_S13_EUlS12_E_NS1_11comp_targetILNS1_3genE2ELNS1_11target_archE906ELNS1_3gpuE6ELNS1_3repE0EEENS1_30default_config_static_selectorELNS0_4arch9wavefront6targetE0EEEvT1_.has_dyn_sized_stack, 0
	.set _ZN7rocprim17ROCPRIM_400000_NS6detail17trampoline_kernelINS0_14default_configENS1_25partition_config_selectorILNS1_17partition_subalgoE8EdNS0_10empty_typeEbEEZZNS1_14partition_implILS5_8ELb0ES3_jPKdPS6_PKS6_NS0_5tupleIJPdS6_EEENSE_IJSB_SB_EEENS0_18inequality_wrapperIN6hipcub16HIPCUB_304000_NS8EqualityEEEPlJS6_EEE10hipError_tPvRmT3_T4_T5_T6_T7_T9_mT8_P12ihipStream_tbDpT10_ENKUlT_T0_E_clISt17integral_constantIbLb1EES16_IbLb0EEEEDaS12_S13_EUlS12_E_NS1_11comp_targetILNS1_3genE2ELNS1_11target_archE906ELNS1_3gpuE6ELNS1_3repE0EEENS1_30default_config_static_selectorELNS0_4arch9wavefront6targetE0EEEvT1_.has_recursion, 0
	.set _ZN7rocprim17ROCPRIM_400000_NS6detail17trampoline_kernelINS0_14default_configENS1_25partition_config_selectorILNS1_17partition_subalgoE8EdNS0_10empty_typeEbEEZZNS1_14partition_implILS5_8ELb0ES3_jPKdPS6_PKS6_NS0_5tupleIJPdS6_EEENSE_IJSB_SB_EEENS0_18inequality_wrapperIN6hipcub16HIPCUB_304000_NS8EqualityEEEPlJS6_EEE10hipError_tPvRmT3_T4_T5_T6_T7_T9_mT8_P12ihipStream_tbDpT10_ENKUlT_T0_E_clISt17integral_constantIbLb1EES16_IbLb0EEEEDaS12_S13_EUlS12_E_NS1_11comp_targetILNS1_3genE2ELNS1_11target_archE906ELNS1_3gpuE6ELNS1_3repE0EEENS1_30default_config_static_selectorELNS0_4arch9wavefront6targetE0EEEvT1_.has_indirect_call, 0
	.section	.AMDGPU.csdata,"",@progbits
; Kernel info:
; codeLenInByte = 0
; TotalNumSgprs: 0
; NumVgprs: 0
; ScratchSize: 0
; MemoryBound: 0
; FloatMode: 240
; IeeeMode: 1
; LDSByteSize: 0 bytes/workgroup (compile time only)
; SGPRBlocks: 0
; VGPRBlocks: 0
; NumSGPRsForWavesPerEU: 1
; NumVGPRsForWavesPerEU: 1
; NamedBarCnt: 0
; Occupancy: 16
; WaveLimiterHint : 0
; COMPUTE_PGM_RSRC2:SCRATCH_EN: 0
; COMPUTE_PGM_RSRC2:USER_SGPR: 2
; COMPUTE_PGM_RSRC2:TRAP_HANDLER: 0
; COMPUTE_PGM_RSRC2:TGID_X_EN: 1
; COMPUTE_PGM_RSRC2:TGID_Y_EN: 0
; COMPUTE_PGM_RSRC2:TGID_Z_EN: 0
; COMPUTE_PGM_RSRC2:TIDIG_COMP_CNT: 0
	.section	.text._ZN7rocprim17ROCPRIM_400000_NS6detail17trampoline_kernelINS0_14default_configENS1_25partition_config_selectorILNS1_17partition_subalgoE8EdNS0_10empty_typeEbEEZZNS1_14partition_implILS5_8ELb0ES3_jPKdPS6_PKS6_NS0_5tupleIJPdS6_EEENSE_IJSB_SB_EEENS0_18inequality_wrapperIN6hipcub16HIPCUB_304000_NS8EqualityEEEPlJS6_EEE10hipError_tPvRmT3_T4_T5_T6_T7_T9_mT8_P12ihipStream_tbDpT10_ENKUlT_T0_E_clISt17integral_constantIbLb1EES16_IbLb0EEEEDaS12_S13_EUlS12_E_NS1_11comp_targetILNS1_3genE10ELNS1_11target_archE1200ELNS1_3gpuE4ELNS1_3repE0EEENS1_30default_config_static_selectorELNS0_4arch9wavefront6targetE0EEEvT1_,"axG",@progbits,_ZN7rocprim17ROCPRIM_400000_NS6detail17trampoline_kernelINS0_14default_configENS1_25partition_config_selectorILNS1_17partition_subalgoE8EdNS0_10empty_typeEbEEZZNS1_14partition_implILS5_8ELb0ES3_jPKdPS6_PKS6_NS0_5tupleIJPdS6_EEENSE_IJSB_SB_EEENS0_18inequality_wrapperIN6hipcub16HIPCUB_304000_NS8EqualityEEEPlJS6_EEE10hipError_tPvRmT3_T4_T5_T6_T7_T9_mT8_P12ihipStream_tbDpT10_ENKUlT_T0_E_clISt17integral_constantIbLb1EES16_IbLb0EEEEDaS12_S13_EUlS12_E_NS1_11comp_targetILNS1_3genE10ELNS1_11target_archE1200ELNS1_3gpuE4ELNS1_3repE0EEENS1_30default_config_static_selectorELNS0_4arch9wavefront6targetE0EEEvT1_,comdat
	.protected	_ZN7rocprim17ROCPRIM_400000_NS6detail17trampoline_kernelINS0_14default_configENS1_25partition_config_selectorILNS1_17partition_subalgoE8EdNS0_10empty_typeEbEEZZNS1_14partition_implILS5_8ELb0ES3_jPKdPS6_PKS6_NS0_5tupleIJPdS6_EEENSE_IJSB_SB_EEENS0_18inequality_wrapperIN6hipcub16HIPCUB_304000_NS8EqualityEEEPlJS6_EEE10hipError_tPvRmT3_T4_T5_T6_T7_T9_mT8_P12ihipStream_tbDpT10_ENKUlT_T0_E_clISt17integral_constantIbLb1EES16_IbLb0EEEEDaS12_S13_EUlS12_E_NS1_11comp_targetILNS1_3genE10ELNS1_11target_archE1200ELNS1_3gpuE4ELNS1_3repE0EEENS1_30default_config_static_selectorELNS0_4arch9wavefront6targetE0EEEvT1_ ; -- Begin function _ZN7rocprim17ROCPRIM_400000_NS6detail17trampoline_kernelINS0_14default_configENS1_25partition_config_selectorILNS1_17partition_subalgoE8EdNS0_10empty_typeEbEEZZNS1_14partition_implILS5_8ELb0ES3_jPKdPS6_PKS6_NS0_5tupleIJPdS6_EEENSE_IJSB_SB_EEENS0_18inequality_wrapperIN6hipcub16HIPCUB_304000_NS8EqualityEEEPlJS6_EEE10hipError_tPvRmT3_T4_T5_T6_T7_T9_mT8_P12ihipStream_tbDpT10_ENKUlT_T0_E_clISt17integral_constantIbLb1EES16_IbLb0EEEEDaS12_S13_EUlS12_E_NS1_11comp_targetILNS1_3genE10ELNS1_11target_archE1200ELNS1_3gpuE4ELNS1_3repE0EEENS1_30default_config_static_selectorELNS0_4arch9wavefront6targetE0EEEvT1_
	.globl	_ZN7rocprim17ROCPRIM_400000_NS6detail17trampoline_kernelINS0_14default_configENS1_25partition_config_selectorILNS1_17partition_subalgoE8EdNS0_10empty_typeEbEEZZNS1_14partition_implILS5_8ELb0ES3_jPKdPS6_PKS6_NS0_5tupleIJPdS6_EEENSE_IJSB_SB_EEENS0_18inequality_wrapperIN6hipcub16HIPCUB_304000_NS8EqualityEEEPlJS6_EEE10hipError_tPvRmT3_T4_T5_T6_T7_T9_mT8_P12ihipStream_tbDpT10_ENKUlT_T0_E_clISt17integral_constantIbLb1EES16_IbLb0EEEEDaS12_S13_EUlS12_E_NS1_11comp_targetILNS1_3genE10ELNS1_11target_archE1200ELNS1_3gpuE4ELNS1_3repE0EEENS1_30default_config_static_selectorELNS0_4arch9wavefront6targetE0EEEvT1_
	.p2align	8
	.type	_ZN7rocprim17ROCPRIM_400000_NS6detail17trampoline_kernelINS0_14default_configENS1_25partition_config_selectorILNS1_17partition_subalgoE8EdNS0_10empty_typeEbEEZZNS1_14partition_implILS5_8ELb0ES3_jPKdPS6_PKS6_NS0_5tupleIJPdS6_EEENSE_IJSB_SB_EEENS0_18inequality_wrapperIN6hipcub16HIPCUB_304000_NS8EqualityEEEPlJS6_EEE10hipError_tPvRmT3_T4_T5_T6_T7_T9_mT8_P12ihipStream_tbDpT10_ENKUlT_T0_E_clISt17integral_constantIbLb1EES16_IbLb0EEEEDaS12_S13_EUlS12_E_NS1_11comp_targetILNS1_3genE10ELNS1_11target_archE1200ELNS1_3gpuE4ELNS1_3repE0EEENS1_30default_config_static_selectorELNS0_4arch9wavefront6targetE0EEEvT1_,@function
_ZN7rocprim17ROCPRIM_400000_NS6detail17trampoline_kernelINS0_14default_configENS1_25partition_config_selectorILNS1_17partition_subalgoE8EdNS0_10empty_typeEbEEZZNS1_14partition_implILS5_8ELb0ES3_jPKdPS6_PKS6_NS0_5tupleIJPdS6_EEENSE_IJSB_SB_EEENS0_18inequality_wrapperIN6hipcub16HIPCUB_304000_NS8EqualityEEEPlJS6_EEE10hipError_tPvRmT3_T4_T5_T6_T7_T9_mT8_P12ihipStream_tbDpT10_ENKUlT_T0_E_clISt17integral_constantIbLb1EES16_IbLb0EEEEDaS12_S13_EUlS12_E_NS1_11comp_targetILNS1_3genE10ELNS1_11target_archE1200ELNS1_3gpuE4ELNS1_3repE0EEENS1_30default_config_static_selectorELNS0_4arch9wavefront6targetE0EEEvT1_: ; @_ZN7rocprim17ROCPRIM_400000_NS6detail17trampoline_kernelINS0_14default_configENS1_25partition_config_selectorILNS1_17partition_subalgoE8EdNS0_10empty_typeEbEEZZNS1_14partition_implILS5_8ELb0ES3_jPKdPS6_PKS6_NS0_5tupleIJPdS6_EEENSE_IJSB_SB_EEENS0_18inequality_wrapperIN6hipcub16HIPCUB_304000_NS8EqualityEEEPlJS6_EEE10hipError_tPvRmT3_T4_T5_T6_T7_T9_mT8_P12ihipStream_tbDpT10_ENKUlT_T0_E_clISt17integral_constantIbLb1EES16_IbLb0EEEEDaS12_S13_EUlS12_E_NS1_11comp_targetILNS1_3genE10ELNS1_11target_archE1200ELNS1_3gpuE4ELNS1_3repE0EEENS1_30default_config_static_selectorELNS0_4arch9wavefront6targetE0EEEvT1_
; %bb.0:
	.section	.rodata,"a",@progbits
	.p2align	6, 0x0
	.amdhsa_kernel _ZN7rocprim17ROCPRIM_400000_NS6detail17trampoline_kernelINS0_14default_configENS1_25partition_config_selectorILNS1_17partition_subalgoE8EdNS0_10empty_typeEbEEZZNS1_14partition_implILS5_8ELb0ES3_jPKdPS6_PKS6_NS0_5tupleIJPdS6_EEENSE_IJSB_SB_EEENS0_18inequality_wrapperIN6hipcub16HIPCUB_304000_NS8EqualityEEEPlJS6_EEE10hipError_tPvRmT3_T4_T5_T6_T7_T9_mT8_P12ihipStream_tbDpT10_ENKUlT_T0_E_clISt17integral_constantIbLb1EES16_IbLb0EEEEDaS12_S13_EUlS12_E_NS1_11comp_targetILNS1_3genE10ELNS1_11target_archE1200ELNS1_3gpuE4ELNS1_3repE0EEENS1_30default_config_static_selectorELNS0_4arch9wavefront6targetE0EEEvT1_
		.amdhsa_group_segment_fixed_size 0
		.amdhsa_private_segment_fixed_size 0
		.amdhsa_kernarg_size 112
		.amdhsa_user_sgpr_count 2
		.amdhsa_user_sgpr_dispatch_ptr 0
		.amdhsa_user_sgpr_queue_ptr 0
		.amdhsa_user_sgpr_kernarg_segment_ptr 1
		.amdhsa_user_sgpr_dispatch_id 0
		.amdhsa_user_sgpr_kernarg_preload_length 0
		.amdhsa_user_sgpr_kernarg_preload_offset 0
		.amdhsa_user_sgpr_private_segment_size 0
		.amdhsa_wavefront_size32 1
		.amdhsa_uses_dynamic_stack 0
		.amdhsa_enable_private_segment 0
		.amdhsa_system_sgpr_workgroup_id_x 1
		.amdhsa_system_sgpr_workgroup_id_y 0
		.amdhsa_system_sgpr_workgroup_id_z 0
		.amdhsa_system_sgpr_workgroup_info 0
		.amdhsa_system_vgpr_workitem_id 0
		.amdhsa_next_free_vgpr 1
		.amdhsa_next_free_sgpr 1
		.amdhsa_named_barrier_count 0
		.amdhsa_reserve_vcc 0
		.amdhsa_float_round_mode_32 0
		.amdhsa_float_round_mode_16_64 0
		.amdhsa_float_denorm_mode_32 3
		.amdhsa_float_denorm_mode_16_64 3
		.amdhsa_fp16_overflow 0
		.amdhsa_memory_ordered 1
		.amdhsa_forward_progress 1
		.amdhsa_inst_pref_size 0
		.amdhsa_round_robin_scheduling 0
		.amdhsa_exception_fp_ieee_invalid_op 0
		.amdhsa_exception_fp_denorm_src 0
		.amdhsa_exception_fp_ieee_div_zero 0
		.amdhsa_exception_fp_ieee_overflow 0
		.amdhsa_exception_fp_ieee_underflow 0
		.amdhsa_exception_fp_ieee_inexact 0
		.amdhsa_exception_int_div_zero 0
	.end_amdhsa_kernel
	.section	.text._ZN7rocprim17ROCPRIM_400000_NS6detail17trampoline_kernelINS0_14default_configENS1_25partition_config_selectorILNS1_17partition_subalgoE8EdNS0_10empty_typeEbEEZZNS1_14partition_implILS5_8ELb0ES3_jPKdPS6_PKS6_NS0_5tupleIJPdS6_EEENSE_IJSB_SB_EEENS0_18inequality_wrapperIN6hipcub16HIPCUB_304000_NS8EqualityEEEPlJS6_EEE10hipError_tPvRmT3_T4_T5_T6_T7_T9_mT8_P12ihipStream_tbDpT10_ENKUlT_T0_E_clISt17integral_constantIbLb1EES16_IbLb0EEEEDaS12_S13_EUlS12_E_NS1_11comp_targetILNS1_3genE10ELNS1_11target_archE1200ELNS1_3gpuE4ELNS1_3repE0EEENS1_30default_config_static_selectorELNS0_4arch9wavefront6targetE0EEEvT1_,"axG",@progbits,_ZN7rocprim17ROCPRIM_400000_NS6detail17trampoline_kernelINS0_14default_configENS1_25partition_config_selectorILNS1_17partition_subalgoE8EdNS0_10empty_typeEbEEZZNS1_14partition_implILS5_8ELb0ES3_jPKdPS6_PKS6_NS0_5tupleIJPdS6_EEENSE_IJSB_SB_EEENS0_18inequality_wrapperIN6hipcub16HIPCUB_304000_NS8EqualityEEEPlJS6_EEE10hipError_tPvRmT3_T4_T5_T6_T7_T9_mT8_P12ihipStream_tbDpT10_ENKUlT_T0_E_clISt17integral_constantIbLb1EES16_IbLb0EEEEDaS12_S13_EUlS12_E_NS1_11comp_targetILNS1_3genE10ELNS1_11target_archE1200ELNS1_3gpuE4ELNS1_3repE0EEENS1_30default_config_static_selectorELNS0_4arch9wavefront6targetE0EEEvT1_,comdat
.Lfunc_end293:
	.size	_ZN7rocprim17ROCPRIM_400000_NS6detail17trampoline_kernelINS0_14default_configENS1_25partition_config_selectorILNS1_17partition_subalgoE8EdNS0_10empty_typeEbEEZZNS1_14partition_implILS5_8ELb0ES3_jPKdPS6_PKS6_NS0_5tupleIJPdS6_EEENSE_IJSB_SB_EEENS0_18inequality_wrapperIN6hipcub16HIPCUB_304000_NS8EqualityEEEPlJS6_EEE10hipError_tPvRmT3_T4_T5_T6_T7_T9_mT8_P12ihipStream_tbDpT10_ENKUlT_T0_E_clISt17integral_constantIbLb1EES16_IbLb0EEEEDaS12_S13_EUlS12_E_NS1_11comp_targetILNS1_3genE10ELNS1_11target_archE1200ELNS1_3gpuE4ELNS1_3repE0EEENS1_30default_config_static_selectorELNS0_4arch9wavefront6targetE0EEEvT1_, .Lfunc_end293-_ZN7rocprim17ROCPRIM_400000_NS6detail17trampoline_kernelINS0_14default_configENS1_25partition_config_selectorILNS1_17partition_subalgoE8EdNS0_10empty_typeEbEEZZNS1_14partition_implILS5_8ELb0ES3_jPKdPS6_PKS6_NS0_5tupleIJPdS6_EEENSE_IJSB_SB_EEENS0_18inequality_wrapperIN6hipcub16HIPCUB_304000_NS8EqualityEEEPlJS6_EEE10hipError_tPvRmT3_T4_T5_T6_T7_T9_mT8_P12ihipStream_tbDpT10_ENKUlT_T0_E_clISt17integral_constantIbLb1EES16_IbLb0EEEEDaS12_S13_EUlS12_E_NS1_11comp_targetILNS1_3genE10ELNS1_11target_archE1200ELNS1_3gpuE4ELNS1_3repE0EEENS1_30default_config_static_selectorELNS0_4arch9wavefront6targetE0EEEvT1_
                                        ; -- End function
	.set _ZN7rocprim17ROCPRIM_400000_NS6detail17trampoline_kernelINS0_14default_configENS1_25partition_config_selectorILNS1_17partition_subalgoE8EdNS0_10empty_typeEbEEZZNS1_14partition_implILS5_8ELb0ES3_jPKdPS6_PKS6_NS0_5tupleIJPdS6_EEENSE_IJSB_SB_EEENS0_18inequality_wrapperIN6hipcub16HIPCUB_304000_NS8EqualityEEEPlJS6_EEE10hipError_tPvRmT3_T4_T5_T6_T7_T9_mT8_P12ihipStream_tbDpT10_ENKUlT_T0_E_clISt17integral_constantIbLb1EES16_IbLb0EEEEDaS12_S13_EUlS12_E_NS1_11comp_targetILNS1_3genE10ELNS1_11target_archE1200ELNS1_3gpuE4ELNS1_3repE0EEENS1_30default_config_static_selectorELNS0_4arch9wavefront6targetE0EEEvT1_.num_vgpr, 0
	.set _ZN7rocprim17ROCPRIM_400000_NS6detail17trampoline_kernelINS0_14default_configENS1_25partition_config_selectorILNS1_17partition_subalgoE8EdNS0_10empty_typeEbEEZZNS1_14partition_implILS5_8ELb0ES3_jPKdPS6_PKS6_NS0_5tupleIJPdS6_EEENSE_IJSB_SB_EEENS0_18inequality_wrapperIN6hipcub16HIPCUB_304000_NS8EqualityEEEPlJS6_EEE10hipError_tPvRmT3_T4_T5_T6_T7_T9_mT8_P12ihipStream_tbDpT10_ENKUlT_T0_E_clISt17integral_constantIbLb1EES16_IbLb0EEEEDaS12_S13_EUlS12_E_NS1_11comp_targetILNS1_3genE10ELNS1_11target_archE1200ELNS1_3gpuE4ELNS1_3repE0EEENS1_30default_config_static_selectorELNS0_4arch9wavefront6targetE0EEEvT1_.num_agpr, 0
	.set _ZN7rocprim17ROCPRIM_400000_NS6detail17trampoline_kernelINS0_14default_configENS1_25partition_config_selectorILNS1_17partition_subalgoE8EdNS0_10empty_typeEbEEZZNS1_14partition_implILS5_8ELb0ES3_jPKdPS6_PKS6_NS0_5tupleIJPdS6_EEENSE_IJSB_SB_EEENS0_18inequality_wrapperIN6hipcub16HIPCUB_304000_NS8EqualityEEEPlJS6_EEE10hipError_tPvRmT3_T4_T5_T6_T7_T9_mT8_P12ihipStream_tbDpT10_ENKUlT_T0_E_clISt17integral_constantIbLb1EES16_IbLb0EEEEDaS12_S13_EUlS12_E_NS1_11comp_targetILNS1_3genE10ELNS1_11target_archE1200ELNS1_3gpuE4ELNS1_3repE0EEENS1_30default_config_static_selectorELNS0_4arch9wavefront6targetE0EEEvT1_.numbered_sgpr, 0
	.set _ZN7rocprim17ROCPRIM_400000_NS6detail17trampoline_kernelINS0_14default_configENS1_25partition_config_selectorILNS1_17partition_subalgoE8EdNS0_10empty_typeEbEEZZNS1_14partition_implILS5_8ELb0ES3_jPKdPS6_PKS6_NS0_5tupleIJPdS6_EEENSE_IJSB_SB_EEENS0_18inequality_wrapperIN6hipcub16HIPCUB_304000_NS8EqualityEEEPlJS6_EEE10hipError_tPvRmT3_T4_T5_T6_T7_T9_mT8_P12ihipStream_tbDpT10_ENKUlT_T0_E_clISt17integral_constantIbLb1EES16_IbLb0EEEEDaS12_S13_EUlS12_E_NS1_11comp_targetILNS1_3genE10ELNS1_11target_archE1200ELNS1_3gpuE4ELNS1_3repE0EEENS1_30default_config_static_selectorELNS0_4arch9wavefront6targetE0EEEvT1_.num_named_barrier, 0
	.set _ZN7rocprim17ROCPRIM_400000_NS6detail17trampoline_kernelINS0_14default_configENS1_25partition_config_selectorILNS1_17partition_subalgoE8EdNS0_10empty_typeEbEEZZNS1_14partition_implILS5_8ELb0ES3_jPKdPS6_PKS6_NS0_5tupleIJPdS6_EEENSE_IJSB_SB_EEENS0_18inequality_wrapperIN6hipcub16HIPCUB_304000_NS8EqualityEEEPlJS6_EEE10hipError_tPvRmT3_T4_T5_T6_T7_T9_mT8_P12ihipStream_tbDpT10_ENKUlT_T0_E_clISt17integral_constantIbLb1EES16_IbLb0EEEEDaS12_S13_EUlS12_E_NS1_11comp_targetILNS1_3genE10ELNS1_11target_archE1200ELNS1_3gpuE4ELNS1_3repE0EEENS1_30default_config_static_selectorELNS0_4arch9wavefront6targetE0EEEvT1_.private_seg_size, 0
	.set _ZN7rocprim17ROCPRIM_400000_NS6detail17trampoline_kernelINS0_14default_configENS1_25partition_config_selectorILNS1_17partition_subalgoE8EdNS0_10empty_typeEbEEZZNS1_14partition_implILS5_8ELb0ES3_jPKdPS6_PKS6_NS0_5tupleIJPdS6_EEENSE_IJSB_SB_EEENS0_18inequality_wrapperIN6hipcub16HIPCUB_304000_NS8EqualityEEEPlJS6_EEE10hipError_tPvRmT3_T4_T5_T6_T7_T9_mT8_P12ihipStream_tbDpT10_ENKUlT_T0_E_clISt17integral_constantIbLb1EES16_IbLb0EEEEDaS12_S13_EUlS12_E_NS1_11comp_targetILNS1_3genE10ELNS1_11target_archE1200ELNS1_3gpuE4ELNS1_3repE0EEENS1_30default_config_static_selectorELNS0_4arch9wavefront6targetE0EEEvT1_.uses_vcc, 0
	.set _ZN7rocprim17ROCPRIM_400000_NS6detail17trampoline_kernelINS0_14default_configENS1_25partition_config_selectorILNS1_17partition_subalgoE8EdNS0_10empty_typeEbEEZZNS1_14partition_implILS5_8ELb0ES3_jPKdPS6_PKS6_NS0_5tupleIJPdS6_EEENSE_IJSB_SB_EEENS0_18inequality_wrapperIN6hipcub16HIPCUB_304000_NS8EqualityEEEPlJS6_EEE10hipError_tPvRmT3_T4_T5_T6_T7_T9_mT8_P12ihipStream_tbDpT10_ENKUlT_T0_E_clISt17integral_constantIbLb1EES16_IbLb0EEEEDaS12_S13_EUlS12_E_NS1_11comp_targetILNS1_3genE10ELNS1_11target_archE1200ELNS1_3gpuE4ELNS1_3repE0EEENS1_30default_config_static_selectorELNS0_4arch9wavefront6targetE0EEEvT1_.uses_flat_scratch, 0
	.set _ZN7rocprim17ROCPRIM_400000_NS6detail17trampoline_kernelINS0_14default_configENS1_25partition_config_selectorILNS1_17partition_subalgoE8EdNS0_10empty_typeEbEEZZNS1_14partition_implILS5_8ELb0ES3_jPKdPS6_PKS6_NS0_5tupleIJPdS6_EEENSE_IJSB_SB_EEENS0_18inequality_wrapperIN6hipcub16HIPCUB_304000_NS8EqualityEEEPlJS6_EEE10hipError_tPvRmT3_T4_T5_T6_T7_T9_mT8_P12ihipStream_tbDpT10_ENKUlT_T0_E_clISt17integral_constantIbLb1EES16_IbLb0EEEEDaS12_S13_EUlS12_E_NS1_11comp_targetILNS1_3genE10ELNS1_11target_archE1200ELNS1_3gpuE4ELNS1_3repE0EEENS1_30default_config_static_selectorELNS0_4arch9wavefront6targetE0EEEvT1_.has_dyn_sized_stack, 0
	.set _ZN7rocprim17ROCPRIM_400000_NS6detail17trampoline_kernelINS0_14default_configENS1_25partition_config_selectorILNS1_17partition_subalgoE8EdNS0_10empty_typeEbEEZZNS1_14partition_implILS5_8ELb0ES3_jPKdPS6_PKS6_NS0_5tupleIJPdS6_EEENSE_IJSB_SB_EEENS0_18inequality_wrapperIN6hipcub16HIPCUB_304000_NS8EqualityEEEPlJS6_EEE10hipError_tPvRmT3_T4_T5_T6_T7_T9_mT8_P12ihipStream_tbDpT10_ENKUlT_T0_E_clISt17integral_constantIbLb1EES16_IbLb0EEEEDaS12_S13_EUlS12_E_NS1_11comp_targetILNS1_3genE10ELNS1_11target_archE1200ELNS1_3gpuE4ELNS1_3repE0EEENS1_30default_config_static_selectorELNS0_4arch9wavefront6targetE0EEEvT1_.has_recursion, 0
	.set _ZN7rocprim17ROCPRIM_400000_NS6detail17trampoline_kernelINS0_14default_configENS1_25partition_config_selectorILNS1_17partition_subalgoE8EdNS0_10empty_typeEbEEZZNS1_14partition_implILS5_8ELb0ES3_jPKdPS6_PKS6_NS0_5tupleIJPdS6_EEENSE_IJSB_SB_EEENS0_18inequality_wrapperIN6hipcub16HIPCUB_304000_NS8EqualityEEEPlJS6_EEE10hipError_tPvRmT3_T4_T5_T6_T7_T9_mT8_P12ihipStream_tbDpT10_ENKUlT_T0_E_clISt17integral_constantIbLb1EES16_IbLb0EEEEDaS12_S13_EUlS12_E_NS1_11comp_targetILNS1_3genE10ELNS1_11target_archE1200ELNS1_3gpuE4ELNS1_3repE0EEENS1_30default_config_static_selectorELNS0_4arch9wavefront6targetE0EEEvT1_.has_indirect_call, 0
	.section	.AMDGPU.csdata,"",@progbits
; Kernel info:
; codeLenInByte = 0
; TotalNumSgprs: 0
; NumVgprs: 0
; ScratchSize: 0
; MemoryBound: 0
; FloatMode: 240
; IeeeMode: 1
; LDSByteSize: 0 bytes/workgroup (compile time only)
; SGPRBlocks: 0
; VGPRBlocks: 0
; NumSGPRsForWavesPerEU: 1
; NumVGPRsForWavesPerEU: 1
; NamedBarCnt: 0
; Occupancy: 16
; WaveLimiterHint : 0
; COMPUTE_PGM_RSRC2:SCRATCH_EN: 0
; COMPUTE_PGM_RSRC2:USER_SGPR: 2
; COMPUTE_PGM_RSRC2:TRAP_HANDLER: 0
; COMPUTE_PGM_RSRC2:TGID_X_EN: 1
; COMPUTE_PGM_RSRC2:TGID_Y_EN: 0
; COMPUTE_PGM_RSRC2:TGID_Z_EN: 0
; COMPUTE_PGM_RSRC2:TIDIG_COMP_CNT: 0
	.section	.text._ZN7rocprim17ROCPRIM_400000_NS6detail17trampoline_kernelINS0_14default_configENS1_25partition_config_selectorILNS1_17partition_subalgoE8EdNS0_10empty_typeEbEEZZNS1_14partition_implILS5_8ELb0ES3_jPKdPS6_PKS6_NS0_5tupleIJPdS6_EEENSE_IJSB_SB_EEENS0_18inequality_wrapperIN6hipcub16HIPCUB_304000_NS8EqualityEEEPlJS6_EEE10hipError_tPvRmT3_T4_T5_T6_T7_T9_mT8_P12ihipStream_tbDpT10_ENKUlT_T0_E_clISt17integral_constantIbLb1EES16_IbLb0EEEEDaS12_S13_EUlS12_E_NS1_11comp_targetILNS1_3genE9ELNS1_11target_archE1100ELNS1_3gpuE3ELNS1_3repE0EEENS1_30default_config_static_selectorELNS0_4arch9wavefront6targetE0EEEvT1_,"axG",@progbits,_ZN7rocprim17ROCPRIM_400000_NS6detail17trampoline_kernelINS0_14default_configENS1_25partition_config_selectorILNS1_17partition_subalgoE8EdNS0_10empty_typeEbEEZZNS1_14partition_implILS5_8ELb0ES3_jPKdPS6_PKS6_NS0_5tupleIJPdS6_EEENSE_IJSB_SB_EEENS0_18inequality_wrapperIN6hipcub16HIPCUB_304000_NS8EqualityEEEPlJS6_EEE10hipError_tPvRmT3_T4_T5_T6_T7_T9_mT8_P12ihipStream_tbDpT10_ENKUlT_T0_E_clISt17integral_constantIbLb1EES16_IbLb0EEEEDaS12_S13_EUlS12_E_NS1_11comp_targetILNS1_3genE9ELNS1_11target_archE1100ELNS1_3gpuE3ELNS1_3repE0EEENS1_30default_config_static_selectorELNS0_4arch9wavefront6targetE0EEEvT1_,comdat
	.protected	_ZN7rocprim17ROCPRIM_400000_NS6detail17trampoline_kernelINS0_14default_configENS1_25partition_config_selectorILNS1_17partition_subalgoE8EdNS0_10empty_typeEbEEZZNS1_14partition_implILS5_8ELb0ES3_jPKdPS6_PKS6_NS0_5tupleIJPdS6_EEENSE_IJSB_SB_EEENS0_18inequality_wrapperIN6hipcub16HIPCUB_304000_NS8EqualityEEEPlJS6_EEE10hipError_tPvRmT3_T4_T5_T6_T7_T9_mT8_P12ihipStream_tbDpT10_ENKUlT_T0_E_clISt17integral_constantIbLb1EES16_IbLb0EEEEDaS12_S13_EUlS12_E_NS1_11comp_targetILNS1_3genE9ELNS1_11target_archE1100ELNS1_3gpuE3ELNS1_3repE0EEENS1_30default_config_static_selectorELNS0_4arch9wavefront6targetE0EEEvT1_ ; -- Begin function _ZN7rocprim17ROCPRIM_400000_NS6detail17trampoline_kernelINS0_14default_configENS1_25partition_config_selectorILNS1_17partition_subalgoE8EdNS0_10empty_typeEbEEZZNS1_14partition_implILS5_8ELb0ES3_jPKdPS6_PKS6_NS0_5tupleIJPdS6_EEENSE_IJSB_SB_EEENS0_18inequality_wrapperIN6hipcub16HIPCUB_304000_NS8EqualityEEEPlJS6_EEE10hipError_tPvRmT3_T4_T5_T6_T7_T9_mT8_P12ihipStream_tbDpT10_ENKUlT_T0_E_clISt17integral_constantIbLb1EES16_IbLb0EEEEDaS12_S13_EUlS12_E_NS1_11comp_targetILNS1_3genE9ELNS1_11target_archE1100ELNS1_3gpuE3ELNS1_3repE0EEENS1_30default_config_static_selectorELNS0_4arch9wavefront6targetE0EEEvT1_
	.globl	_ZN7rocprim17ROCPRIM_400000_NS6detail17trampoline_kernelINS0_14default_configENS1_25partition_config_selectorILNS1_17partition_subalgoE8EdNS0_10empty_typeEbEEZZNS1_14partition_implILS5_8ELb0ES3_jPKdPS6_PKS6_NS0_5tupleIJPdS6_EEENSE_IJSB_SB_EEENS0_18inequality_wrapperIN6hipcub16HIPCUB_304000_NS8EqualityEEEPlJS6_EEE10hipError_tPvRmT3_T4_T5_T6_T7_T9_mT8_P12ihipStream_tbDpT10_ENKUlT_T0_E_clISt17integral_constantIbLb1EES16_IbLb0EEEEDaS12_S13_EUlS12_E_NS1_11comp_targetILNS1_3genE9ELNS1_11target_archE1100ELNS1_3gpuE3ELNS1_3repE0EEENS1_30default_config_static_selectorELNS0_4arch9wavefront6targetE0EEEvT1_
	.p2align	8
	.type	_ZN7rocprim17ROCPRIM_400000_NS6detail17trampoline_kernelINS0_14default_configENS1_25partition_config_selectorILNS1_17partition_subalgoE8EdNS0_10empty_typeEbEEZZNS1_14partition_implILS5_8ELb0ES3_jPKdPS6_PKS6_NS0_5tupleIJPdS6_EEENSE_IJSB_SB_EEENS0_18inequality_wrapperIN6hipcub16HIPCUB_304000_NS8EqualityEEEPlJS6_EEE10hipError_tPvRmT3_T4_T5_T6_T7_T9_mT8_P12ihipStream_tbDpT10_ENKUlT_T0_E_clISt17integral_constantIbLb1EES16_IbLb0EEEEDaS12_S13_EUlS12_E_NS1_11comp_targetILNS1_3genE9ELNS1_11target_archE1100ELNS1_3gpuE3ELNS1_3repE0EEENS1_30default_config_static_selectorELNS0_4arch9wavefront6targetE0EEEvT1_,@function
_ZN7rocprim17ROCPRIM_400000_NS6detail17trampoline_kernelINS0_14default_configENS1_25partition_config_selectorILNS1_17partition_subalgoE8EdNS0_10empty_typeEbEEZZNS1_14partition_implILS5_8ELb0ES3_jPKdPS6_PKS6_NS0_5tupleIJPdS6_EEENSE_IJSB_SB_EEENS0_18inequality_wrapperIN6hipcub16HIPCUB_304000_NS8EqualityEEEPlJS6_EEE10hipError_tPvRmT3_T4_T5_T6_T7_T9_mT8_P12ihipStream_tbDpT10_ENKUlT_T0_E_clISt17integral_constantIbLb1EES16_IbLb0EEEEDaS12_S13_EUlS12_E_NS1_11comp_targetILNS1_3genE9ELNS1_11target_archE1100ELNS1_3gpuE3ELNS1_3repE0EEENS1_30default_config_static_selectorELNS0_4arch9wavefront6targetE0EEEvT1_: ; @_ZN7rocprim17ROCPRIM_400000_NS6detail17trampoline_kernelINS0_14default_configENS1_25partition_config_selectorILNS1_17partition_subalgoE8EdNS0_10empty_typeEbEEZZNS1_14partition_implILS5_8ELb0ES3_jPKdPS6_PKS6_NS0_5tupleIJPdS6_EEENSE_IJSB_SB_EEENS0_18inequality_wrapperIN6hipcub16HIPCUB_304000_NS8EqualityEEEPlJS6_EEE10hipError_tPvRmT3_T4_T5_T6_T7_T9_mT8_P12ihipStream_tbDpT10_ENKUlT_T0_E_clISt17integral_constantIbLb1EES16_IbLb0EEEEDaS12_S13_EUlS12_E_NS1_11comp_targetILNS1_3genE9ELNS1_11target_archE1100ELNS1_3gpuE3ELNS1_3repE0EEENS1_30default_config_static_selectorELNS0_4arch9wavefront6targetE0EEEvT1_
; %bb.0:
	.section	.rodata,"a",@progbits
	.p2align	6, 0x0
	.amdhsa_kernel _ZN7rocprim17ROCPRIM_400000_NS6detail17trampoline_kernelINS0_14default_configENS1_25partition_config_selectorILNS1_17partition_subalgoE8EdNS0_10empty_typeEbEEZZNS1_14partition_implILS5_8ELb0ES3_jPKdPS6_PKS6_NS0_5tupleIJPdS6_EEENSE_IJSB_SB_EEENS0_18inequality_wrapperIN6hipcub16HIPCUB_304000_NS8EqualityEEEPlJS6_EEE10hipError_tPvRmT3_T4_T5_T6_T7_T9_mT8_P12ihipStream_tbDpT10_ENKUlT_T0_E_clISt17integral_constantIbLb1EES16_IbLb0EEEEDaS12_S13_EUlS12_E_NS1_11comp_targetILNS1_3genE9ELNS1_11target_archE1100ELNS1_3gpuE3ELNS1_3repE0EEENS1_30default_config_static_selectorELNS0_4arch9wavefront6targetE0EEEvT1_
		.amdhsa_group_segment_fixed_size 0
		.amdhsa_private_segment_fixed_size 0
		.amdhsa_kernarg_size 112
		.amdhsa_user_sgpr_count 2
		.amdhsa_user_sgpr_dispatch_ptr 0
		.amdhsa_user_sgpr_queue_ptr 0
		.amdhsa_user_sgpr_kernarg_segment_ptr 1
		.amdhsa_user_sgpr_dispatch_id 0
		.amdhsa_user_sgpr_kernarg_preload_length 0
		.amdhsa_user_sgpr_kernarg_preload_offset 0
		.amdhsa_user_sgpr_private_segment_size 0
		.amdhsa_wavefront_size32 1
		.amdhsa_uses_dynamic_stack 0
		.amdhsa_enable_private_segment 0
		.amdhsa_system_sgpr_workgroup_id_x 1
		.amdhsa_system_sgpr_workgroup_id_y 0
		.amdhsa_system_sgpr_workgroup_id_z 0
		.amdhsa_system_sgpr_workgroup_info 0
		.amdhsa_system_vgpr_workitem_id 0
		.amdhsa_next_free_vgpr 1
		.amdhsa_next_free_sgpr 1
		.amdhsa_named_barrier_count 0
		.amdhsa_reserve_vcc 0
		.amdhsa_float_round_mode_32 0
		.amdhsa_float_round_mode_16_64 0
		.amdhsa_float_denorm_mode_32 3
		.amdhsa_float_denorm_mode_16_64 3
		.amdhsa_fp16_overflow 0
		.amdhsa_memory_ordered 1
		.amdhsa_forward_progress 1
		.amdhsa_inst_pref_size 0
		.amdhsa_round_robin_scheduling 0
		.amdhsa_exception_fp_ieee_invalid_op 0
		.amdhsa_exception_fp_denorm_src 0
		.amdhsa_exception_fp_ieee_div_zero 0
		.amdhsa_exception_fp_ieee_overflow 0
		.amdhsa_exception_fp_ieee_underflow 0
		.amdhsa_exception_fp_ieee_inexact 0
		.amdhsa_exception_int_div_zero 0
	.end_amdhsa_kernel
	.section	.text._ZN7rocprim17ROCPRIM_400000_NS6detail17trampoline_kernelINS0_14default_configENS1_25partition_config_selectorILNS1_17partition_subalgoE8EdNS0_10empty_typeEbEEZZNS1_14partition_implILS5_8ELb0ES3_jPKdPS6_PKS6_NS0_5tupleIJPdS6_EEENSE_IJSB_SB_EEENS0_18inequality_wrapperIN6hipcub16HIPCUB_304000_NS8EqualityEEEPlJS6_EEE10hipError_tPvRmT3_T4_T5_T6_T7_T9_mT8_P12ihipStream_tbDpT10_ENKUlT_T0_E_clISt17integral_constantIbLb1EES16_IbLb0EEEEDaS12_S13_EUlS12_E_NS1_11comp_targetILNS1_3genE9ELNS1_11target_archE1100ELNS1_3gpuE3ELNS1_3repE0EEENS1_30default_config_static_selectorELNS0_4arch9wavefront6targetE0EEEvT1_,"axG",@progbits,_ZN7rocprim17ROCPRIM_400000_NS6detail17trampoline_kernelINS0_14default_configENS1_25partition_config_selectorILNS1_17partition_subalgoE8EdNS0_10empty_typeEbEEZZNS1_14partition_implILS5_8ELb0ES3_jPKdPS6_PKS6_NS0_5tupleIJPdS6_EEENSE_IJSB_SB_EEENS0_18inequality_wrapperIN6hipcub16HIPCUB_304000_NS8EqualityEEEPlJS6_EEE10hipError_tPvRmT3_T4_T5_T6_T7_T9_mT8_P12ihipStream_tbDpT10_ENKUlT_T0_E_clISt17integral_constantIbLb1EES16_IbLb0EEEEDaS12_S13_EUlS12_E_NS1_11comp_targetILNS1_3genE9ELNS1_11target_archE1100ELNS1_3gpuE3ELNS1_3repE0EEENS1_30default_config_static_selectorELNS0_4arch9wavefront6targetE0EEEvT1_,comdat
.Lfunc_end294:
	.size	_ZN7rocprim17ROCPRIM_400000_NS6detail17trampoline_kernelINS0_14default_configENS1_25partition_config_selectorILNS1_17partition_subalgoE8EdNS0_10empty_typeEbEEZZNS1_14partition_implILS5_8ELb0ES3_jPKdPS6_PKS6_NS0_5tupleIJPdS6_EEENSE_IJSB_SB_EEENS0_18inequality_wrapperIN6hipcub16HIPCUB_304000_NS8EqualityEEEPlJS6_EEE10hipError_tPvRmT3_T4_T5_T6_T7_T9_mT8_P12ihipStream_tbDpT10_ENKUlT_T0_E_clISt17integral_constantIbLb1EES16_IbLb0EEEEDaS12_S13_EUlS12_E_NS1_11comp_targetILNS1_3genE9ELNS1_11target_archE1100ELNS1_3gpuE3ELNS1_3repE0EEENS1_30default_config_static_selectorELNS0_4arch9wavefront6targetE0EEEvT1_, .Lfunc_end294-_ZN7rocprim17ROCPRIM_400000_NS6detail17trampoline_kernelINS0_14default_configENS1_25partition_config_selectorILNS1_17partition_subalgoE8EdNS0_10empty_typeEbEEZZNS1_14partition_implILS5_8ELb0ES3_jPKdPS6_PKS6_NS0_5tupleIJPdS6_EEENSE_IJSB_SB_EEENS0_18inequality_wrapperIN6hipcub16HIPCUB_304000_NS8EqualityEEEPlJS6_EEE10hipError_tPvRmT3_T4_T5_T6_T7_T9_mT8_P12ihipStream_tbDpT10_ENKUlT_T0_E_clISt17integral_constantIbLb1EES16_IbLb0EEEEDaS12_S13_EUlS12_E_NS1_11comp_targetILNS1_3genE9ELNS1_11target_archE1100ELNS1_3gpuE3ELNS1_3repE0EEENS1_30default_config_static_selectorELNS0_4arch9wavefront6targetE0EEEvT1_
                                        ; -- End function
	.set _ZN7rocprim17ROCPRIM_400000_NS6detail17trampoline_kernelINS0_14default_configENS1_25partition_config_selectorILNS1_17partition_subalgoE8EdNS0_10empty_typeEbEEZZNS1_14partition_implILS5_8ELb0ES3_jPKdPS6_PKS6_NS0_5tupleIJPdS6_EEENSE_IJSB_SB_EEENS0_18inequality_wrapperIN6hipcub16HIPCUB_304000_NS8EqualityEEEPlJS6_EEE10hipError_tPvRmT3_T4_T5_T6_T7_T9_mT8_P12ihipStream_tbDpT10_ENKUlT_T0_E_clISt17integral_constantIbLb1EES16_IbLb0EEEEDaS12_S13_EUlS12_E_NS1_11comp_targetILNS1_3genE9ELNS1_11target_archE1100ELNS1_3gpuE3ELNS1_3repE0EEENS1_30default_config_static_selectorELNS0_4arch9wavefront6targetE0EEEvT1_.num_vgpr, 0
	.set _ZN7rocprim17ROCPRIM_400000_NS6detail17trampoline_kernelINS0_14default_configENS1_25partition_config_selectorILNS1_17partition_subalgoE8EdNS0_10empty_typeEbEEZZNS1_14partition_implILS5_8ELb0ES3_jPKdPS6_PKS6_NS0_5tupleIJPdS6_EEENSE_IJSB_SB_EEENS0_18inequality_wrapperIN6hipcub16HIPCUB_304000_NS8EqualityEEEPlJS6_EEE10hipError_tPvRmT3_T4_T5_T6_T7_T9_mT8_P12ihipStream_tbDpT10_ENKUlT_T0_E_clISt17integral_constantIbLb1EES16_IbLb0EEEEDaS12_S13_EUlS12_E_NS1_11comp_targetILNS1_3genE9ELNS1_11target_archE1100ELNS1_3gpuE3ELNS1_3repE0EEENS1_30default_config_static_selectorELNS0_4arch9wavefront6targetE0EEEvT1_.num_agpr, 0
	.set _ZN7rocprim17ROCPRIM_400000_NS6detail17trampoline_kernelINS0_14default_configENS1_25partition_config_selectorILNS1_17partition_subalgoE8EdNS0_10empty_typeEbEEZZNS1_14partition_implILS5_8ELb0ES3_jPKdPS6_PKS6_NS0_5tupleIJPdS6_EEENSE_IJSB_SB_EEENS0_18inequality_wrapperIN6hipcub16HIPCUB_304000_NS8EqualityEEEPlJS6_EEE10hipError_tPvRmT3_T4_T5_T6_T7_T9_mT8_P12ihipStream_tbDpT10_ENKUlT_T0_E_clISt17integral_constantIbLb1EES16_IbLb0EEEEDaS12_S13_EUlS12_E_NS1_11comp_targetILNS1_3genE9ELNS1_11target_archE1100ELNS1_3gpuE3ELNS1_3repE0EEENS1_30default_config_static_selectorELNS0_4arch9wavefront6targetE0EEEvT1_.numbered_sgpr, 0
	.set _ZN7rocprim17ROCPRIM_400000_NS6detail17trampoline_kernelINS0_14default_configENS1_25partition_config_selectorILNS1_17partition_subalgoE8EdNS0_10empty_typeEbEEZZNS1_14partition_implILS5_8ELb0ES3_jPKdPS6_PKS6_NS0_5tupleIJPdS6_EEENSE_IJSB_SB_EEENS0_18inequality_wrapperIN6hipcub16HIPCUB_304000_NS8EqualityEEEPlJS6_EEE10hipError_tPvRmT3_T4_T5_T6_T7_T9_mT8_P12ihipStream_tbDpT10_ENKUlT_T0_E_clISt17integral_constantIbLb1EES16_IbLb0EEEEDaS12_S13_EUlS12_E_NS1_11comp_targetILNS1_3genE9ELNS1_11target_archE1100ELNS1_3gpuE3ELNS1_3repE0EEENS1_30default_config_static_selectorELNS0_4arch9wavefront6targetE0EEEvT1_.num_named_barrier, 0
	.set _ZN7rocprim17ROCPRIM_400000_NS6detail17trampoline_kernelINS0_14default_configENS1_25partition_config_selectorILNS1_17partition_subalgoE8EdNS0_10empty_typeEbEEZZNS1_14partition_implILS5_8ELb0ES3_jPKdPS6_PKS6_NS0_5tupleIJPdS6_EEENSE_IJSB_SB_EEENS0_18inequality_wrapperIN6hipcub16HIPCUB_304000_NS8EqualityEEEPlJS6_EEE10hipError_tPvRmT3_T4_T5_T6_T7_T9_mT8_P12ihipStream_tbDpT10_ENKUlT_T0_E_clISt17integral_constantIbLb1EES16_IbLb0EEEEDaS12_S13_EUlS12_E_NS1_11comp_targetILNS1_3genE9ELNS1_11target_archE1100ELNS1_3gpuE3ELNS1_3repE0EEENS1_30default_config_static_selectorELNS0_4arch9wavefront6targetE0EEEvT1_.private_seg_size, 0
	.set _ZN7rocprim17ROCPRIM_400000_NS6detail17trampoline_kernelINS0_14default_configENS1_25partition_config_selectorILNS1_17partition_subalgoE8EdNS0_10empty_typeEbEEZZNS1_14partition_implILS5_8ELb0ES3_jPKdPS6_PKS6_NS0_5tupleIJPdS6_EEENSE_IJSB_SB_EEENS0_18inequality_wrapperIN6hipcub16HIPCUB_304000_NS8EqualityEEEPlJS6_EEE10hipError_tPvRmT3_T4_T5_T6_T7_T9_mT8_P12ihipStream_tbDpT10_ENKUlT_T0_E_clISt17integral_constantIbLb1EES16_IbLb0EEEEDaS12_S13_EUlS12_E_NS1_11comp_targetILNS1_3genE9ELNS1_11target_archE1100ELNS1_3gpuE3ELNS1_3repE0EEENS1_30default_config_static_selectorELNS0_4arch9wavefront6targetE0EEEvT1_.uses_vcc, 0
	.set _ZN7rocprim17ROCPRIM_400000_NS6detail17trampoline_kernelINS0_14default_configENS1_25partition_config_selectorILNS1_17partition_subalgoE8EdNS0_10empty_typeEbEEZZNS1_14partition_implILS5_8ELb0ES3_jPKdPS6_PKS6_NS0_5tupleIJPdS6_EEENSE_IJSB_SB_EEENS0_18inequality_wrapperIN6hipcub16HIPCUB_304000_NS8EqualityEEEPlJS6_EEE10hipError_tPvRmT3_T4_T5_T6_T7_T9_mT8_P12ihipStream_tbDpT10_ENKUlT_T0_E_clISt17integral_constantIbLb1EES16_IbLb0EEEEDaS12_S13_EUlS12_E_NS1_11comp_targetILNS1_3genE9ELNS1_11target_archE1100ELNS1_3gpuE3ELNS1_3repE0EEENS1_30default_config_static_selectorELNS0_4arch9wavefront6targetE0EEEvT1_.uses_flat_scratch, 0
	.set _ZN7rocprim17ROCPRIM_400000_NS6detail17trampoline_kernelINS0_14default_configENS1_25partition_config_selectorILNS1_17partition_subalgoE8EdNS0_10empty_typeEbEEZZNS1_14partition_implILS5_8ELb0ES3_jPKdPS6_PKS6_NS0_5tupleIJPdS6_EEENSE_IJSB_SB_EEENS0_18inequality_wrapperIN6hipcub16HIPCUB_304000_NS8EqualityEEEPlJS6_EEE10hipError_tPvRmT3_T4_T5_T6_T7_T9_mT8_P12ihipStream_tbDpT10_ENKUlT_T0_E_clISt17integral_constantIbLb1EES16_IbLb0EEEEDaS12_S13_EUlS12_E_NS1_11comp_targetILNS1_3genE9ELNS1_11target_archE1100ELNS1_3gpuE3ELNS1_3repE0EEENS1_30default_config_static_selectorELNS0_4arch9wavefront6targetE0EEEvT1_.has_dyn_sized_stack, 0
	.set _ZN7rocprim17ROCPRIM_400000_NS6detail17trampoline_kernelINS0_14default_configENS1_25partition_config_selectorILNS1_17partition_subalgoE8EdNS0_10empty_typeEbEEZZNS1_14partition_implILS5_8ELb0ES3_jPKdPS6_PKS6_NS0_5tupleIJPdS6_EEENSE_IJSB_SB_EEENS0_18inequality_wrapperIN6hipcub16HIPCUB_304000_NS8EqualityEEEPlJS6_EEE10hipError_tPvRmT3_T4_T5_T6_T7_T9_mT8_P12ihipStream_tbDpT10_ENKUlT_T0_E_clISt17integral_constantIbLb1EES16_IbLb0EEEEDaS12_S13_EUlS12_E_NS1_11comp_targetILNS1_3genE9ELNS1_11target_archE1100ELNS1_3gpuE3ELNS1_3repE0EEENS1_30default_config_static_selectorELNS0_4arch9wavefront6targetE0EEEvT1_.has_recursion, 0
	.set _ZN7rocprim17ROCPRIM_400000_NS6detail17trampoline_kernelINS0_14default_configENS1_25partition_config_selectorILNS1_17partition_subalgoE8EdNS0_10empty_typeEbEEZZNS1_14partition_implILS5_8ELb0ES3_jPKdPS6_PKS6_NS0_5tupleIJPdS6_EEENSE_IJSB_SB_EEENS0_18inequality_wrapperIN6hipcub16HIPCUB_304000_NS8EqualityEEEPlJS6_EEE10hipError_tPvRmT3_T4_T5_T6_T7_T9_mT8_P12ihipStream_tbDpT10_ENKUlT_T0_E_clISt17integral_constantIbLb1EES16_IbLb0EEEEDaS12_S13_EUlS12_E_NS1_11comp_targetILNS1_3genE9ELNS1_11target_archE1100ELNS1_3gpuE3ELNS1_3repE0EEENS1_30default_config_static_selectorELNS0_4arch9wavefront6targetE0EEEvT1_.has_indirect_call, 0
	.section	.AMDGPU.csdata,"",@progbits
; Kernel info:
; codeLenInByte = 0
; TotalNumSgprs: 0
; NumVgprs: 0
; ScratchSize: 0
; MemoryBound: 0
; FloatMode: 240
; IeeeMode: 1
; LDSByteSize: 0 bytes/workgroup (compile time only)
; SGPRBlocks: 0
; VGPRBlocks: 0
; NumSGPRsForWavesPerEU: 1
; NumVGPRsForWavesPerEU: 1
; NamedBarCnt: 0
; Occupancy: 16
; WaveLimiterHint : 0
; COMPUTE_PGM_RSRC2:SCRATCH_EN: 0
; COMPUTE_PGM_RSRC2:USER_SGPR: 2
; COMPUTE_PGM_RSRC2:TRAP_HANDLER: 0
; COMPUTE_PGM_RSRC2:TGID_X_EN: 1
; COMPUTE_PGM_RSRC2:TGID_Y_EN: 0
; COMPUTE_PGM_RSRC2:TGID_Z_EN: 0
; COMPUTE_PGM_RSRC2:TIDIG_COMP_CNT: 0
	.section	.text._ZN7rocprim17ROCPRIM_400000_NS6detail17trampoline_kernelINS0_14default_configENS1_25partition_config_selectorILNS1_17partition_subalgoE8EdNS0_10empty_typeEbEEZZNS1_14partition_implILS5_8ELb0ES3_jPKdPS6_PKS6_NS0_5tupleIJPdS6_EEENSE_IJSB_SB_EEENS0_18inequality_wrapperIN6hipcub16HIPCUB_304000_NS8EqualityEEEPlJS6_EEE10hipError_tPvRmT3_T4_T5_T6_T7_T9_mT8_P12ihipStream_tbDpT10_ENKUlT_T0_E_clISt17integral_constantIbLb1EES16_IbLb0EEEEDaS12_S13_EUlS12_E_NS1_11comp_targetILNS1_3genE8ELNS1_11target_archE1030ELNS1_3gpuE2ELNS1_3repE0EEENS1_30default_config_static_selectorELNS0_4arch9wavefront6targetE0EEEvT1_,"axG",@progbits,_ZN7rocprim17ROCPRIM_400000_NS6detail17trampoline_kernelINS0_14default_configENS1_25partition_config_selectorILNS1_17partition_subalgoE8EdNS0_10empty_typeEbEEZZNS1_14partition_implILS5_8ELb0ES3_jPKdPS6_PKS6_NS0_5tupleIJPdS6_EEENSE_IJSB_SB_EEENS0_18inequality_wrapperIN6hipcub16HIPCUB_304000_NS8EqualityEEEPlJS6_EEE10hipError_tPvRmT3_T4_T5_T6_T7_T9_mT8_P12ihipStream_tbDpT10_ENKUlT_T0_E_clISt17integral_constantIbLb1EES16_IbLb0EEEEDaS12_S13_EUlS12_E_NS1_11comp_targetILNS1_3genE8ELNS1_11target_archE1030ELNS1_3gpuE2ELNS1_3repE0EEENS1_30default_config_static_selectorELNS0_4arch9wavefront6targetE0EEEvT1_,comdat
	.protected	_ZN7rocprim17ROCPRIM_400000_NS6detail17trampoline_kernelINS0_14default_configENS1_25partition_config_selectorILNS1_17partition_subalgoE8EdNS0_10empty_typeEbEEZZNS1_14partition_implILS5_8ELb0ES3_jPKdPS6_PKS6_NS0_5tupleIJPdS6_EEENSE_IJSB_SB_EEENS0_18inequality_wrapperIN6hipcub16HIPCUB_304000_NS8EqualityEEEPlJS6_EEE10hipError_tPvRmT3_T4_T5_T6_T7_T9_mT8_P12ihipStream_tbDpT10_ENKUlT_T0_E_clISt17integral_constantIbLb1EES16_IbLb0EEEEDaS12_S13_EUlS12_E_NS1_11comp_targetILNS1_3genE8ELNS1_11target_archE1030ELNS1_3gpuE2ELNS1_3repE0EEENS1_30default_config_static_selectorELNS0_4arch9wavefront6targetE0EEEvT1_ ; -- Begin function _ZN7rocprim17ROCPRIM_400000_NS6detail17trampoline_kernelINS0_14default_configENS1_25partition_config_selectorILNS1_17partition_subalgoE8EdNS0_10empty_typeEbEEZZNS1_14partition_implILS5_8ELb0ES3_jPKdPS6_PKS6_NS0_5tupleIJPdS6_EEENSE_IJSB_SB_EEENS0_18inequality_wrapperIN6hipcub16HIPCUB_304000_NS8EqualityEEEPlJS6_EEE10hipError_tPvRmT3_T4_T5_T6_T7_T9_mT8_P12ihipStream_tbDpT10_ENKUlT_T0_E_clISt17integral_constantIbLb1EES16_IbLb0EEEEDaS12_S13_EUlS12_E_NS1_11comp_targetILNS1_3genE8ELNS1_11target_archE1030ELNS1_3gpuE2ELNS1_3repE0EEENS1_30default_config_static_selectorELNS0_4arch9wavefront6targetE0EEEvT1_
	.globl	_ZN7rocprim17ROCPRIM_400000_NS6detail17trampoline_kernelINS0_14default_configENS1_25partition_config_selectorILNS1_17partition_subalgoE8EdNS0_10empty_typeEbEEZZNS1_14partition_implILS5_8ELb0ES3_jPKdPS6_PKS6_NS0_5tupleIJPdS6_EEENSE_IJSB_SB_EEENS0_18inequality_wrapperIN6hipcub16HIPCUB_304000_NS8EqualityEEEPlJS6_EEE10hipError_tPvRmT3_T4_T5_T6_T7_T9_mT8_P12ihipStream_tbDpT10_ENKUlT_T0_E_clISt17integral_constantIbLb1EES16_IbLb0EEEEDaS12_S13_EUlS12_E_NS1_11comp_targetILNS1_3genE8ELNS1_11target_archE1030ELNS1_3gpuE2ELNS1_3repE0EEENS1_30default_config_static_selectorELNS0_4arch9wavefront6targetE0EEEvT1_
	.p2align	8
	.type	_ZN7rocprim17ROCPRIM_400000_NS6detail17trampoline_kernelINS0_14default_configENS1_25partition_config_selectorILNS1_17partition_subalgoE8EdNS0_10empty_typeEbEEZZNS1_14partition_implILS5_8ELb0ES3_jPKdPS6_PKS6_NS0_5tupleIJPdS6_EEENSE_IJSB_SB_EEENS0_18inequality_wrapperIN6hipcub16HIPCUB_304000_NS8EqualityEEEPlJS6_EEE10hipError_tPvRmT3_T4_T5_T6_T7_T9_mT8_P12ihipStream_tbDpT10_ENKUlT_T0_E_clISt17integral_constantIbLb1EES16_IbLb0EEEEDaS12_S13_EUlS12_E_NS1_11comp_targetILNS1_3genE8ELNS1_11target_archE1030ELNS1_3gpuE2ELNS1_3repE0EEENS1_30default_config_static_selectorELNS0_4arch9wavefront6targetE0EEEvT1_,@function
_ZN7rocprim17ROCPRIM_400000_NS6detail17trampoline_kernelINS0_14default_configENS1_25partition_config_selectorILNS1_17partition_subalgoE8EdNS0_10empty_typeEbEEZZNS1_14partition_implILS5_8ELb0ES3_jPKdPS6_PKS6_NS0_5tupleIJPdS6_EEENSE_IJSB_SB_EEENS0_18inequality_wrapperIN6hipcub16HIPCUB_304000_NS8EqualityEEEPlJS6_EEE10hipError_tPvRmT3_T4_T5_T6_T7_T9_mT8_P12ihipStream_tbDpT10_ENKUlT_T0_E_clISt17integral_constantIbLb1EES16_IbLb0EEEEDaS12_S13_EUlS12_E_NS1_11comp_targetILNS1_3genE8ELNS1_11target_archE1030ELNS1_3gpuE2ELNS1_3repE0EEENS1_30default_config_static_selectorELNS0_4arch9wavefront6targetE0EEEvT1_: ; @_ZN7rocprim17ROCPRIM_400000_NS6detail17trampoline_kernelINS0_14default_configENS1_25partition_config_selectorILNS1_17partition_subalgoE8EdNS0_10empty_typeEbEEZZNS1_14partition_implILS5_8ELb0ES3_jPKdPS6_PKS6_NS0_5tupleIJPdS6_EEENSE_IJSB_SB_EEENS0_18inequality_wrapperIN6hipcub16HIPCUB_304000_NS8EqualityEEEPlJS6_EEE10hipError_tPvRmT3_T4_T5_T6_T7_T9_mT8_P12ihipStream_tbDpT10_ENKUlT_T0_E_clISt17integral_constantIbLb1EES16_IbLb0EEEEDaS12_S13_EUlS12_E_NS1_11comp_targetILNS1_3genE8ELNS1_11target_archE1030ELNS1_3gpuE2ELNS1_3repE0EEENS1_30default_config_static_selectorELNS0_4arch9wavefront6targetE0EEEvT1_
; %bb.0:
	.section	.rodata,"a",@progbits
	.p2align	6, 0x0
	.amdhsa_kernel _ZN7rocprim17ROCPRIM_400000_NS6detail17trampoline_kernelINS0_14default_configENS1_25partition_config_selectorILNS1_17partition_subalgoE8EdNS0_10empty_typeEbEEZZNS1_14partition_implILS5_8ELb0ES3_jPKdPS6_PKS6_NS0_5tupleIJPdS6_EEENSE_IJSB_SB_EEENS0_18inequality_wrapperIN6hipcub16HIPCUB_304000_NS8EqualityEEEPlJS6_EEE10hipError_tPvRmT3_T4_T5_T6_T7_T9_mT8_P12ihipStream_tbDpT10_ENKUlT_T0_E_clISt17integral_constantIbLb1EES16_IbLb0EEEEDaS12_S13_EUlS12_E_NS1_11comp_targetILNS1_3genE8ELNS1_11target_archE1030ELNS1_3gpuE2ELNS1_3repE0EEENS1_30default_config_static_selectorELNS0_4arch9wavefront6targetE0EEEvT1_
		.amdhsa_group_segment_fixed_size 0
		.amdhsa_private_segment_fixed_size 0
		.amdhsa_kernarg_size 112
		.amdhsa_user_sgpr_count 2
		.amdhsa_user_sgpr_dispatch_ptr 0
		.amdhsa_user_sgpr_queue_ptr 0
		.amdhsa_user_sgpr_kernarg_segment_ptr 1
		.amdhsa_user_sgpr_dispatch_id 0
		.amdhsa_user_sgpr_kernarg_preload_length 0
		.amdhsa_user_sgpr_kernarg_preload_offset 0
		.amdhsa_user_sgpr_private_segment_size 0
		.amdhsa_wavefront_size32 1
		.amdhsa_uses_dynamic_stack 0
		.amdhsa_enable_private_segment 0
		.amdhsa_system_sgpr_workgroup_id_x 1
		.amdhsa_system_sgpr_workgroup_id_y 0
		.amdhsa_system_sgpr_workgroup_id_z 0
		.amdhsa_system_sgpr_workgroup_info 0
		.amdhsa_system_vgpr_workitem_id 0
		.amdhsa_next_free_vgpr 1
		.amdhsa_next_free_sgpr 1
		.amdhsa_named_barrier_count 0
		.amdhsa_reserve_vcc 0
		.amdhsa_float_round_mode_32 0
		.amdhsa_float_round_mode_16_64 0
		.amdhsa_float_denorm_mode_32 3
		.amdhsa_float_denorm_mode_16_64 3
		.amdhsa_fp16_overflow 0
		.amdhsa_memory_ordered 1
		.amdhsa_forward_progress 1
		.amdhsa_inst_pref_size 0
		.amdhsa_round_robin_scheduling 0
		.amdhsa_exception_fp_ieee_invalid_op 0
		.amdhsa_exception_fp_denorm_src 0
		.amdhsa_exception_fp_ieee_div_zero 0
		.amdhsa_exception_fp_ieee_overflow 0
		.amdhsa_exception_fp_ieee_underflow 0
		.amdhsa_exception_fp_ieee_inexact 0
		.amdhsa_exception_int_div_zero 0
	.end_amdhsa_kernel
	.section	.text._ZN7rocprim17ROCPRIM_400000_NS6detail17trampoline_kernelINS0_14default_configENS1_25partition_config_selectorILNS1_17partition_subalgoE8EdNS0_10empty_typeEbEEZZNS1_14partition_implILS5_8ELb0ES3_jPKdPS6_PKS6_NS0_5tupleIJPdS6_EEENSE_IJSB_SB_EEENS0_18inequality_wrapperIN6hipcub16HIPCUB_304000_NS8EqualityEEEPlJS6_EEE10hipError_tPvRmT3_T4_T5_T6_T7_T9_mT8_P12ihipStream_tbDpT10_ENKUlT_T0_E_clISt17integral_constantIbLb1EES16_IbLb0EEEEDaS12_S13_EUlS12_E_NS1_11comp_targetILNS1_3genE8ELNS1_11target_archE1030ELNS1_3gpuE2ELNS1_3repE0EEENS1_30default_config_static_selectorELNS0_4arch9wavefront6targetE0EEEvT1_,"axG",@progbits,_ZN7rocprim17ROCPRIM_400000_NS6detail17trampoline_kernelINS0_14default_configENS1_25partition_config_selectorILNS1_17partition_subalgoE8EdNS0_10empty_typeEbEEZZNS1_14partition_implILS5_8ELb0ES3_jPKdPS6_PKS6_NS0_5tupleIJPdS6_EEENSE_IJSB_SB_EEENS0_18inequality_wrapperIN6hipcub16HIPCUB_304000_NS8EqualityEEEPlJS6_EEE10hipError_tPvRmT3_T4_T5_T6_T7_T9_mT8_P12ihipStream_tbDpT10_ENKUlT_T0_E_clISt17integral_constantIbLb1EES16_IbLb0EEEEDaS12_S13_EUlS12_E_NS1_11comp_targetILNS1_3genE8ELNS1_11target_archE1030ELNS1_3gpuE2ELNS1_3repE0EEENS1_30default_config_static_selectorELNS0_4arch9wavefront6targetE0EEEvT1_,comdat
.Lfunc_end295:
	.size	_ZN7rocprim17ROCPRIM_400000_NS6detail17trampoline_kernelINS0_14default_configENS1_25partition_config_selectorILNS1_17partition_subalgoE8EdNS0_10empty_typeEbEEZZNS1_14partition_implILS5_8ELb0ES3_jPKdPS6_PKS6_NS0_5tupleIJPdS6_EEENSE_IJSB_SB_EEENS0_18inequality_wrapperIN6hipcub16HIPCUB_304000_NS8EqualityEEEPlJS6_EEE10hipError_tPvRmT3_T4_T5_T6_T7_T9_mT8_P12ihipStream_tbDpT10_ENKUlT_T0_E_clISt17integral_constantIbLb1EES16_IbLb0EEEEDaS12_S13_EUlS12_E_NS1_11comp_targetILNS1_3genE8ELNS1_11target_archE1030ELNS1_3gpuE2ELNS1_3repE0EEENS1_30default_config_static_selectorELNS0_4arch9wavefront6targetE0EEEvT1_, .Lfunc_end295-_ZN7rocprim17ROCPRIM_400000_NS6detail17trampoline_kernelINS0_14default_configENS1_25partition_config_selectorILNS1_17partition_subalgoE8EdNS0_10empty_typeEbEEZZNS1_14partition_implILS5_8ELb0ES3_jPKdPS6_PKS6_NS0_5tupleIJPdS6_EEENSE_IJSB_SB_EEENS0_18inequality_wrapperIN6hipcub16HIPCUB_304000_NS8EqualityEEEPlJS6_EEE10hipError_tPvRmT3_T4_T5_T6_T7_T9_mT8_P12ihipStream_tbDpT10_ENKUlT_T0_E_clISt17integral_constantIbLb1EES16_IbLb0EEEEDaS12_S13_EUlS12_E_NS1_11comp_targetILNS1_3genE8ELNS1_11target_archE1030ELNS1_3gpuE2ELNS1_3repE0EEENS1_30default_config_static_selectorELNS0_4arch9wavefront6targetE0EEEvT1_
                                        ; -- End function
	.set _ZN7rocprim17ROCPRIM_400000_NS6detail17trampoline_kernelINS0_14default_configENS1_25partition_config_selectorILNS1_17partition_subalgoE8EdNS0_10empty_typeEbEEZZNS1_14partition_implILS5_8ELb0ES3_jPKdPS6_PKS6_NS0_5tupleIJPdS6_EEENSE_IJSB_SB_EEENS0_18inequality_wrapperIN6hipcub16HIPCUB_304000_NS8EqualityEEEPlJS6_EEE10hipError_tPvRmT3_T4_T5_T6_T7_T9_mT8_P12ihipStream_tbDpT10_ENKUlT_T0_E_clISt17integral_constantIbLb1EES16_IbLb0EEEEDaS12_S13_EUlS12_E_NS1_11comp_targetILNS1_3genE8ELNS1_11target_archE1030ELNS1_3gpuE2ELNS1_3repE0EEENS1_30default_config_static_selectorELNS0_4arch9wavefront6targetE0EEEvT1_.num_vgpr, 0
	.set _ZN7rocprim17ROCPRIM_400000_NS6detail17trampoline_kernelINS0_14default_configENS1_25partition_config_selectorILNS1_17partition_subalgoE8EdNS0_10empty_typeEbEEZZNS1_14partition_implILS5_8ELb0ES3_jPKdPS6_PKS6_NS0_5tupleIJPdS6_EEENSE_IJSB_SB_EEENS0_18inequality_wrapperIN6hipcub16HIPCUB_304000_NS8EqualityEEEPlJS6_EEE10hipError_tPvRmT3_T4_T5_T6_T7_T9_mT8_P12ihipStream_tbDpT10_ENKUlT_T0_E_clISt17integral_constantIbLb1EES16_IbLb0EEEEDaS12_S13_EUlS12_E_NS1_11comp_targetILNS1_3genE8ELNS1_11target_archE1030ELNS1_3gpuE2ELNS1_3repE0EEENS1_30default_config_static_selectorELNS0_4arch9wavefront6targetE0EEEvT1_.num_agpr, 0
	.set _ZN7rocprim17ROCPRIM_400000_NS6detail17trampoline_kernelINS0_14default_configENS1_25partition_config_selectorILNS1_17partition_subalgoE8EdNS0_10empty_typeEbEEZZNS1_14partition_implILS5_8ELb0ES3_jPKdPS6_PKS6_NS0_5tupleIJPdS6_EEENSE_IJSB_SB_EEENS0_18inequality_wrapperIN6hipcub16HIPCUB_304000_NS8EqualityEEEPlJS6_EEE10hipError_tPvRmT3_T4_T5_T6_T7_T9_mT8_P12ihipStream_tbDpT10_ENKUlT_T0_E_clISt17integral_constantIbLb1EES16_IbLb0EEEEDaS12_S13_EUlS12_E_NS1_11comp_targetILNS1_3genE8ELNS1_11target_archE1030ELNS1_3gpuE2ELNS1_3repE0EEENS1_30default_config_static_selectorELNS0_4arch9wavefront6targetE0EEEvT1_.numbered_sgpr, 0
	.set _ZN7rocprim17ROCPRIM_400000_NS6detail17trampoline_kernelINS0_14default_configENS1_25partition_config_selectorILNS1_17partition_subalgoE8EdNS0_10empty_typeEbEEZZNS1_14partition_implILS5_8ELb0ES3_jPKdPS6_PKS6_NS0_5tupleIJPdS6_EEENSE_IJSB_SB_EEENS0_18inequality_wrapperIN6hipcub16HIPCUB_304000_NS8EqualityEEEPlJS6_EEE10hipError_tPvRmT3_T4_T5_T6_T7_T9_mT8_P12ihipStream_tbDpT10_ENKUlT_T0_E_clISt17integral_constantIbLb1EES16_IbLb0EEEEDaS12_S13_EUlS12_E_NS1_11comp_targetILNS1_3genE8ELNS1_11target_archE1030ELNS1_3gpuE2ELNS1_3repE0EEENS1_30default_config_static_selectorELNS0_4arch9wavefront6targetE0EEEvT1_.num_named_barrier, 0
	.set _ZN7rocprim17ROCPRIM_400000_NS6detail17trampoline_kernelINS0_14default_configENS1_25partition_config_selectorILNS1_17partition_subalgoE8EdNS0_10empty_typeEbEEZZNS1_14partition_implILS5_8ELb0ES3_jPKdPS6_PKS6_NS0_5tupleIJPdS6_EEENSE_IJSB_SB_EEENS0_18inequality_wrapperIN6hipcub16HIPCUB_304000_NS8EqualityEEEPlJS6_EEE10hipError_tPvRmT3_T4_T5_T6_T7_T9_mT8_P12ihipStream_tbDpT10_ENKUlT_T0_E_clISt17integral_constantIbLb1EES16_IbLb0EEEEDaS12_S13_EUlS12_E_NS1_11comp_targetILNS1_3genE8ELNS1_11target_archE1030ELNS1_3gpuE2ELNS1_3repE0EEENS1_30default_config_static_selectorELNS0_4arch9wavefront6targetE0EEEvT1_.private_seg_size, 0
	.set _ZN7rocprim17ROCPRIM_400000_NS6detail17trampoline_kernelINS0_14default_configENS1_25partition_config_selectorILNS1_17partition_subalgoE8EdNS0_10empty_typeEbEEZZNS1_14partition_implILS5_8ELb0ES3_jPKdPS6_PKS6_NS0_5tupleIJPdS6_EEENSE_IJSB_SB_EEENS0_18inequality_wrapperIN6hipcub16HIPCUB_304000_NS8EqualityEEEPlJS6_EEE10hipError_tPvRmT3_T4_T5_T6_T7_T9_mT8_P12ihipStream_tbDpT10_ENKUlT_T0_E_clISt17integral_constantIbLb1EES16_IbLb0EEEEDaS12_S13_EUlS12_E_NS1_11comp_targetILNS1_3genE8ELNS1_11target_archE1030ELNS1_3gpuE2ELNS1_3repE0EEENS1_30default_config_static_selectorELNS0_4arch9wavefront6targetE0EEEvT1_.uses_vcc, 0
	.set _ZN7rocprim17ROCPRIM_400000_NS6detail17trampoline_kernelINS0_14default_configENS1_25partition_config_selectorILNS1_17partition_subalgoE8EdNS0_10empty_typeEbEEZZNS1_14partition_implILS5_8ELb0ES3_jPKdPS6_PKS6_NS0_5tupleIJPdS6_EEENSE_IJSB_SB_EEENS0_18inequality_wrapperIN6hipcub16HIPCUB_304000_NS8EqualityEEEPlJS6_EEE10hipError_tPvRmT3_T4_T5_T6_T7_T9_mT8_P12ihipStream_tbDpT10_ENKUlT_T0_E_clISt17integral_constantIbLb1EES16_IbLb0EEEEDaS12_S13_EUlS12_E_NS1_11comp_targetILNS1_3genE8ELNS1_11target_archE1030ELNS1_3gpuE2ELNS1_3repE0EEENS1_30default_config_static_selectorELNS0_4arch9wavefront6targetE0EEEvT1_.uses_flat_scratch, 0
	.set _ZN7rocprim17ROCPRIM_400000_NS6detail17trampoline_kernelINS0_14default_configENS1_25partition_config_selectorILNS1_17partition_subalgoE8EdNS0_10empty_typeEbEEZZNS1_14partition_implILS5_8ELb0ES3_jPKdPS6_PKS6_NS0_5tupleIJPdS6_EEENSE_IJSB_SB_EEENS0_18inequality_wrapperIN6hipcub16HIPCUB_304000_NS8EqualityEEEPlJS6_EEE10hipError_tPvRmT3_T4_T5_T6_T7_T9_mT8_P12ihipStream_tbDpT10_ENKUlT_T0_E_clISt17integral_constantIbLb1EES16_IbLb0EEEEDaS12_S13_EUlS12_E_NS1_11comp_targetILNS1_3genE8ELNS1_11target_archE1030ELNS1_3gpuE2ELNS1_3repE0EEENS1_30default_config_static_selectorELNS0_4arch9wavefront6targetE0EEEvT1_.has_dyn_sized_stack, 0
	.set _ZN7rocprim17ROCPRIM_400000_NS6detail17trampoline_kernelINS0_14default_configENS1_25partition_config_selectorILNS1_17partition_subalgoE8EdNS0_10empty_typeEbEEZZNS1_14partition_implILS5_8ELb0ES3_jPKdPS6_PKS6_NS0_5tupleIJPdS6_EEENSE_IJSB_SB_EEENS0_18inequality_wrapperIN6hipcub16HIPCUB_304000_NS8EqualityEEEPlJS6_EEE10hipError_tPvRmT3_T4_T5_T6_T7_T9_mT8_P12ihipStream_tbDpT10_ENKUlT_T0_E_clISt17integral_constantIbLb1EES16_IbLb0EEEEDaS12_S13_EUlS12_E_NS1_11comp_targetILNS1_3genE8ELNS1_11target_archE1030ELNS1_3gpuE2ELNS1_3repE0EEENS1_30default_config_static_selectorELNS0_4arch9wavefront6targetE0EEEvT1_.has_recursion, 0
	.set _ZN7rocprim17ROCPRIM_400000_NS6detail17trampoline_kernelINS0_14default_configENS1_25partition_config_selectorILNS1_17partition_subalgoE8EdNS0_10empty_typeEbEEZZNS1_14partition_implILS5_8ELb0ES3_jPKdPS6_PKS6_NS0_5tupleIJPdS6_EEENSE_IJSB_SB_EEENS0_18inequality_wrapperIN6hipcub16HIPCUB_304000_NS8EqualityEEEPlJS6_EEE10hipError_tPvRmT3_T4_T5_T6_T7_T9_mT8_P12ihipStream_tbDpT10_ENKUlT_T0_E_clISt17integral_constantIbLb1EES16_IbLb0EEEEDaS12_S13_EUlS12_E_NS1_11comp_targetILNS1_3genE8ELNS1_11target_archE1030ELNS1_3gpuE2ELNS1_3repE0EEENS1_30default_config_static_selectorELNS0_4arch9wavefront6targetE0EEEvT1_.has_indirect_call, 0
	.section	.AMDGPU.csdata,"",@progbits
; Kernel info:
; codeLenInByte = 0
; TotalNumSgprs: 0
; NumVgprs: 0
; ScratchSize: 0
; MemoryBound: 0
; FloatMode: 240
; IeeeMode: 1
; LDSByteSize: 0 bytes/workgroup (compile time only)
; SGPRBlocks: 0
; VGPRBlocks: 0
; NumSGPRsForWavesPerEU: 1
; NumVGPRsForWavesPerEU: 1
; NamedBarCnt: 0
; Occupancy: 16
; WaveLimiterHint : 0
; COMPUTE_PGM_RSRC2:SCRATCH_EN: 0
; COMPUTE_PGM_RSRC2:USER_SGPR: 2
; COMPUTE_PGM_RSRC2:TRAP_HANDLER: 0
; COMPUTE_PGM_RSRC2:TGID_X_EN: 1
; COMPUTE_PGM_RSRC2:TGID_Y_EN: 0
; COMPUTE_PGM_RSRC2:TGID_Z_EN: 0
; COMPUTE_PGM_RSRC2:TIDIG_COMP_CNT: 0
	.section	.text._ZN7rocprim17ROCPRIM_400000_NS6detail17trampoline_kernelINS0_14default_configENS1_25partition_config_selectorILNS1_17partition_subalgoE8EdNS0_10empty_typeEbEEZZNS1_14partition_implILS5_8ELb0ES3_jPKdPS6_PKS6_NS0_5tupleIJPdS6_EEENSE_IJSB_SB_EEENS0_18inequality_wrapperIN6hipcub16HIPCUB_304000_NS8EqualityEEEPlJS6_EEE10hipError_tPvRmT3_T4_T5_T6_T7_T9_mT8_P12ihipStream_tbDpT10_ENKUlT_T0_E_clISt17integral_constantIbLb0EES16_IbLb1EEEEDaS12_S13_EUlS12_E_NS1_11comp_targetILNS1_3genE0ELNS1_11target_archE4294967295ELNS1_3gpuE0ELNS1_3repE0EEENS1_30default_config_static_selectorELNS0_4arch9wavefront6targetE0EEEvT1_,"axG",@progbits,_ZN7rocprim17ROCPRIM_400000_NS6detail17trampoline_kernelINS0_14default_configENS1_25partition_config_selectorILNS1_17partition_subalgoE8EdNS0_10empty_typeEbEEZZNS1_14partition_implILS5_8ELb0ES3_jPKdPS6_PKS6_NS0_5tupleIJPdS6_EEENSE_IJSB_SB_EEENS0_18inequality_wrapperIN6hipcub16HIPCUB_304000_NS8EqualityEEEPlJS6_EEE10hipError_tPvRmT3_T4_T5_T6_T7_T9_mT8_P12ihipStream_tbDpT10_ENKUlT_T0_E_clISt17integral_constantIbLb0EES16_IbLb1EEEEDaS12_S13_EUlS12_E_NS1_11comp_targetILNS1_3genE0ELNS1_11target_archE4294967295ELNS1_3gpuE0ELNS1_3repE0EEENS1_30default_config_static_selectorELNS0_4arch9wavefront6targetE0EEEvT1_,comdat
	.protected	_ZN7rocprim17ROCPRIM_400000_NS6detail17trampoline_kernelINS0_14default_configENS1_25partition_config_selectorILNS1_17partition_subalgoE8EdNS0_10empty_typeEbEEZZNS1_14partition_implILS5_8ELb0ES3_jPKdPS6_PKS6_NS0_5tupleIJPdS6_EEENSE_IJSB_SB_EEENS0_18inequality_wrapperIN6hipcub16HIPCUB_304000_NS8EqualityEEEPlJS6_EEE10hipError_tPvRmT3_T4_T5_T6_T7_T9_mT8_P12ihipStream_tbDpT10_ENKUlT_T0_E_clISt17integral_constantIbLb0EES16_IbLb1EEEEDaS12_S13_EUlS12_E_NS1_11comp_targetILNS1_3genE0ELNS1_11target_archE4294967295ELNS1_3gpuE0ELNS1_3repE0EEENS1_30default_config_static_selectorELNS0_4arch9wavefront6targetE0EEEvT1_ ; -- Begin function _ZN7rocprim17ROCPRIM_400000_NS6detail17trampoline_kernelINS0_14default_configENS1_25partition_config_selectorILNS1_17partition_subalgoE8EdNS0_10empty_typeEbEEZZNS1_14partition_implILS5_8ELb0ES3_jPKdPS6_PKS6_NS0_5tupleIJPdS6_EEENSE_IJSB_SB_EEENS0_18inequality_wrapperIN6hipcub16HIPCUB_304000_NS8EqualityEEEPlJS6_EEE10hipError_tPvRmT3_T4_T5_T6_T7_T9_mT8_P12ihipStream_tbDpT10_ENKUlT_T0_E_clISt17integral_constantIbLb0EES16_IbLb1EEEEDaS12_S13_EUlS12_E_NS1_11comp_targetILNS1_3genE0ELNS1_11target_archE4294967295ELNS1_3gpuE0ELNS1_3repE0EEENS1_30default_config_static_selectorELNS0_4arch9wavefront6targetE0EEEvT1_
	.globl	_ZN7rocprim17ROCPRIM_400000_NS6detail17trampoline_kernelINS0_14default_configENS1_25partition_config_selectorILNS1_17partition_subalgoE8EdNS0_10empty_typeEbEEZZNS1_14partition_implILS5_8ELb0ES3_jPKdPS6_PKS6_NS0_5tupleIJPdS6_EEENSE_IJSB_SB_EEENS0_18inequality_wrapperIN6hipcub16HIPCUB_304000_NS8EqualityEEEPlJS6_EEE10hipError_tPvRmT3_T4_T5_T6_T7_T9_mT8_P12ihipStream_tbDpT10_ENKUlT_T0_E_clISt17integral_constantIbLb0EES16_IbLb1EEEEDaS12_S13_EUlS12_E_NS1_11comp_targetILNS1_3genE0ELNS1_11target_archE4294967295ELNS1_3gpuE0ELNS1_3repE0EEENS1_30default_config_static_selectorELNS0_4arch9wavefront6targetE0EEEvT1_
	.p2align	8
	.type	_ZN7rocprim17ROCPRIM_400000_NS6detail17trampoline_kernelINS0_14default_configENS1_25partition_config_selectorILNS1_17partition_subalgoE8EdNS0_10empty_typeEbEEZZNS1_14partition_implILS5_8ELb0ES3_jPKdPS6_PKS6_NS0_5tupleIJPdS6_EEENSE_IJSB_SB_EEENS0_18inequality_wrapperIN6hipcub16HIPCUB_304000_NS8EqualityEEEPlJS6_EEE10hipError_tPvRmT3_T4_T5_T6_T7_T9_mT8_P12ihipStream_tbDpT10_ENKUlT_T0_E_clISt17integral_constantIbLb0EES16_IbLb1EEEEDaS12_S13_EUlS12_E_NS1_11comp_targetILNS1_3genE0ELNS1_11target_archE4294967295ELNS1_3gpuE0ELNS1_3repE0EEENS1_30default_config_static_selectorELNS0_4arch9wavefront6targetE0EEEvT1_,@function
_ZN7rocprim17ROCPRIM_400000_NS6detail17trampoline_kernelINS0_14default_configENS1_25partition_config_selectorILNS1_17partition_subalgoE8EdNS0_10empty_typeEbEEZZNS1_14partition_implILS5_8ELb0ES3_jPKdPS6_PKS6_NS0_5tupleIJPdS6_EEENSE_IJSB_SB_EEENS0_18inequality_wrapperIN6hipcub16HIPCUB_304000_NS8EqualityEEEPlJS6_EEE10hipError_tPvRmT3_T4_T5_T6_T7_T9_mT8_P12ihipStream_tbDpT10_ENKUlT_T0_E_clISt17integral_constantIbLb0EES16_IbLb1EEEEDaS12_S13_EUlS12_E_NS1_11comp_targetILNS1_3genE0ELNS1_11target_archE4294967295ELNS1_3gpuE0ELNS1_3repE0EEENS1_30default_config_static_selectorELNS0_4arch9wavefront6targetE0EEEvT1_: ; @_ZN7rocprim17ROCPRIM_400000_NS6detail17trampoline_kernelINS0_14default_configENS1_25partition_config_selectorILNS1_17partition_subalgoE8EdNS0_10empty_typeEbEEZZNS1_14partition_implILS5_8ELb0ES3_jPKdPS6_PKS6_NS0_5tupleIJPdS6_EEENSE_IJSB_SB_EEENS0_18inequality_wrapperIN6hipcub16HIPCUB_304000_NS8EqualityEEEPlJS6_EEE10hipError_tPvRmT3_T4_T5_T6_T7_T9_mT8_P12ihipStream_tbDpT10_ENKUlT_T0_E_clISt17integral_constantIbLb0EES16_IbLb1EEEEDaS12_S13_EUlS12_E_NS1_11comp_targetILNS1_3genE0ELNS1_11target_archE4294967295ELNS1_3gpuE0ELNS1_3repE0EEENS1_30default_config_static_selectorELNS0_4arch9wavefront6targetE0EEEvT1_
; %bb.0:
	s_clause 0x2
	s_load_b128 s[12:15], s[0:1], 0x40
	s_load_b64 s[8:9], s[0:1], 0x50
	s_load_b64 s[18:19], s[0:1], 0x60
	v_cmp_ne_u32_e64 s3, 0, v0
	v_cmp_eq_u32_e64 s2, 0, v0
	s_and_saveexec_b32 s4, s2
	s_cbranch_execz .LBB296_4
; %bb.1:
	s_mov_b32 s6, exec_lo
	s_mov_b32 s5, exec_lo
	v_mbcnt_lo_u32_b32 v1, s6, 0
                                        ; implicit-def: $vgpr2
	s_delay_alu instid0(VALU_DEP_1)
	v_cmpx_eq_u32_e32 0, v1
	s_cbranch_execz .LBB296_3
; %bb.2:
	s_load_b64 s[10:11], s[0:1], 0x70
	s_bcnt1_i32_b32 s6, s6
	s_delay_alu instid0(SALU_CYCLE_1)
	v_dual_mov_b32 v2, 0 :: v_dual_mov_b32 v3, s6
	s_wait_xcnt 0x0
	s_wait_kmcnt 0x0
	global_atomic_add_u32 v2, v2, v3, s[10:11] th:TH_ATOMIC_RETURN scope:SCOPE_DEV
.LBB296_3:
	s_wait_xcnt 0x0
	s_or_b32 exec_lo, exec_lo, s5
	s_wait_loadcnt 0x0
	v_readfirstlane_b32 s5, v2
	s_delay_alu instid0(VALU_DEP_1)
	v_dual_mov_b32 v2, 0 :: v_dual_add_nc_u32 v1, s5, v1
	ds_store_b32 v2, v1
.LBB296_4:
	s_or_b32 exec_lo, exec_lo, s4
	v_dual_mov_b32 v3, 0 :: v_dual_lshlrev_b32 v24, 3, v0
	s_clause 0x2
	s_load_b128 s[4:7], s[0:1], 0x8
	s_load_b64 s[16:17], s[0:1], 0x28
	s_load_b32 s10, s[0:1], 0x68
	s_wait_dscnt 0x0
	s_barrier_signal -1
	s_barrier_wait -1
	ds_load_b32 v1, v3
	s_wait_dscnt 0x0
	s_barrier_signal -1
	s_barrier_wait -1
	s_wait_kmcnt 0x0
	global_load_b64 v[22:23], v3, s[14:15]
	s_mov_b32 s21, 0
	s_lshl_b64 s[0:1], s[6:7], 3
	s_mul_i32 s20, s10, 0xe00
	s_wait_xcnt 0x0
	s_add_co_i32 s14, s10, -1
	s_add_nc_u64 s[10:11], s[6:7], s[20:21]
	s_add_co_i32 s20, s20, s6
	v_cmp_le_u64_e64 s9, s[8:9], s[10:11]
	v_mul_lo_u32 v2, 0xe00, v1
	v_readfirstlane_b32 s15, v1
	s_sub_co_i32 s20, s8, s20
	s_add_nc_u64 s[0:1], s[4:5], s[0:1]
	s_cmp_eq_u32 s15, s14
	s_cselect_b32 s11, -1, 0
	s_delay_alu instid0(SALU_CYCLE_1) | instskip(SKIP_2) | instid1(SALU_CYCLE_1)
	s_and_b32 s21, s9, s11
	v_lshlrev_b64_e32 v[2:3], 3, v[2:3]
	s_xor_b32 s14, s21, -1
	s_and_b32 vcc_lo, exec_lo, s14
	s_delay_alu instid0(VALU_DEP_1)
	v_add_nc_u64_e32 v[26:27], s[0:1], v[2:3]
	s_mov_b32 s0, -1
	s_cbranch_vccz .LBB296_6
; %bb.5:
	s_delay_alu instid0(VALU_DEP_1) | instskip(NEXT) | instid1(VALU_DEP_2)
	v_readfirstlane_b32 s0, v26
	v_readfirstlane_b32 s1, v27
	v_lshlrev_b32_e32 v1, 3, v0
	s_clause 0x6
	global_load_b64 v[2:3], v0, s[0:1] scale_offset
	global_load_b64 v[4:5], v0, s[0:1] offset:4096 scale_offset
	global_load_b64 v[6:7], v0, s[0:1] offset:8192 scale_offset
	;; [unrolled: 1-line block ×6, first 2 shown]
	s_wait_xcnt 0x0
	s_mov_b32 s0, 0
	s_wait_loadcnt 0x5
	ds_store_2addr_stride64_b64 v1, v[2:3], v[4:5] offset1:8
	s_wait_loadcnt 0x3
	ds_store_2addr_stride64_b64 v1, v[6:7], v[8:9] offset0:16 offset1:24
	s_wait_loadcnt 0x1
	ds_store_2addr_stride64_b64 v1, v[10:11], v[12:13] offset0:32 offset1:40
	s_wait_loadcnt 0x0
	ds_store_b64 v1, v[14:15] offset:24576
	s_wait_dscnt 0x0
	s_barrier_signal -1
	s_barrier_wait -1
.LBB296_6:
	s_and_not1_b32 vcc_lo, exec_lo, s0
	s_addk_co_i32 s20, 0xe00
	s_cbranch_vccnz .LBB296_22
; %bb.7:
	v_mov_b32_e32 v2, 0
	s_mov_b32 s0, exec_lo
	s_delay_alu instid0(VALU_DEP_1)
	v_dual_mov_b32 v3, v2 :: v_dual_mov_b32 v4, v2
	v_dual_mov_b32 v5, v2 :: v_dual_mov_b32 v6, v2
	;; [unrolled: 1-line block ×6, first 2 shown]
	v_mov_b32_e32 v15, v2
	v_cmpx_gt_u32_e64 s20, v0
	s_cbranch_execz .LBB296_9
; %bb.8:
	v_readfirstlane_b32 s4, v26
	v_readfirstlane_b32 s5, v27
	v_dual_mov_b32 v6, v2 :: v_dual_mov_b32 v7, v2
	v_dual_mov_b32 v8, v2 :: v_dual_mov_b32 v9, v2
	global_load_b64 v[4:5], v0, s[4:5] scale_offset
	v_dual_mov_b32 v10, v2 :: v_dual_mov_b32 v11, v2
	v_dual_mov_b32 v12, v2 :: v_dual_mov_b32 v13, v2
	;; [unrolled: 1-line block ×4, first 2 shown]
	s_wait_loadcnt 0x0
	v_mov_b64_e32 v[2:3], v[4:5]
	v_mov_b64_e32 v[4:5], v[6:7]
	;; [unrolled: 1-line block ×8, first 2 shown]
.LBB296_9:
	s_or_b32 exec_lo, exec_lo, s0
	v_or_b32_e32 v1, 0x200, v0
	s_mov_b32 s0, exec_lo
	s_delay_alu instid0(VALU_DEP_1)
	v_cmpx_gt_u32_e64 s20, v1
	s_cbranch_execz .LBB296_11
; %bb.10:
	v_readfirstlane_b32 s4, v26
	v_readfirstlane_b32 s5, v27
	global_load_b64 v[4:5], v0, s[4:5] offset:4096 scale_offset
.LBB296_11:
	s_wait_xcnt 0x0
	s_or_b32 exec_lo, exec_lo, s0
	v_or_b32_e32 v1, 0x400, v0
	s_mov_b32 s0, exec_lo
	s_delay_alu instid0(VALU_DEP_1)
	v_cmpx_gt_u32_e64 s20, v1
	s_cbranch_execz .LBB296_13
; %bb.12:
	v_readfirstlane_b32 s4, v26
	v_readfirstlane_b32 s5, v27
	global_load_b64 v[6:7], v0, s[4:5] offset:8192 scale_offset
.LBB296_13:
	s_wait_xcnt 0x0
	;; [unrolled: 12-line block ×6, first 2 shown]
	s_or_b32 exec_lo, exec_lo, s0
	v_lshlrev_b32_e32 v1, 3, v0
	s_wait_loadcnt 0x0
	ds_store_2addr_stride64_b64 v1, v[2:3], v[4:5] offset1:8
	ds_store_2addr_stride64_b64 v1, v[6:7], v[8:9] offset0:16 offset1:24
	ds_store_2addr_stride64_b64 v1, v[10:11], v[12:13] offset0:32 offset1:40
	ds_store_b64 v1, v[14:15] offset:24576
	s_wait_dscnt 0x0
	s_barrier_signal -1
	s_barrier_wait -1
.LBB296_22:
	v_mul_u32_u24_e32 v30, 7, v0
	s_wait_loadcnt 0x0
	s_cmp_lg_u32 s15, 0
	s_mov_b32 s10, 0
	s_cselect_b32 s22, -1, 0
	v_lshlrev_b32_e32 v25, 3, v30
	s_cmp_lg_u64 s[6:7], 0
	ds_load_2addr_b64 v[10:13], v25 offset0:2 offset1:3
	ds_load_2addr_b64 v[6:9], v25 offset0:3 offset1:4
	ds_load_2addr_b64 v[14:17], v25 offset1:1
	ds_load_2addr_b64 v[18:21], v25 offset0:1 offset1:2
	ds_load_2addr_b64 v[2:5], v25 offset0:5 offset1:6
	s_cselect_b32 s0, -1, 0
	s_wait_dscnt 0x0
	s_or_b32 s0, s0, s22
	s_barrier_signal -1
	s_and_b32 vcc_lo, exec_lo, s0
	s_barrier_wait -1
	s_cbranch_vccz .LBB296_27
; %bb.23:
	global_load_b64 v[26:27], v[26:27], off offset:-8
	v_lshlrev_b32_e32 v32, 3, v0
	s_and_b32 vcc_lo, exec_lo, s14
	ds_store_b64 v32, v[4:5]
	s_cbranch_vccz .LBB296_29
; %bb.24:
	s_wait_loadcnt 0x0
	v_mov_b64_e32 v[28:29], v[26:27]
	s_wait_dscnt 0x0
	s_barrier_signal -1
	s_barrier_wait -1
	s_and_saveexec_b32 s0, s3
; %bb.25:
	v_add_nc_u32_e32 v1, -8, v32
	ds_load_b64 v[28:29], v1
; %bb.26:
	s_or_b32 exec_lo, exec_lo, s0
	v_cmp_neq_f64_e32 vcc_lo, v[10:11], v[12:13]
	s_wait_dscnt 0x0
	v_cmp_neq_f64_e64 s0, v[28:29], v[14:15]
	v_cndmask_b32_e64 v1, 0, 1, vcc_lo
	v_cmp_neq_f64_e32 vcc_lo, v[16:17], v[10:11]
	s_delay_alu instid0(VALU_DEP_2) | instskip(SKIP_2) | instid1(VALU_DEP_2)
	v_lshlrev_b16 v1, 8, v1
	v_cndmask_b32_e64 v28, 0, 1, vcc_lo
	v_cmp_neq_f64_e32 vcc_lo, v[14:15], v[16:17]
	v_or_b32_e32 v28, v28, v1
	s_delay_alu instid0(VALU_DEP_1) | instskip(SKIP_2) | instid1(VALU_DEP_2)
	v_lshlrev_b32_e32 v28, 16, v28
	v_cndmask_b32_e64 v29, 0, 1, vcc_lo
	v_cmp_neq_f64_e32 vcc_lo, v[2:3], v[4:5]
	v_lshlrev_b16 v29, 8, v29
	s_delay_alu instid0(VALU_DEP_1) | instskip(NEXT) | instid1(VALU_DEP_1)
	v_and_b32_e32 v31, 0xffff, v29
	v_or_b32_e32 v31, v31, v28
	v_cndmask_b32_e64 v1, 0, 1, vcc_lo
	v_cmp_neq_f64_e32 vcc_lo, v[8:9], v[2:3]
	v_cndmask_b32_e64 v29, 0, 1, vcc_lo
	v_cmp_neq_f64_e32 vcc_lo, v[12:13], v[8:9]
	v_cndmask_b32_e64 v34, 0, 1, vcc_lo
	s_branch .LBB296_33
.LBB296_27:
                                        ; implicit-def: $sgpr0
                                        ; implicit-def: $vgpr1
                                        ; implicit-def: $vgpr29
                                        ; implicit-def: $vgpr34
                                        ; implicit-def: $vgpr31
	s_branch .LBB296_34
.LBB296_28:
                                        ; implicit-def: $vgpr26
                                        ; implicit-def: $vgpr33
                                        ; implicit-def: $vgpr32
                                        ; implicit-def: $vgpr28
	s_branch .LBB296_42
.LBB296_29:
                                        ; implicit-def: $sgpr0
                                        ; implicit-def: $vgpr1
                                        ; implicit-def: $vgpr29
                                        ; implicit-def: $vgpr34
                                        ; implicit-def: $vgpr31
	s_cbranch_execz .LBB296_33
; %bb.30:
	s_wait_loadcnt_dscnt 0x0
	s_barrier_signal -1
	s_barrier_wait -1
	s_and_saveexec_b32 s0, s3
; %bb.31:
	v_add_nc_u32_e32 v1, -8, v32
	ds_load_b64 v[26:27], v1
; %bb.32:
	s_or_b32 exec_lo, exec_lo, s0
	v_cmp_neq_f64_e32 vcc_lo, v[10:11], v[12:13]
	v_cmp_neq_f64_e64 s0, v[16:17], v[10:11]
	v_cmp_neq_f64_e64 s1, v[14:15], v[16:17]
	;; [unrolled: 1-line block ×5, first 2 shown]
	v_dual_add_nc_u32 v1, 3, v30 :: v_dual_add_nc_u32 v28, 2, v30
	s_wait_dscnt 0x0
	v_cmp_neq_f64_e64 s7, v[26:27], v[14:15]
	v_dual_add_nc_u32 v26, 1, v30 :: v_dual_add_nc_u32 v27, 5, v30
	v_add_nc_u32_e32 v31, 4, v30
	v_cmp_gt_u32_e64 s8, s20, v1
	v_cmp_gt_u32_e64 s9, s20, v28
	v_add_nc_u32_e32 v1, 6, v30
	v_cmp_gt_u32_e64 s10, s20, v26
	s_and_b32 s8, s8, vcc_lo
	s_and_b32 s0, s9, s0
	v_cndmask_b32_e64 v26, 0, 1, s8
	v_cndmask_b32_e64 v28, 0, 1, s0
	s_and_b32 s0, s10, s1
	v_cmp_gt_u32_e32 vcc_lo, s20, v1
	v_cndmask_b32_e64 v29, 0, 1, s0
	v_lshlrev_b16 v26, 8, v26
	v_cmp_gt_u32_e64 s0, s20, v27
	v_cmp_gt_u32_e64 s1, s20, v31
	s_and_b32 s4, vcc_lo, s4
	v_lshlrev_b16 v27, 8, v29
	v_or_b32_e32 v26, v28, v26
	s_and_b32 s0, s0, s5
	v_cmp_gt_u32_e32 vcc_lo, s20, v30
	v_cndmask_b32_e64 v29, 0, 1, s0
	v_and_b32_e32 v27, 0xffff, v27
	v_lshlrev_b32_e32 v26, 16, v26
	s_and_b32 s0, s1, s6
	v_cndmask_b32_e64 v1, 0, 1, s4
	v_cndmask_b32_e64 v34, 0, 1, s0
	s_and_b32 s0, vcc_lo, s7
	v_or_b32_e32 v31, v27, v26
.LBB296_33:
	s_mov_b32 s10, -1
	s_cbranch_execnz .LBB296_28
.LBB296_34:
	v_cmp_neq_f64_e64 s0, v[2:3], v[4:5]
	v_mad_i32_i24 v35, 0xffffffd0, v0, v25
	s_and_b32 vcc_lo, exec_lo, s14
	ds_store_b64 v35, v[4:5]
	s_cbranch_vccz .LBB296_38
; %bb.35:
	v_cmp_neq_f64_e32 vcc_lo, v[8:9], v[2:3]
	v_cndmask_b32_e64 v1, 0, 1, s0
	s_wait_loadcnt 0x0
	v_mov_b32_e32 v26, 1
	s_wait_dscnt 0x0
	s_barrier_signal -1
	s_barrier_wait -1
                                        ; implicit-def: $sgpr0
                                        ; implicit-def: $vgpr31
	v_cndmask_b32_e64 v29, 0, 1, vcc_lo
	v_cmp_neq_f64_e32 vcc_lo, v[12:13], v[8:9]
	v_cndmask_b32_e64 v27, 0, 1, vcc_lo
	v_cmp_neq_f64_e32 vcc_lo, v[14:15], v[16:17]
	v_cndmask_b32_e64 v33, 0, 1, vcc_lo
	v_cmp_neq_f64_e32 vcc_lo, v[16:17], v[10:11]
	v_cndmask_b32_e64 v32, 0, 1, vcc_lo
	v_cmp_neq_f64_e32 vcc_lo, v[10:11], v[12:13]
	v_cndmask_b32_e64 v28, 0, 1, vcc_lo
	s_and_saveexec_b32 s1, s3
	s_delay_alu instid0(SALU_CYCLE_1)
	s_xor_b32 s1, exec_lo, s1
	s_cbranch_execz .LBB296_37
; %bb.36:
	v_lshlrev_b16 v34, 8, v33
	v_add_nc_u32_e32 v31, -8, v35
	s_or_b32 s10, s10, exec_lo
	s_delay_alu instid0(VALU_DEP_2) | instskip(SKIP_3) | instid1(VALU_DEP_2)
	v_or_b32_e32 v34, 1, v34
	ds_load_b64 v[36:37], v31
	v_lshlrev_b16 v31, 8, v28
	v_and_b32_e32 v34, 0xffff, v34
	v_or_b32_e32 v31, v32, v31
	s_delay_alu instid0(VALU_DEP_1) | instskip(NEXT) | instid1(VALU_DEP_1)
	v_lshlrev_b32_e32 v31, 16, v31
	v_or_b32_e32 v31, v34, v31
	s_wait_dscnt 0x0
	v_cmp_neq_f64_e64 s0, v[36:37], v[14:15]
	s_delay_alu instid0(VALU_DEP_2)
	v_perm_b32 v31, v31, v31, 0x3020104
.LBB296_37:
	s_or_b32 exec_lo, exec_lo, s1
	v_mov_b32_e32 v34, v27
	s_branch .LBB296_42
.LBB296_38:
                                        ; implicit-def: $sgpr0
                                        ; implicit-def: $vgpr1
                                        ; implicit-def: $vgpr29
                                        ; implicit-def: $vgpr34
                                        ; implicit-def: $vgpr31
                                        ; implicit-def: $vgpr26
                                        ; implicit-def: $vgpr33
                                        ; implicit-def: $vgpr32
                                        ; implicit-def: $vgpr28
	s_cbranch_execz .LBB296_42
; %bb.39:
	v_cmp_neq_f64_e32 vcc_lo, v[12:13], v[8:9]
	v_cmp_neq_f64_e64 s0, v[16:17], v[20:21]
	v_cmp_neq_f64_e64 s1, v[10:11], v[6:7]
	;; [unrolled: 1-line block ×5, first 2 shown]
	v_dual_add_nc_u32 v1, 4, v30 :: v_dual_add_nc_u32 v6, 2, v30
	v_dual_add_nc_u32 v7, 3, v30 :: v_dual_add_nc_u32 v18, 1, v30
	s_wait_loadcnt_dscnt 0x0
	s_delay_alu instid0(VALU_DEP_2) | instskip(NEXT) | instid1(VALU_DEP_3)
	v_cmp_gt_u32_e64 s7, s20, v1
	v_cmp_gt_u32_e64 s8, s20, v6
	v_add_nc_u32_e32 v1, 6, v30
	v_cmp_gt_u32_e64 s9, s20, v7
	v_add_nc_u32_e32 v6, 5, v30
	s_barrier_signal -1
	s_barrier_wait -1
                                        ; implicit-def: $vgpr34
                                        ; implicit-def: $vgpr31
	v_mov_b32_e32 v26, 1
	s_and_b32 s7, s7, vcc_lo
	s_and_b32 s0, s8, s0
	v_cndmask_b32_e64 v20, 0, 1, s7
	v_cndmask_b32_e64 v21, 0, 1, s0
	s_and_b32 s0, s9, s1
	v_cmp_gt_u32_e32 vcc_lo, s20, v1
	v_cndmask_b32_e64 v27, 0, 1, s0
	v_lshlrev_b16 v7, 8, v20
	v_cmp_gt_u32_e64 s0, s20, v6
	v_lshlrev_b16 v6, 8, v21
	v_cmp_gt_u32_e64 s1, s20, v18
	s_and_b32 s4, vcc_lo, s4
	v_or_b32_e32 v28, v27, v7
	s_and_b32 s0, s0, s5
	v_and_b32_e32 v18, 0xffff, v6
	v_cndmask_b32_e64 v29, 0, 1, s0
	s_and_b32 s0, s1, s6
	v_lshlrev_b32_e32 v7, 16, v28
	v_cndmask_b32_e64 v1, 0, 1, s4
	v_cndmask_b32_e64 v19, 0, 1, s0
                                        ; implicit-def: $sgpr0
	s_delay_alu instid0(VALU_DEP_3)
	v_or_b32_e32 v18, v18, v7
	s_and_saveexec_b32 s1, s3
	s_cbranch_execz .LBB296_41
; %bb.40:
	v_add_nc_u32_e32 v31, -8, v35
	v_lshlrev_b16 v27, 8, v27
	v_cmp_gt_u32_e64 s0, s20, v30
	s_or_b32 s10, s10, exec_lo
	ds_load_b64 v[32:33], v31
	v_lshrrev_b32_e32 v27, 8, v27
	v_lshlrev_b16 v31, 8, v19
	s_delay_alu instid0(VALU_DEP_2) | instskip(NEXT) | instid1(VALU_DEP_1)
	v_lshlrev_b16 v27, 8, v27
	v_or_b32_e32 v21, v21, v27
	s_delay_alu instid0(VALU_DEP_1) | instskip(SKIP_3) | instid1(VALU_DEP_3)
	v_dual_lshlrev_b32 v21, 16, v21 :: v_dual_lshrrev_b32 v31, 8, v31
	s_wait_dscnt 0x0
	v_cmp_neq_f64_e32 vcc_lo, v[32:33], v[14:15]
	v_lshlrev_b16 v32, 8, v29
	v_lshlrev_b16 v31, 8, v31
	s_delay_alu instid0(VALU_DEP_2) | instskip(NEXT) | instid1(VALU_DEP_2)
	v_or_b32_e32 v20, v20, v32
	v_or_b32_e32 v27, 1, v31
	s_delay_alu instid0(VALU_DEP_2) | instskip(NEXT) | instid1(VALU_DEP_2)
	v_and_b32_e32 v20, 0xffff, v20
	v_and_b32_e32 v27, 0xffff, v27
	s_delay_alu instid0(VALU_DEP_2) | instskip(NEXT) | instid1(VALU_DEP_2)
	v_lshl_or_b32 v34, v1, 16, v20
	v_or_b32_e32 v21, v27, v21
	s_delay_alu instid0(VALU_DEP_1)
	v_perm_b32 v31, v21, v21, 0x3020104
	s_and_b32 s0, s0, vcc_lo
.LBB296_41:
	s_or_b32 exec_lo, exec_lo, s1
	v_dual_lshrrev_b32 v27, 24, v7 :: v_dual_bitop2_b32 v33, v19, v6 bitop3:0x54
	v_lshrrev_b32_e32 v32, 8, v18
.LBB296_42:
	s_wait_xcnt 0x0
	s_and_saveexec_b32 s1, s10
	s_cbranch_execz .LBB296_44
; %bb.43:
	v_dual_lshrrev_b32 v28, 24, v31 :: v_dual_lshrrev_b32 v32, 16, v31
	s_wait_loadcnt 0x0
	v_dual_lshrrev_b32 v33, 8, v31 :: v_dual_mov_b32 v27, v34
	v_cndmask_b32_e64 v26, 0, 1, s0
.LBB296_44:
	s_or_b32 exec_lo, exec_lo, s1
	s_delay_alu instid0(SALU_CYCLE_1)
	s_and_not1_b32 vcc_lo, exec_lo, s21
	s_cbranch_vccnz .LBB296_48
; %bb.45:
	s_wait_loadcnt 0x0
	v_perm_b32 v6, v26, v33, 0xc0c0004
	v_perm_b32 v7, v32, v28, 0xc0c0004
	v_cmp_gt_u32_e32 vcc_lo, s20, v30
	v_dual_add_nc_u32 v18, 1, v30 :: v_dual_add_nc_u32 v20, 4, v30
	v_and_b32_e32 v1, 0xff, v1
	s_delay_alu instid0(VALU_DEP_4) | instskip(SKIP_1) | instid1(VALU_DEP_2)
	v_lshl_or_b32 v6, v7, 16, v6
	v_perm_b32 v19, v27, v29, 0xc0c0004
	v_dual_lshlrev_b32 v1, 16, v1 :: v_dual_cndmask_b32 v7, 0, v6, vcc_lo
	v_cmp_gt_u32_e32 vcc_lo, s20, v18
	s_delay_alu instid0(VALU_DEP_2) | instskip(NEXT) | instid1(VALU_DEP_3)
	v_dual_add_nc_u32 v18, 2, v30 :: v_dual_bitop2_b32 v21, v19, v1 bitop3:0x54
	v_and_b32_e32 v7, 0xff, v7
	v_bitop3_b32 v1, v19, 0xffff00, v1 bitop3:0xc8
	v_add_nc_u32_e32 v19, 3, v30
	s_delay_alu instid0(VALU_DEP_3) | instskip(SKIP_2) | instid1(VALU_DEP_4)
	v_cndmask_b32_e32 v7, v7, v6, vcc_lo
	v_cmp_gt_u32_e32 vcc_lo, s20, v18
	v_add_nc_u32_e32 v18, 5, v30
	v_cmp_gt_u32_e64 s1, s20, v19
	s_delay_alu instid0(VALU_DEP_4) | instskip(NEXT) | instid1(VALU_DEP_3)
	v_and_b32_e32 v7, 0xffff, v7
	v_cmp_gt_u32_e64 s0, s20, v18
	s_delay_alu instid0(VALU_DEP_2) | instskip(SKIP_3) | instid1(VALU_DEP_1)
	v_cndmask_b32_e32 v7, v7, v6, vcc_lo
	v_cmp_gt_u32_e32 vcc_lo, s20, v20
	v_cndmask_b32_e32 v1, v1, v21, vcc_lo
	s_or_b32 vcc_lo, s0, vcc_lo
	v_and_b32_e32 v1, 0xffff00ff, v1
	s_delay_alu instid0(VALU_DEP_1) | instskip(SKIP_2) | instid1(VALU_DEP_1)
	v_cndmask_b32_e64 v27, v1, v21, s0
	v_and_b32_e32 v7, 0xffffff, v7
	s_mov_b32 s0, exec_lo
	v_dual_lshrrev_b32 v1, 16, v27 :: v_dual_cndmask_b32 v7, v7, v6, s1
	s_delay_alu instid0(VALU_DEP_1) | instskip(SKIP_1) | instid1(VALU_DEP_2)
	v_cndmask_b32_e32 v26, v7, v6, vcc_lo
	v_add_nc_u32_e32 v6, 6, v30
	v_lshrrev_b64 v[28:29], 24, v[26:27]
	v_dual_lshrrev_b32 v29, 8, v27 :: v_dual_lshrrev_b32 v32, 16, v26
	v_lshrrev_b32_e32 v33, 8, v26
	s_delay_alu instid0(VALU_DEP_4)
	v_cmpx_le_u32_e64 s20, v6
; %bb.46:
	v_mov_b32_e32 v1, 0
; %bb.47:
	s_or_b32 exec_lo, exec_lo, s0
.LBB296_48:
	s_wait_loadcnt 0x0
	v_and_b32_e32 v34, 0xff, v26
	v_and_b32_e32 v35, 0xff, v33
	;; [unrolled: 1-line block ×5, first 2 shown]
	v_mbcnt_lo_u32_b32 v40, -1, 0
	v_and_b32_e32 v39, 0xff, v29
	v_add3_u32 v6, v35, v34, v36
	v_and_b32_e32 v7, 0xff, v1
	s_and_b32 vcc_lo, exec_lo, s22
	v_and_b32_e32 v18, 15, v40
	s_mov_b32 s7, -1
	v_add3_u32 v6, v6, v37, v38
	s_wait_dscnt 0x0
	s_barrier_signal -1
	v_cmp_eq_u32_e64 s0, 0, v18
	v_cmp_lt_u32_e64 s3, 1, v18
	v_add3_u32 v42, v6, v39, v7
	v_and_b32_e32 v6, 16, v40
	v_dual_lshrrev_b32 v41, 5, v0 :: v_dual_bitop2_b32 v7, 31, v0 bitop3:0x54
	v_cmp_lt_u32_e64 s4, 3, v18
	v_cmp_lt_u32_e64 s1, 7, v18
	s_delay_alu instid0(VALU_DEP_4) | instskip(NEXT) | instid1(VALU_DEP_4)
	v_cmp_eq_u32_e64 s6, 0, v6
	v_cmp_eq_u32_e64 s5, v0, v7
	s_barrier_wait -1
	s_cbranch_vccz .LBB296_70
; %bb.49:
	v_mov_b32_dpp v6, v42 row_shr:1 row_mask:0xf bank_mask:0xf
	s_delay_alu instid0(VALU_DEP_1) | instskip(NEXT) | instid1(VALU_DEP_1)
	v_cndmask_b32_e64 v6, v6, 0, s0
	v_add_nc_u32_e32 v6, v6, v42
	s_delay_alu instid0(VALU_DEP_1) | instskip(NEXT) | instid1(VALU_DEP_1)
	v_mov_b32_dpp v7, v6 row_shr:2 row_mask:0xf bank_mask:0xf
	v_cndmask_b32_e64 v7, 0, v7, s3
	s_delay_alu instid0(VALU_DEP_1) | instskip(NEXT) | instid1(VALU_DEP_1)
	v_add_nc_u32_e32 v6, v6, v7
	v_mov_b32_dpp v7, v6 row_shr:4 row_mask:0xf bank_mask:0xf
	s_delay_alu instid0(VALU_DEP_1) | instskip(NEXT) | instid1(VALU_DEP_1)
	v_cndmask_b32_e64 v7, 0, v7, s4
	v_add_nc_u32_e32 v6, v6, v7
	s_delay_alu instid0(VALU_DEP_1) | instskip(NEXT) | instid1(VALU_DEP_1)
	v_mov_b32_dpp v7, v6 row_shr:8 row_mask:0xf bank_mask:0xf
	v_cndmask_b32_e64 v7, 0, v7, s1
	s_delay_alu instid0(VALU_DEP_1) | instskip(SKIP_3) | instid1(VALU_DEP_1)
	v_add_nc_u32_e32 v6, v6, v7
	ds_swizzle_b32 v7, v6 offset:swizzle(BROADCAST,32,15)
	s_wait_dscnt 0x0
	v_cndmask_b32_e64 v7, v7, 0, s6
	v_add_nc_u32_e32 v6, v6, v7
	s_and_saveexec_b32 s7, s5
; %bb.50:
	v_lshlrev_b32_e32 v7, 2, v41
	ds_store_b32 v7, v6
; %bb.51:
	s_or_b32 exec_lo, exec_lo, s7
	s_delay_alu instid0(SALU_CYCLE_1)
	s_mov_b32 s7, exec_lo
	s_wait_dscnt 0x0
	s_barrier_signal -1
	s_barrier_wait -1
	v_cmpx_gt_u32_e32 16, v0
	s_cbranch_execz .LBB296_53
; %bb.52:
	v_lshlrev_b32_e32 v7, 2, v0
	ds_load_b32 v18, v7
	s_wait_dscnt 0x0
	v_mov_b32_dpp v19, v18 row_shr:1 row_mask:0xf bank_mask:0xf
	s_delay_alu instid0(VALU_DEP_1) | instskip(NEXT) | instid1(VALU_DEP_1)
	v_cndmask_b32_e64 v19, v19, 0, s0
	v_add_nc_u32_e32 v18, v19, v18
	s_delay_alu instid0(VALU_DEP_1) | instskip(NEXT) | instid1(VALU_DEP_1)
	v_mov_b32_dpp v19, v18 row_shr:2 row_mask:0xf bank_mask:0xf
	v_cndmask_b32_e64 v19, 0, v19, s3
	s_delay_alu instid0(VALU_DEP_1) | instskip(NEXT) | instid1(VALU_DEP_1)
	v_add_nc_u32_e32 v18, v18, v19
	v_mov_b32_dpp v19, v18 row_shr:4 row_mask:0xf bank_mask:0xf
	s_delay_alu instid0(VALU_DEP_1) | instskip(NEXT) | instid1(VALU_DEP_1)
	v_cndmask_b32_e64 v19, 0, v19, s4
	v_add_nc_u32_e32 v18, v18, v19
	s_delay_alu instid0(VALU_DEP_1) | instskip(NEXT) | instid1(VALU_DEP_1)
	v_mov_b32_dpp v19, v18 row_shr:8 row_mask:0xf bank_mask:0xf
	v_cndmask_b32_e64 v19, 0, v19, s1
	s_delay_alu instid0(VALU_DEP_1)
	v_add_nc_u32_e32 v18, v18, v19
	ds_store_b32 v7, v18
.LBB296_53:
	s_or_b32 exec_lo, exec_lo, s7
	s_delay_alu instid0(SALU_CYCLE_1)
	s_mov_b32 s8, exec_lo
	v_cmp_gt_u32_e32 vcc_lo, 32, v0
	s_wait_dscnt 0x0
	s_barrier_signal -1
	s_barrier_wait -1
                                        ; implicit-def: $vgpr43
	v_cmpx_lt_u32_e32 31, v0
	s_cbranch_execz .LBB296_55
; %bb.54:
	v_lshl_add_u32 v7, v41, 2, -4
	ds_load_b32 v43, v7
	s_wait_dscnt 0x0
	v_add_nc_u32_e32 v6, v43, v6
.LBB296_55:
	s_or_b32 exec_lo, exec_lo, s8
	v_sub_co_u32 v7, s7, v40, 1
	s_delay_alu instid0(VALU_DEP_1) | instskip(NEXT) | instid1(VALU_DEP_1)
	v_cmp_gt_i32_e64 s8, 0, v7
	v_cndmask_b32_e64 v7, v7, v40, s8
	s_delay_alu instid0(VALU_DEP_1)
	v_lshlrev_b32_e32 v7, 2, v7
	ds_bpermute_b32 v44, v7, v6
	s_and_saveexec_b32 s8, vcc_lo
	s_cbranch_execz .LBB296_75
; %bb.56:
	v_mov_b32_e32 v31, 0
	ds_load_b32 v6, v31 offset:60
	s_and_saveexec_b32 s9, s7
	s_cbranch_execz .LBB296_58
; %bb.57:
	s_add_co_i32 s10, s15, 32
	s_delay_alu instid0(SALU_CYCLE_1)
	v_dual_mov_b32 v7, 1 :: v_dual_mov_b32 v18, s10
	s_wait_dscnt 0x0
	global_store_b64 v18, v[6:7], s[18:19] scale_offset scope:SCOPE_DEV
.LBB296_58:
	s_wait_xcnt 0x0
	s_or_b32 exec_lo, exec_lo, s9
	v_xad_u32 v18, v40, -1, s15
	s_mov_b32 s10, 0
	s_mov_b32 s9, exec_lo
	s_delay_alu instid0(VALU_DEP_1) | instskip(SKIP_4) | instid1(VALU_DEP_1)
	v_add_nc_u32_e32 v30, 32, v18
	global_load_b64 v[20:21], v30, s[18:19] scale_offset scope:SCOPE_DEV
	s_wait_loadcnt 0x0
	v_and_b32_e32 v7, 0xff, v21
	s_wait_xcnt 0x0
	v_cmpx_eq_u16_e32 0, v7
	s_cbranch_execz .LBB296_62
; %bb.59:
	v_lshl_add_u64 v[30:31], v[30:31], 3, s[18:19]
.LBB296_60:                             ; =>This Inner Loop Header: Depth=1
	global_load_b64 v[20:21], v[30:31], off scope:SCOPE_DEV
	s_wait_loadcnt 0x0
	v_and_b32_e32 v7, 0xff, v21
	s_delay_alu instid0(VALU_DEP_1)
	v_cmp_ne_u16_e32 vcc_lo, 0, v7
	s_or_b32 s10, vcc_lo, s10
	s_wait_xcnt 0x0
	s_and_not1_b32 exec_lo, exec_lo, s10
	s_cbranch_execnz .LBB296_60
; %bb.61:
	s_or_b32 exec_lo, exec_lo, s10
.LBB296_62:
	s_delay_alu instid0(SALU_CYCLE_1)
	s_or_b32 exec_lo, exec_lo, s9
	v_cmp_ne_u32_e32 vcc_lo, 31, v40
	v_lshlrev_b32_e64 v46, v40, -1
	v_dual_add_nc_u32 v50, 4, v40 :: v_dual_add_nc_u32 v52, 8, v40
	v_add_nc_u32_e32 v54, 16, v40
	v_add_co_ci_u32_e64 v7, null, 0, v40, vcc_lo
	v_lshl_or_b32 v53, v40, 2, 64
	s_delay_alu instid0(VALU_DEP_2)
	v_dual_add_nc_u32 v48, 2, v40 :: v_dual_lshlrev_b32 v45, 2, v7
	v_and_b32_e32 v7, 0xff, v21
	ds_bpermute_b32 v19, v45, v20
	v_cmp_eq_u16_e32 vcc_lo, 2, v7
	v_and_or_b32 v7, vcc_lo, v46, 0x80000000
	v_cmp_gt_u32_e32 vcc_lo, 30, v40
	s_delay_alu instid0(VALU_DEP_2) | instskip(SKIP_1) | instid1(VALU_DEP_2)
	v_ctz_i32_b32_e32 v7, v7
	v_cndmask_b32_e64 v30, 0, 2, vcc_lo
	v_cmp_lt_u32_e32 vcc_lo, v40, v7
	s_delay_alu instid0(VALU_DEP_2) | instskip(SKIP_3) | instid1(VALU_DEP_2)
	v_add_lshl_u32 v47, v30, v40, 2
	s_wait_dscnt 0x0
	v_cndmask_b32_e32 v19, 0, v19, vcc_lo
	v_cmp_gt_u32_e32 vcc_lo, 28, v40
	v_add_nc_u32_e32 v19, v19, v20
	v_cndmask_b32_e64 v30, 0, 4, vcc_lo
	v_cmp_le_u32_e32 vcc_lo, v48, v7
	ds_bpermute_b32 v20, v47, v19
	v_add_lshl_u32 v49, v30, v40, 2
	s_wait_dscnt 0x0
	v_cndmask_b32_e32 v20, 0, v20, vcc_lo
	v_cmp_gt_u32_e32 vcc_lo, 24, v40
	v_cndmask_b32_e64 v30, 0, 8, vcc_lo
	v_cmp_le_u32_e32 vcc_lo, v50, v7
	s_delay_alu instid0(VALU_DEP_4) | instskip(NEXT) | instid1(VALU_DEP_3)
	v_add_nc_u32_e32 v19, v19, v20
	v_add_lshl_u32 v51, v30, v40, 2
	ds_bpermute_b32 v20, v49, v19
	s_wait_dscnt 0x0
	v_cndmask_b32_e32 v20, 0, v20, vcc_lo
	v_cmp_le_u32_e32 vcc_lo, v52, v7
	s_delay_alu instid0(VALU_DEP_2) | instskip(SKIP_4) | instid1(VALU_DEP_2)
	v_add_nc_u32_e32 v19, v19, v20
	ds_bpermute_b32 v20, v51, v19
	s_wait_dscnt 0x0
	v_cndmask_b32_e32 v20, 0, v20, vcc_lo
	v_cmp_le_u32_e32 vcc_lo, v54, v7
	v_add_nc_u32_e32 v19, v19, v20
	ds_bpermute_b32 v20, v53, v19
	s_wait_dscnt 0x0
	v_cndmask_b32_e32 v7, 0, v20, vcc_lo
	s_delay_alu instid0(VALU_DEP_1)
	v_dual_mov_b32 v19, 0 :: v_dual_add_nc_u32 v20, v19, v7
	s_branch .LBB296_65
.LBB296_63:                             ;   in Loop: Header=BB296_65 Depth=1
	s_or_b32 exec_lo, exec_lo, s9
	v_and_b32_e32 v30, 0xff, v21
	ds_bpermute_b32 v31, v45, v20
	v_subrev_nc_u32_e32 v18, 32, v18
	s_mov_b32 s9, 0
	v_cmp_eq_u16_e32 vcc_lo, 2, v30
	v_and_or_b32 v30, vcc_lo, v46, 0x80000000
	s_delay_alu instid0(VALU_DEP_1) | instskip(NEXT) | instid1(VALU_DEP_1)
	v_ctz_i32_b32_e32 v30, v30
	v_cmp_lt_u32_e32 vcc_lo, v40, v30
	s_wait_dscnt 0x0
	v_cndmask_b32_e32 v31, 0, v31, vcc_lo
	v_cmp_le_u32_e32 vcc_lo, v48, v30
	s_delay_alu instid0(VALU_DEP_2) | instskip(SKIP_4) | instid1(VALU_DEP_2)
	v_add_nc_u32_e32 v20, v31, v20
	ds_bpermute_b32 v31, v47, v20
	s_wait_dscnt 0x0
	v_cndmask_b32_e32 v31, 0, v31, vcc_lo
	v_cmp_le_u32_e32 vcc_lo, v50, v30
	v_add_nc_u32_e32 v20, v20, v31
	ds_bpermute_b32 v31, v49, v20
	s_wait_dscnt 0x0
	v_cndmask_b32_e32 v31, 0, v31, vcc_lo
	v_cmp_le_u32_e32 vcc_lo, v52, v30
	s_delay_alu instid0(VALU_DEP_2) | instskip(SKIP_4) | instid1(VALU_DEP_2)
	v_add_nc_u32_e32 v20, v20, v31
	ds_bpermute_b32 v31, v51, v20
	s_wait_dscnt 0x0
	v_cndmask_b32_e32 v31, 0, v31, vcc_lo
	v_cmp_le_u32_e32 vcc_lo, v54, v30
	v_add_nc_u32_e32 v20, v20, v31
	ds_bpermute_b32 v31, v53, v20
	s_wait_dscnt 0x0
	v_cndmask_b32_e32 v30, 0, v31, vcc_lo
	s_delay_alu instid0(VALU_DEP_1)
	v_add3_u32 v20, v30, v7, v20
.LBB296_64:                             ;   in Loop: Header=BB296_65 Depth=1
	s_and_b32 vcc_lo, exec_lo, s9
	s_cbranch_vccnz .LBB296_71
.LBB296_65:                             ; =>This Loop Header: Depth=1
                                        ;     Child Loop BB296_68 Depth 2
	v_and_b32_e32 v7, 0xff, v21
	s_mov_b32 s9, -1
                                        ; implicit-def: $vgpr21
	s_delay_alu instid0(VALU_DEP_1)
	v_cmp_ne_u16_e32 vcc_lo, 2, v7
	v_mov_b32_e32 v7, v20
                                        ; implicit-def: $vgpr20
	s_cmp_lg_u32 vcc_lo, exec_lo
	s_cbranch_scc1 .LBB296_64
; %bb.66:                               ;   in Loop: Header=BB296_65 Depth=1
	global_load_b64 v[20:21], v18, s[18:19] scale_offset scope:SCOPE_DEV
	s_mov_b32 s9, exec_lo
	s_wait_loadcnt 0x0
	v_and_b32_e32 v30, 0xff, v21
	s_wait_xcnt 0x0
	s_delay_alu instid0(VALU_DEP_1)
	v_cmpx_eq_u16_e32 0, v30
	s_cbranch_execz .LBB296_63
; %bb.67:                               ;   in Loop: Header=BB296_65 Depth=1
	v_lshl_add_u64 v[30:31], v[18:19], 3, s[18:19]
	s_mov_b32 s10, 0
.LBB296_68:                             ;   Parent Loop BB296_65 Depth=1
                                        ; =>  This Inner Loop Header: Depth=2
	global_load_b64 v[20:21], v[30:31], off scope:SCOPE_DEV
	s_wait_loadcnt 0x0
	v_and_b32_e32 v55, 0xff, v21
	s_delay_alu instid0(VALU_DEP_1)
	v_cmp_ne_u16_e32 vcc_lo, 0, v55
	s_or_b32 s10, vcc_lo, s10
	s_wait_xcnt 0x0
	s_and_not1_b32 exec_lo, exec_lo, s10
	s_cbranch_execnz .LBB296_68
; %bb.69:                               ;   in Loop: Header=BB296_65 Depth=1
	s_or_b32 exec_lo, exec_lo, s10
	s_branch .LBB296_63
.LBB296_70:
                                        ; implicit-def: $vgpr18
                                        ; implicit-def: $vgpr6
                                        ; implicit-def: $vgpr19
                                        ; implicit-def: $vgpr43
                                        ; implicit-def: $vgpr44
                                        ; implicit-def: $vgpr45
                                        ; implicit-def: $vgpr46
                                        ; implicit-def: $vgpr47
                                        ; implicit-def: $vgpr48
	s_and_b32 vcc_lo, exec_lo, s7
	s_cbranch_vccnz .LBB296_76
	s_branch .LBB296_85
.LBB296_71:
	s_and_saveexec_b32 s9, s7
	s_cbranch_execz .LBB296_73
; %bb.72:
	s_add_co_i32 s10, s15, 32
	v_dual_mov_b32 v19, 2 :: v_dual_add_nc_u32 v18, v7, v6
	v_dual_mov_b32 v20, s10 :: v_dual_mov_b32 v21, 0
	global_store_b64 v20, v[18:19], s[18:19] scale_offset scope:SCOPE_DEV
	ds_store_b64 v21, v[6:7] offset:28672
.LBB296_73:
	s_wait_xcnt 0x0
	s_or_b32 exec_lo, exec_lo, s9
	s_delay_alu instid0(SALU_CYCLE_1)
	s_and_b32 exec_lo, exec_lo, s2
; %bb.74:
	v_mov_b32_e32 v6, 0
	ds_store_b32 v6, v7 offset:60
.LBB296_75:
	s_or_b32 exec_lo, exec_lo, s8
	s_wait_dscnt 0x0
	v_dual_mov_b32 v6, 0 :: v_dual_cndmask_b32 v18, v44, v43, s7
	s_wait_storecnt 0x0
	s_barrier_signal -1
	s_barrier_wait -1
	ds_load_b32 v7, v6 offset:60
	v_cndmask_b32_e64 v18, v18, 0, s2
	s_wait_dscnt 0x0
	s_barrier_signal -1
	s_barrier_wait -1
	s_delay_alu instid0(VALU_DEP_1) | instskip(SKIP_2) | instid1(VALU_DEP_1)
	v_add_nc_u32_e32 v48, v7, v18
	ds_load_b64 v[6:7], v6 offset:28672
	v_add_nc_u32_e32 v47, v48, v34
	v_add_nc_u32_e32 v46, v47, v35
	s_delay_alu instid0(VALU_DEP_1) | instskip(SKIP_1) | instid1(VALU_DEP_1)
	v_add_nc_u32_e32 v45, v46, v36
	s_wait_dscnt 0x0
	v_dual_add_nc_u32 v44, v45, v37 :: v_dual_mov_b32 v18, v7
	s_delay_alu instid0(VALU_DEP_1) | instskip(NEXT) | instid1(VALU_DEP_1)
	v_add_nc_u32_e32 v43, v44, v38
	v_add_nc_u32_e32 v19, v43, v39
	s_branch .LBB296_85
.LBB296_76:
	v_mov_b32_dpp v6, v42 row_shr:1 row_mask:0xf bank_mask:0xf
	s_delay_alu instid0(VALU_DEP_1) | instskip(NEXT) | instid1(VALU_DEP_1)
	v_cndmask_b32_e64 v6, v6, 0, s0
	v_add_nc_u32_e32 v6, v6, v42
	s_delay_alu instid0(VALU_DEP_1) | instskip(NEXT) | instid1(VALU_DEP_1)
	v_mov_b32_dpp v7, v6 row_shr:2 row_mask:0xf bank_mask:0xf
	v_cndmask_b32_e64 v7, 0, v7, s3
	s_delay_alu instid0(VALU_DEP_1) | instskip(NEXT) | instid1(VALU_DEP_1)
	v_add_nc_u32_e32 v6, v6, v7
	v_mov_b32_dpp v7, v6 row_shr:4 row_mask:0xf bank_mask:0xf
	s_delay_alu instid0(VALU_DEP_1) | instskip(NEXT) | instid1(VALU_DEP_1)
	v_cndmask_b32_e64 v7, 0, v7, s4
	v_add_nc_u32_e32 v6, v6, v7
	s_delay_alu instid0(VALU_DEP_1) | instskip(NEXT) | instid1(VALU_DEP_1)
	v_mov_b32_dpp v7, v6 row_shr:8 row_mask:0xf bank_mask:0xf
	v_cndmask_b32_e64 v7, 0, v7, s1
	s_delay_alu instid0(VALU_DEP_1) | instskip(SKIP_3) | instid1(VALU_DEP_1)
	v_add_nc_u32_e32 v6, v6, v7
	ds_swizzle_b32 v7, v6 offset:swizzle(BROADCAST,32,15)
	s_wait_dscnt 0x0
	v_cndmask_b32_e64 v7, v7, 0, s6
	v_add_nc_u32_e32 v6, v6, v7
	s_and_saveexec_b32 s6, s5
; %bb.77:
	v_lshlrev_b32_e32 v7, 2, v41
	ds_store_b32 v7, v6
; %bb.78:
	s_or_b32 exec_lo, exec_lo, s6
	s_delay_alu instid0(SALU_CYCLE_1)
	s_mov_b32 s5, exec_lo
	s_wait_dscnt 0x0
	s_barrier_signal -1
	s_barrier_wait -1
	v_cmpx_gt_u32_e32 16, v0
	s_cbranch_execz .LBB296_80
; %bb.79:
	v_mad_i32_i24 v7, 0xffffffcc, v0, v25
	ds_load_b32 v18, v7
	s_wait_dscnt 0x0
	v_mov_b32_dpp v19, v18 row_shr:1 row_mask:0xf bank_mask:0xf
	s_delay_alu instid0(VALU_DEP_1) | instskip(NEXT) | instid1(VALU_DEP_1)
	v_cndmask_b32_e64 v19, v19, 0, s0
	v_add_nc_u32_e32 v18, v19, v18
	s_delay_alu instid0(VALU_DEP_1) | instskip(NEXT) | instid1(VALU_DEP_1)
	v_mov_b32_dpp v19, v18 row_shr:2 row_mask:0xf bank_mask:0xf
	v_cndmask_b32_e64 v19, 0, v19, s3
	s_delay_alu instid0(VALU_DEP_1) | instskip(NEXT) | instid1(VALU_DEP_1)
	v_add_nc_u32_e32 v18, v18, v19
	v_mov_b32_dpp v19, v18 row_shr:4 row_mask:0xf bank_mask:0xf
	s_delay_alu instid0(VALU_DEP_1) | instskip(NEXT) | instid1(VALU_DEP_1)
	v_cndmask_b32_e64 v19, 0, v19, s4
	v_add_nc_u32_e32 v18, v18, v19
	s_delay_alu instid0(VALU_DEP_1) | instskip(NEXT) | instid1(VALU_DEP_1)
	v_mov_b32_dpp v19, v18 row_shr:8 row_mask:0xf bank_mask:0xf
	v_cndmask_b32_e64 v19, 0, v19, s1
	s_delay_alu instid0(VALU_DEP_1)
	v_add_nc_u32_e32 v18, v18, v19
	ds_store_b32 v7, v18
.LBB296_80:
	s_or_b32 exec_lo, exec_lo, s5
	v_dual_mov_b32 v7, 0 :: v_dual_mov_b32 v18, 0
	s_mov_b32 s0, exec_lo
	s_wait_dscnt 0x0
	s_barrier_signal -1
	s_barrier_wait -1
	v_cmpx_lt_u32_e32 31, v0
; %bb.81:
	v_lshl_add_u32 v18, v41, 2, -4
	ds_load_b32 v18, v18
; %bb.82:
	s_or_b32 exec_lo, exec_lo, s0
	v_sub_co_u32 v19, vcc_lo, v40, 1
	s_wait_dscnt 0x0
	v_add_nc_u32_e32 v6, v18, v6
	s_delay_alu instid0(VALU_DEP_2) | instskip(NEXT) | instid1(VALU_DEP_1)
	v_cmp_gt_i32_e64 s0, 0, v19
	v_cndmask_b32_e64 v19, v19, v40, s0
	s_delay_alu instid0(VALU_DEP_1)
	v_lshlrev_b32_e32 v19, 2, v19
	ds_bpermute_b32 v19, v19, v6
	ds_load_b32 v6, v7 offset:60
	s_and_saveexec_b32 s0, s2
	s_cbranch_execz .LBB296_84
; %bb.83:
	v_dual_mov_b32 v20, 0 :: v_dual_mov_b32 v7, 2
	s_wait_dscnt 0x0
	global_store_b64 v20, v[6:7], s[18:19] offset:256 scope:SCOPE_DEV
.LBB296_84:
	s_wait_xcnt 0x0
	s_or_b32 exec_lo, exec_lo, s0
	s_wait_dscnt 0x1
	v_cndmask_b32_e32 v7, v19, v18, vcc_lo
	s_wait_storecnt_dscnt 0x0
	s_barrier_signal -1
	s_barrier_wait -1
	s_delay_alu instid0(VALU_DEP_1) | instskip(NEXT) | instid1(VALU_DEP_1)
	v_cndmask_b32_e64 v48, v7, 0, s2
	v_dual_mov_b32 v18, 0 :: v_dual_add_nc_u32 v47, v48, v34
	s_delay_alu instid0(VALU_DEP_1) | instskip(NEXT) | instid1(VALU_DEP_1)
	v_add_nc_u32_e32 v46, v47, v35
	v_add_nc_u32_e32 v45, v46, v36
	s_delay_alu instid0(VALU_DEP_1) | instskip(NEXT) | instid1(VALU_DEP_1)
	v_add_nc_u32_e32 v44, v45, v37
	v_add_nc_u32_e32 v43, v44, v38
	s_delay_alu instid0(VALU_DEP_1)
	v_add_nc_u32_e32 v19, v43, v39
.LBB296_85:
	v_and_b32_e32 v7, 1, v26
	v_cmp_gt_u32_e32 vcc_lo, 0x201, v6
	v_lshlrev_b64_e32 v[20:21], 3, v[22:23]
	s_mov_b32 s1, -1
	s_delay_alu instid0(VALU_DEP_3)
	v_cmp_eq_u32_e64 s0, 1, v7
	s_cbranch_vccnz .LBB296_89
; %bb.86:
	s_and_b32 vcc_lo, exec_lo, s1
	s_cbranch_vccnz .LBB296_104
.LBB296_87:
	s_and_b32 s0, s2, s11
	s_delay_alu instid0(SALU_CYCLE_1)
	s_and_saveexec_b32 s1, s0
	s_cbranch_execnz .LBB296_121
.LBB296_88:
	s_endpgm
.LBB296_89:
	v_add_nc_u32_e32 v25, v18, v6
	v_add_nc_u64_e32 v[30:31], s[16:17], v[20:21]
	s_delay_alu instid0(VALU_DEP_2) | instskip(SKIP_1) | instid1(SALU_CYCLE_1)
	v_cmp_lt_u32_e32 vcc_lo, v48, v25
	s_or_b32 s1, s14, vcc_lo
	s_and_b32 s1, s1, s0
	s_delay_alu instid0(SALU_CYCLE_1)
	s_and_saveexec_b32 s0, s1
	s_cbranch_execz .LBB296_91
; %bb.90:
	s_delay_alu instid0(VALU_DEP_2)
	v_readfirstlane_b32 s4, v30
	v_readfirstlane_b32 s5, v31
	global_store_b64 v48, v[14:15], s[4:5] scale_offset
.LBB296_91:
	s_wait_xcnt 0x0
	s_or_b32 exec_lo, exec_lo, s0
	v_and_b32_e32 v26, 1, v33
	v_cmp_lt_u32_e32 vcc_lo, v47, v25
	s_delay_alu instid0(VALU_DEP_2) | instskip(SKIP_1) | instid1(SALU_CYCLE_1)
	v_cmp_eq_u32_e64 s0, 1, v26
	s_or_b32 s1, s14, vcc_lo
	s_and_b32 s1, s1, s0
	s_delay_alu instid0(SALU_CYCLE_1)
	s_and_saveexec_b32 s0, s1
	s_cbranch_execz .LBB296_93
; %bb.92:
	v_readfirstlane_b32 s4, v30
	v_readfirstlane_b32 s5, v31
	global_store_b64 v47, v[16:17], s[4:5] scale_offset
.LBB296_93:
	s_wait_xcnt 0x0
	s_or_b32 exec_lo, exec_lo, s0
	v_and_b32_e32 v26, 1, v32
	v_cmp_lt_u32_e32 vcc_lo, v46, v25
	s_delay_alu instid0(VALU_DEP_2) | instskip(SKIP_1) | instid1(SALU_CYCLE_1)
	v_cmp_eq_u32_e64 s0, 1, v26
	s_or_b32 s1, s14, vcc_lo
	s_and_b32 s1, s1, s0
	s_delay_alu instid0(SALU_CYCLE_1)
	s_and_saveexec_b32 s0, s1
	s_cbranch_execz .LBB296_95
; %bb.94:
	v_readfirstlane_b32 s4, v30
	v_readfirstlane_b32 s5, v31
	global_store_b64 v46, v[10:11], s[4:5] scale_offset
.LBB296_95:
	;; [unrolled: 16-line block ×6, first 2 shown]
	s_wait_xcnt 0x0
	s_or_b32 exec_lo, exec_lo, s0
	s_branch .LBB296_87
.LBB296_104:
	s_mov_b32 s0, exec_lo
	v_cmpx_eq_u32_e32 1, v7
; %bb.105:
	v_sub_nc_u32_e32 v7, v48, v18
	s_delay_alu instid0(VALU_DEP_1)
	v_lshlrev_b32_e32 v7, 3, v7
	ds_store_b64 v7, v[14:15]
; %bb.106:
	s_or_b32 exec_lo, exec_lo, s0
	v_and_b32_e32 v7, 1, v33
	s_mov_b32 s0, exec_lo
	s_delay_alu instid0(VALU_DEP_1)
	v_cmpx_eq_u32_e32 1, v7
; %bb.107:
	v_sub_nc_u32_e32 v7, v47, v18
	s_delay_alu instid0(VALU_DEP_1)
	v_lshlrev_b32_e32 v7, 3, v7
	ds_store_b64 v7, v[16:17]
; %bb.108:
	s_or_b32 exec_lo, exec_lo, s0
	v_and_b32_e32 v7, 1, v32
	s_mov_b32 s0, exec_lo
	s_delay_alu instid0(VALU_DEP_1)
	;; [unrolled: 11-line block ×6, first 2 shown]
	v_cmpx_eq_u32_e32 1, v1
; %bb.117:
	v_sub_nc_u32_e32 v1, v19, v18
	s_delay_alu instid0(VALU_DEP_1)
	v_lshlrev_b32_e32 v1, 3, v1
	ds_store_b64 v1, v[4:5]
; %bb.118:
	s_or_b32 exec_lo, exec_lo, s0
	v_mov_b32_e32 v19, 0
	s_mov_b32 s0, 0
	s_wait_storecnt_dscnt 0x0
	s_barrier_signal -1
	s_barrier_wait -1
	v_lshlrev_b64_e32 v[2:3], 3, v[18:19]
	v_mov_b32_e32 v25, v19
	s_delay_alu instid0(VALU_DEP_2) | instskip(NEXT) | instid1(VALU_DEP_1)
	v_add_nc_u64_e32 v[2:3], v[20:21], v[2:3]
	v_add_nc_u64_e32 v[2:3], s[16:17], v[2:3]
	s_delay_alu instid0(VALU_DEP_1)
	v_add_nc_u64_e32 v[2:3], v[2:3], v[24:25]
.LBB296_119:                            ; =>This Inner Loop Header: Depth=1
	ds_load_b64 v[4:5], v24
	v_add_nc_u32_e32 v0, 0x200, v0
	v_add_nc_u32_e32 v24, 0x1000, v24
	s_delay_alu instid0(VALU_DEP_2)
	v_cmp_ge_u32_e32 vcc_lo, v0, v6
	s_or_b32 s0, vcc_lo, s0
	s_wait_dscnt 0x0
	global_store_b64 v[2:3], v[4:5], off
	s_wait_xcnt 0x0
	v_add_nc_u64_e32 v[2:3], 0x1000, v[2:3]
	s_and_not1_b32 exec_lo, exec_lo, s0
	s_cbranch_execnz .LBB296_119
; %bb.120:
	s_or_b32 exec_lo, exec_lo, s0
	s_and_b32 s0, s2, s11
	s_delay_alu instid0(SALU_CYCLE_1)
	s_and_saveexec_b32 s1, s0
	s_cbranch_execz .LBB296_88
.LBB296_121:
	v_mov_b32_e32 v7, 0
	s_delay_alu instid0(VALU_DEP_1) | instskip(SKIP_1) | instid1(VALU_DEP_1)
	v_add_nc_u64_e32 v[0:1], v[22:23], v[6:7]
	v_mov_b32_e32 v19, v7
	v_add_nc_u64_e32 v[0:1], v[0:1], v[18:19]
	global_store_b64 v7, v[0:1], s[12:13]
	s_endpgm
	.section	.rodata,"a",@progbits
	.p2align	6, 0x0
	.amdhsa_kernel _ZN7rocprim17ROCPRIM_400000_NS6detail17trampoline_kernelINS0_14default_configENS1_25partition_config_selectorILNS1_17partition_subalgoE8EdNS0_10empty_typeEbEEZZNS1_14partition_implILS5_8ELb0ES3_jPKdPS6_PKS6_NS0_5tupleIJPdS6_EEENSE_IJSB_SB_EEENS0_18inequality_wrapperIN6hipcub16HIPCUB_304000_NS8EqualityEEEPlJS6_EEE10hipError_tPvRmT3_T4_T5_T6_T7_T9_mT8_P12ihipStream_tbDpT10_ENKUlT_T0_E_clISt17integral_constantIbLb0EES16_IbLb1EEEEDaS12_S13_EUlS12_E_NS1_11comp_targetILNS1_3genE0ELNS1_11target_archE4294967295ELNS1_3gpuE0ELNS1_3repE0EEENS1_30default_config_static_selectorELNS0_4arch9wavefront6targetE0EEEvT1_
		.amdhsa_group_segment_fixed_size 28680
		.amdhsa_private_segment_fixed_size 0
		.amdhsa_kernarg_size 128
		.amdhsa_user_sgpr_count 2
		.amdhsa_user_sgpr_dispatch_ptr 0
		.amdhsa_user_sgpr_queue_ptr 0
		.amdhsa_user_sgpr_kernarg_segment_ptr 1
		.amdhsa_user_sgpr_dispatch_id 0
		.amdhsa_user_sgpr_kernarg_preload_length 0
		.amdhsa_user_sgpr_kernarg_preload_offset 0
		.amdhsa_user_sgpr_private_segment_size 0
		.amdhsa_wavefront_size32 1
		.amdhsa_uses_dynamic_stack 0
		.amdhsa_enable_private_segment 0
		.amdhsa_system_sgpr_workgroup_id_x 1
		.amdhsa_system_sgpr_workgroup_id_y 0
		.amdhsa_system_sgpr_workgroup_id_z 0
		.amdhsa_system_sgpr_workgroup_info 0
		.amdhsa_system_vgpr_workitem_id 0
		.amdhsa_next_free_vgpr 56
		.amdhsa_next_free_sgpr 23
		.amdhsa_named_barrier_count 0
		.amdhsa_reserve_vcc 1
		.amdhsa_float_round_mode_32 0
		.amdhsa_float_round_mode_16_64 0
		.amdhsa_float_denorm_mode_32 3
		.amdhsa_float_denorm_mode_16_64 3
		.amdhsa_fp16_overflow 0
		.amdhsa_memory_ordered 1
		.amdhsa_forward_progress 1
		.amdhsa_inst_pref_size 47
		.amdhsa_round_robin_scheduling 0
		.amdhsa_exception_fp_ieee_invalid_op 0
		.amdhsa_exception_fp_denorm_src 0
		.amdhsa_exception_fp_ieee_div_zero 0
		.amdhsa_exception_fp_ieee_overflow 0
		.amdhsa_exception_fp_ieee_underflow 0
		.amdhsa_exception_fp_ieee_inexact 0
		.amdhsa_exception_int_div_zero 0
	.end_amdhsa_kernel
	.section	.text._ZN7rocprim17ROCPRIM_400000_NS6detail17trampoline_kernelINS0_14default_configENS1_25partition_config_selectorILNS1_17partition_subalgoE8EdNS0_10empty_typeEbEEZZNS1_14partition_implILS5_8ELb0ES3_jPKdPS6_PKS6_NS0_5tupleIJPdS6_EEENSE_IJSB_SB_EEENS0_18inequality_wrapperIN6hipcub16HIPCUB_304000_NS8EqualityEEEPlJS6_EEE10hipError_tPvRmT3_T4_T5_T6_T7_T9_mT8_P12ihipStream_tbDpT10_ENKUlT_T0_E_clISt17integral_constantIbLb0EES16_IbLb1EEEEDaS12_S13_EUlS12_E_NS1_11comp_targetILNS1_3genE0ELNS1_11target_archE4294967295ELNS1_3gpuE0ELNS1_3repE0EEENS1_30default_config_static_selectorELNS0_4arch9wavefront6targetE0EEEvT1_,"axG",@progbits,_ZN7rocprim17ROCPRIM_400000_NS6detail17trampoline_kernelINS0_14default_configENS1_25partition_config_selectorILNS1_17partition_subalgoE8EdNS0_10empty_typeEbEEZZNS1_14partition_implILS5_8ELb0ES3_jPKdPS6_PKS6_NS0_5tupleIJPdS6_EEENSE_IJSB_SB_EEENS0_18inequality_wrapperIN6hipcub16HIPCUB_304000_NS8EqualityEEEPlJS6_EEE10hipError_tPvRmT3_T4_T5_T6_T7_T9_mT8_P12ihipStream_tbDpT10_ENKUlT_T0_E_clISt17integral_constantIbLb0EES16_IbLb1EEEEDaS12_S13_EUlS12_E_NS1_11comp_targetILNS1_3genE0ELNS1_11target_archE4294967295ELNS1_3gpuE0ELNS1_3repE0EEENS1_30default_config_static_selectorELNS0_4arch9wavefront6targetE0EEEvT1_,comdat
.Lfunc_end296:
	.size	_ZN7rocprim17ROCPRIM_400000_NS6detail17trampoline_kernelINS0_14default_configENS1_25partition_config_selectorILNS1_17partition_subalgoE8EdNS0_10empty_typeEbEEZZNS1_14partition_implILS5_8ELb0ES3_jPKdPS6_PKS6_NS0_5tupleIJPdS6_EEENSE_IJSB_SB_EEENS0_18inequality_wrapperIN6hipcub16HIPCUB_304000_NS8EqualityEEEPlJS6_EEE10hipError_tPvRmT3_T4_T5_T6_T7_T9_mT8_P12ihipStream_tbDpT10_ENKUlT_T0_E_clISt17integral_constantIbLb0EES16_IbLb1EEEEDaS12_S13_EUlS12_E_NS1_11comp_targetILNS1_3genE0ELNS1_11target_archE4294967295ELNS1_3gpuE0ELNS1_3repE0EEENS1_30default_config_static_selectorELNS0_4arch9wavefront6targetE0EEEvT1_, .Lfunc_end296-_ZN7rocprim17ROCPRIM_400000_NS6detail17trampoline_kernelINS0_14default_configENS1_25partition_config_selectorILNS1_17partition_subalgoE8EdNS0_10empty_typeEbEEZZNS1_14partition_implILS5_8ELb0ES3_jPKdPS6_PKS6_NS0_5tupleIJPdS6_EEENSE_IJSB_SB_EEENS0_18inequality_wrapperIN6hipcub16HIPCUB_304000_NS8EqualityEEEPlJS6_EEE10hipError_tPvRmT3_T4_T5_T6_T7_T9_mT8_P12ihipStream_tbDpT10_ENKUlT_T0_E_clISt17integral_constantIbLb0EES16_IbLb1EEEEDaS12_S13_EUlS12_E_NS1_11comp_targetILNS1_3genE0ELNS1_11target_archE4294967295ELNS1_3gpuE0ELNS1_3repE0EEENS1_30default_config_static_selectorELNS0_4arch9wavefront6targetE0EEEvT1_
                                        ; -- End function
	.set _ZN7rocprim17ROCPRIM_400000_NS6detail17trampoline_kernelINS0_14default_configENS1_25partition_config_selectorILNS1_17partition_subalgoE8EdNS0_10empty_typeEbEEZZNS1_14partition_implILS5_8ELb0ES3_jPKdPS6_PKS6_NS0_5tupleIJPdS6_EEENSE_IJSB_SB_EEENS0_18inequality_wrapperIN6hipcub16HIPCUB_304000_NS8EqualityEEEPlJS6_EEE10hipError_tPvRmT3_T4_T5_T6_T7_T9_mT8_P12ihipStream_tbDpT10_ENKUlT_T0_E_clISt17integral_constantIbLb0EES16_IbLb1EEEEDaS12_S13_EUlS12_E_NS1_11comp_targetILNS1_3genE0ELNS1_11target_archE4294967295ELNS1_3gpuE0ELNS1_3repE0EEENS1_30default_config_static_selectorELNS0_4arch9wavefront6targetE0EEEvT1_.num_vgpr, 56
	.set _ZN7rocprim17ROCPRIM_400000_NS6detail17trampoline_kernelINS0_14default_configENS1_25partition_config_selectorILNS1_17partition_subalgoE8EdNS0_10empty_typeEbEEZZNS1_14partition_implILS5_8ELb0ES3_jPKdPS6_PKS6_NS0_5tupleIJPdS6_EEENSE_IJSB_SB_EEENS0_18inequality_wrapperIN6hipcub16HIPCUB_304000_NS8EqualityEEEPlJS6_EEE10hipError_tPvRmT3_T4_T5_T6_T7_T9_mT8_P12ihipStream_tbDpT10_ENKUlT_T0_E_clISt17integral_constantIbLb0EES16_IbLb1EEEEDaS12_S13_EUlS12_E_NS1_11comp_targetILNS1_3genE0ELNS1_11target_archE4294967295ELNS1_3gpuE0ELNS1_3repE0EEENS1_30default_config_static_selectorELNS0_4arch9wavefront6targetE0EEEvT1_.num_agpr, 0
	.set _ZN7rocprim17ROCPRIM_400000_NS6detail17trampoline_kernelINS0_14default_configENS1_25partition_config_selectorILNS1_17partition_subalgoE8EdNS0_10empty_typeEbEEZZNS1_14partition_implILS5_8ELb0ES3_jPKdPS6_PKS6_NS0_5tupleIJPdS6_EEENSE_IJSB_SB_EEENS0_18inequality_wrapperIN6hipcub16HIPCUB_304000_NS8EqualityEEEPlJS6_EEE10hipError_tPvRmT3_T4_T5_T6_T7_T9_mT8_P12ihipStream_tbDpT10_ENKUlT_T0_E_clISt17integral_constantIbLb0EES16_IbLb1EEEEDaS12_S13_EUlS12_E_NS1_11comp_targetILNS1_3genE0ELNS1_11target_archE4294967295ELNS1_3gpuE0ELNS1_3repE0EEENS1_30default_config_static_selectorELNS0_4arch9wavefront6targetE0EEEvT1_.numbered_sgpr, 23
	.set _ZN7rocprim17ROCPRIM_400000_NS6detail17trampoline_kernelINS0_14default_configENS1_25partition_config_selectorILNS1_17partition_subalgoE8EdNS0_10empty_typeEbEEZZNS1_14partition_implILS5_8ELb0ES3_jPKdPS6_PKS6_NS0_5tupleIJPdS6_EEENSE_IJSB_SB_EEENS0_18inequality_wrapperIN6hipcub16HIPCUB_304000_NS8EqualityEEEPlJS6_EEE10hipError_tPvRmT3_T4_T5_T6_T7_T9_mT8_P12ihipStream_tbDpT10_ENKUlT_T0_E_clISt17integral_constantIbLb0EES16_IbLb1EEEEDaS12_S13_EUlS12_E_NS1_11comp_targetILNS1_3genE0ELNS1_11target_archE4294967295ELNS1_3gpuE0ELNS1_3repE0EEENS1_30default_config_static_selectorELNS0_4arch9wavefront6targetE0EEEvT1_.num_named_barrier, 0
	.set _ZN7rocprim17ROCPRIM_400000_NS6detail17trampoline_kernelINS0_14default_configENS1_25partition_config_selectorILNS1_17partition_subalgoE8EdNS0_10empty_typeEbEEZZNS1_14partition_implILS5_8ELb0ES3_jPKdPS6_PKS6_NS0_5tupleIJPdS6_EEENSE_IJSB_SB_EEENS0_18inequality_wrapperIN6hipcub16HIPCUB_304000_NS8EqualityEEEPlJS6_EEE10hipError_tPvRmT3_T4_T5_T6_T7_T9_mT8_P12ihipStream_tbDpT10_ENKUlT_T0_E_clISt17integral_constantIbLb0EES16_IbLb1EEEEDaS12_S13_EUlS12_E_NS1_11comp_targetILNS1_3genE0ELNS1_11target_archE4294967295ELNS1_3gpuE0ELNS1_3repE0EEENS1_30default_config_static_selectorELNS0_4arch9wavefront6targetE0EEEvT1_.private_seg_size, 0
	.set _ZN7rocprim17ROCPRIM_400000_NS6detail17trampoline_kernelINS0_14default_configENS1_25partition_config_selectorILNS1_17partition_subalgoE8EdNS0_10empty_typeEbEEZZNS1_14partition_implILS5_8ELb0ES3_jPKdPS6_PKS6_NS0_5tupleIJPdS6_EEENSE_IJSB_SB_EEENS0_18inequality_wrapperIN6hipcub16HIPCUB_304000_NS8EqualityEEEPlJS6_EEE10hipError_tPvRmT3_T4_T5_T6_T7_T9_mT8_P12ihipStream_tbDpT10_ENKUlT_T0_E_clISt17integral_constantIbLb0EES16_IbLb1EEEEDaS12_S13_EUlS12_E_NS1_11comp_targetILNS1_3genE0ELNS1_11target_archE4294967295ELNS1_3gpuE0ELNS1_3repE0EEENS1_30default_config_static_selectorELNS0_4arch9wavefront6targetE0EEEvT1_.uses_vcc, 1
	.set _ZN7rocprim17ROCPRIM_400000_NS6detail17trampoline_kernelINS0_14default_configENS1_25partition_config_selectorILNS1_17partition_subalgoE8EdNS0_10empty_typeEbEEZZNS1_14partition_implILS5_8ELb0ES3_jPKdPS6_PKS6_NS0_5tupleIJPdS6_EEENSE_IJSB_SB_EEENS0_18inequality_wrapperIN6hipcub16HIPCUB_304000_NS8EqualityEEEPlJS6_EEE10hipError_tPvRmT3_T4_T5_T6_T7_T9_mT8_P12ihipStream_tbDpT10_ENKUlT_T0_E_clISt17integral_constantIbLb0EES16_IbLb1EEEEDaS12_S13_EUlS12_E_NS1_11comp_targetILNS1_3genE0ELNS1_11target_archE4294967295ELNS1_3gpuE0ELNS1_3repE0EEENS1_30default_config_static_selectorELNS0_4arch9wavefront6targetE0EEEvT1_.uses_flat_scratch, 0
	.set _ZN7rocprim17ROCPRIM_400000_NS6detail17trampoline_kernelINS0_14default_configENS1_25partition_config_selectorILNS1_17partition_subalgoE8EdNS0_10empty_typeEbEEZZNS1_14partition_implILS5_8ELb0ES3_jPKdPS6_PKS6_NS0_5tupleIJPdS6_EEENSE_IJSB_SB_EEENS0_18inequality_wrapperIN6hipcub16HIPCUB_304000_NS8EqualityEEEPlJS6_EEE10hipError_tPvRmT3_T4_T5_T6_T7_T9_mT8_P12ihipStream_tbDpT10_ENKUlT_T0_E_clISt17integral_constantIbLb0EES16_IbLb1EEEEDaS12_S13_EUlS12_E_NS1_11comp_targetILNS1_3genE0ELNS1_11target_archE4294967295ELNS1_3gpuE0ELNS1_3repE0EEENS1_30default_config_static_selectorELNS0_4arch9wavefront6targetE0EEEvT1_.has_dyn_sized_stack, 0
	.set _ZN7rocprim17ROCPRIM_400000_NS6detail17trampoline_kernelINS0_14default_configENS1_25partition_config_selectorILNS1_17partition_subalgoE8EdNS0_10empty_typeEbEEZZNS1_14partition_implILS5_8ELb0ES3_jPKdPS6_PKS6_NS0_5tupleIJPdS6_EEENSE_IJSB_SB_EEENS0_18inequality_wrapperIN6hipcub16HIPCUB_304000_NS8EqualityEEEPlJS6_EEE10hipError_tPvRmT3_T4_T5_T6_T7_T9_mT8_P12ihipStream_tbDpT10_ENKUlT_T0_E_clISt17integral_constantIbLb0EES16_IbLb1EEEEDaS12_S13_EUlS12_E_NS1_11comp_targetILNS1_3genE0ELNS1_11target_archE4294967295ELNS1_3gpuE0ELNS1_3repE0EEENS1_30default_config_static_selectorELNS0_4arch9wavefront6targetE0EEEvT1_.has_recursion, 0
	.set _ZN7rocprim17ROCPRIM_400000_NS6detail17trampoline_kernelINS0_14default_configENS1_25partition_config_selectorILNS1_17partition_subalgoE8EdNS0_10empty_typeEbEEZZNS1_14partition_implILS5_8ELb0ES3_jPKdPS6_PKS6_NS0_5tupleIJPdS6_EEENSE_IJSB_SB_EEENS0_18inequality_wrapperIN6hipcub16HIPCUB_304000_NS8EqualityEEEPlJS6_EEE10hipError_tPvRmT3_T4_T5_T6_T7_T9_mT8_P12ihipStream_tbDpT10_ENKUlT_T0_E_clISt17integral_constantIbLb0EES16_IbLb1EEEEDaS12_S13_EUlS12_E_NS1_11comp_targetILNS1_3genE0ELNS1_11target_archE4294967295ELNS1_3gpuE0ELNS1_3repE0EEENS1_30default_config_static_selectorELNS0_4arch9wavefront6targetE0EEEvT1_.has_indirect_call, 0
	.section	.AMDGPU.csdata,"",@progbits
; Kernel info:
; codeLenInByte = 5936
; TotalNumSgprs: 25
; NumVgprs: 56
; ScratchSize: 0
; MemoryBound: 0
; FloatMode: 240
; IeeeMode: 1
; LDSByteSize: 28680 bytes/workgroup (compile time only)
; SGPRBlocks: 0
; VGPRBlocks: 3
; NumSGPRsForWavesPerEU: 25
; NumVGPRsForWavesPerEU: 56
; NamedBarCnt: 0
; Occupancy: 16
; WaveLimiterHint : 1
; COMPUTE_PGM_RSRC2:SCRATCH_EN: 0
; COMPUTE_PGM_RSRC2:USER_SGPR: 2
; COMPUTE_PGM_RSRC2:TRAP_HANDLER: 0
; COMPUTE_PGM_RSRC2:TGID_X_EN: 1
; COMPUTE_PGM_RSRC2:TGID_Y_EN: 0
; COMPUTE_PGM_RSRC2:TGID_Z_EN: 0
; COMPUTE_PGM_RSRC2:TIDIG_COMP_CNT: 0
	.section	.text._ZN7rocprim17ROCPRIM_400000_NS6detail17trampoline_kernelINS0_14default_configENS1_25partition_config_selectorILNS1_17partition_subalgoE8EdNS0_10empty_typeEbEEZZNS1_14partition_implILS5_8ELb0ES3_jPKdPS6_PKS6_NS0_5tupleIJPdS6_EEENSE_IJSB_SB_EEENS0_18inequality_wrapperIN6hipcub16HIPCUB_304000_NS8EqualityEEEPlJS6_EEE10hipError_tPvRmT3_T4_T5_T6_T7_T9_mT8_P12ihipStream_tbDpT10_ENKUlT_T0_E_clISt17integral_constantIbLb0EES16_IbLb1EEEEDaS12_S13_EUlS12_E_NS1_11comp_targetILNS1_3genE5ELNS1_11target_archE942ELNS1_3gpuE9ELNS1_3repE0EEENS1_30default_config_static_selectorELNS0_4arch9wavefront6targetE0EEEvT1_,"axG",@progbits,_ZN7rocprim17ROCPRIM_400000_NS6detail17trampoline_kernelINS0_14default_configENS1_25partition_config_selectorILNS1_17partition_subalgoE8EdNS0_10empty_typeEbEEZZNS1_14partition_implILS5_8ELb0ES3_jPKdPS6_PKS6_NS0_5tupleIJPdS6_EEENSE_IJSB_SB_EEENS0_18inequality_wrapperIN6hipcub16HIPCUB_304000_NS8EqualityEEEPlJS6_EEE10hipError_tPvRmT3_T4_T5_T6_T7_T9_mT8_P12ihipStream_tbDpT10_ENKUlT_T0_E_clISt17integral_constantIbLb0EES16_IbLb1EEEEDaS12_S13_EUlS12_E_NS1_11comp_targetILNS1_3genE5ELNS1_11target_archE942ELNS1_3gpuE9ELNS1_3repE0EEENS1_30default_config_static_selectorELNS0_4arch9wavefront6targetE0EEEvT1_,comdat
	.protected	_ZN7rocprim17ROCPRIM_400000_NS6detail17trampoline_kernelINS0_14default_configENS1_25partition_config_selectorILNS1_17partition_subalgoE8EdNS0_10empty_typeEbEEZZNS1_14partition_implILS5_8ELb0ES3_jPKdPS6_PKS6_NS0_5tupleIJPdS6_EEENSE_IJSB_SB_EEENS0_18inequality_wrapperIN6hipcub16HIPCUB_304000_NS8EqualityEEEPlJS6_EEE10hipError_tPvRmT3_T4_T5_T6_T7_T9_mT8_P12ihipStream_tbDpT10_ENKUlT_T0_E_clISt17integral_constantIbLb0EES16_IbLb1EEEEDaS12_S13_EUlS12_E_NS1_11comp_targetILNS1_3genE5ELNS1_11target_archE942ELNS1_3gpuE9ELNS1_3repE0EEENS1_30default_config_static_selectorELNS0_4arch9wavefront6targetE0EEEvT1_ ; -- Begin function _ZN7rocprim17ROCPRIM_400000_NS6detail17trampoline_kernelINS0_14default_configENS1_25partition_config_selectorILNS1_17partition_subalgoE8EdNS0_10empty_typeEbEEZZNS1_14partition_implILS5_8ELb0ES3_jPKdPS6_PKS6_NS0_5tupleIJPdS6_EEENSE_IJSB_SB_EEENS0_18inequality_wrapperIN6hipcub16HIPCUB_304000_NS8EqualityEEEPlJS6_EEE10hipError_tPvRmT3_T4_T5_T6_T7_T9_mT8_P12ihipStream_tbDpT10_ENKUlT_T0_E_clISt17integral_constantIbLb0EES16_IbLb1EEEEDaS12_S13_EUlS12_E_NS1_11comp_targetILNS1_3genE5ELNS1_11target_archE942ELNS1_3gpuE9ELNS1_3repE0EEENS1_30default_config_static_selectorELNS0_4arch9wavefront6targetE0EEEvT1_
	.globl	_ZN7rocprim17ROCPRIM_400000_NS6detail17trampoline_kernelINS0_14default_configENS1_25partition_config_selectorILNS1_17partition_subalgoE8EdNS0_10empty_typeEbEEZZNS1_14partition_implILS5_8ELb0ES3_jPKdPS6_PKS6_NS0_5tupleIJPdS6_EEENSE_IJSB_SB_EEENS0_18inequality_wrapperIN6hipcub16HIPCUB_304000_NS8EqualityEEEPlJS6_EEE10hipError_tPvRmT3_T4_T5_T6_T7_T9_mT8_P12ihipStream_tbDpT10_ENKUlT_T0_E_clISt17integral_constantIbLb0EES16_IbLb1EEEEDaS12_S13_EUlS12_E_NS1_11comp_targetILNS1_3genE5ELNS1_11target_archE942ELNS1_3gpuE9ELNS1_3repE0EEENS1_30default_config_static_selectorELNS0_4arch9wavefront6targetE0EEEvT1_
	.p2align	8
	.type	_ZN7rocprim17ROCPRIM_400000_NS6detail17trampoline_kernelINS0_14default_configENS1_25partition_config_selectorILNS1_17partition_subalgoE8EdNS0_10empty_typeEbEEZZNS1_14partition_implILS5_8ELb0ES3_jPKdPS6_PKS6_NS0_5tupleIJPdS6_EEENSE_IJSB_SB_EEENS0_18inequality_wrapperIN6hipcub16HIPCUB_304000_NS8EqualityEEEPlJS6_EEE10hipError_tPvRmT3_T4_T5_T6_T7_T9_mT8_P12ihipStream_tbDpT10_ENKUlT_T0_E_clISt17integral_constantIbLb0EES16_IbLb1EEEEDaS12_S13_EUlS12_E_NS1_11comp_targetILNS1_3genE5ELNS1_11target_archE942ELNS1_3gpuE9ELNS1_3repE0EEENS1_30default_config_static_selectorELNS0_4arch9wavefront6targetE0EEEvT1_,@function
_ZN7rocprim17ROCPRIM_400000_NS6detail17trampoline_kernelINS0_14default_configENS1_25partition_config_selectorILNS1_17partition_subalgoE8EdNS0_10empty_typeEbEEZZNS1_14partition_implILS5_8ELb0ES3_jPKdPS6_PKS6_NS0_5tupleIJPdS6_EEENSE_IJSB_SB_EEENS0_18inequality_wrapperIN6hipcub16HIPCUB_304000_NS8EqualityEEEPlJS6_EEE10hipError_tPvRmT3_T4_T5_T6_T7_T9_mT8_P12ihipStream_tbDpT10_ENKUlT_T0_E_clISt17integral_constantIbLb0EES16_IbLb1EEEEDaS12_S13_EUlS12_E_NS1_11comp_targetILNS1_3genE5ELNS1_11target_archE942ELNS1_3gpuE9ELNS1_3repE0EEENS1_30default_config_static_selectorELNS0_4arch9wavefront6targetE0EEEvT1_: ; @_ZN7rocprim17ROCPRIM_400000_NS6detail17trampoline_kernelINS0_14default_configENS1_25partition_config_selectorILNS1_17partition_subalgoE8EdNS0_10empty_typeEbEEZZNS1_14partition_implILS5_8ELb0ES3_jPKdPS6_PKS6_NS0_5tupleIJPdS6_EEENSE_IJSB_SB_EEENS0_18inequality_wrapperIN6hipcub16HIPCUB_304000_NS8EqualityEEEPlJS6_EEE10hipError_tPvRmT3_T4_T5_T6_T7_T9_mT8_P12ihipStream_tbDpT10_ENKUlT_T0_E_clISt17integral_constantIbLb0EES16_IbLb1EEEEDaS12_S13_EUlS12_E_NS1_11comp_targetILNS1_3genE5ELNS1_11target_archE942ELNS1_3gpuE9ELNS1_3repE0EEENS1_30default_config_static_selectorELNS0_4arch9wavefront6targetE0EEEvT1_
; %bb.0:
	.section	.rodata,"a",@progbits
	.p2align	6, 0x0
	.amdhsa_kernel _ZN7rocprim17ROCPRIM_400000_NS6detail17trampoline_kernelINS0_14default_configENS1_25partition_config_selectorILNS1_17partition_subalgoE8EdNS0_10empty_typeEbEEZZNS1_14partition_implILS5_8ELb0ES3_jPKdPS6_PKS6_NS0_5tupleIJPdS6_EEENSE_IJSB_SB_EEENS0_18inequality_wrapperIN6hipcub16HIPCUB_304000_NS8EqualityEEEPlJS6_EEE10hipError_tPvRmT3_T4_T5_T6_T7_T9_mT8_P12ihipStream_tbDpT10_ENKUlT_T0_E_clISt17integral_constantIbLb0EES16_IbLb1EEEEDaS12_S13_EUlS12_E_NS1_11comp_targetILNS1_3genE5ELNS1_11target_archE942ELNS1_3gpuE9ELNS1_3repE0EEENS1_30default_config_static_selectorELNS0_4arch9wavefront6targetE0EEEvT1_
		.amdhsa_group_segment_fixed_size 0
		.amdhsa_private_segment_fixed_size 0
		.amdhsa_kernarg_size 128
		.amdhsa_user_sgpr_count 2
		.amdhsa_user_sgpr_dispatch_ptr 0
		.amdhsa_user_sgpr_queue_ptr 0
		.amdhsa_user_sgpr_kernarg_segment_ptr 1
		.amdhsa_user_sgpr_dispatch_id 0
		.amdhsa_user_sgpr_kernarg_preload_length 0
		.amdhsa_user_sgpr_kernarg_preload_offset 0
		.amdhsa_user_sgpr_private_segment_size 0
		.amdhsa_wavefront_size32 1
		.amdhsa_uses_dynamic_stack 0
		.amdhsa_enable_private_segment 0
		.amdhsa_system_sgpr_workgroup_id_x 1
		.amdhsa_system_sgpr_workgroup_id_y 0
		.amdhsa_system_sgpr_workgroup_id_z 0
		.amdhsa_system_sgpr_workgroup_info 0
		.amdhsa_system_vgpr_workitem_id 0
		.amdhsa_next_free_vgpr 1
		.amdhsa_next_free_sgpr 1
		.amdhsa_named_barrier_count 0
		.amdhsa_reserve_vcc 0
		.amdhsa_float_round_mode_32 0
		.amdhsa_float_round_mode_16_64 0
		.amdhsa_float_denorm_mode_32 3
		.amdhsa_float_denorm_mode_16_64 3
		.amdhsa_fp16_overflow 0
		.amdhsa_memory_ordered 1
		.amdhsa_forward_progress 1
		.amdhsa_inst_pref_size 0
		.amdhsa_round_robin_scheduling 0
		.amdhsa_exception_fp_ieee_invalid_op 0
		.amdhsa_exception_fp_denorm_src 0
		.amdhsa_exception_fp_ieee_div_zero 0
		.amdhsa_exception_fp_ieee_overflow 0
		.amdhsa_exception_fp_ieee_underflow 0
		.amdhsa_exception_fp_ieee_inexact 0
		.amdhsa_exception_int_div_zero 0
	.end_amdhsa_kernel
	.section	.text._ZN7rocprim17ROCPRIM_400000_NS6detail17trampoline_kernelINS0_14default_configENS1_25partition_config_selectorILNS1_17partition_subalgoE8EdNS0_10empty_typeEbEEZZNS1_14partition_implILS5_8ELb0ES3_jPKdPS6_PKS6_NS0_5tupleIJPdS6_EEENSE_IJSB_SB_EEENS0_18inequality_wrapperIN6hipcub16HIPCUB_304000_NS8EqualityEEEPlJS6_EEE10hipError_tPvRmT3_T4_T5_T6_T7_T9_mT8_P12ihipStream_tbDpT10_ENKUlT_T0_E_clISt17integral_constantIbLb0EES16_IbLb1EEEEDaS12_S13_EUlS12_E_NS1_11comp_targetILNS1_3genE5ELNS1_11target_archE942ELNS1_3gpuE9ELNS1_3repE0EEENS1_30default_config_static_selectorELNS0_4arch9wavefront6targetE0EEEvT1_,"axG",@progbits,_ZN7rocprim17ROCPRIM_400000_NS6detail17trampoline_kernelINS0_14default_configENS1_25partition_config_selectorILNS1_17partition_subalgoE8EdNS0_10empty_typeEbEEZZNS1_14partition_implILS5_8ELb0ES3_jPKdPS6_PKS6_NS0_5tupleIJPdS6_EEENSE_IJSB_SB_EEENS0_18inequality_wrapperIN6hipcub16HIPCUB_304000_NS8EqualityEEEPlJS6_EEE10hipError_tPvRmT3_T4_T5_T6_T7_T9_mT8_P12ihipStream_tbDpT10_ENKUlT_T0_E_clISt17integral_constantIbLb0EES16_IbLb1EEEEDaS12_S13_EUlS12_E_NS1_11comp_targetILNS1_3genE5ELNS1_11target_archE942ELNS1_3gpuE9ELNS1_3repE0EEENS1_30default_config_static_selectorELNS0_4arch9wavefront6targetE0EEEvT1_,comdat
.Lfunc_end297:
	.size	_ZN7rocprim17ROCPRIM_400000_NS6detail17trampoline_kernelINS0_14default_configENS1_25partition_config_selectorILNS1_17partition_subalgoE8EdNS0_10empty_typeEbEEZZNS1_14partition_implILS5_8ELb0ES3_jPKdPS6_PKS6_NS0_5tupleIJPdS6_EEENSE_IJSB_SB_EEENS0_18inequality_wrapperIN6hipcub16HIPCUB_304000_NS8EqualityEEEPlJS6_EEE10hipError_tPvRmT3_T4_T5_T6_T7_T9_mT8_P12ihipStream_tbDpT10_ENKUlT_T0_E_clISt17integral_constantIbLb0EES16_IbLb1EEEEDaS12_S13_EUlS12_E_NS1_11comp_targetILNS1_3genE5ELNS1_11target_archE942ELNS1_3gpuE9ELNS1_3repE0EEENS1_30default_config_static_selectorELNS0_4arch9wavefront6targetE0EEEvT1_, .Lfunc_end297-_ZN7rocprim17ROCPRIM_400000_NS6detail17trampoline_kernelINS0_14default_configENS1_25partition_config_selectorILNS1_17partition_subalgoE8EdNS0_10empty_typeEbEEZZNS1_14partition_implILS5_8ELb0ES3_jPKdPS6_PKS6_NS0_5tupleIJPdS6_EEENSE_IJSB_SB_EEENS0_18inequality_wrapperIN6hipcub16HIPCUB_304000_NS8EqualityEEEPlJS6_EEE10hipError_tPvRmT3_T4_T5_T6_T7_T9_mT8_P12ihipStream_tbDpT10_ENKUlT_T0_E_clISt17integral_constantIbLb0EES16_IbLb1EEEEDaS12_S13_EUlS12_E_NS1_11comp_targetILNS1_3genE5ELNS1_11target_archE942ELNS1_3gpuE9ELNS1_3repE0EEENS1_30default_config_static_selectorELNS0_4arch9wavefront6targetE0EEEvT1_
                                        ; -- End function
	.set _ZN7rocprim17ROCPRIM_400000_NS6detail17trampoline_kernelINS0_14default_configENS1_25partition_config_selectorILNS1_17partition_subalgoE8EdNS0_10empty_typeEbEEZZNS1_14partition_implILS5_8ELb0ES3_jPKdPS6_PKS6_NS0_5tupleIJPdS6_EEENSE_IJSB_SB_EEENS0_18inequality_wrapperIN6hipcub16HIPCUB_304000_NS8EqualityEEEPlJS6_EEE10hipError_tPvRmT3_T4_T5_T6_T7_T9_mT8_P12ihipStream_tbDpT10_ENKUlT_T0_E_clISt17integral_constantIbLb0EES16_IbLb1EEEEDaS12_S13_EUlS12_E_NS1_11comp_targetILNS1_3genE5ELNS1_11target_archE942ELNS1_3gpuE9ELNS1_3repE0EEENS1_30default_config_static_selectorELNS0_4arch9wavefront6targetE0EEEvT1_.num_vgpr, 0
	.set _ZN7rocprim17ROCPRIM_400000_NS6detail17trampoline_kernelINS0_14default_configENS1_25partition_config_selectorILNS1_17partition_subalgoE8EdNS0_10empty_typeEbEEZZNS1_14partition_implILS5_8ELb0ES3_jPKdPS6_PKS6_NS0_5tupleIJPdS6_EEENSE_IJSB_SB_EEENS0_18inequality_wrapperIN6hipcub16HIPCUB_304000_NS8EqualityEEEPlJS6_EEE10hipError_tPvRmT3_T4_T5_T6_T7_T9_mT8_P12ihipStream_tbDpT10_ENKUlT_T0_E_clISt17integral_constantIbLb0EES16_IbLb1EEEEDaS12_S13_EUlS12_E_NS1_11comp_targetILNS1_3genE5ELNS1_11target_archE942ELNS1_3gpuE9ELNS1_3repE0EEENS1_30default_config_static_selectorELNS0_4arch9wavefront6targetE0EEEvT1_.num_agpr, 0
	.set _ZN7rocprim17ROCPRIM_400000_NS6detail17trampoline_kernelINS0_14default_configENS1_25partition_config_selectorILNS1_17partition_subalgoE8EdNS0_10empty_typeEbEEZZNS1_14partition_implILS5_8ELb0ES3_jPKdPS6_PKS6_NS0_5tupleIJPdS6_EEENSE_IJSB_SB_EEENS0_18inequality_wrapperIN6hipcub16HIPCUB_304000_NS8EqualityEEEPlJS6_EEE10hipError_tPvRmT3_T4_T5_T6_T7_T9_mT8_P12ihipStream_tbDpT10_ENKUlT_T0_E_clISt17integral_constantIbLb0EES16_IbLb1EEEEDaS12_S13_EUlS12_E_NS1_11comp_targetILNS1_3genE5ELNS1_11target_archE942ELNS1_3gpuE9ELNS1_3repE0EEENS1_30default_config_static_selectorELNS0_4arch9wavefront6targetE0EEEvT1_.numbered_sgpr, 0
	.set _ZN7rocprim17ROCPRIM_400000_NS6detail17trampoline_kernelINS0_14default_configENS1_25partition_config_selectorILNS1_17partition_subalgoE8EdNS0_10empty_typeEbEEZZNS1_14partition_implILS5_8ELb0ES3_jPKdPS6_PKS6_NS0_5tupleIJPdS6_EEENSE_IJSB_SB_EEENS0_18inequality_wrapperIN6hipcub16HIPCUB_304000_NS8EqualityEEEPlJS6_EEE10hipError_tPvRmT3_T4_T5_T6_T7_T9_mT8_P12ihipStream_tbDpT10_ENKUlT_T0_E_clISt17integral_constantIbLb0EES16_IbLb1EEEEDaS12_S13_EUlS12_E_NS1_11comp_targetILNS1_3genE5ELNS1_11target_archE942ELNS1_3gpuE9ELNS1_3repE0EEENS1_30default_config_static_selectorELNS0_4arch9wavefront6targetE0EEEvT1_.num_named_barrier, 0
	.set _ZN7rocprim17ROCPRIM_400000_NS6detail17trampoline_kernelINS0_14default_configENS1_25partition_config_selectorILNS1_17partition_subalgoE8EdNS0_10empty_typeEbEEZZNS1_14partition_implILS5_8ELb0ES3_jPKdPS6_PKS6_NS0_5tupleIJPdS6_EEENSE_IJSB_SB_EEENS0_18inequality_wrapperIN6hipcub16HIPCUB_304000_NS8EqualityEEEPlJS6_EEE10hipError_tPvRmT3_T4_T5_T6_T7_T9_mT8_P12ihipStream_tbDpT10_ENKUlT_T0_E_clISt17integral_constantIbLb0EES16_IbLb1EEEEDaS12_S13_EUlS12_E_NS1_11comp_targetILNS1_3genE5ELNS1_11target_archE942ELNS1_3gpuE9ELNS1_3repE0EEENS1_30default_config_static_selectorELNS0_4arch9wavefront6targetE0EEEvT1_.private_seg_size, 0
	.set _ZN7rocprim17ROCPRIM_400000_NS6detail17trampoline_kernelINS0_14default_configENS1_25partition_config_selectorILNS1_17partition_subalgoE8EdNS0_10empty_typeEbEEZZNS1_14partition_implILS5_8ELb0ES3_jPKdPS6_PKS6_NS0_5tupleIJPdS6_EEENSE_IJSB_SB_EEENS0_18inequality_wrapperIN6hipcub16HIPCUB_304000_NS8EqualityEEEPlJS6_EEE10hipError_tPvRmT3_T4_T5_T6_T7_T9_mT8_P12ihipStream_tbDpT10_ENKUlT_T0_E_clISt17integral_constantIbLb0EES16_IbLb1EEEEDaS12_S13_EUlS12_E_NS1_11comp_targetILNS1_3genE5ELNS1_11target_archE942ELNS1_3gpuE9ELNS1_3repE0EEENS1_30default_config_static_selectorELNS0_4arch9wavefront6targetE0EEEvT1_.uses_vcc, 0
	.set _ZN7rocprim17ROCPRIM_400000_NS6detail17trampoline_kernelINS0_14default_configENS1_25partition_config_selectorILNS1_17partition_subalgoE8EdNS0_10empty_typeEbEEZZNS1_14partition_implILS5_8ELb0ES3_jPKdPS6_PKS6_NS0_5tupleIJPdS6_EEENSE_IJSB_SB_EEENS0_18inequality_wrapperIN6hipcub16HIPCUB_304000_NS8EqualityEEEPlJS6_EEE10hipError_tPvRmT3_T4_T5_T6_T7_T9_mT8_P12ihipStream_tbDpT10_ENKUlT_T0_E_clISt17integral_constantIbLb0EES16_IbLb1EEEEDaS12_S13_EUlS12_E_NS1_11comp_targetILNS1_3genE5ELNS1_11target_archE942ELNS1_3gpuE9ELNS1_3repE0EEENS1_30default_config_static_selectorELNS0_4arch9wavefront6targetE0EEEvT1_.uses_flat_scratch, 0
	.set _ZN7rocprim17ROCPRIM_400000_NS6detail17trampoline_kernelINS0_14default_configENS1_25partition_config_selectorILNS1_17partition_subalgoE8EdNS0_10empty_typeEbEEZZNS1_14partition_implILS5_8ELb0ES3_jPKdPS6_PKS6_NS0_5tupleIJPdS6_EEENSE_IJSB_SB_EEENS0_18inequality_wrapperIN6hipcub16HIPCUB_304000_NS8EqualityEEEPlJS6_EEE10hipError_tPvRmT3_T4_T5_T6_T7_T9_mT8_P12ihipStream_tbDpT10_ENKUlT_T0_E_clISt17integral_constantIbLb0EES16_IbLb1EEEEDaS12_S13_EUlS12_E_NS1_11comp_targetILNS1_3genE5ELNS1_11target_archE942ELNS1_3gpuE9ELNS1_3repE0EEENS1_30default_config_static_selectorELNS0_4arch9wavefront6targetE0EEEvT1_.has_dyn_sized_stack, 0
	.set _ZN7rocprim17ROCPRIM_400000_NS6detail17trampoline_kernelINS0_14default_configENS1_25partition_config_selectorILNS1_17partition_subalgoE8EdNS0_10empty_typeEbEEZZNS1_14partition_implILS5_8ELb0ES3_jPKdPS6_PKS6_NS0_5tupleIJPdS6_EEENSE_IJSB_SB_EEENS0_18inequality_wrapperIN6hipcub16HIPCUB_304000_NS8EqualityEEEPlJS6_EEE10hipError_tPvRmT3_T4_T5_T6_T7_T9_mT8_P12ihipStream_tbDpT10_ENKUlT_T0_E_clISt17integral_constantIbLb0EES16_IbLb1EEEEDaS12_S13_EUlS12_E_NS1_11comp_targetILNS1_3genE5ELNS1_11target_archE942ELNS1_3gpuE9ELNS1_3repE0EEENS1_30default_config_static_selectorELNS0_4arch9wavefront6targetE0EEEvT1_.has_recursion, 0
	.set _ZN7rocprim17ROCPRIM_400000_NS6detail17trampoline_kernelINS0_14default_configENS1_25partition_config_selectorILNS1_17partition_subalgoE8EdNS0_10empty_typeEbEEZZNS1_14partition_implILS5_8ELb0ES3_jPKdPS6_PKS6_NS0_5tupleIJPdS6_EEENSE_IJSB_SB_EEENS0_18inequality_wrapperIN6hipcub16HIPCUB_304000_NS8EqualityEEEPlJS6_EEE10hipError_tPvRmT3_T4_T5_T6_T7_T9_mT8_P12ihipStream_tbDpT10_ENKUlT_T0_E_clISt17integral_constantIbLb0EES16_IbLb1EEEEDaS12_S13_EUlS12_E_NS1_11comp_targetILNS1_3genE5ELNS1_11target_archE942ELNS1_3gpuE9ELNS1_3repE0EEENS1_30default_config_static_selectorELNS0_4arch9wavefront6targetE0EEEvT1_.has_indirect_call, 0
	.section	.AMDGPU.csdata,"",@progbits
; Kernel info:
; codeLenInByte = 0
; TotalNumSgprs: 0
; NumVgprs: 0
; ScratchSize: 0
; MemoryBound: 0
; FloatMode: 240
; IeeeMode: 1
; LDSByteSize: 0 bytes/workgroup (compile time only)
; SGPRBlocks: 0
; VGPRBlocks: 0
; NumSGPRsForWavesPerEU: 1
; NumVGPRsForWavesPerEU: 1
; NamedBarCnt: 0
; Occupancy: 16
; WaveLimiterHint : 0
; COMPUTE_PGM_RSRC2:SCRATCH_EN: 0
; COMPUTE_PGM_RSRC2:USER_SGPR: 2
; COMPUTE_PGM_RSRC2:TRAP_HANDLER: 0
; COMPUTE_PGM_RSRC2:TGID_X_EN: 1
; COMPUTE_PGM_RSRC2:TGID_Y_EN: 0
; COMPUTE_PGM_RSRC2:TGID_Z_EN: 0
; COMPUTE_PGM_RSRC2:TIDIG_COMP_CNT: 0
	.section	.text._ZN7rocprim17ROCPRIM_400000_NS6detail17trampoline_kernelINS0_14default_configENS1_25partition_config_selectorILNS1_17partition_subalgoE8EdNS0_10empty_typeEbEEZZNS1_14partition_implILS5_8ELb0ES3_jPKdPS6_PKS6_NS0_5tupleIJPdS6_EEENSE_IJSB_SB_EEENS0_18inequality_wrapperIN6hipcub16HIPCUB_304000_NS8EqualityEEEPlJS6_EEE10hipError_tPvRmT3_T4_T5_T6_T7_T9_mT8_P12ihipStream_tbDpT10_ENKUlT_T0_E_clISt17integral_constantIbLb0EES16_IbLb1EEEEDaS12_S13_EUlS12_E_NS1_11comp_targetILNS1_3genE4ELNS1_11target_archE910ELNS1_3gpuE8ELNS1_3repE0EEENS1_30default_config_static_selectorELNS0_4arch9wavefront6targetE0EEEvT1_,"axG",@progbits,_ZN7rocprim17ROCPRIM_400000_NS6detail17trampoline_kernelINS0_14default_configENS1_25partition_config_selectorILNS1_17partition_subalgoE8EdNS0_10empty_typeEbEEZZNS1_14partition_implILS5_8ELb0ES3_jPKdPS6_PKS6_NS0_5tupleIJPdS6_EEENSE_IJSB_SB_EEENS0_18inequality_wrapperIN6hipcub16HIPCUB_304000_NS8EqualityEEEPlJS6_EEE10hipError_tPvRmT3_T4_T5_T6_T7_T9_mT8_P12ihipStream_tbDpT10_ENKUlT_T0_E_clISt17integral_constantIbLb0EES16_IbLb1EEEEDaS12_S13_EUlS12_E_NS1_11comp_targetILNS1_3genE4ELNS1_11target_archE910ELNS1_3gpuE8ELNS1_3repE0EEENS1_30default_config_static_selectorELNS0_4arch9wavefront6targetE0EEEvT1_,comdat
	.protected	_ZN7rocprim17ROCPRIM_400000_NS6detail17trampoline_kernelINS0_14default_configENS1_25partition_config_selectorILNS1_17partition_subalgoE8EdNS0_10empty_typeEbEEZZNS1_14partition_implILS5_8ELb0ES3_jPKdPS6_PKS6_NS0_5tupleIJPdS6_EEENSE_IJSB_SB_EEENS0_18inequality_wrapperIN6hipcub16HIPCUB_304000_NS8EqualityEEEPlJS6_EEE10hipError_tPvRmT3_T4_T5_T6_T7_T9_mT8_P12ihipStream_tbDpT10_ENKUlT_T0_E_clISt17integral_constantIbLb0EES16_IbLb1EEEEDaS12_S13_EUlS12_E_NS1_11comp_targetILNS1_3genE4ELNS1_11target_archE910ELNS1_3gpuE8ELNS1_3repE0EEENS1_30default_config_static_selectorELNS0_4arch9wavefront6targetE0EEEvT1_ ; -- Begin function _ZN7rocprim17ROCPRIM_400000_NS6detail17trampoline_kernelINS0_14default_configENS1_25partition_config_selectorILNS1_17partition_subalgoE8EdNS0_10empty_typeEbEEZZNS1_14partition_implILS5_8ELb0ES3_jPKdPS6_PKS6_NS0_5tupleIJPdS6_EEENSE_IJSB_SB_EEENS0_18inequality_wrapperIN6hipcub16HIPCUB_304000_NS8EqualityEEEPlJS6_EEE10hipError_tPvRmT3_T4_T5_T6_T7_T9_mT8_P12ihipStream_tbDpT10_ENKUlT_T0_E_clISt17integral_constantIbLb0EES16_IbLb1EEEEDaS12_S13_EUlS12_E_NS1_11comp_targetILNS1_3genE4ELNS1_11target_archE910ELNS1_3gpuE8ELNS1_3repE0EEENS1_30default_config_static_selectorELNS0_4arch9wavefront6targetE0EEEvT1_
	.globl	_ZN7rocprim17ROCPRIM_400000_NS6detail17trampoline_kernelINS0_14default_configENS1_25partition_config_selectorILNS1_17partition_subalgoE8EdNS0_10empty_typeEbEEZZNS1_14partition_implILS5_8ELb0ES3_jPKdPS6_PKS6_NS0_5tupleIJPdS6_EEENSE_IJSB_SB_EEENS0_18inequality_wrapperIN6hipcub16HIPCUB_304000_NS8EqualityEEEPlJS6_EEE10hipError_tPvRmT3_T4_T5_T6_T7_T9_mT8_P12ihipStream_tbDpT10_ENKUlT_T0_E_clISt17integral_constantIbLb0EES16_IbLb1EEEEDaS12_S13_EUlS12_E_NS1_11comp_targetILNS1_3genE4ELNS1_11target_archE910ELNS1_3gpuE8ELNS1_3repE0EEENS1_30default_config_static_selectorELNS0_4arch9wavefront6targetE0EEEvT1_
	.p2align	8
	.type	_ZN7rocprim17ROCPRIM_400000_NS6detail17trampoline_kernelINS0_14default_configENS1_25partition_config_selectorILNS1_17partition_subalgoE8EdNS0_10empty_typeEbEEZZNS1_14partition_implILS5_8ELb0ES3_jPKdPS6_PKS6_NS0_5tupleIJPdS6_EEENSE_IJSB_SB_EEENS0_18inequality_wrapperIN6hipcub16HIPCUB_304000_NS8EqualityEEEPlJS6_EEE10hipError_tPvRmT3_T4_T5_T6_T7_T9_mT8_P12ihipStream_tbDpT10_ENKUlT_T0_E_clISt17integral_constantIbLb0EES16_IbLb1EEEEDaS12_S13_EUlS12_E_NS1_11comp_targetILNS1_3genE4ELNS1_11target_archE910ELNS1_3gpuE8ELNS1_3repE0EEENS1_30default_config_static_selectorELNS0_4arch9wavefront6targetE0EEEvT1_,@function
_ZN7rocprim17ROCPRIM_400000_NS6detail17trampoline_kernelINS0_14default_configENS1_25partition_config_selectorILNS1_17partition_subalgoE8EdNS0_10empty_typeEbEEZZNS1_14partition_implILS5_8ELb0ES3_jPKdPS6_PKS6_NS0_5tupleIJPdS6_EEENSE_IJSB_SB_EEENS0_18inequality_wrapperIN6hipcub16HIPCUB_304000_NS8EqualityEEEPlJS6_EEE10hipError_tPvRmT3_T4_T5_T6_T7_T9_mT8_P12ihipStream_tbDpT10_ENKUlT_T0_E_clISt17integral_constantIbLb0EES16_IbLb1EEEEDaS12_S13_EUlS12_E_NS1_11comp_targetILNS1_3genE4ELNS1_11target_archE910ELNS1_3gpuE8ELNS1_3repE0EEENS1_30default_config_static_selectorELNS0_4arch9wavefront6targetE0EEEvT1_: ; @_ZN7rocprim17ROCPRIM_400000_NS6detail17trampoline_kernelINS0_14default_configENS1_25partition_config_selectorILNS1_17partition_subalgoE8EdNS0_10empty_typeEbEEZZNS1_14partition_implILS5_8ELb0ES3_jPKdPS6_PKS6_NS0_5tupleIJPdS6_EEENSE_IJSB_SB_EEENS0_18inequality_wrapperIN6hipcub16HIPCUB_304000_NS8EqualityEEEPlJS6_EEE10hipError_tPvRmT3_T4_T5_T6_T7_T9_mT8_P12ihipStream_tbDpT10_ENKUlT_T0_E_clISt17integral_constantIbLb0EES16_IbLb1EEEEDaS12_S13_EUlS12_E_NS1_11comp_targetILNS1_3genE4ELNS1_11target_archE910ELNS1_3gpuE8ELNS1_3repE0EEENS1_30default_config_static_selectorELNS0_4arch9wavefront6targetE0EEEvT1_
; %bb.0:
	.section	.rodata,"a",@progbits
	.p2align	6, 0x0
	.amdhsa_kernel _ZN7rocprim17ROCPRIM_400000_NS6detail17trampoline_kernelINS0_14default_configENS1_25partition_config_selectorILNS1_17partition_subalgoE8EdNS0_10empty_typeEbEEZZNS1_14partition_implILS5_8ELb0ES3_jPKdPS6_PKS6_NS0_5tupleIJPdS6_EEENSE_IJSB_SB_EEENS0_18inequality_wrapperIN6hipcub16HIPCUB_304000_NS8EqualityEEEPlJS6_EEE10hipError_tPvRmT3_T4_T5_T6_T7_T9_mT8_P12ihipStream_tbDpT10_ENKUlT_T0_E_clISt17integral_constantIbLb0EES16_IbLb1EEEEDaS12_S13_EUlS12_E_NS1_11comp_targetILNS1_3genE4ELNS1_11target_archE910ELNS1_3gpuE8ELNS1_3repE0EEENS1_30default_config_static_selectorELNS0_4arch9wavefront6targetE0EEEvT1_
		.amdhsa_group_segment_fixed_size 0
		.amdhsa_private_segment_fixed_size 0
		.amdhsa_kernarg_size 128
		.amdhsa_user_sgpr_count 2
		.amdhsa_user_sgpr_dispatch_ptr 0
		.amdhsa_user_sgpr_queue_ptr 0
		.amdhsa_user_sgpr_kernarg_segment_ptr 1
		.amdhsa_user_sgpr_dispatch_id 0
		.amdhsa_user_sgpr_kernarg_preload_length 0
		.amdhsa_user_sgpr_kernarg_preload_offset 0
		.amdhsa_user_sgpr_private_segment_size 0
		.amdhsa_wavefront_size32 1
		.amdhsa_uses_dynamic_stack 0
		.amdhsa_enable_private_segment 0
		.amdhsa_system_sgpr_workgroup_id_x 1
		.amdhsa_system_sgpr_workgroup_id_y 0
		.amdhsa_system_sgpr_workgroup_id_z 0
		.amdhsa_system_sgpr_workgroup_info 0
		.amdhsa_system_vgpr_workitem_id 0
		.amdhsa_next_free_vgpr 1
		.amdhsa_next_free_sgpr 1
		.amdhsa_named_barrier_count 0
		.amdhsa_reserve_vcc 0
		.amdhsa_float_round_mode_32 0
		.amdhsa_float_round_mode_16_64 0
		.amdhsa_float_denorm_mode_32 3
		.amdhsa_float_denorm_mode_16_64 3
		.amdhsa_fp16_overflow 0
		.amdhsa_memory_ordered 1
		.amdhsa_forward_progress 1
		.amdhsa_inst_pref_size 0
		.amdhsa_round_robin_scheduling 0
		.amdhsa_exception_fp_ieee_invalid_op 0
		.amdhsa_exception_fp_denorm_src 0
		.amdhsa_exception_fp_ieee_div_zero 0
		.amdhsa_exception_fp_ieee_overflow 0
		.amdhsa_exception_fp_ieee_underflow 0
		.amdhsa_exception_fp_ieee_inexact 0
		.amdhsa_exception_int_div_zero 0
	.end_amdhsa_kernel
	.section	.text._ZN7rocprim17ROCPRIM_400000_NS6detail17trampoline_kernelINS0_14default_configENS1_25partition_config_selectorILNS1_17partition_subalgoE8EdNS0_10empty_typeEbEEZZNS1_14partition_implILS5_8ELb0ES3_jPKdPS6_PKS6_NS0_5tupleIJPdS6_EEENSE_IJSB_SB_EEENS0_18inequality_wrapperIN6hipcub16HIPCUB_304000_NS8EqualityEEEPlJS6_EEE10hipError_tPvRmT3_T4_T5_T6_T7_T9_mT8_P12ihipStream_tbDpT10_ENKUlT_T0_E_clISt17integral_constantIbLb0EES16_IbLb1EEEEDaS12_S13_EUlS12_E_NS1_11comp_targetILNS1_3genE4ELNS1_11target_archE910ELNS1_3gpuE8ELNS1_3repE0EEENS1_30default_config_static_selectorELNS0_4arch9wavefront6targetE0EEEvT1_,"axG",@progbits,_ZN7rocprim17ROCPRIM_400000_NS6detail17trampoline_kernelINS0_14default_configENS1_25partition_config_selectorILNS1_17partition_subalgoE8EdNS0_10empty_typeEbEEZZNS1_14partition_implILS5_8ELb0ES3_jPKdPS6_PKS6_NS0_5tupleIJPdS6_EEENSE_IJSB_SB_EEENS0_18inequality_wrapperIN6hipcub16HIPCUB_304000_NS8EqualityEEEPlJS6_EEE10hipError_tPvRmT3_T4_T5_T6_T7_T9_mT8_P12ihipStream_tbDpT10_ENKUlT_T0_E_clISt17integral_constantIbLb0EES16_IbLb1EEEEDaS12_S13_EUlS12_E_NS1_11comp_targetILNS1_3genE4ELNS1_11target_archE910ELNS1_3gpuE8ELNS1_3repE0EEENS1_30default_config_static_selectorELNS0_4arch9wavefront6targetE0EEEvT1_,comdat
.Lfunc_end298:
	.size	_ZN7rocprim17ROCPRIM_400000_NS6detail17trampoline_kernelINS0_14default_configENS1_25partition_config_selectorILNS1_17partition_subalgoE8EdNS0_10empty_typeEbEEZZNS1_14partition_implILS5_8ELb0ES3_jPKdPS6_PKS6_NS0_5tupleIJPdS6_EEENSE_IJSB_SB_EEENS0_18inequality_wrapperIN6hipcub16HIPCUB_304000_NS8EqualityEEEPlJS6_EEE10hipError_tPvRmT3_T4_T5_T6_T7_T9_mT8_P12ihipStream_tbDpT10_ENKUlT_T0_E_clISt17integral_constantIbLb0EES16_IbLb1EEEEDaS12_S13_EUlS12_E_NS1_11comp_targetILNS1_3genE4ELNS1_11target_archE910ELNS1_3gpuE8ELNS1_3repE0EEENS1_30default_config_static_selectorELNS0_4arch9wavefront6targetE0EEEvT1_, .Lfunc_end298-_ZN7rocprim17ROCPRIM_400000_NS6detail17trampoline_kernelINS0_14default_configENS1_25partition_config_selectorILNS1_17partition_subalgoE8EdNS0_10empty_typeEbEEZZNS1_14partition_implILS5_8ELb0ES3_jPKdPS6_PKS6_NS0_5tupleIJPdS6_EEENSE_IJSB_SB_EEENS0_18inequality_wrapperIN6hipcub16HIPCUB_304000_NS8EqualityEEEPlJS6_EEE10hipError_tPvRmT3_T4_T5_T6_T7_T9_mT8_P12ihipStream_tbDpT10_ENKUlT_T0_E_clISt17integral_constantIbLb0EES16_IbLb1EEEEDaS12_S13_EUlS12_E_NS1_11comp_targetILNS1_3genE4ELNS1_11target_archE910ELNS1_3gpuE8ELNS1_3repE0EEENS1_30default_config_static_selectorELNS0_4arch9wavefront6targetE0EEEvT1_
                                        ; -- End function
	.set _ZN7rocprim17ROCPRIM_400000_NS6detail17trampoline_kernelINS0_14default_configENS1_25partition_config_selectorILNS1_17partition_subalgoE8EdNS0_10empty_typeEbEEZZNS1_14partition_implILS5_8ELb0ES3_jPKdPS6_PKS6_NS0_5tupleIJPdS6_EEENSE_IJSB_SB_EEENS0_18inequality_wrapperIN6hipcub16HIPCUB_304000_NS8EqualityEEEPlJS6_EEE10hipError_tPvRmT3_T4_T5_T6_T7_T9_mT8_P12ihipStream_tbDpT10_ENKUlT_T0_E_clISt17integral_constantIbLb0EES16_IbLb1EEEEDaS12_S13_EUlS12_E_NS1_11comp_targetILNS1_3genE4ELNS1_11target_archE910ELNS1_3gpuE8ELNS1_3repE0EEENS1_30default_config_static_selectorELNS0_4arch9wavefront6targetE0EEEvT1_.num_vgpr, 0
	.set _ZN7rocprim17ROCPRIM_400000_NS6detail17trampoline_kernelINS0_14default_configENS1_25partition_config_selectorILNS1_17partition_subalgoE8EdNS0_10empty_typeEbEEZZNS1_14partition_implILS5_8ELb0ES3_jPKdPS6_PKS6_NS0_5tupleIJPdS6_EEENSE_IJSB_SB_EEENS0_18inequality_wrapperIN6hipcub16HIPCUB_304000_NS8EqualityEEEPlJS6_EEE10hipError_tPvRmT3_T4_T5_T6_T7_T9_mT8_P12ihipStream_tbDpT10_ENKUlT_T0_E_clISt17integral_constantIbLb0EES16_IbLb1EEEEDaS12_S13_EUlS12_E_NS1_11comp_targetILNS1_3genE4ELNS1_11target_archE910ELNS1_3gpuE8ELNS1_3repE0EEENS1_30default_config_static_selectorELNS0_4arch9wavefront6targetE0EEEvT1_.num_agpr, 0
	.set _ZN7rocprim17ROCPRIM_400000_NS6detail17trampoline_kernelINS0_14default_configENS1_25partition_config_selectorILNS1_17partition_subalgoE8EdNS0_10empty_typeEbEEZZNS1_14partition_implILS5_8ELb0ES3_jPKdPS6_PKS6_NS0_5tupleIJPdS6_EEENSE_IJSB_SB_EEENS0_18inequality_wrapperIN6hipcub16HIPCUB_304000_NS8EqualityEEEPlJS6_EEE10hipError_tPvRmT3_T4_T5_T6_T7_T9_mT8_P12ihipStream_tbDpT10_ENKUlT_T0_E_clISt17integral_constantIbLb0EES16_IbLb1EEEEDaS12_S13_EUlS12_E_NS1_11comp_targetILNS1_3genE4ELNS1_11target_archE910ELNS1_3gpuE8ELNS1_3repE0EEENS1_30default_config_static_selectorELNS0_4arch9wavefront6targetE0EEEvT1_.numbered_sgpr, 0
	.set _ZN7rocprim17ROCPRIM_400000_NS6detail17trampoline_kernelINS0_14default_configENS1_25partition_config_selectorILNS1_17partition_subalgoE8EdNS0_10empty_typeEbEEZZNS1_14partition_implILS5_8ELb0ES3_jPKdPS6_PKS6_NS0_5tupleIJPdS6_EEENSE_IJSB_SB_EEENS0_18inequality_wrapperIN6hipcub16HIPCUB_304000_NS8EqualityEEEPlJS6_EEE10hipError_tPvRmT3_T4_T5_T6_T7_T9_mT8_P12ihipStream_tbDpT10_ENKUlT_T0_E_clISt17integral_constantIbLb0EES16_IbLb1EEEEDaS12_S13_EUlS12_E_NS1_11comp_targetILNS1_3genE4ELNS1_11target_archE910ELNS1_3gpuE8ELNS1_3repE0EEENS1_30default_config_static_selectorELNS0_4arch9wavefront6targetE0EEEvT1_.num_named_barrier, 0
	.set _ZN7rocprim17ROCPRIM_400000_NS6detail17trampoline_kernelINS0_14default_configENS1_25partition_config_selectorILNS1_17partition_subalgoE8EdNS0_10empty_typeEbEEZZNS1_14partition_implILS5_8ELb0ES3_jPKdPS6_PKS6_NS0_5tupleIJPdS6_EEENSE_IJSB_SB_EEENS0_18inequality_wrapperIN6hipcub16HIPCUB_304000_NS8EqualityEEEPlJS6_EEE10hipError_tPvRmT3_T4_T5_T6_T7_T9_mT8_P12ihipStream_tbDpT10_ENKUlT_T0_E_clISt17integral_constantIbLb0EES16_IbLb1EEEEDaS12_S13_EUlS12_E_NS1_11comp_targetILNS1_3genE4ELNS1_11target_archE910ELNS1_3gpuE8ELNS1_3repE0EEENS1_30default_config_static_selectorELNS0_4arch9wavefront6targetE0EEEvT1_.private_seg_size, 0
	.set _ZN7rocprim17ROCPRIM_400000_NS6detail17trampoline_kernelINS0_14default_configENS1_25partition_config_selectorILNS1_17partition_subalgoE8EdNS0_10empty_typeEbEEZZNS1_14partition_implILS5_8ELb0ES3_jPKdPS6_PKS6_NS0_5tupleIJPdS6_EEENSE_IJSB_SB_EEENS0_18inequality_wrapperIN6hipcub16HIPCUB_304000_NS8EqualityEEEPlJS6_EEE10hipError_tPvRmT3_T4_T5_T6_T7_T9_mT8_P12ihipStream_tbDpT10_ENKUlT_T0_E_clISt17integral_constantIbLb0EES16_IbLb1EEEEDaS12_S13_EUlS12_E_NS1_11comp_targetILNS1_3genE4ELNS1_11target_archE910ELNS1_3gpuE8ELNS1_3repE0EEENS1_30default_config_static_selectorELNS0_4arch9wavefront6targetE0EEEvT1_.uses_vcc, 0
	.set _ZN7rocprim17ROCPRIM_400000_NS6detail17trampoline_kernelINS0_14default_configENS1_25partition_config_selectorILNS1_17partition_subalgoE8EdNS0_10empty_typeEbEEZZNS1_14partition_implILS5_8ELb0ES3_jPKdPS6_PKS6_NS0_5tupleIJPdS6_EEENSE_IJSB_SB_EEENS0_18inequality_wrapperIN6hipcub16HIPCUB_304000_NS8EqualityEEEPlJS6_EEE10hipError_tPvRmT3_T4_T5_T6_T7_T9_mT8_P12ihipStream_tbDpT10_ENKUlT_T0_E_clISt17integral_constantIbLb0EES16_IbLb1EEEEDaS12_S13_EUlS12_E_NS1_11comp_targetILNS1_3genE4ELNS1_11target_archE910ELNS1_3gpuE8ELNS1_3repE0EEENS1_30default_config_static_selectorELNS0_4arch9wavefront6targetE0EEEvT1_.uses_flat_scratch, 0
	.set _ZN7rocprim17ROCPRIM_400000_NS6detail17trampoline_kernelINS0_14default_configENS1_25partition_config_selectorILNS1_17partition_subalgoE8EdNS0_10empty_typeEbEEZZNS1_14partition_implILS5_8ELb0ES3_jPKdPS6_PKS6_NS0_5tupleIJPdS6_EEENSE_IJSB_SB_EEENS0_18inequality_wrapperIN6hipcub16HIPCUB_304000_NS8EqualityEEEPlJS6_EEE10hipError_tPvRmT3_T4_T5_T6_T7_T9_mT8_P12ihipStream_tbDpT10_ENKUlT_T0_E_clISt17integral_constantIbLb0EES16_IbLb1EEEEDaS12_S13_EUlS12_E_NS1_11comp_targetILNS1_3genE4ELNS1_11target_archE910ELNS1_3gpuE8ELNS1_3repE0EEENS1_30default_config_static_selectorELNS0_4arch9wavefront6targetE0EEEvT1_.has_dyn_sized_stack, 0
	.set _ZN7rocprim17ROCPRIM_400000_NS6detail17trampoline_kernelINS0_14default_configENS1_25partition_config_selectorILNS1_17partition_subalgoE8EdNS0_10empty_typeEbEEZZNS1_14partition_implILS5_8ELb0ES3_jPKdPS6_PKS6_NS0_5tupleIJPdS6_EEENSE_IJSB_SB_EEENS0_18inequality_wrapperIN6hipcub16HIPCUB_304000_NS8EqualityEEEPlJS6_EEE10hipError_tPvRmT3_T4_T5_T6_T7_T9_mT8_P12ihipStream_tbDpT10_ENKUlT_T0_E_clISt17integral_constantIbLb0EES16_IbLb1EEEEDaS12_S13_EUlS12_E_NS1_11comp_targetILNS1_3genE4ELNS1_11target_archE910ELNS1_3gpuE8ELNS1_3repE0EEENS1_30default_config_static_selectorELNS0_4arch9wavefront6targetE0EEEvT1_.has_recursion, 0
	.set _ZN7rocprim17ROCPRIM_400000_NS6detail17trampoline_kernelINS0_14default_configENS1_25partition_config_selectorILNS1_17partition_subalgoE8EdNS0_10empty_typeEbEEZZNS1_14partition_implILS5_8ELb0ES3_jPKdPS6_PKS6_NS0_5tupleIJPdS6_EEENSE_IJSB_SB_EEENS0_18inequality_wrapperIN6hipcub16HIPCUB_304000_NS8EqualityEEEPlJS6_EEE10hipError_tPvRmT3_T4_T5_T6_T7_T9_mT8_P12ihipStream_tbDpT10_ENKUlT_T0_E_clISt17integral_constantIbLb0EES16_IbLb1EEEEDaS12_S13_EUlS12_E_NS1_11comp_targetILNS1_3genE4ELNS1_11target_archE910ELNS1_3gpuE8ELNS1_3repE0EEENS1_30default_config_static_selectorELNS0_4arch9wavefront6targetE0EEEvT1_.has_indirect_call, 0
	.section	.AMDGPU.csdata,"",@progbits
; Kernel info:
; codeLenInByte = 0
; TotalNumSgprs: 0
; NumVgprs: 0
; ScratchSize: 0
; MemoryBound: 0
; FloatMode: 240
; IeeeMode: 1
; LDSByteSize: 0 bytes/workgroup (compile time only)
; SGPRBlocks: 0
; VGPRBlocks: 0
; NumSGPRsForWavesPerEU: 1
; NumVGPRsForWavesPerEU: 1
; NamedBarCnt: 0
; Occupancy: 16
; WaveLimiterHint : 0
; COMPUTE_PGM_RSRC2:SCRATCH_EN: 0
; COMPUTE_PGM_RSRC2:USER_SGPR: 2
; COMPUTE_PGM_RSRC2:TRAP_HANDLER: 0
; COMPUTE_PGM_RSRC2:TGID_X_EN: 1
; COMPUTE_PGM_RSRC2:TGID_Y_EN: 0
; COMPUTE_PGM_RSRC2:TGID_Z_EN: 0
; COMPUTE_PGM_RSRC2:TIDIG_COMP_CNT: 0
	.section	.text._ZN7rocprim17ROCPRIM_400000_NS6detail17trampoline_kernelINS0_14default_configENS1_25partition_config_selectorILNS1_17partition_subalgoE8EdNS0_10empty_typeEbEEZZNS1_14partition_implILS5_8ELb0ES3_jPKdPS6_PKS6_NS0_5tupleIJPdS6_EEENSE_IJSB_SB_EEENS0_18inequality_wrapperIN6hipcub16HIPCUB_304000_NS8EqualityEEEPlJS6_EEE10hipError_tPvRmT3_T4_T5_T6_T7_T9_mT8_P12ihipStream_tbDpT10_ENKUlT_T0_E_clISt17integral_constantIbLb0EES16_IbLb1EEEEDaS12_S13_EUlS12_E_NS1_11comp_targetILNS1_3genE3ELNS1_11target_archE908ELNS1_3gpuE7ELNS1_3repE0EEENS1_30default_config_static_selectorELNS0_4arch9wavefront6targetE0EEEvT1_,"axG",@progbits,_ZN7rocprim17ROCPRIM_400000_NS6detail17trampoline_kernelINS0_14default_configENS1_25partition_config_selectorILNS1_17partition_subalgoE8EdNS0_10empty_typeEbEEZZNS1_14partition_implILS5_8ELb0ES3_jPKdPS6_PKS6_NS0_5tupleIJPdS6_EEENSE_IJSB_SB_EEENS0_18inequality_wrapperIN6hipcub16HIPCUB_304000_NS8EqualityEEEPlJS6_EEE10hipError_tPvRmT3_T4_T5_T6_T7_T9_mT8_P12ihipStream_tbDpT10_ENKUlT_T0_E_clISt17integral_constantIbLb0EES16_IbLb1EEEEDaS12_S13_EUlS12_E_NS1_11comp_targetILNS1_3genE3ELNS1_11target_archE908ELNS1_3gpuE7ELNS1_3repE0EEENS1_30default_config_static_selectorELNS0_4arch9wavefront6targetE0EEEvT1_,comdat
	.protected	_ZN7rocprim17ROCPRIM_400000_NS6detail17trampoline_kernelINS0_14default_configENS1_25partition_config_selectorILNS1_17partition_subalgoE8EdNS0_10empty_typeEbEEZZNS1_14partition_implILS5_8ELb0ES3_jPKdPS6_PKS6_NS0_5tupleIJPdS6_EEENSE_IJSB_SB_EEENS0_18inequality_wrapperIN6hipcub16HIPCUB_304000_NS8EqualityEEEPlJS6_EEE10hipError_tPvRmT3_T4_T5_T6_T7_T9_mT8_P12ihipStream_tbDpT10_ENKUlT_T0_E_clISt17integral_constantIbLb0EES16_IbLb1EEEEDaS12_S13_EUlS12_E_NS1_11comp_targetILNS1_3genE3ELNS1_11target_archE908ELNS1_3gpuE7ELNS1_3repE0EEENS1_30default_config_static_selectorELNS0_4arch9wavefront6targetE0EEEvT1_ ; -- Begin function _ZN7rocprim17ROCPRIM_400000_NS6detail17trampoline_kernelINS0_14default_configENS1_25partition_config_selectorILNS1_17partition_subalgoE8EdNS0_10empty_typeEbEEZZNS1_14partition_implILS5_8ELb0ES3_jPKdPS6_PKS6_NS0_5tupleIJPdS6_EEENSE_IJSB_SB_EEENS0_18inequality_wrapperIN6hipcub16HIPCUB_304000_NS8EqualityEEEPlJS6_EEE10hipError_tPvRmT3_T4_T5_T6_T7_T9_mT8_P12ihipStream_tbDpT10_ENKUlT_T0_E_clISt17integral_constantIbLb0EES16_IbLb1EEEEDaS12_S13_EUlS12_E_NS1_11comp_targetILNS1_3genE3ELNS1_11target_archE908ELNS1_3gpuE7ELNS1_3repE0EEENS1_30default_config_static_selectorELNS0_4arch9wavefront6targetE0EEEvT1_
	.globl	_ZN7rocprim17ROCPRIM_400000_NS6detail17trampoline_kernelINS0_14default_configENS1_25partition_config_selectorILNS1_17partition_subalgoE8EdNS0_10empty_typeEbEEZZNS1_14partition_implILS5_8ELb0ES3_jPKdPS6_PKS6_NS0_5tupleIJPdS6_EEENSE_IJSB_SB_EEENS0_18inequality_wrapperIN6hipcub16HIPCUB_304000_NS8EqualityEEEPlJS6_EEE10hipError_tPvRmT3_T4_T5_T6_T7_T9_mT8_P12ihipStream_tbDpT10_ENKUlT_T0_E_clISt17integral_constantIbLb0EES16_IbLb1EEEEDaS12_S13_EUlS12_E_NS1_11comp_targetILNS1_3genE3ELNS1_11target_archE908ELNS1_3gpuE7ELNS1_3repE0EEENS1_30default_config_static_selectorELNS0_4arch9wavefront6targetE0EEEvT1_
	.p2align	8
	.type	_ZN7rocprim17ROCPRIM_400000_NS6detail17trampoline_kernelINS0_14default_configENS1_25partition_config_selectorILNS1_17partition_subalgoE8EdNS0_10empty_typeEbEEZZNS1_14partition_implILS5_8ELb0ES3_jPKdPS6_PKS6_NS0_5tupleIJPdS6_EEENSE_IJSB_SB_EEENS0_18inequality_wrapperIN6hipcub16HIPCUB_304000_NS8EqualityEEEPlJS6_EEE10hipError_tPvRmT3_T4_T5_T6_T7_T9_mT8_P12ihipStream_tbDpT10_ENKUlT_T0_E_clISt17integral_constantIbLb0EES16_IbLb1EEEEDaS12_S13_EUlS12_E_NS1_11comp_targetILNS1_3genE3ELNS1_11target_archE908ELNS1_3gpuE7ELNS1_3repE0EEENS1_30default_config_static_selectorELNS0_4arch9wavefront6targetE0EEEvT1_,@function
_ZN7rocprim17ROCPRIM_400000_NS6detail17trampoline_kernelINS0_14default_configENS1_25partition_config_selectorILNS1_17partition_subalgoE8EdNS0_10empty_typeEbEEZZNS1_14partition_implILS5_8ELb0ES3_jPKdPS6_PKS6_NS0_5tupleIJPdS6_EEENSE_IJSB_SB_EEENS0_18inequality_wrapperIN6hipcub16HIPCUB_304000_NS8EqualityEEEPlJS6_EEE10hipError_tPvRmT3_T4_T5_T6_T7_T9_mT8_P12ihipStream_tbDpT10_ENKUlT_T0_E_clISt17integral_constantIbLb0EES16_IbLb1EEEEDaS12_S13_EUlS12_E_NS1_11comp_targetILNS1_3genE3ELNS1_11target_archE908ELNS1_3gpuE7ELNS1_3repE0EEENS1_30default_config_static_selectorELNS0_4arch9wavefront6targetE0EEEvT1_: ; @_ZN7rocprim17ROCPRIM_400000_NS6detail17trampoline_kernelINS0_14default_configENS1_25partition_config_selectorILNS1_17partition_subalgoE8EdNS0_10empty_typeEbEEZZNS1_14partition_implILS5_8ELb0ES3_jPKdPS6_PKS6_NS0_5tupleIJPdS6_EEENSE_IJSB_SB_EEENS0_18inequality_wrapperIN6hipcub16HIPCUB_304000_NS8EqualityEEEPlJS6_EEE10hipError_tPvRmT3_T4_T5_T6_T7_T9_mT8_P12ihipStream_tbDpT10_ENKUlT_T0_E_clISt17integral_constantIbLb0EES16_IbLb1EEEEDaS12_S13_EUlS12_E_NS1_11comp_targetILNS1_3genE3ELNS1_11target_archE908ELNS1_3gpuE7ELNS1_3repE0EEENS1_30default_config_static_selectorELNS0_4arch9wavefront6targetE0EEEvT1_
; %bb.0:
	.section	.rodata,"a",@progbits
	.p2align	6, 0x0
	.amdhsa_kernel _ZN7rocprim17ROCPRIM_400000_NS6detail17trampoline_kernelINS0_14default_configENS1_25partition_config_selectorILNS1_17partition_subalgoE8EdNS0_10empty_typeEbEEZZNS1_14partition_implILS5_8ELb0ES3_jPKdPS6_PKS6_NS0_5tupleIJPdS6_EEENSE_IJSB_SB_EEENS0_18inequality_wrapperIN6hipcub16HIPCUB_304000_NS8EqualityEEEPlJS6_EEE10hipError_tPvRmT3_T4_T5_T6_T7_T9_mT8_P12ihipStream_tbDpT10_ENKUlT_T0_E_clISt17integral_constantIbLb0EES16_IbLb1EEEEDaS12_S13_EUlS12_E_NS1_11comp_targetILNS1_3genE3ELNS1_11target_archE908ELNS1_3gpuE7ELNS1_3repE0EEENS1_30default_config_static_selectorELNS0_4arch9wavefront6targetE0EEEvT1_
		.amdhsa_group_segment_fixed_size 0
		.amdhsa_private_segment_fixed_size 0
		.amdhsa_kernarg_size 128
		.amdhsa_user_sgpr_count 2
		.amdhsa_user_sgpr_dispatch_ptr 0
		.amdhsa_user_sgpr_queue_ptr 0
		.amdhsa_user_sgpr_kernarg_segment_ptr 1
		.amdhsa_user_sgpr_dispatch_id 0
		.amdhsa_user_sgpr_kernarg_preload_length 0
		.amdhsa_user_sgpr_kernarg_preload_offset 0
		.amdhsa_user_sgpr_private_segment_size 0
		.amdhsa_wavefront_size32 1
		.amdhsa_uses_dynamic_stack 0
		.amdhsa_enable_private_segment 0
		.amdhsa_system_sgpr_workgroup_id_x 1
		.amdhsa_system_sgpr_workgroup_id_y 0
		.amdhsa_system_sgpr_workgroup_id_z 0
		.amdhsa_system_sgpr_workgroup_info 0
		.amdhsa_system_vgpr_workitem_id 0
		.amdhsa_next_free_vgpr 1
		.amdhsa_next_free_sgpr 1
		.amdhsa_named_barrier_count 0
		.amdhsa_reserve_vcc 0
		.amdhsa_float_round_mode_32 0
		.amdhsa_float_round_mode_16_64 0
		.amdhsa_float_denorm_mode_32 3
		.amdhsa_float_denorm_mode_16_64 3
		.amdhsa_fp16_overflow 0
		.amdhsa_memory_ordered 1
		.amdhsa_forward_progress 1
		.amdhsa_inst_pref_size 0
		.amdhsa_round_robin_scheduling 0
		.amdhsa_exception_fp_ieee_invalid_op 0
		.amdhsa_exception_fp_denorm_src 0
		.amdhsa_exception_fp_ieee_div_zero 0
		.amdhsa_exception_fp_ieee_overflow 0
		.amdhsa_exception_fp_ieee_underflow 0
		.amdhsa_exception_fp_ieee_inexact 0
		.amdhsa_exception_int_div_zero 0
	.end_amdhsa_kernel
	.section	.text._ZN7rocprim17ROCPRIM_400000_NS6detail17trampoline_kernelINS0_14default_configENS1_25partition_config_selectorILNS1_17partition_subalgoE8EdNS0_10empty_typeEbEEZZNS1_14partition_implILS5_8ELb0ES3_jPKdPS6_PKS6_NS0_5tupleIJPdS6_EEENSE_IJSB_SB_EEENS0_18inequality_wrapperIN6hipcub16HIPCUB_304000_NS8EqualityEEEPlJS6_EEE10hipError_tPvRmT3_T4_T5_T6_T7_T9_mT8_P12ihipStream_tbDpT10_ENKUlT_T0_E_clISt17integral_constantIbLb0EES16_IbLb1EEEEDaS12_S13_EUlS12_E_NS1_11comp_targetILNS1_3genE3ELNS1_11target_archE908ELNS1_3gpuE7ELNS1_3repE0EEENS1_30default_config_static_selectorELNS0_4arch9wavefront6targetE0EEEvT1_,"axG",@progbits,_ZN7rocprim17ROCPRIM_400000_NS6detail17trampoline_kernelINS0_14default_configENS1_25partition_config_selectorILNS1_17partition_subalgoE8EdNS0_10empty_typeEbEEZZNS1_14partition_implILS5_8ELb0ES3_jPKdPS6_PKS6_NS0_5tupleIJPdS6_EEENSE_IJSB_SB_EEENS0_18inequality_wrapperIN6hipcub16HIPCUB_304000_NS8EqualityEEEPlJS6_EEE10hipError_tPvRmT3_T4_T5_T6_T7_T9_mT8_P12ihipStream_tbDpT10_ENKUlT_T0_E_clISt17integral_constantIbLb0EES16_IbLb1EEEEDaS12_S13_EUlS12_E_NS1_11comp_targetILNS1_3genE3ELNS1_11target_archE908ELNS1_3gpuE7ELNS1_3repE0EEENS1_30default_config_static_selectorELNS0_4arch9wavefront6targetE0EEEvT1_,comdat
.Lfunc_end299:
	.size	_ZN7rocprim17ROCPRIM_400000_NS6detail17trampoline_kernelINS0_14default_configENS1_25partition_config_selectorILNS1_17partition_subalgoE8EdNS0_10empty_typeEbEEZZNS1_14partition_implILS5_8ELb0ES3_jPKdPS6_PKS6_NS0_5tupleIJPdS6_EEENSE_IJSB_SB_EEENS0_18inequality_wrapperIN6hipcub16HIPCUB_304000_NS8EqualityEEEPlJS6_EEE10hipError_tPvRmT3_T4_T5_T6_T7_T9_mT8_P12ihipStream_tbDpT10_ENKUlT_T0_E_clISt17integral_constantIbLb0EES16_IbLb1EEEEDaS12_S13_EUlS12_E_NS1_11comp_targetILNS1_3genE3ELNS1_11target_archE908ELNS1_3gpuE7ELNS1_3repE0EEENS1_30default_config_static_selectorELNS0_4arch9wavefront6targetE0EEEvT1_, .Lfunc_end299-_ZN7rocprim17ROCPRIM_400000_NS6detail17trampoline_kernelINS0_14default_configENS1_25partition_config_selectorILNS1_17partition_subalgoE8EdNS0_10empty_typeEbEEZZNS1_14partition_implILS5_8ELb0ES3_jPKdPS6_PKS6_NS0_5tupleIJPdS6_EEENSE_IJSB_SB_EEENS0_18inequality_wrapperIN6hipcub16HIPCUB_304000_NS8EqualityEEEPlJS6_EEE10hipError_tPvRmT3_T4_T5_T6_T7_T9_mT8_P12ihipStream_tbDpT10_ENKUlT_T0_E_clISt17integral_constantIbLb0EES16_IbLb1EEEEDaS12_S13_EUlS12_E_NS1_11comp_targetILNS1_3genE3ELNS1_11target_archE908ELNS1_3gpuE7ELNS1_3repE0EEENS1_30default_config_static_selectorELNS0_4arch9wavefront6targetE0EEEvT1_
                                        ; -- End function
	.set _ZN7rocprim17ROCPRIM_400000_NS6detail17trampoline_kernelINS0_14default_configENS1_25partition_config_selectorILNS1_17partition_subalgoE8EdNS0_10empty_typeEbEEZZNS1_14partition_implILS5_8ELb0ES3_jPKdPS6_PKS6_NS0_5tupleIJPdS6_EEENSE_IJSB_SB_EEENS0_18inequality_wrapperIN6hipcub16HIPCUB_304000_NS8EqualityEEEPlJS6_EEE10hipError_tPvRmT3_T4_T5_T6_T7_T9_mT8_P12ihipStream_tbDpT10_ENKUlT_T0_E_clISt17integral_constantIbLb0EES16_IbLb1EEEEDaS12_S13_EUlS12_E_NS1_11comp_targetILNS1_3genE3ELNS1_11target_archE908ELNS1_3gpuE7ELNS1_3repE0EEENS1_30default_config_static_selectorELNS0_4arch9wavefront6targetE0EEEvT1_.num_vgpr, 0
	.set _ZN7rocprim17ROCPRIM_400000_NS6detail17trampoline_kernelINS0_14default_configENS1_25partition_config_selectorILNS1_17partition_subalgoE8EdNS0_10empty_typeEbEEZZNS1_14partition_implILS5_8ELb0ES3_jPKdPS6_PKS6_NS0_5tupleIJPdS6_EEENSE_IJSB_SB_EEENS0_18inequality_wrapperIN6hipcub16HIPCUB_304000_NS8EqualityEEEPlJS6_EEE10hipError_tPvRmT3_T4_T5_T6_T7_T9_mT8_P12ihipStream_tbDpT10_ENKUlT_T0_E_clISt17integral_constantIbLb0EES16_IbLb1EEEEDaS12_S13_EUlS12_E_NS1_11comp_targetILNS1_3genE3ELNS1_11target_archE908ELNS1_3gpuE7ELNS1_3repE0EEENS1_30default_config_static_selectorELNS0_4arch9wavefront6targetE0EEEvT1_.num_agpr, 0
	.set _ZN7rocprim17ROCPRIM_400000_NS6detail17trampoline_kernelINS0_14default_configENS1_25partition_config_selectorILNS1_17partition_subalgoE8EdNS0_10empty_typeEbEEZZNS1_14partition_implILS5_8ELb0ES3_jPKdPS6_PKS6_NS0_5tupleIJPdS6_EEENSE_IJSB_SB_EEENS0_18inequality_wrapperIN6hipcub16HIPCUB_304000_NS8EqualityEEEPlJS6_EEE10hipError_tPvRmT3_T4_T5_T6_T7_T9_mT8_P12ihipStream_tbDpT10_ENKUlT_T0_E_clISt17integral_constantIbLb0EES16_IbLb1EEEEDaS12_S13_EUlS12_E_NS1_11comp_targetILNS1_3genE3ELNS1_11target_archE908ELNS1_3gpuE7ELNS1_3repE0EEENS1_30default_config_static_selectorELNS0_4arch9wavefront6targetE0EEEvT1_.numbered_sgpr, 0
	.set _ZN7rocprim17ROCPRIM_400000_NS6detail17trampoline_kernelINS0_14default_configENS1_25partition_config_selectorILNS1_17partition_subalgoE8EdNS0_10empty_typeEbEEZZNS1_14partition_implILS5_8ELb0ES3_jPKdPS6_PKS6_NS0_5tupleIJPdS6_EEENSE_IJSB_SB_EEENS0_18inequality_wrapperIN6hipcub16HIPCUB_304000_NS8EqualityEEEPlJS6_EEE10hipError_tPvRmT3_T4_T5_T6_T7_T9_mT8_P12ihipStream_tbDpT10_ENKUlT_T0_E_clISt17integral_constantIbLb0EES16_IbLb1EEEEDaS12_S13_EUlS12_E_NS1_11comp_targetILNS1_3genE3ELNS1_11target_archE908ELNS1_3gpuE7ELNS1_3repE0EEENS1_30default_config_static_selectorELNS0_4arch9wavefront6targetE0EEEvT1_.num_named_barrier, 0
	.set _ZN7rocprim17ROCPRIM_400000_NS6detail17trampoline_kernelINS0_14default_configENS1_25partition_config_selectorILNS1_17partition_subalgoE8EdNS0_10empty_typeEbEEZZNS1_14partition_implILS5_8ELb0ES3_jPKdPS6_PKS6_NS0_5tupleIJPdS6_EEENSE_IJSB_SB_EEENS0_18inequality_wrapperIN6hipcub16HIPCUB_304000_NS8EqualityEEEPlJS6_EEE10hipError_tPvRmT3_T4_T5_T6_T7_T9_mT8_P12ihipStream_tbDpT10_ENKUlT_T0_E_clISt17integral_constantIbLb0EES16_IbLb1EEEEDaS12_S13_EUlS12_E_NS1_11comp_targetILNS1_3genE3ELNS1_11target_archE908ELNS1_3gpuE7ELNS1_3repE0EEENS1_30default_config_static_selectorELNS0_4arch9wavefront6targetE0EEEvT1_.private_seg_size, 0
	.set _ZN7rocprim17ROCPRIM_400000_NS6detail17trampoline_kernelINS0_14default_configENS1_25partition_config_selectorILNS1_17partition_subalgoE8EdNS0_10empty_typeEbEEZZNS1_14partition_implILS5_8ELb0ES3_jPKdPS6_PKS6_NS0_5tupleIJPdS6_EEENSE_IJSB_SB_EEENS0_18inequality_wrapperIN6hipcub16HIPCUB_304000_NS8EqualityEEEPlJS6_EEE10hipError_tPvRmT3_T4_T5_T6_T7_T9_mT8_P12ihipStream_tbDpT10_ENKUlT_T0_E_clISt17integral_constantIbLb0EES16_IbLb1EEEEDaS12_S13_EUlS12_E_NS1_11comp_targetILNS1_3genE3ELNS1_11target_archE908ELNS1_3gpuE7ELNS1_3repE0EEENS1_30default_config_static_selectorELNS0_4arch9wavefront6targetE0EEEvT1_.uses_vcc, 0
	.set _ZN7rocprim17ROCPRIM_400000_NS6detail17trampoline_kernelINS0_14default_configENS1_25partition_config_selectorILNS1_17partition_subalgoE8EdNS0_10empty_typeEbEEZZNS1_14partition_implILS5_8ELb0ES3_jPKdPS6_PKS6_NS0_5tupleIJPdS6_EEENSE_IJSB_SB_EEENS0_18inequality_wrapperIN6hipcub16HIPCUB_304000_NS8EqualityEEEPlJS6_EEE10hipError_tPvRmT3_T4_T5_T6_T7_T9_mT8_P12ihipStream_tbDpT10_ENKUlT_T0_E_clISt17integral_constantIbLb0EES16_IbLb1EEEEDaS12_S13_EUlS12_E_NS1_11comp_targetILNS1_3genE3ELNS1_11target_archE908ELNS1_3gpuE7ELNS1_3repE0EEENS1_30default_config_static_selectorELNS0_4arch9wavefront6targetE0EEEvT1_.uses_flat_scratch, 0
	.set _ZN7rocprim17ROCPRIM_400000_NS6detail17trampoline_kernelINS0_14default_configENS1_25partition_config_selectorILNS1_17partition_subalgoE8EdNS0_10empty_typeEbEEZZNS1_14partition_implILS5_8ELb0ES3_jPKdPS6_PKS6_NS0_5tupleIJPdS6_EEENSE_IJSB_SB_EEENS0_18inequality_wrapperIN6hipcub16HIPCUB_304000_NS8EqualityEEEPlJS6_EEE10hipError_tPvRmT3_T4_T5_T6_T7_T9_mT8_P12ihipStream_tbDpT10_ENKUlT_T0_E_clISt17integral_constantIbLb0EES16_IbLb1EEEEDaS12_S13_EUlS12_E_NS1_11comp_targetILNS1_3genE3ELNS1_11target_archE908ELNS1_3gpuE7ELNS1_3repE0EEENS1_30default_config_static_selectorELNS0_4arch9wavefront6targetE0EEEvT1_.has_dyn_sized_stack, 0
	.set _ZN7rocprim17ROCPRIM_400000_NS6detail17trampoline_kernelINS0_14default_configENS1_25partition_config_selectorILNS1_17partition_subalgoE8EdNS0_10empty_typeEbEEZZNS1_14partition_implILS5_8ELb0ES3_jPKdPS6_PKS6_NS0_5tupleIJPdS6_EEENSE_IJSB_SB_EEENS0_18inequality_wrapperIN6hipcub16HIPCUB_304000_NS8EqualityEEEPlJS6_EEE10hipError_tPvRmT3_T4_T5_T6_T7_T9_mT8_P12ihipStream_tbDpT10_ENKUlT_T0_E_clISt17integral_constantIbLb0EES16_IbLb1EEEEDaS12_S13_EUlS12_E_NS1_11comp_targetILNS1_3genE3ELNS1_11target_archE908ELNS1_3gpuE7ELNS1_3repE0EEENS1_30default_config_static_selectorELNS0_4arch9wavefront6targetE0EEEvT1_.has_recursion, 0
	.set _ZN7rocprim17ROCPRIM_400000_NS6detail17trampoline_kernelINS0_14default_configENS1_25partition_config_selectorILNS1_17partition_subalgoE8EdNS0_10empty_typeEbEEZZNS1_14partition_implILS5_8ELb0ES3_jPKdPS6_PKS6_NS0_5tupleIJPdS6_EEENSE_IJSB_SB_EEENS0_18inequality_wrapperIN6hipcub16HIPCUB_304000_NS8EqualityEEEPlJS6_EEE10hipError_tPvRmT3_T4_T5_T6_T7_T9_mT8_P12ihipStream_tbDpT10_ENKUlT_T0_E_clISt17integral_constantIbLb0EES16_IbLb1EEEEDaS12_S13_EUlS12_E_NS1_11comp_targetILNS1_3genE3ELNS1_11target_archE908ELNS1_3gpuE7ELNS1_3repE0EEENS1_30default_config_static_selectorELNS0_4arch9wavefront6targetE0EEEvT1_.has_indirect_call, 0
	.section	.AMDGPU.csdata,"",@progbits
; Kernel info:
; codeLenInByte = 0
; TotalNumSgprs: 0
; NumVgprs: 0
; ScratchSize: 0
; MemoryBound: 0
; FloatMode: 240
; IeeeMode: 1
; LDSByteSize: 0 bytes/workgroup (compile time only)
; SGPRBlocks: 0
; VGPRBlocks: 0
; NumSGPRsForWavesPerEU: 1
; NumVGPRsForWavesPerEU: 1
; NamedBarCnt: 0
; Occupancy: 16
; WaveLimiterHint : 0
; COMPUTE_PGM_RSRC2:SCRATCH_EN: 0
; COMPUTE_PGM_RSRC2:USER_SGPR: 2
; COMPUTE_PGM_RSRC2:TRAP_HANDLER: 0
; COMPUTE_PGM_RSRC2:TGID_X_EN: 1
; COMPUTE_PGM_RSRC2:TGID_Y_EN: 0
; COMPUTE_PGM_RSRC2:TGID_Z_EN: 0
; COMPUTE_PGM_RSRC2:TIDIG_COMP_CNT: 0
	.section	.text._ZN7rocprim17ROCPRIM_400000_NS6detail17trampoline_kernelINS0_14default_configENS1_25partition_config_selectorILNS1_17partition_subalgoE8EdNS0_10empty_typeEbEEZZNS1_14partition_implILS5_8ELb0ES3_jPKdPS6_PKS6_NS0_5tupleIJPdS6_EEENSE_IJSB_SB_EEENS0_18inequality_wrapperIN6hipcub16HIPCUB_304000_NS8EqualityEEEPlJS6_EEE10hipError_tPvRmT3_T4_T5_T6_T7_T9_mT8_P12ihipStream_tbDpT10_ENKUlT_T0_E_clISt17integral_constantIbLb0EES16_IbLb1EEEEDaS12_S13_EUlS12_E_NS1_11comp_targetILNS1_3genE2ELNS1_11target_archE906ELNS1_3gpuE6ELNS1_3repE0EEENS1_30default_config_static_selectorELNS0_4arch9wavefront6targetE0EEEvT1_,"axG",@progbits,_ZN7rocprim17ROCPRIM_400000_NS6detail17trampoline_kernelINS0_14default_configENS1_25partition_config_selectorILNS1_17partition_subalgoE8EdNS0_10empty_typeEbEEZZNS1_14partition_implILS5_8ELb0ES3_jPKdPS6_PKS6_NS0_5tupleIJPdS6_EEENSE_IJSB_SB_EEENS0_18inequality_wrapperIN6hipcub16HIPCUB_304000_NS8EqualityEEEPlJS6_EEE10hipError_tPvRmT3_T4_T5_T6_T7_T9_mT8_P12ihipStream_tbDpT10_ENKUlT_T0_E_clISt17integral_constantIbLb0EES16_IbLb1EEEEDaS12_S13_EUlS12_E_NS1_11comp_targetILNS1_3genE2ELNS1_11target_archE906ELNS1_3gpuE6ELNS1_3repE0EEENS1_30default_config_static_selectorELNS0_4arch9wavefront6targetE0EEEvT1_,comdat
	.protected	_ZN7rocprim17ROCPRIM_400000_NS6detail17trampoline_kernelINS0_14default_configENS1_25partition_config_selectorILNS1_17partition_subalgoE8EdNS0_10empty_typeEbEEZZNS1_14partition_implILS5_8ELb0ES3_jPKdPS6_PKS6_NS0_5tupleIJPdS6_EEENSE_IJSB_SB_EEENS0_18inequality_wrapperIN6hipcub16HIPCUB_304000_NS8EqualityEEEPlJS6_EEE10hipError_tPvRmT3_T4_T5_T6_T7_T9_mT8_P12ihipStream_tbDpT10_ENKUlT_T0_E_clISt17integral_constantIbLb0EES16_IbLb1EEEEDaS12_S13_EUlS12_E_NS1_11comp_targetILNS1_3genE2ELNS1_11target_archE906ELNS1_3gpuE6ELNS1_3repE0EEENS1_30default_config_static_selectorELNS0_4arch9wavefront6targetE0EEEvT1_ ; -- Begin function _ZN7rocprim17ROCPRIM_400000_NS6detail17trampoline_kernelINS0_14default_configENS1_25partition_config_selectorILNS1_17partition_subalgoE8EdNS0_10empty_typeEbEEZZNS1_14partition_implILS5_8ELb0ES3_jPKdPS6_PKS6_NS0_5tupleIJPdS6_EEENSE_IJSB_SB_EEENS0_18inequality_wrapperIN6hipcub16HIPCUB_304000_NS8EqualityEEEPlJS6_EEE10hipError_tPvRmT3_T4_T5_T6_T7_T9_mT8_P12ihipStream_tbDpT10_ENKUlT_T0_E_clISt17integral_constantIbLb0EES16_IbLb1EEEEDaS12_S13_EUlS12_E_NS1_11comp_targetILNS1_3genE2ELNS1_11target_archE906ELNS1_3gpuE6ELNS1_3repE0EEENS1_30default_config_static_selectorELNS0_4arch9wavefront6targetE0EEEvT1_
	.globl	_ZN7rocprim17ROCPRIM_400000_NS6detail17trampoline_kernelINS0_14default_configENS1_25partition_config_selectorILNS1_17partition_subalgoE8EdNS0_10empty_typeEbEEZZNS1_14partition_implILS5_8ELb0ES3_jPKdPS6_PKS6_NS0_5tupleIJPdS6_EEENSE_IJSB_SB_EEENS0_18inequality_wrapperIN6hipcub16HIPCUB_304000_NS8EqualityEEEPlJS6_EEE10hipError_tPvRmT3_T4_T5_T6_T7_T9_mT8_P12ihipStream_tbDpT10_ENKUlT_T0_E_clISt17integral_constantIbLb0EES16_IbLb1EEEEDaS12_S13_EUlS12_E_NS1_11comp_targetILNS1_3genE2ELNS1_11target_archE906ELNS1_3gpuE6ELNS1_3repE0EEENS1_30default_config_static_selectorELNS0_4arch9wavefront6targetE0EEEvT1_
	.p2align	8
	.type	_ZN7rocprim17ROCPRIM_400000_NS6detail17trampoline_kernelINS0_14default_configENS1_25partition_config_selectorILNS1_17partition_subalgoE8EdNS0_10empty_typeEbEEZZNS1_14partition_implILS5_8ELb0ES3_jPKdPS6_PKS6_NS0_5tupleIJPdS6_EEENSE_IJSB_SB_EEENS0_18inequality_wrapperIN6hipcub16HIPCUB_304000_NS8EqualityEEEPlJS6_EEE10hipError_tPvRmT3_T4_T5_T6_T7_T9_mT8_P12ihipStream_tbDpT10_ENKUlT_T0_E_clISt17integral_constantIbLb0EES16_IbLb1EEEEDaS12_S13_EUlS12_E_NS1_11comp_targetILNS1_3genE2ELNS1_11target_archE906ELNS1_3gpuE6ELNS1_3repE0EEENS1_30default_config_static_selectorELNS0_4arch9wavefront6targetE0EEEvT1_,@function
_ZN7rocprim17ROCPRIM_400000_NS6detail17trampoline_kernelINS0_14default_configENS1_25partition_config_selectorILNS1_17partition_subalgoE8EdNS0_10empty_typeEbEEZZNS1_14partition_implILS5_8ELb0ES3_jPKdPS6_PKS6_NS0_5tupleIJPdS6_EEENSE_IJSB_SB_EEENS0_18inequality_wrapperIN6hipcub16HIPCUB_304000_NS8EqualityEEEPlJS6_EEE10hipError_tPvRmT3_T4_T5_T6_T7_T9_mT8_P12ihipStream_tbDpT10_ENKUlT_T0_E_clISt17integral_constantIbLb0EES16_IbLb1EEEEDaS12_S13_EUlS12_E_NS1_11comp_targetILNS1_3genE2ELNS1_11target_archE906ELNS1_3gpuE6ELNS1_3repE0EEENS1_30default_config_static_selectorELNS0_4arch9wavefront6targetE0EEEvT1_: ; @_ZN7rocprim17ROCPRIM_400000_NS6detail17trampoline_kernelINS0_14default_configENS1_25partition_config_selectorILNS1_17partition_subalgoE8EdNS0_10empty_typeEbEEZZNS1_14partition_implILS5_8ELb0ES3_jPKdPS6_PKS6_NS0_5tupleIJPdS6_EEENSE_IJSB_SB_EEENS0_18inequality_wrapperIN6hipcub16HIPCUB_304000_NS8EqualityEEEPlJS6_EEE10hipError_tPvRmT3_T4_T5_T6_T7_T9_mT8_P12ihipStream_tbDpT10_ENKUlT_T0_E_clISt17integral_constantIbLb0EES16_IbLb1EEEEDaS12_S13_EUlS12_E_NS1_11comp_targetILNS1_3genE2ELNS1_11target_archE906ELNS1_3gpuE6ELNS1_3repE0EEENS1_30default_config_static_selectorELNS0_4arch9wavefront6targetE0EEEvT1_
; %bb.0:
	.section	.rodata,"a",@progbits
	.p2align	6, 0x0
	.amdhsa_kernel _ZN7rocprim17ROCPRIM_400000_NS6detail17trampoline_kernelINS0_14default_configENS1_25partition_config_selectorILNS1_17partition_subalgoE8EdNS0_10empty_typeEbEEZZNS1_14partition_implILS5_8ELb0ES3_jPKdPS6_PKS6_NS0_5tupleIJPdS6_EEENSE_IJSB_SB_EEENS0_18inequality_wrapperIN6hipcub16HIPCUB_304000_NS8EqualityEEEPlJS6_EEE10hipError_tPvRmT3_T4_T5_T6_T7_T9_mT8_P12ihipStream_tbDpT10_ENKUlT_T0_E_clISt17integral_constantIbLb0EES16_IbLb1EEEEDaS12_S13_EUlS12_E_NS1_11comp_targetILNS1_3genE2ELNS1_11target_archE906ELNS1_3gpuE6ELNS1_3repE0EEENS1_30default_config_static_selectorELNS0_4arch9wavefront6targetE0EEEvT1_
		.amdhsa_group_segment_fixed_size 0
		.amdhsa_private_segment_fixed_size 0
		.amdhsa_kernarg_size 128
		.amdhsa_user_sgpr_count 2
		.amdhsa_user_sgpr_dispatch_ptr 0
		.amdhsa_user_sgpr_queue_ptr 0
		.amdhsa_user_sgpr_kernarg_segment_ptr 1
		.amdhsa_user_sgpr_dispatch_id 0
		.amdhsa_user_sgpr_kernarg_preload_length 0
		.amdhsa_user_sgpr_kernarg_preload_offset 0
		.amdhsa_user_sgpr_private_segment_size 0
		.amdhsa_wavefront_size32 1
		.amdhsa_uses_dynamic_stack 0
		.amdhsa_enable_private_segment 0
		.amdhsa_system_sgpr_workgroup_id_x 1
		.amdhsa_system_sgpr_workgroup_id_y 0
		.amdhsa_system_sgpr_workgroup_id_z 0
		.amdhsa_system_sgpr_workgroup_info 0
		.amdhsa_system_vgpr_workitem_id 0
		.amdhsa_next_free_vgpr 1
		.amdhsa_next_free_sgpr 1
		.amdhsa_named_barrier_count 0
		.amdhsa_reserve_vcc 0
		.amdhsa_float_round_mode_32 0
		.amdhsa_float_round_mode_16_64 0
		.amdhsa_float_denorm_mode_32 3
		.amdhsa_float_denorm_mode_16_64 3
		.amdhsa_fp16_overflow 0
		.amdhsa_memory_ordered 1
		.amdhsa_forward_progress 1
		.amdhsa_inst_pref_size 0
		.amdhsa_round_robin_scheduling 0
		.amdhsa_exception_fp_ieee_invalid_op 0
		.amdhsa_exception_fp_denorm_src 0
		.amdhsa_exception_fp_ieee_div_zero 0
		.amdhsa_exception_fp_ieee_overflow 0
		.amdhsa_exception_fp_ieee_underflow 0
		.amdhsa_exception_fp_ieee_inexact 0
		.amdhsa_exception_int_div_zero 0
	.end_amdhsa_kernel
	.section	.text._ZN7rocprim17ROCPRIM_400000_NS6detail17trampoline_kernelINS0_14default_configENS1_25partition_config_selectorILNS1_17partition_subalgoE8EdNS0_10empty_typeEbEEZZNS1_14partition_implILS5_8ELb0ES3_jPKdPS6_PKS6_NS0_5tupleIJPdS6_EEENSE_IJSB_SB_EEENS0_18inequality_wrapperIN6hipcub16HIPCUB_304000_NS8EqualityEEEPlJS6_EEE10hipError_tPvRmT3_T4_T5_T6_T7_T9_mT8_P12ihipStream_tbDpT10_ENKUlT_T0_E_clISt17integral_constantIbLb0EES16_IbLb1EEEEDaS12_S13_EUlS12_E_NS1_11comp_targetILNS1_3genE2ELNS1_11target_archE906ELNS1_3gpuE6ELNS1_3repE0EEENS1_30default_config_static_selectorELNS0_4arch9wavefront6targetE0EEEvT1_,"axG",@progbits,_ZN7rocprim17ROCPRIM_400000_NS6detail17trampoline_kernelINS0_14default_configENS1_25partition_config_selectorILNS1_17partition_subalgoE8EdNS0_10empty_typeEbEEZZNS1_14partition_implILS5_8ELb0ES3_jPKdPS6_PKS6_NS0_5tupleIJPdS6_EEENSE_IJSB_SB_EEENS0_18inequality_wrapperIN6hipcub16HIPCUB_304000_NS8EqualityEEEPlJS6_EEE10hipError_tPvRmT3_T4_T5_T6_T7_T9_mT8_P12ihipStream_tbDpT10_ENKUlT_T0_E_clISt17integral_constantIbLb0EES16_IbLb1EEEEDaS12_S13_EUlS12_E_NS1_11comp_targetILNS1_3genE2ELNS1_11target_archE906ELNS1_3gpuE6ELNS1_3repE0EEENS1_30default_config_static_selectorELNS0_4arch9wavefront6targetE0EEEvT1_,comdat
.Lfunc_end300:
	.size	_ZN7rocprim17ROCPRIM_400000_NS6detail17trampoline_kernelINS0_14default_configENS1_25partition_config_selectorILNS1_17partition_subalgoE8EdNS0_10empty_typeEbEEZZNS1_14partition_implILS5_8ELb0ES3_jPKdPS6_PKS6_NS0_5tupleIJPdS6_EEENSE_IJSB_SB_EEENS0_18inequality_wrapperIN6hipcub16HIPCUB_304000_NS8EqualityEEEPlJS6_EEE10hipError_tPvRmT3_T4_T5_T6_T7_T9_mT8_P12ihipStream_tbDpT10_ENKUlT_T0_E_clISt17integral_constantIbLb0EES16_IbLb1EEEEDaS12_S13_EUlS12_E_NS1_11comp_targetILNS1_3genE2ELNS1_11target_archE906ELNS1_3gpuE6ELNS1_3repE0EEENS1_30default_config_static_selectorELNS0_4arch9wavefront6targetE0EEEvT1_, .Lfunc_end300-_ZN7rocprim17ROCPRIM_400000_NS6detail17trampoline_kernelINS0_14default_configENS1_25partition_config_selectorILNS1_17partition_subalgoE8EdNS0_10empty_typeEbEEZZNS1_14partition_implILS5_8ELb0ES3_jPKdPS6_PKS6_NS0_5tupleIJPdS6_EEENSE_IJSB_SB_EEENS0_18inequality_wrapperIN6hipcub16HIPCUB_304000_NS8EqualityEEEPlJS6_EEE10hipError_tPvRmT3_T4_T5_T6_T7_T9_mT8_P12ihipStream_tbDpT10_ENKUlT_T0_E_clISt17integral_constantIbLb0EES16_IbLb1EEEEDaS12_S13_EUlS12_E_NS1_11comp_targetILNS1_3genE2ELNS1_11target_archE906ELNS1_3gpuE6ELNS1_3repE0EEENS1_30default_config_static_selectorELNS0_4arch9wavefront6targetE0EEEvT1_
                                        ; -- End function
	.set _ZN7rocprim17ROCPRIM_400000_NS6detail17trampoline_kernelINS0_14default_configENS1_25partition_config_selectorILNS1_17partition_subalgoE8EdNS0_10empty_typeEbEEZZNS1_14partition_implILS5_8ELb0ES3_jPKdPS6_PKS6_NS0_5tupleIJPdS6_EEENSE_IJSB_SB_EEENS0_18inequality_wrapperIN6hipcub16HIPCUB_304000_NS8EqualityEEEPlJS6_EEE10hipError_tPvRmT3_T4_T5_T6_T7_T9_mT8_P12ihipStream_tbDpT10_ENKUlT_T0_E_clISt17integral_constantIbLb0EES16_IbLb1EEEEDaS12_S13_EUlS12_E_NS1_11comp_targetILNS1_3genE2ELNS1_11target_archE906ELNS1_3gpuE6ELNS1_3repE0EEENS1_30default_config_static_selectorELNS0_4arch9wavefront6targetE0EEEvT1_.num_vgpr, 0
	.set _ZN7rocprim17ROCPRIM_400000_NS6detail17trampoline_kernelINS0_14default_configENS1_25partition_config_selectorILNS1_17partition_subalgoE8EdNS0_10empty_typeEbEEZZNS1_14partition_implILS5_8ELb0ES3_jPKdPS6_PKS6_NS0_5tupleIJPdS6_EEENSE_IJSB_SB_EEENS0_18inequality_wrapperIN6hipcub16HIPCUB_304000_NS8EqualityEEEPlJS6_EEE10hipError_tPvRmT3_T4_T5_T6_T7_T9_mT8_P12ihipStream_tbDpT10_ENKUlT_T0_E_clISt17integral_constantIbLb0EES16_IbLb1EEEEDaS12_S13_EUlS12_E_NS1_11comp_targetILNS1_3genE2ELNS1_11target_archE906ELNS1_3gpuE6ELNS1_3repE0EEENS1_30default_config_static_selectorELNS0_4arch9wavefront6targetE0EEEvT1_.num_agpr, 0
	.set _ZN7rocprim17ROCPRIM_400000_NS6detail17trampoline_kernelINS0_14default_configENS1_25partition_config_selectorILNS1_17partition_subalgoE8EdNS0_10empty_typeEbEEZZNS1_14partition_implILS5_8ELb0ES3_jPKdPS6_PKS6_NS0_5tupleIJPdS6_EEENSE_IJSB_SB_EEENS0_18inequality_wrapperIN6hipcub16HIPCUB_304000_NS8EqualityEEEPlJS6_EEE10hipError_tPvRmT3_T4_T5_T6_T7_T9_mT8_P12ihipStream_tbDpT10_ENKUlT_T0_E_clISt17integral_constantIbLb0EES16_IbLb1EEEEDaS12_S13_EUlS12_E_NS1_11comp_targetILNS1_3genE2ELNS1_11target_archE906ELNS1_3gpuE6ELNS1_3repE0EEENS1_30default_config_static_selectorELNS0_4arch9wavefront6targetE0EEEvT1_.numbered_sgpr, 0
	.set _ZN7rocprim17ROCPRIM_400000_NS6detail17trampoline_kernelINS0_14default_configENS1_25partition_config_selectorILNS1_17partition_subalgoE8EdNS0_10empty_typeEbEEZZNS1_14partition_implILS5_8ELb0ES3_jPKdPS6_PKS6_NS0_5tupleIJPdS6_EEENSE_IJSB_SB_EEENS0_18inequality_wrapperIN6hipcub16HIPCUB_304000_NS8EqualityEEEPlJS6_EEE10hipError_tPvRmT3_T4_T5_T6_T7_T9_mT8_P12ihipStream_tbDpT10_ENKUlT_T0_E_clISt17integral_constantIbLb0EES16_IbLb1EEEEDaS12_S13_EUlS12_E_NS1_11comp_targetILNS1_3genE2ELNS1_11target_archE906ELNS1_3gpuE6ELNS1_3repE0EEENS1_30default_config_static_selectorELNS0_4arch9wavefront6targetE0EEEvT1_.num_named_barrier, 0
	.set _ZN7rocprim17ROCPRIM_400000_NS6detail17trampoline_kernelINS0_14default_configENS1_25partition_config_selectorILNS1_17partition_subalgoE8EdNS0_10empty_typeEbEEZZNS1_14partition_implILS5_8ELb0ES3_jPKdPS6_PKS6_NS0_5tupleIJPdS6_EEENSE_IJSB_SB_EEENS0_18inequality_wrapperIN6hipcub16HIPCUB_304000_NS8EqualityEEEPlJS6_EEE10hipError_tPvRmT3_T4_T5_T6_T7_T9_mT8_P12ihipStream_tbDpT10_ENKUlT_T0_E_clISt17integral_constantIbLb0EES16_IbLb1EEEEDaS12_S13_EUlS12_E_NS1_11comp_targetILNS1_3genE2ELNS1_11target_archE906ELNS1_3gpuE6ELNS1_3repE0EEENS1_30default_config_static_selectorELNS0_4arch9wavefront6targetE0EEEvT1_.private_seg_size, 0
	.set _ZN7rocprim17ROCPRIM_400000_NS6detail17trampoline_kernelINS0_14default_configENS1_25partition_config_selectorILNS1_17partition_subalgoE8EdNS0_10empty_typeEbEEZZNS1_14partition_implILS5_8ELb0ES3_jPKdPS6_PKS6_NS0_5tupleIJPdS6_EEENSE_IJSB_SB_EEENS0_18inequality_wrapperIN6hipcub16HIPCUB_304000_NS8EqualityEEEPlJS6_EEE10hipError_tPvRmT3_T4_T5_T6_T7_T9_mT8_P12ihipStream_tbDpT10_ENKUlT_T0_E_clISt17integral_constantIbLb0EES16_IbLb1EEEEDaS12_S13_EUlS12_E_NS1_11comp_targetILNS1_3genE2ELNS1_11target_archE906ELNS1_3gpuE6ELNS1_3repE0EEENS1_30default_config_static_selectorELNS0_4arch9wavefront6targetE0EEEvT1_.uses_vcc, 0
	.set _ZN7rocprim17ROCPRIM_400000_NS6detail17trampoline_kernelINS0_14default_configENS1_25partition_config_selectorILNS1_17partition_subalgoE8EdNS0_10empty_typeEbEEZZNS1_14partition_implILS5_8ELb0ES3_jPKdPS6_PKS6_NS0_5tupleIJPdS6_EEENSE_IJSB_SB_EEENS0_18inequality_wrapperIN6hipcub16HIPCUB_304000_NS8EqualityEEEPlJS6_EEE10hipError_tPvRmT3_T4_T5_T6_T7_T9_mT8_P12ihipStream_tbDpT10_ENKUlT_T0_E_clISt17integral_constantIbLb0EES16_IbLb1EEEEDaS12_S13_EUlS12_E_NS1_11comp_targetILNS1_3genE2ELNS1_11target_archE906ELNS1_3gpuE6ELNS1_3repE0EEENS1_30default_config_static_selectorELNS0_4arch9wavefront6targetE0EEEvT1_.uses_flat_scratch, 0
	.set _ZN7rocprim17ROCPRIM_400000_NS6detail17trampoline_kernelINS0_14default_configENS1_25partition_config_selectorILNS1_17partition_subalgoE8EdNS0_10empty_typeEbEEZZNS1_14partition_implILS5_8ELb0ES3_jPKdPS6_PKS6_NS0_5tupleIJPdS6_EEENSE_IJSB_SB_EEENS0_18inequality_wrapperIN6hipcub16HIPCUB_304000_NS8EqualityEEEPlJS6_EEE10hipError_tPvRmT3_T4_T5_T6_T7_T9_mT8_P12ihipStream_tbDpT10_ENKUlT_T0_E_clISt17integral_constantIbLb0EES16_IbLb1EEEEDaS12_S13_EUlS12_E_NS1_11comp_targetILNS1_3genE2ELNS1_11target_archE906ELNS1_3gpuE6ELNS1_3repE0EEENS1_30default_config_static_selectorELNS0_4arch9wavefront6targetE0EEEvT1_.has_dyn_sized_stack, 0
	.set _ZN7rocprim17ROCPRIM_400000_NS6detail17trampoline_kernelINS0_14default_configENS1_25partition_config_selectorILNS1_17partition_subalgoE8EdNS0_10empty_typeEbEEZZNS1_14partition_implILS5_8ELb0ES3_jPKdPS6_PKS6_NS0_5tupleIJPdS6_EEENSE_IJSB_SB_EEENS0_18inequality_wrapperIN6hipcub16HIPCUB_304000_NS8EqualityEEEPlJS6_EEE10hipError_tPvRmT3_T4_T5_T6_T7_T9_mT8_P12ihipStream_tbDpT10_ENKUlT_T0_E_clISt17integral_constantIbLb0EES16_IbLb1EEEEDaS12_S13_EUlS12_E_NS1_11comp_targetILNS1_3genE2ELNS1_11target_archE906ELNS1_3gpuE6ELNS1_3repE0EEENS1_30default_config_static_selectorELNS0_4arch9wavefront6targetE0EEEvT1_.has_recursion, 0
	.set _ZN7rocprim17ROCPRIM_400000_NS6detail17trampoline_kernelINS0_14default_configENS1_25partition_config_selectorILNS1_17partition_subalgoE8EdNS0_10empty_typeEbEEZZNS1_14partition_implILS5_8ELb0ES3_jPKdPS6_PKS6_NS0_5tupleIJPdS6_EEENSE_IJSB_SB_EEENS0_18inequality_wrapperIN6hipcub16HIPCUB_304000_NS8EqualityEEEPlJS6_EEE10hipError_tPvRmT3_T4_T5_T6_T7_T9_mT8_P12ihipStream_tbDpT10_ENKUlT_T0_E_clISt17integral_constantIbLb0EES16_IbLb1EEEEDaS12_S13_EUlS12_E_NS1_11comp_targetILNS1_3genE2ELNS1_11target_archE906ELNS1_3gpuE6ELNS1_3repE0EEENS1_30default_config_static_selectorELNS0_4arch9wavefront6targetE0EEEvT1_.has_indirect_call, 0
	.section	.AMDGPU.csdata,"",@progbits
; Kernel info:
; codeLenInByte = 0
; TotalNumSgprs: 0
; NumVgprs: 0
; ScratchSize: 0
; MemoryBound: 0
; FloatMode: 240
; IeeeMode: 1
; LDSByteSize: 0 bytes/workgroup (compile time only)
; SGPRBlocks: 0
; VGPRBlocks: 0
; NumSGPRsForWavesPerEU: 1
; NumVGPRsForWavesPerEU: 1
; NamedBarCnt: 0
; Occupancy: 16
; WaveLimiterHint : 0
; COMPUTE_PGM_RSRC2:SCRATCH_EN: 0
; COMPUTE_PGM_RSRC2:USER_SGPR: 2
; COMPUTE_PGM_RSRC2:TRAP_HANDLER: 0
; COMPUTE_PGM_RSRC2:TGID_X_EN: 1
; COMPUTE_PGM_RSRC2:TGID_Y_EN: 0
; COMPUTE_PGM_RSRC2:TGID_Z_EN: 0
; COMPUTE_PGM_RSRC2:TIDIG_COMP_CNT: 0
	.section	.text._ZN7rocprim17ROCPRIM_400000_NS6detail17trampoline_kernelINS0_14default_configENS1_25partition_config_selectorILNS1_17partition_subalgoE8EdNS0_10empty_typeEbEEZZNS1_14partition_implILS5_8ELb0ES3_jPKdPS6_PKS6_NS0_5tupleIJPdS6_EEENSE_IJSB_SB_EEENS0_18inequality_wrapperIN6hipcub16HIPCUB_304000_NS8EqualityEEEPlJS6_EEE10hipError_tPvRmT3_T4_T5_T6_T7_T9_mT8_P12ihipStream_tbDpT10_ENKUlT_T0_E_clISt17integral_constantIbLb0EES16_IbLb1EEEEDaS12_S13_EUlS12_E_NS1_11comp_targetILNS1_3genE10ELNS1_11target_archE1200ELNS1_3gpuE4ELNS1_3repE0EEENS1_30default_config_static_selectorELNS0_4arch9wavefront6targetE0EEEvT1_,"axG",@progbits,_ZN7rocprim17ROCPRIM_400000_NS6detail17trampoline_kernelINS0_14default_configENS1_25partition_config_selectorILNS1_17partition_subalgoE8EdNS0_10empty_typeEbEEZZNS1_14partition_implILS5_8ELb0ES3_jPKdPS6_PKS6_NS0_5tupleIJPdS6_EEENSE_IJSB_SB_EEENS0_18inequality_wrapperIN6hipcub16HIPCUB_304000_NS8EqualityEEEPlJS6_EEE10hipError_tPvRmT3_T4_T5_T6_T7_T9_mT8_P12ihipStream_tbDpT10_ENKUlT_T0_E_clISt17integral_constantIbLb0EES16_IbLb1EEEEDaS12_S13_EUlS12_E_NS1_11comp_targetILNS1_3genE10ELNS1_11target_archE1200ELNS1_3gpuE4ELNS1_3repE0EEENS1_30default_config_static_selectorELNS0_4arch9wavefront6targetE0EEEvT1_,comdat
	.protected	_ZN7rocprim17ROCPRIM_400000_NS6detail17trampoline_kernelINS0_14default_configENS1_25partition_config_selectorILNS1_17partition_subalgoE8EdNS0_10empty_typeEbEEZZNS1_14partition_implILS5_8ELb0ES3_jPKdPS6_PKS6_NS0_5tupleIJPdS6_EEENSE_IJSB_SB_EEENS0_18inequality_wrapperIN6hipcub16HIPCUB_304000_NS8EqualityEEEPlJS6_EEE10hipError_tPvRmT3_T4_T5_T6_T7_T9_mT8_P12ihipStream_tbDpT10_ENKUlT_T0_E_clISt17integral_constantIbLb0EES16_IbLb1EEEEDaS12_S13_EUlS12_E_NS1_11comp_targetILNS1_3genE10ELNS1_11target_archE1200ELNS1_3gpuE4ELNS1_3repE0EEENS1_30default_config_static_selectorELNS0_4arch9wavefront6targetE0EEEvT1_ ; -- Begin function _ZN7rocprim17ROCPRIM_400000_NS6detail17trampoline_kernelINS0_14default_configENS1_25partition_config_selectorILNS1_17partition_subalgoE8EdNS0_10empty_typeEbEEZZNS1_14partition_implILS5_8ELb0ES3_jPKdPS6_PKS6_NS0_5tupleIJPdS6_EEENSE_IJSB_SB_EEENS0_18inequality_wrapperIN6hipcub16HIPCUB_304000_NS8EqualityEEEPlJS6_EEE10hipError_tPvRmT3_T4_T5_T6_T7_T9_mT8_P12ihipStream_tbDpT10_ENKUlT_T0_E_clISt17integral_constantIbLb0EES16_IbLb1EEEEDaS12_S13_EUlS12_E_NS1_11comp_targetILNS1_3genE10ELNS1_11target_archE1200ELNS1_3gpuE4ELNS1_3repE0EEENS1_30default_config_static_selectorELNS0_4arch9wavefront6targetE0EEEvT1_
	.globl	_ZN7rocprim17ROCPRIM_400000_NS6detail17trampoline_kernelINS0_14default_configENS1_25partition_config_selectorILNS1_17partition_subalgoE8EdNS0_10empty_typeEbEEZZNS1_14partition_implILS5_8ELb0ES3_jPKdPS6_PKS6_NS0_5tupleIJPdS6_EEENSE_IJSB_SB_EEENS0_18inequality_wrapperIN6hipcub16HIPCUB_304000_NS8EqualityEEEPlJS6_EEE10hipError_tPvRmT3_T4_T5_T6_T7_T9_mT8_P12ihipStream_tbDpT10_ENKUlT_T0_E_clISt17integral_constantIbLb0EES16_IbLb1EEEEDaS12_S13_EUlS12_E_NS1_11comp_targetILNS1_3genE10ELNS1_11target_archE1200ELNS1_3gpuE4ELNS1_3repE0EEENS1_30default_config_static_selectorELNS0_4arch9wavefront6targetE0EEEvT1_
	.p2align	8
	.type	_ZN7rocprim17ROCPRIM_400000_NS6detail17trampoline_kernelINS0_14default_configENS1_25partition_config_selectorILNS1_17partition_subalgoE8EdNS0_10empty_typeEbEEZZNS1_14partition_implILS5_8ELb0ES3_jPKdPS6_PKS6_NS0_5tupleIJPdS6_EEENSE_IJSB_SB_EEENS0_18inequality_wrapperIN6hipcub16HIPCUB_304000_NS8EqualityEEEPlJS6_EEE10hipError_tPvRmT3_T4_T5_T6_T7_T9_mT8_P12ihipStream_tbDpT10_ENKUlT_T0_E_clISt17integral_constantIbLb0EES16_IbLb1EEEEDaS12_S13_EUlS12_E_NS1_11comp_targetILNS1_3genE10ELNS1_11target_archE1200ELNS1_3gpuE4ELNS1_3repE0EEENS1_30default_config_static_selectorELNS0_4arch9wavefront6targetE0EEEvT1_,@function
_ZN7rocprim17ROCPRIM_400000_NS6detail17trampoline_kernelINS0_14default_configENS1_25partition_config_selectorILNS1_17partition_subalgoE8EdNS0_10empty_typeEbEEZZNS1_14partition_implILS5_8ELb0ES3_jPKdPS6_PKS6_NS0_5tupleIJPdS6_EEENSE_IJSB_SB_EEENS0_18inequality_wrapperIN6hipcub16HIPCUB_304000_NS8EqualityEEEPlJS6_EEE10hipError_tPvRmT3_T4_T5_T6_T7_T9_mT8_P12ihipStream_tbDpT10_ENKUlT_T0_E_clISt17integral_constantIbLb0EES16_IbLb1EEEEDaS12_S13_EUlS12_E_NS1_11comp_targetILNS1_3genE10ELNS1_11target_archE1200ELNS1_3gpuE4ELNS1_3repE0EEENS1_30default_config_static_selectorELNS0_4arch9wavefront6targetE0EEEvT1_: ; @_ZN7rocprim17ROCPRIM_400000_NS6detail17trampoline_kernelINS0_14default_configENS1_25partition_config_selectorILNS1_17partition_subalgoE8EdNS0_10empty_typeEbEEZZNS1_14partition_implILS5_8ELb0ES3_jPKdPS6_PKS6_NS0_5tupleIJPdS6_EEENSE_IJSB_SB_EEENS0_18inequality_wrapperIN6hipcub16HIPCUB_304000_NS8EqualityEEEPlJS6_EEE10hipError_tPvRmT3_T4_T5_T6_T7_T9_mT8_P12ihipStream_tbDpT10_ENKUlT_T0_E_clISt17integral_constantIbLb0EES16_IbLb1EEEEDaS12_S13_EUlS12_E_NS1_11comp_targetILNS1_3genE10ELNS1_11target_archE1200ELNS1_3gpuE4ELNS1_3repE0EEENS1_30default_config_static_selectorELNS0_4arch9wavefront6targetE0EEEvT1_
; %bb.0:
	.section	.rodata,"a",@progbits
	.p2align	6, 0x0
	.amdhsa_kernel _ZN7rocprim17ROCPRIM_400000_NS6detail17trampoline_kernelINS0_14default_configENS1_25partition_config_selectorILNS1_17partition_subalgoE8EdNS0_10empty_typeEbEEZZNS1_14partition_implILS5_8ELb0ES3_jPKdPS6_PKS6_NS0_5tupleIJPdS6_EEENSE_IJSB_SB_EEENS0_18inequality_wrapperIN6hipcub16HIPCUB_304000_NS8EqualityEEEPlJS6_EEE10hipError_tPvRmT3_T4_T5_T6_T7_T9_mT8_P12ihipStream_tbDpT10_ENKUlT_T0_E_clISt17integral_constantIbLb0EES16_IbLb1EEEEDaS12_S13_EUlS12_E_NS1_11comp_targetILNS1_3genE10ELNS1_11target_archE1200ELNS1_3gpuE4ELNS1_3repE0EEENS1_30default_config_static_selectorELNS0_4arch9wavefront6targetE0EEEvT1_
		.amdhsa_group_segment_fixed_size 0
		.amdhsa_private_segment_fixed_size 0
		.amdhsa_kernarg_size 128
		.amdhsa_user_sgpr_count 2
		.amdhsa_user_sgpr_dispatch_ptr 0
		.amdhsa_user_sgpr_queue_ptr 0
		.amdhsa_user_sgpr_kernarg_segment_ptr 1
		.amdhsa_user_sgpr_dispatch_id 0
		.amdhsa_user_sgpr_kernarg_preload_length 0
		.amdhsa_user_sgpr_kernarg_preload_offset 0
		.amdhsa_user_sgpr_private_segment_size 0
		.amdhsa_wavefront_size32 1
		.amdhsa_uses_dynamic_stack 0
		.amdhsa_enable_private_segment 0
		.amdhsa_system_sgpr_workgroup_id_x 1
		.amdhsa_system_sgpr_workgroup_id_y 0
		.amdhsa_system_sgpr_workgroup_id_z 0
		.amdhsa_system_sgpr_workgroup_info 0
		.amdhsa_system_vgpr_workitem_id 0
		.amdhsa_next_free_vgpr 1
		.amdhsa_next_free_sgpr 1
		.amdhsa_named_barrier_count 0
		.amdhsa_reserve_vcc 0
		.amdhsa_float_round_mode_32 0
		.amdhsa_float_round_mode_16_64 0
		.amdhsa_float_denorm_mode_32 3
		.amdhsa_float_denorm_mode_16_64 3
		.amdhsa_fp16_overflow 0
		.amdhsa_memory_ordered 1
		.amdhsa_forward_progress 1
		.amdhsa_inst_pref_size 0
		.amdhsa_round_robin_scheduling 0
		.amdhsa_exception_fp_ieee_invalid_op 0
		.amdhsa_exception_fp_denorm_src 0
		.amdhsa_exception_fp_ieee_div_zero 0
		.amdhsa_exception_fp_ieee_overflow 0
		.amdhsa_exception_fp_ieee_underflow 0
		.amdhsa_exception_fp_ieee_inexact 0
		.amdhsa_exception_int_div_zero 0
	.end_amdhsa_kernel
	.section	.text._ZN7rocprim17ROCPRIM_400000_NS6detail17trampoline_kernelINS0_14default_configENS1_25partition_config_selectorILNS1_17partition_subalgoE8EdNS0_10empty_typeEbEEZZNS1_14partition_implILS5_8ELb0ES3_jPKdPS6_PKS6_NS0_5tupleIJPdS6_EEENSE_IJSB_SB_EEENS0_18inequality_wrapperIN6hipcub16HIPCUB_304000_NS8EqualityEEEPlJS6_EEE10hipError_tPvRmT3_T4_T5_T6_T7_T9_mT8_P12ihipStream_tbDpT10_ENKUlT_T0_E_clISt17integral_constantIbLb0EES16_IbLb1EEEEDaS12_S13_EUlS12_E_NS1_11comp_targetILNS1_3genE10ELNS1_11target_archE1200ELNS1_3gpuE4ELNS1_3repE0EEENS1_30default_config_static_selectorELNS0_4arch9wavefront6targetE0EEEvT1_,"axG",@progbits,_ZN7rocprim17ROCPRIM_400000_NS6detail17trampoline_kernelINS0_14default_configENS1_25partition_config_selectorILNS1_17partition_subalgoE8EdNS0_10empty_typeEbEEZZNS1_14partition_implILS5_8ELb0ES3_jPKdPS6_PKS6_NS0_5tupleIJPdS6_EEENSE_IJSB_SB_EEENS0_18inequality_wrapperIN6hipcub16HIPCUB_304000_NS8EqualityEEEPlJS6_EEE10hipError_tPvRmT3_T4_T5_T6_T7_T9_mT8_P12ihipStream_tbDpT10_ENKUlT_T0_E_clISt17integral_constantIbLb0EES16_IbLb1EEEEDaS12_S13_EUlS12_E_NS1_11comp_targetILNS1_3genE10ELNS1_11target_archE1200ELNS1_3gpuE4ELNS1_3repE0EEENS1_30default_config_static_selectorELNS0_4arch9wavefront6targetE0EEEvT1_,comdat
.Lfunc_end301:
	.size	_ZN7rocprim17ROCPRIM_400000_NS6detail17trampoline_kernelINS0_14default_configENS1_25partition_config_selectorILNS1_17partition_subalgoE8EdNS0_10empty_typeEbEEZZNS1_14partition_implILS5_8ELb0ES3_jPKdPS6_PKS6_NS0_5tupleIJPdS6_EEENSE_IJSB_SB_EEENS0_18inequality_wrapperIN6hipcub16HIPCUB_304000_NS8EqualityEEEPlJS6_EEE10hipError_tPvRmT3_T4_T5_T6_T7_T9_mT8_P12ihipStream_tbDpT10_ENKUlT_T0_E_clISt17integral_constantIbLb0EES16_IbLb1EEEEDaS12_S13_EUlS12_E_NS1_11comp_targetILNS1_3genE10ELNS1_11target_archE1200ELNS1_3gpuE4ELNS1_3repE0EEENS1_30default_config_static_selectorELNS0_4arch9wavefront6targetE0EEEvT1_, .Lfunc_end301-_ZN7rocprim17ROCPRIM_400000_NS6detail17trampoline_kernelINS0_14default_configENS1_25partition_config_selectorILNS1_17partition_subalgoE8EdNS0_10empty_typeEbEEZZNS1_14partition_implILS5_8ELb0ES3_jPKdPS6_PKS6_NS0_5tupleIJPdS6_EEENSE_IJSB_SB_EEENS0_18inequality_wrapperIN6hipcub16HIPCUB_304000_NS8EqualityEEEPlJS6_EEE10hipError_tPvRmT3_T4_T5_T6_T7_T9_mT8_P12ihipStream_tbDpT10_ENKUlT_T0_E_clISt17integral_constantIbLb0EES16_IbLb1EEEEDaS12_S13_EUlS12_E_NS1_11comp_targetILNS1_3genE10ELNS1_11target_archE1200ELNS1_3gpuE4ELNS1_3repE0EEENS1_30default_config_static_selectorELNS0_4arch9wavefront6targetE0EEEvT1_
                                        ; -- End function
	.set _ZN7rocprim17ROCPRIM_400000_NS6detail17trampoline_kernelINS0_14default_configENS1_25partition_config_selectorILNS1_17partition_subalgoE8EdNS0_10empty_typeEbEEZZNS1_14partition_implILS5_8ELb0ES3_jPKdPS6_PKS6_NS0_5tupleIJPdS6_EEENSE_IJSB_SB_EEENS0_18inequality_wrapperIN6hipcub16HIPCUB_304000_NS8EqualityEEEPlJS6_EEE10hipError_tPvRmT3_T4_T5_T6_T7_T9_mT8_P12ihipStream_tbDpT10_ENKUlT_T0_E_clISt17integral_constantIbLb0EES16_IbLb1EEEEDaS12_S13_EUlS12_E_NS1_11comp_targetILNS1_3genE10ELNS1_11target_archE1200ELNS1_3gpuE4ELNS1_3repE0EEENS1_30default_config_static_selectorELNS0_4arch9wavefront6targetE0EEEvT1_.num_vgpr, 0
	.set _ZN7rocprim17ROCPRIM_400000_NS6detail17trampoline_kernelINS0_14default_configENS1_25partition_config_selectorILNS1_17partition_subalgoE8EdNS0_10empty_typeEbEEZZNS1_14partition_implILS5_8ELb0ES3_jPKdPS6_PKS6_NS0_5tupleIJPdS6_EEENSE_IJSB_SB_EEENS0_18inequality_wrapperIN6hipcub16HIPCUB_304000_NS8EqualityEEEPlJS6_EEE10hipError_tPvRmT3_T4_T5_T6_T7_T9_mT8_P12ihipStream_tbDpT10_ENKUlT_T0_E_clISt17integral_constantIbLb0EES16_IbLb1EEEEDaS12_S13_EUlS12_E_NS1_11comp_targetILNS1_3genE10ELNS1_11target_archE1200ELNS1_3gpuE4ELNS1_3repE0EEENS1_30default_config_static_selectorELNS0_4arch9wavefront6targetE0EEEvT1_.num_agpr, 0
	.set _ZN7rocprim17ROCPRIM_400000_NS6detail17trampoline_kernelINS0_14default_configENS1_25partition_config_selectorILNS1_17partition_subalgoE8EdNS0_10empty_typeEbEEZZNS1_14partition_implILS5_8ELb0ES3_jPKdPS6_PKS6_NS0_5tupleIJPdS6_EEENSE_IJSB_SB_EEENS0_18inequality_wrapperIN6hipcub16HIPCUB_304000_NS8EqualityEEEPlJS6_EEE10hipError_tPvRmT3_T4_T5_T6_T7_T9_mT8_P12ihipStream_tbDpT10_ENKUlT_T0_E_clISt17integral_constantIbLb0EES16_IbLb1EEEEDaS12_S13_EUlS12_E_NS1_11comp_targetILNS1_3genE10ELNS1_11target_archE1200ELNS1_3gpuE4ELNS1_3repE0EEENS1_30default_config_static_selectorELNS0_4arch9wavefront6targetE0EEEvT1_.numbered_sgpr, 0
	.set _ZN7rocprim17ROCPRIM_400000_NS6detail17trampoline_kernelINS0_14default_configENS1_25partition_config_selectorILNS1_17partition_subalgoE8EdNS0_10empty_typeEbEEZZNS1_14partition_implILS5_8ELb0ES3_jPKdPS6_PKS6_NS0_5tupleIJPdS6_EEENSE_IJSB_SB_EEENS0_18inequality_wrapperIN6hipcub16HIPCUB_304000_NS8EqualityEEEPlJS6_EEE10hipError_tPvRmT3_T4_T5_T6_T7_T9_mT8_P12ihipStream_tbDpT10_ENKUlT_T0_E_clISt17integral_constantIbLb0EES16_IbLb1EEEEDaS12_S13_EUlS12_E_NS1_11comp_targetILNS1_3genE10ELNS1_11target_archE1200ELNS1_3gpuE4ELNS1_3repE0EEENS1_30default_config_static_selectorELNS0_4arch9wavefront6targetE0EEEvT1_.num_named_barrier, 0
	.set _ZN7rocprim17ROCPRIM_400000_NS6detail17trampoline_kernelINS0_14default_configENS1_25partition_config_selectorILNS1_17partition_subalgoE8EdNS0_10empty_typeEbEEZZNS1_14partition_implILS5_8ELb0ES3_jPKdPS6_PKS6_NS0_5tupleIJPdS6_EEENSE_IJSB_SB_EEENS0_18inequality_wrapperIN6hipcub16HIPCUB_304000_NS8EqualityEEEPlJS6_EEE10hipError_tPvRmT3_T4_T5_T6_T7_T9_mT8_P12ihipStream_tbDpT10_ENKUlT_T0_E_clISt17integral_constantIbLb0EES16_IbLb1EEEEDaS12_S13_EUlS12_E_NS1_11comp_targetILNS1_3genE10ELNS1_11target_archE1200ELNS1_3gpuE4ELNS1_3repE0EEENS1_30default_config_static_selectorELNS0_4arch9wavefront6targetE0EEEvT1_.private_seg_size, 0
	.set _ZN7rocprim17ROCPRIM_400000_NS6detail17trampoline_kernelINS0_14default_configENS1_25partition_config_selectorILNS1_17partition_subalgoE8EdNS0_10empty_typeEbEEZZNS1_14partition_implILS5_8ELb0ES3_jPKdPS6_PKS6_NS0_5tupleIJPdS6_EEENSE_IJSB_SB_EEENS0_18inequality_wrapperIN6hipcub16HIPCUB_304000_NS8EqualityEEEPlJS6_EEE10hipError_tPvRmT3_T4_T5_T6_T7_T9_mT8_P12ihipStream_tbDpT10_ENKUlT_T0_E_clISt17integral_constantIbLb0EES16_IbLb1EEEEDaS12_S13_EUlS12_E_NS1_11comp_targetILNS1_3genE10ELNS1_11target_archE1200ELNS1_3gpuE4ELNS1_3repE0EEENS1_30default_config_static_selectorELNS0_4arch9wavefront6targetE0EEEvT1_.uses_vcc, 0
	.set _ZN7rocprim17ROCPRIM_400000_NS6detail17trampoline_kernelINS0_14default_configENS1_25partition_config_selectorILNS1_17partition_subalgoE8EdNS0_10empty_typeEbEEZZNS1_14partition_implILS5_8ELb0ES3_jPKdPS6_PKS6_NS0_5tupleIJPdS6_EEENSE_IJSB_SB_EEENS0_18inequality_wrapperIN6hipcub16HIPCUB_304000_NS8EqualityEEEPlJS6_EEE10hipError_tPvRmT3_T4_T5_T6_T7_T9_mT8_P12ihipStream_tbDpT10_ENKUlT_T0_E_clISt17integral_constantIbLb0EES16_IbLb1EEEEDaS12_S13_EUlS12_E_NS1_11comp_targetILNS1_3genE10ELNS1_11target_archE1200ELNS1_3gpuE4ELNS1_3repE0EEENS1_30default_config_static_selectorELNS0_4arch9wavefront6targetE0EEEvT1_.uses_flat_scratch, 0
	.set _ZN7rocprim17ROCPRIM_400000_NS6detail17trampoline_kernelINS0_14default_configENS1_25partition_config_selectorILNS1_17partition_subalgoE8EdNS0_10empty_typeEbEEZZNS1_14partition_implILS5_8ELb0ES3_jPKdPS6_PKS6_NS0_5tupleIJPdS6_EEENSE_IJSB_SB_EEENS0_18inequality_wrapperIN6hipcub16HIPCUB_304000_NS8EqualityEEEPlJS6_EEE10hipError_tPvRmT3_T4_T5_T6_T7_T9_mT8_P12ihipStream_tbDpT10_ENKUlT_T0_E_clISt17integral_constantIbLb0EES16_IbLb1EEEEDaS12_S13_EUlS12_E_NS1_11comp_targetILNS1_3genE10ELNS1_11target_archE1200ELNS1_3gpuE4ELNS1_3repE0EEENS1_30default_config_static_selectorELNS0_4arch9wavefront6targetE0EEEvT1_.has_dyn_sized_stack, 0
	.set _ZN7rocprim17ROCPRIM_400000_NS6detail17trampoline_kernelINS0_14default_configENS1_25partition_config_selectorILNS1_17partition_subalgoE8EdNS0_10empty_typeEbEEZZNS1_14partition_implILS5_8ELb0ES3_jPKdPS6_PKS6_NS0_5tupleIJPdS6_EEENSE_IJSB_SB_EEENS0_18inequality_wrapperIN6hipcub16HIPCUB_304000_NS8EqualityEEEPlJS6_EEE10hipError_tPvRmT3_T4_T5_T6_T7_T9_mT8_P12ihipStream_tbDpT10_ENKUlT_T0_E_clISt17integral_constantIbLb0EES16_IbLb1EEEEDaS12_S13_EUlS12_E_NS1_11comp_targetILNS1_3genE10ELNS1_11target_archE1200ELNS1_3gpuE4ELNS1_3repE0EEENS1_30default_config_static_selectorELNS0_4arch9wavefront6targetE0EEEvT1_.has_recursion, 0
	.set _ZN7rocprim17ROCPRIM_400000_NS6detail17trampoline_kernelINS0_14default_configENS1_25partition_config_selectorILNS1_17partition_subalgoE8EdNS0_10empty_typeEbEEZZNS1_14partition_implILS5_8ELb0ES3_jPKdPS6_PKS6_NS0_5tupleIJPdS6_EEENSE_IJSB_SB_EEENS0_18inequality_wrapperIN6hipcub16HIPCUB_304000_NS8EqualityEEEPlJS6_EEE10hipError_tPvRmT3_T4_T5_T6_T7_T9_mT8_P12ihipStream_tbDpT10_ENKUlT_T0_E_clISt17integral_constantIbLb0EES16_IbLb1EEEEDaS12_S13_EUlS12_E_NS1_11comp_targetILNS1_3genE10ELNS1_11target_archE1200ELNS1_3gpuE4ELNS1_3repE0EEENS1_30default_config_static_selectorELNS0_4arch9wavefront6targetE0EEEvT1_.has_indirect_call, 0
	.section	.AMDGPU.csdata,"",@progbits
; Kernel info:
; codeLenInByte = 0
; TotalNumSgprs: 0
; NumVgprs: 0
; ScratchSize: 0
; MemoryBound: 0
; FloatMode: 240
; IeeeMode: 1
; LDSByteSize: 0 bytes/workgroup (compile time only)
; SGPRBlocks: 0
; VGPRBlocks: 0
; NumSGPRsForWavesPerEU: 1
; NumVGPRsForWavesPerEU: 1
; NamedBarCnt: 0
; Occupancy: 16
; WaveLimiterHint : 0
; COMPUTE_PGM_RSRC2:SCRATCH_EN: 0
; COMPUTE_PGM_RSRC2:USER_SGPR: 2
; COMPUTE_PGM_RSRC2:TRAP_HANDLER: 0
; COMPUTE_PGM_RSRC2:TGID_X_EN: 1
; COMPUTE_PGM_RSRC2:TGID_Y_EN: 0
; COMPUTE_PGM_RSRC2:TGID_Z_EN: 0
; COMPUTE_PGM_RSRC2:TIDIG_COMP_CNT: 0
	.section	.text._ZN7rocprim17ROCPRIM_400000_NS6detail17trampoline_kernelINS0_14default_configENS1_25partition_config_selectorILNS1_17partition_subalgoE8EdNS0_10empty_typeEbEEZZNS1_14partition_implILS5_8ELb0ES3_jPKdPS6_PKS6_NS0_5tupleIJPdS6_EEENSE_IJSB_SB_EEENS0_18inequality_wrapperIN6hipcub16HIPCUB_304000_NS8EqualityEEEPlJS6_EEE10hipError_tPvRmT3_T4_T5_T6_T7_T9_mT8_P12ihipStream_tbDpT10_ENKUlT_T0_E_clISt17integral_constantIbLb0EES16_IbLb1EEEEDaS12_S13_EUlS12_E_NS1_11comp_targetILNS1_3genE9ELNS1_11target_archE1100ELNS1_3gpuE3ELNS1_3repE0EEENS1_30default_config_static_selectorELNS0_4arch9wavefront6targetE0EEEvT1_,"axG",@progbits,_ZN7rocprim17ROCPRIM_400000_NS6detail17trampoline_kernelINS0_14default_configENS1_25partition_config_selectorILNS1_17partition_subalgoE8EdNS0_10empty_typeEbEEZZNS1_14partition_implILS5_8ELb0ES3_jPKdPS6_PKS6_NS0_5tupleIJPdS6_EEENSE_IJSB_SB_EEENS0_18inequality_wrapperIN6hipcub16HIPCUB_304000_NS8EqualityEEEPlJS6_EEE10hipError_tPvRmT3_T4_T5_T6_T7_T9_mT8_P12ihipStream_tbDpT10_ENKUlT_T0_E_clISt17integral_constantIbLb0EES16_IbLb1EEEEDaS12_S13_EUlS12_E_NS1_11comp_targetILNS1_3genE9ELNS1_11target_archE1100ELNS1_3gpuE3ELNS1_3repE0EEENS1_30default_config_static_selectorELNS0_4arch9wavefront6targetE0EEEvT1_,comdat
	.protected	_ZN7rocprim17ROCPRIM_400000_NS6detail17trampoline_kernelINS0_14default_configENS1_25partition_config_selectorILNS1_17partition_subalgoE8EdNS0_10empty_typeEbEEZZNS1_14partition_implILS5_8ELb0ES3_jPKdPS6_PKS6_NS0_5tupleIJPdS6_EEENSE_IJSB_SB_EEENS0_18inequality_wrapperIN6hipcub16HIPCUB_304000_NS8EqualityEEEPlJS6_EEE10hipError_tPvRmT3_T4_T5_T6_T7_T9_mT8_P12ihipStream_tbDpT10_ENKUlT_T0_E_clISt17integral_constantIbLb0EES16_IbLb1EEEEDaS12_S13_EUlS12_E_NS1_11comp_targetILNS1_3genE9ELNS1_11target_archE1100ELNS1_3gpuE3ELNS1_3repE0EEENS1_30default_config_static_selectorELNS0_4arch9wavefront6targetE0EEEvT1_ ; -- Begin function _ZN7rocprim17ROCPRIM_400000_NS6detail17trampoline_kernelINS0_14default_configENS1_25partition_config_selectorILNS1_17partition_subalgoE8EdNS0_10empty_typeEbEEZZNS1_14partition_implILS5_8ELb0ES3_jPKdPS6_PKS6_NS0_5tupleIJPdS6_EEENSE_IJSB_SB_EEENS0_18inequality_wrapperIN6hipcub16HIPCUB_304000_NS8EqualityEEEPlJS6_EEE10hipError_tPvRmT3_T4_T5_T6_T7_T9_mT8_P12ihipStream_tbDpT10_ENKUlT_T0_E_clISt17integral_constantIbLb0EES16_IbLb1EEEEDaS12_S13_EUlS12_E_NS1_11comp_targetILNS1_3genE9ELNS1_11target_archE1100ELNS1_3gpuE3ELNS1_3repE0EEENS1_30default_config_static_selectorELNS0_4arch9wavefront6targetE0EEEvT1_
	.globl	_ZN7rocprim17ROCPRIM_400000_NS6detail17trampoline_kernelINS0_14default_configENS1_25partition_config_selectorILNS1_17partition_subalgoE8EdNS0_10empty_typeEbEEZZNS1_14partition_implILS5_8ELb0ES3_jPKdPS6_PKS6_NS0_5tupleIJPdS6_EEENSE_IJSB_SB_EEENS0_18inequality_wrapperIN6hipcub16HIPCUB_304000_NS8EqualityEEEPlJS6_EEE10hipError_tPvRmT3_T4_T5_T6_T7_T9_mT8_P12ihipStream_tbDpT10_ENKUlT_T0_E_clISt17integral_constantIbLb0EES16_IbLb1EEEEDaS12_S13_EUlS12_E_NS1_11comp_targetILNS1_3genE9ELNS1_11target_archE1100ELNS1_3gpuE3ELNS1_3repE0EEENS1_30default_config_static_selectorELNS0_4arch9wavefront6targetE0EEEvT1_
	.p2align	8
	.type	_ZN7rocprim17ROCPRIM_400000_NS6detail17trampoline_kernelINS0_14default_configENS1_25partition_config_selectorILNS1_17partition_subalgoE8EdNS0_10empty_typeEbEEZZNS1_14partition_implILS5_8ELb0ES3_jPKdPS6_PKS6_NS0_5tupleIJPdS6_EEENSE_IJSB_SB_EEENS0_18inequality_wrapperIN6hipcub16HIPCUB_304000_NS8EqualityEEEPlJS6_EEE10hipError_tPvRmT3_T4_T5_T6_T7_T9_mT8_P12ihipStream_tbDpT10_ENKUlT_T0_E_clISt17integral_constantIbLb0EES16_IbLb1EEEEDaS12_S13_EUlS12_E_NS1_11comp_targetILNS1_3genE9ELNS1_11target_archE1100ELNS1_3gpuE3ELNS1_3repE0EEENS1_30default_config_static_selectorELNS0_4arch9wavefront6targetE0EEEvT1_,@function
_ZN7rocprim17ROCPRIM_400000_NS6detail17trampoline_kernelINS0_14default_configENS1_25partition_config_selectorILNS1_17partition_subalgoE8EdNS0_10empty_typeEbEEZZNS1_14partition_implILS5_8ELb0ES3_jPKdPS6_PKS6_NS0_5tupleIJPdS6_EEENSE_IJSB_SB_EEENS0_18inequality_wrapperIN6hipcub16HIPCUB_304000_NS8EqualityEEEPlJS6_EEE10hipError_tPvRmT3_T4_T5_T6_T7_T9_mT8_P12ihipStream_tbDpT10_ENKUlT_T0_E_clISt17integral_constantIbLb0EES16_IbLb1EEEEDaS12_S13_EUlS12_E_NS1_11comp_targetILNS1_3genE9ELNS1_11target_archE1100ELNS1_3gpuE3ELNS1_3repE0EEENS1_30default_config_static_selectorELNS0_4arch9wavefront6targetE0EEEvT1_: ; @_ZN7rocprim17ROCPRIM_400000_NS6detail17trampoline_kernelINS0_14default_configENS1_25partition_config_selectorILNS1_17partition_subalgoE8EdNS0_10empty_typeEbEEZZNS1_14partition_implILS5_8ELb0ES3_jPKdPS6_PKS6_NS0_5tupleIJPdS6_EEENSE_IJSB_SB_EEENS0_18inequality_wrapperIN6hipcub16HIPCUB_304000_NS8EqualityEEEPlJS6_EEE10hipError_tPvRmT3_T4_T5_T6_T7_T9_mT8_P12ihipStream_tbDpT10_ENKUlT_T0_E_clISt17integral_constantIbLb0EES16_IbLb1EEEEDaS12_S13_EUlS12_E_NS1_11comp_targetILNS1_3genE9ELNS1_11target_archE1100ELNS1_3gpuE3ELNS1_3repE0EEENS1_30default_config_static_selectorELNS0_4arch9wavefront6targetE0EEEvT1_
; %bb.0:
	.section	.rodata,"a",@progbits
	.p2align	6, 0x0
	.amdhsa_kernel _ZN7rocprim17ROCPRIM_400000_NS6detail17trampoline_kernelINS0_14default_configENS1_25partition_config_selectorILNS1_17partition_subalgoE8EdNS0_10empty_typeEbEEZZNS1_14partition_implILS5_8ELb0ES3_jPKdPS6_PKS6_NS0_5tupleIJPdS6_EEENSE_IJSB_SB_EEENS0_18inequality_wrapperIN6hipcub16HIPCUB_304000_NS8EqualityEEEPlJS6_EEE10hipError_tPvRmT3_T4_T5_T6_T7_T9_mT8_P12ihipStream_tbDpT10_ENKUlT_T0_E_clISt17integral_constantIbLb0EES16_IbLb1EEEEDaS12_S13_EUlS12_E_NS1_11comp_targetILNS1_3genE9ELNS1_11target_archE1100ELNS1_3gpuE3ELNS1_3repE0EEENS1_30default_config_static_selectorELNS0_4arch9wavefront6targetE0EEEvT1_
		.amdhsa_group_segment_fixed_size 0
		.amdhsa_private_segment_fixed_size 0
		.amdhsa_kernarg_size 128
		.amdhsa_user_sgpr_count 2
		.amdhsa_user_sgpr_dispatch_ptr 0
		.amdhsa_user_sgpr_queue_ptr 0
		.amdhsa_user_sgpr_kernarg_segment_ptr 1
		.amdhsa_user_sgpr_dispatch_id 0
		.amdhsa_user_sgpr_kernarg_preload_length 0
		.amdhsa_user_sgpr_kernarg_preload_offset 0
		.amdhsa_user_sgpr_private_segment_size 0
		.amdhsa_wavefront_size32 1
		.amdhsa_uses_dynamic_stack 0
		.amdhsa_enable_private_segment 0
		.amdhsa_system_sgpr_workgroup_id_x 1
		.amdhsa_system_sgpr_workgroup_id_y 0
		.amdhsa_system_sgpr_workgroup_id_z 0
		.amdhsa_system_sgpr_workgroup_info 0
		.amdhsa_system_vgpr_workitem_id 0
		.amdhsa_next_free_vgpr 1
		.amdhsa_next_free_sgpr 1
		.amdhsa_named_barrier_count 0
		.amdhsa_reserve_vcc 0
		.amdhsa_float_round_mode_32 0
		.amdhsa_float_round_mode_16_64 0
		.amdhsa_float_denorm_mode_32 3
		.amdhsa_float_denorm_mode_16_64 3
		.amdhsa_fp16_overflow 0
		.amdhsa_memory_ordered 1
		.amdhsa_forward_progress 1
		.amdhsa_inst_pref_size 0
		.amdhsa_round_robin_scheduling 0
		.amdhsa_exception_fp_ieee_invalid_op 0
		.amdhsa_exception_fp_denorm_src 0
		.amdhsa_exception_fp_ieee_div_zero 0
		.amdhsa_exception_fp_ieee_overflow 0
		.amdhsa_exception_fp_ieee_underflow 0
		.amdhsa_exception_fp_ieee_inexact 0
		.amdhsa_exception_int_div_zero 0
	.end_amdhsa_kernel
	.section	.text._ZN7rocprim17ROCPRIM_400000_NS6detail17trampoline_kernelINS0_14default_configENS1_25partition_config_selectorILNS1_17partition_subalgoE8EdNS0_10empty_typeEbEEZZNS1_14partition_implILS5_8ELb0ES3_jPKdPS6_PKS6_NS0_5tupleIJPdS6_EEENSE_IJSB_SB_EEENS0_18inequality_wrapperIN6hipcub16HIPCUB_304000_NS8EqualityEEEPlJS6_EEE10hipError_tPvRmT3_T4_T5_T6_T7_T9_mT8_P12ihipStream_tbDpT10_ENKUlT_T0_E_clISt17integral_constantIbLb0EES16_IbLb1EEEEDaS12_S13_EUlS12_E_NS1_11comp_targetILNS1_3genE9ELNS1_11target_archE1100ELNS1_3gpuE3ELNS1_3repE0EEENS1_30default_config_static_selectorELNS0_4arch9wavefront6targetE0EEEvT1_,"axG",@progbits,_ZN7rocprim17ROCPRIM_400000_NS6detail17trampoline_kernelINS0_14default_configENS1_25partition_config_selectorILNS1_17partition_subalgoE8EdNS0_10empty_typeEbEEZZNS1_14partition_implILS5_8ELb0ES3_jPKdPS6_PKS6_NS0_5tupleIJPdS6_EEENSE_IJSB_SB_EEENS0_18inequality_wrapperIN6hipcub16HIPCUB_304000_NS8EqualityEEEPlJS6_EEE10hipError_tPvRmT3_T4_T5_T6_T7_T9_mT8_P12ihipStream_tbDpT10_ENKUlT_T0_E_clISt17integral_constantIbLb0EES16_IbLb1EEEEDaS12_S13_EUlS12_E_NS1_11comp_targetILNS1_3genE9ELNS1_11target_archE1100ELNS1_3gpuE3ELNS1_3repE0EEENS1_30default_config_static_selectorELNS0_4arch9wavefront6targetE0EEEvT1_,comdat
.Lfunc_end302:
	.size	_ZN7rocprim17ROCPRIM_400000_NS6detail17trampoline_kernelINS0_14default_configENS1_25partition_config_selectorILNS1_17partition_subalgoE8EdNS0_10empty_typeEbEEZZNS1_14partition_implILS5_8ELb0ES3_jPKdPS6_PKS6_NS0_5tupleIJPdS6_EEENSE_IJSB_SB_EEENS0_18inequality_wrapperIN6hipcub16HIPCUB_304000_NS8EqualityEEEPlJS6_EEE10hipError_tPvRmT3_T4_T5_T6_T7_T9_mT8_P12ihipStream_tbDpT10_ENKUlT_T0_E_clISt17integral_constantIbLb0EES16_IbLb1EEEEDaS12_S13_EUlS12_E_NS1_11comp_targetILNS1_3genE9ELNS1_11target_archE1100ELNS1_3gpuE3ELNS1_3repE0EEENS1_30default_config_static_selectorELNS0_4arch9wavefront6targetE0EEEvT1_, .Lfunc_end302-_ZN7rocprim17ROCPRIM_400000_NS6detail17trampoline_kernelINS0_14default_configENS1_25partition_config_selectorILNS1_17partition_subalgoE8EdNS0_10empty_typeEbEEZZNS1_14partition_implILS5_8ELb0ES3_jPKdPS6_PKS6_NS0_5tupleIJPdS6_EEENSE_IJSB_SB_EEENS0_18inequality_wrapperIN6hipcub16HIPCUB_304000_NS8EqualityEEEPlJS6_EEE10hipError_tPvRmT3_T4_T5_T6_T7_T9_mT8_P12ihipStream_tbDpT10_ENKUlT_T0_E_clISt17integral_constantIbLb0EES16_IbLb1EEEEDaS12_S13_EUlS12_E_NS1_11comp_targetILNS1_3genE9ELNS1_11target_archE1100ELNS1_3gpuE3ELNS1_3repE0EEENS1_30default_config_static_selectorELNS0_4arch9wavefront6targetE0EEEvT1_
                                        ; -- End function
	.set _ZN7rocprim17ROCPRIM_400000_NS6detail17trampoline_kernelINS0_14default_configENS1_25partition_config_selectorILNS1_17partition_subalgoE8EdNS0_10empty_typeEbEEZZNS1_14partition_implILS5_8ELb0ES3_jPKdPS6_PKS6_NS0_5tupleIJPdS6_EEENSE_IJSB_SB_EEENS0_18inequality_wrapperIN6hipcub16HIPCUB_304000_NS8EqualityEEEPlJS6_EEE10hipError_tPvRmT3_T4_T5_T6_T7_T9_mT8_P12ihipStream_tbDpT10_ENKUlT_T0_E_clISt17integral_constantIbLb0EES16_IbLb1EEEEDaS12_S13_EUlS12_E_NS1_11comp_targetILNS1_3genE9ELNS1_11target_archE1100ELNS1_3gpuE3ELNS1_3repE0EEENS1_30default_config_static_selectorELNS0_4arch9wavefront6targetE0EEEvT1_.num_vgpr, 0
	.set _ZN7rocprim17ROCPRIM_400000_NS6detail17trampoline_kernelINS0_14default_configENS1_25partition_config_selectorILNS1_17partition_subalgoE8EdNS0_10empty_typeEbEEZZNS1_14partition_implILS5_8ELb0ES3_jPKdPS6_PKS6_NS0_5tupleIJPdS6_EEENSE_IJSB_SB_EEENS0_18inequality_wrapperIN6hipcub16HIPCUB_304000_NS8EqualityEEEPlJS6_EEE10hipError_tPvRmT3_T4_T5_T6_T7_T9_mT8_P12ihipStream_tbDpT10_ENKUlT_T0_E_clISt17integral_constantIbLb0EES16_IbLb1EEEEDaS12_S13_EUlS12_E_NS1_11comp_targetILNS1_3genE9ELNS1_11target_archE1100ELNS1_3gpuE3ELNS1_3repE0EEENS1_30default_config_static_selectorELNS0_4arch9wavefront6targetE0EEEvT1_.num_agpr, 0
	.set _ZN7rocprim17ROCPRIM_400000_NS6detail17trampoline_kernelINS0_14default_configENS1_25partition_config_selectorILNS1_17partition_subalgoE8EdNS0_10empty_typeEbEEZZNS1_14partition_implILS5_8ELb0ES3_jPKdPS6_PKS6_NS0_5tupleIJPdS6_EEENSE_IJSB_SB_EEENS0_18inequality_wrapperIN6hipcub16HIPCUB_304000_NS8EqualityEEEPlJS6_EEE10hipError_tPvRmT3_T4_T5_T6_T7_T9_mT8_P12ihipStream_tbDpT10_ENKUlT_T0_E_clISt17integral_constantIbLb0EES16_IbLb1EEEEDaS12_S13_EUlS12_E_NS1_11comp_targetILNS1_3genE9ELNS1_11target_archE1100ELNS1_3gpuE3ELNS1_3repE0EEENS1_30default_config_static_selectorELNS0_4arch9wavefront6targetE0EEEvT1_.numbered_sgpr, 0
	.set _ZN7rocprim17ROCPRIM_400000_NS6detail17trampoline_kernelINS0_14default_configENS1_25partition_config_selectorILNS1_17partition_subalgoE8EdNS0_10empty_typeEbEEZZNS1_14partition_implILS5_8ELb0ES3_jPKdPS6_PKS6_NS0_5tupleIJPdS6_EEENSE_IJSB_SB_EEENS0_18inequality_wrapperIN6hipcub16HIPCUB_304000_NS8EqualityEEEPlJS6_EEE10hipError_tPvRmT3_T4_T5_T6_T7_T9_mT8_P12ihipStream_tbDpT10_ENKUlT_T0_E_clISt17integral_constantIbLb0EES16_IbLb1EEEEDaS12_S13_EUlS12_E_NS1_11comp_targetILNS1_3genE9ELNS1_11target_archE1100ELNS1_3gpuE3ELNS1_3repE0EEENS1_30default_config_static_selectorELNS0_4arch9wavefront6targetE0EEEvT1_.num_named_barrier, 0
	.set _ZN7rocprim17ROCPRIM_400000_NS6detail17trampoline_kernelINS0_14default_configENS1_25partition_config_selectorILNS1_17partition_subalgoE8EdNS0_10empty_typeEbEEZZNS1_14partition_implILS5_8ELb0ES3_jPKdPS6_PKS6_NS0_5tupleIJPdS6_EEENSE_IJSB_SB_EEENS0_18inequality_wrapperIN6hipcub16HIPCUB_304000_NS8EqualityEEEPlJS6_EEE10hipError_tPvRmT3_T4_T5_T6_T7_T9_mT8_P12ihipStream_tbDpT10_ENKUlT_T0_E_clISt17integral_constantIbLb0EES16_IbLb1EEEEDaS12_S13_EUlS12_E_NS1_11comp_targetILNS1_3genE9ELNS1_11target_archE1100ELNS1_3gpuE3ELNS1_3repE0EEENS1_30default_config_static_selectorELNS0_4arch9wavefront6targetE0EEEvT1_.private_seg_size, 0
	.set _ZN7rocprim17ROCPRIM_400000_NS6detail17trampoline_kernelINS0_14default_configENS1_25partition_config_selectorILNS1_17partition_subalgoE8EdNS0_10empty_typeEbEEZZNS1_14partition_implILS5_8ELb0ES3_jPKdPS6_PKS6_NS0_5tupleIJPdS6_EEENSE_IJSB_SB_EEENS0_18inequality_wrapperIN6hipcub16HIPCUB_304000_NS8EqualityEEEPlJS6_EEE10hipError_tPvRmT3_T4_T5_T6_T7_T9_mT8_P12ihipStream_tbDpT10_ENKUlT_T0_E_clISt17integral_constantIbLb0EES16_IbLb1EEEEDaS12_S13_EUlS12_E_NS1_11comp_targetILNS1_3genE9ELNS1_11target_archE1100ELNS1_3gpuE3ELNS1_3repE0EEENS1_30default_config_static_selectorELNS0_4arch9wavefront6targetE0EEEvT1_.uses_vcc, 0
	.set _ZN7rocprim17ROCPRIM_400000_NS6detail17trampoline_kernelINS0_14default_configENS1_25partition_config_selectorILNS1_17partition_subalgoE8EdNS0_10empty_typeEbEEZZNS1_14partition_implILS5_8ELb0ES3_jPKdPS6_PKS6_NS0_5tupleIJPdS6_EEENSE_IJSB_SB_EEENS0_18inequality_wrapperIN6hipcub16HIPCUB_304000_NS8EqualityEEEPlJS6_EEE10hipError_tPvRmT3_T4_T5_T6_T7_T9_mT8_P12ihipStream_tbDpT10_ENKUlT_T0_E_clISt17integral_constantIbLb0EES16_IbLb1EEEEDaS12_S13_EUlS12_E_NS1_11comp_targetILNS1_3genE9ELNS1_11target_archE1100ELNS1_3gpuE3ELNS1_3repE0EEENS1_30default_config_static_selectorELNS0_4arch9wavefront6targetE0EEEvT1_.uses_flat_scratch, 0
	.set _ZN7rocprim17ROCPRIM_400000_NS6detail17trampoline_kernelINS0_14default_configENS1_25partition_config_selectorILNS1_17partition_subalgoE8EdNS0_10empty_typeEbEEZZNS1_14partition_implILS5_8ELb0ES3_jPKdPS6_PKS6_NS0_5tupleIJPdS6_EEENSE_IJSB_SB_EEENS0_18inequality_wrapperIN6hipcub16HIPCUB_304000_NS8EqualityEEEPlJS6_EEE10hipError_tPvRmT3_T4_T5_T6_T7_T9_mT8_P12ihipStream_tbDpT10_ENKUlT_T0_E_clISt17integral_constantIbLb0EES16_IbLb1EEEEDaS12_S13_EUlS12_E_NS1_11comp_targetILNS1_3genE9ELNS1_11target_archE1100ELNS1_3gpuE3ELNS1_3repE0EEENS1_30default_config_static_selectorELNS0_4arch9wavefront6targetE0EEEvT1_.has_dyn_sized_stack, 0
	.set _ZN7rocprim17ROCPRIM_400000_NS6detail17trampoline_kernelINS0_14default_configENS1_25partition_config_selectorILNS1_17partition_subalgoE8EdNS0_10empty_typeEbEEZZNS1_14partition_implILS5_8ELb0ES3_jPKdPS6_PKS6_NS0_5tupleIJPdS6_EEENSE_IJSB_SB_EEENS0_18inequality_wrapperIN6hipcub16HIPCUB_304000_NS8EqualityEEEPlJS6_EEE10hipError_tPvRmT3_T4_T5_T6_T7_T9_mT8_P12ihipStream_tbDpT10_ENKUlT_T0_E_clISt17integral_constantIbLb0EES16_IbLb1EEEEDaS12_S13_EUlS12_E_NS1_11comp_targetILNS1_3genE9ELNS1_11target_archE1100ELNS1_3gpuE3ELNS1_3repE0EEENS1_30default_config_static_selectorELNS0_4arch9wavefront6targetE0EEEvT1_.has_recursion, 0
	.set _ZN7rocprim17ROCPRIM_400000_NS6detail17trampoline_kernelINS0_14default_configENS1_25partition_config_selectorILNS1_17partition_subalgoE8EdNS0_10empty_typeEbEEZZNS1_14partition_implILS5_8ELb0ES3_jPKdPS6_PKS6_NS0_5tupleIJPdS6_EEENSE_IJSB_SB_EEENS0_18inequality_wrapperIN6hipcub16HIPCUB_304000_NS8EqualityEEEPlJS6_EEE10hipError_tPvRmT3_T4_T5_T6_T7_T9_mT8_P12ihipStream_tbDpT10_ENKUlT_T0_E_clISt17integral_constantIbLb0EES16_IbLb1EEEEDaS12_S13_EUlS12_E_NS1_11comp_targetILNS1_3genE9ELNS1_11target_archE1100ELNS1_3gpuE3ELNS1_3repE0EEENS1_30default_config_static_selectorELNS0_4arch9wavefront6targetE0EEEvT1_.has_indirect_call, 0
	.section	.AMDGPU.csdata,"",@progbits
; Kernel info:
; codeLenInByte = 0
; TotalNumSgprs: 0
; NumVgprs: 0
; ScratchSize: 0
; MemoryBound: 0
; FloatMode: 240
; IeeeMode: 1
; LDSByteSize: 0 bytes/workgroup (compile time only)
; SGPRBlocks: 0
; VGPRBlocks: 0
; NumSGPRsForWavesPerEU: 1
; NumVGPRsForWavesPerEU: 1
; NamedBarCnt: 0
; Occupancy: 16
; WaveLimiterHint : 0
; COMPUTE_PGM_RSRC2:SCRATCH_EN: 0
; COMPUTE_PGM_RSRC2:USER_SGPR: 2
; COMPUTE_PGM_RSRC2:TRAP_HANDLER: 0
; COMPUTE_PGM_RSRC2:TGID_X_EN: 1
; COMPUTE_PGM_RSRC2:TGID_Y_EN: 0
; COMPUTE_PGM_RSRC2:TGID_Z_EN: 0
; COMPUTE_PGM_RSRC2:TIDIG_COMP_CNT: 0
	.section	.text._ZN7rocprim17ROCPRIM_400000_NS6detail17trampoline_kernelINS0_14default_configENS1_25partition_config_selectorILNS1_17partition_subalgoE8EdNS0_10empty_typeEbEEZZNS1_14partition_implILS5_8ELb0ES3_jPKdPS6_PKS6_NS0_5tupleIJPdS6_EEENSE_IJSB_SB_EEENS0_18inequality_wrapperIN6hipcub16HIPCUB_304000_NS8EqualityEEEPlJS6_EEE10hipError_tPvRmT3_T4_T5_T6_T7_T9_mT8_P12ihipStream_tbDpT10_ENKUlT_T0_E_clISt17integral_constantIbLb0EES16_IbLb1EEEEDaS12_S13_EUlS12_E_NS1_11comp_targetILNS1_3genE8ELNS1_11target_archE1030ELNS1_3gpuE2ELNS1_3repE0EEENS1_30default_config_static_selectorELNS0_4arch9wavefront6targetE0EEEvT1_,"axG",@progbits,_ZN7rocprim17ROCPRIM_400000_NS6detail17trampoline_kernelINS0_14default_configENS1_25partition_config_selectorILNS1_17partition_subalgoE8EdNS0_10empty_typeEbEEZZNS1_14partition_implILS5_8ELb0ES3_jPKdPS6_PKS6_NS0_5tupleIJPdS6_EEENSE_IJSB_SB_EEENS0_18inequality_wrapperIN6hipcub16HIPCUB_304000_NS8EqualityEEEPlJS6_EEE10hipError_tPvRmT3_T4_T5_T6_T7_T9_mT8_P12ihipStream_tbDpT10_ENKUlT_T0_E_clISt17integral_constantIbLb0EES16_IbLb1EEEEDaS12_S13_EUlS12_E_NS1_11comp_targetILNS1_3genE8ELNS1_11target_archE1030ELNS1_3gpuE2ELNS1_3repE0EEENS1_30default_config_static_selectorELNS0_4arch9wavefront6targetE0EEEvT1_,comdat
	.protected	_ZN7rocprim17ROCPRIM_400000_NS6detail17trampoline_kernelINS0_14default_configENS1_25partition_config_selectorILNS1_17partition_subalgoE8EdNS0_10empty_typeEbEEZZNS1_14partition_implILS5_8ELb0ES3_jPKdPS6_PKS6_NS0_5tupleIJPdS6_EEENSE_IJSB_SB_EEENS0_18inequality_wrapperIN6hipcub16HIPCUB_304000_NS8EqualityEEEPlJS6_EEE10hipError_tPvRmT3_T4_T5_T6_T7_T9_mT8_P12ihipStream_tbDpT10_ENKUlT_T0_E_clISt17integral_constantIbLb0EES16_IbLb1EEEEDaS12_S13_EUlS12_E_NS1_11comp_targetILNS1_3genE8ELNS1_11target_archE1030ELNS1_3gpuE2ELNS1_3repE0EEENS1_30default_config_static_selectorELNS0_4arch9wavefront6targetE0EEEvT1_ ; -- Begin function _ZN7rocprim17ROCPRIM_400000_NS6detail17trampoline_kernelINS0_14default_configENS1_25partition_config_selectorILNS1_17partition_subalgoE8EdNS0_10empty_typeEbEEZZNS1_14partition_implILS5_8ELb0ES3_jPKdPS6_PKS6_NS0_5tupleIJPdS6_EEENSE_IJSB_SB_EEENS0_18inequality_wrapperIN6hipcub16HIPCUB_304000_NS8EqualityEEEPlJS6_EEE10hipError_tPvRmT3_T4_T5_T6_T7_T9_mT8_P12ihipStream_tbDpT10_ENKUlT_T0_E_clISt17integral_constantIbLb0EES16_IbLb1EEEEDaS12_S13_EUlS12_E_NS1_11comp_targetILNS1_3genE8ELNS1_11target_archE1030ELNS1_3gpuE2ELNS1_3repE0EEENS1_30default_config_static_selectorELNS0_4arch9wavefront6targetE0EEEvT1_
	.globl	_ZN7rocprim17ROCPRIM_400000_NS6detail17trampoline_kernelINS0_14default_configENS1_25partition_config_selectorILNS1_17partition_subalgoE8EdNS0_10empty_typeEbEEZZNS1_14partition_implILS5_8ELb0ES3_jPKdPS6_PKS6_NS0_5tupleIJPdS6_EEENSE_IJSB_SB_EEENS0_18inequality_wrapperIN6hipcub16HIPCUB_304000_NS8EqualityEEEPlJS6_EEE10hipError_tPvRmT3_T4_T5_T6_T7_T9_mT8_P12ihipStream_tbDpT10_ENKUlT_T0_E_clISt17integral_constantIbLb0EES16_IbLb1EEEEDaS12_S13_EUlS12_E_NS1_11comp_targetILNS1_3genE8ELNS1_11target_archE1030ELNS1_3gpuE2ELNS1_3repE0EEENS1_30default_config_static_selectorELNS0_4arch9wavefront6targetE0EEEvT1_
	.p2align	8
	.type	_ZN7rocprim17ROCPRIM_400000_NS6detail17trampoline_kernelINS0_14default_configENS1_25partition_config_selectorILNS1_17partition_subalgoE8EdNS0_10empty_typeEbEEZZNS1_14partition_implILS5_8ELb0ES3_jPKdPS6_PKS6_NS0_5tupleIJPdS6_EEENSE_IJSB_SB_EEENS0_18inequality_wrapperIN6hipcub16HIPCUB_304000_NS8EqualityEEEPlJS6_EEE10hipError_tPvRmT3_T4_T5_T6_T7_T9_mT8_P12ihipStream_tbDpT10_ENKUlT_T0_E_clISt17integral_constantIbLb0EES16_IbLb1EEEEDaS12_S13_EUlS12_E_NS1_11comp_targetILNS1_3genE8ELNS1_11target_archE1030ELNS1_3gpuE2ELNS1_3repE0EEENS1_30default_config_static_selectorELNS0_4arch9wavefront6targetE0EEEvT1_,@function
_ZN7rocprim17ROCPRIM_400000_NS6detail17trampoline_kernelINS0_14default_configENS1_25partition_config_selectorILNS1_17partition_subalgoE8EdNS0_10empty_typeEbEEZZNS1_14partition_implILS5_8ELb0ES3_jPKdPS6_PKS6_NS0_5tupleIJPdS6_EEENSE_IJSB_SB_EEENS0_18inequality_wrapperIN6hipcub16HIPCUB_304000_NS8EqualityEEEPlJS6_EEE10hipError_tPvRmT3_T4_T5_T6_T7_T9_mT8_P12ihipStream_tbDpT10_ENKUlT_T0_E_clISt17integral_constantIbLb0EES16_IbLb1EEEEDaS12_S13_EUlS12_E_NS1_11comp_targetILNS1_3genE8ELNS1_11target_archE1030ELNS1_3gpuE2ELNS1_3repE0EEENS1_30default_config_static_selectorELNS0_4arch9wavefront6targetE0EEEvT1_: ; @_ZN7rocprim17ROCPRIM_400000_NS6detail17trampoline_kernelINS0_14default_configENS1_25partition_config_selectorILNS1_17partition_subalgoE8EdNS0_10empty_typeEbEEZZNS1_14partition_implILS5_8ELb0ES3_jPKdPS6_PKS6_NS0_5tupleIJPdS6_EEENSE_IJSB_SB_EEENS0_18inequality_wrapperIN6hipcub16HIPCUB_304000_NS8EqualityEEEPlJS6_EEE10hipError_tPvRmT3_T4_T5_T6_T7_T9_mT8_P12ihipStream_tbDpT10_ENKUlT_T0_E_clISt17integral_constantIbLb0EES16_IbLb1EEEEDaS12_S13_EUlS12_E_NS1_11comp_targetILNS1_3genE8ELNS1_11target_archE1030ELNS1_3gpuE2ELNS1_3repE0EEENS1_30default_config_static_selectorELNS0_4arch9wavefront6targetE0EEEvT1_
; %bb.0:
	.section	.rodata,"a",@progbits
	.p2align	6, 0x0
	.amdhsa_kernel _ZN7rocprim17ROCPRIM_400000_NS6detail17trampoline_kernelINS0_14default_configENS1_25partition_config_selectorILNS1_17partition_subalgoE8EdNS0_10empty_typeEbEEZZNS1_14partition_implILS5_8ELb0ES3_jPKdPS6_PKS6_NS0_5tupleIJPdS6_EEENSE_IJSB_SB_EEENS0_18inequality_wrapperIN6hipcub16HIPCUB_304000_NS8EqualityEEEPlJS6_EEE10hipError_tPvRmT3_T4_T5_T6_T7_T9_mT8_P12ihipStream_tbDpT10_ENKUlT_T0_E_clISt17integral_constantIbLb0EES16_IbLb1EEEEDaS12_S13_EUlS12_E_NS1_11comp_targetILNS1_3genE8ELNS1_11target_archE1030ELNS1_3gpuE2ELNS1_3repE0EEENS1_30default_config_static_selectorELNS0_4arch9wavefront6targetE0EEEvT1_
		.amdhsa_group_segment_fixed_size 0
		.amdhsa_private_segment_fixed_size 0
		.amdhsa_kernarg_size 128
		.amdhsa_user_sgpr_count 2
		.amdhsa_user_sgpr_dispatch_ptr 0
		.amdhsa_user_sgpr_queue_ptr 0
		.amdhsa_user_sgpr_kernarg_segment_ptr 1
		.amdhsa_user_sgpr_dispatch_id 0
		.amdhsa_user_sgpr_kernarg_preload_length 0
		.amdhsa_user_sgpr_kernarg_preload_offset 0
		.amdhsa_user_sgpr_private_segment_size 0
		.amdhsa_wavefront_size32 1
		.amdhsa_uses_dynamic_stack 0
		.amdhsa_enable_private_segment 0
		.amdhsa_system_sgpr_workgroup_id_x 1
		.amdhsa_system_sgpr_workgroup_id_y 0
		.amdhsa_system_sgpr_workgroup_id_z 0
		.amdhsa_system_sgpr_workgroup_info 0
		.amdhsa_system_vgpr_workitem_id 0
		.amdhsa_next_free_vgpr 1
		.amdhsa_next_free_sgpr 1
		.amdhsa_named_barrier_count 0
		.amdhsa_reserve_vcc 0
		.amdhsa_float_round_mode_32 0
		.amdhsa_float_round_mode_16_64 0
		.amdhsa_float_denorm_mode_32 3
		.amdhsa_float_denorm_mode_16_64 3
		.amdhsa_fp16_overflow 0
		.amdhsa_memory_ordered 1
		.amdhsa_forward_progress 1
		.amdhsa_inst_pref_size 0
		.amdhsa_round_robin_scheduling 0
		.amdhsa_exception_fp_ieee_invalid_op 0
		.amdhsa_exception_fp_denorm_src 0
		.amdhsa_exception_fp_ieee_div_zero 0
		.amdhsa_exception_fp_ieee_overflow 0
		.amdhsa_exception_fp_ieee_underflow 0
		.amdhsa_exception_fp_ieee_inexact 0
		.amdhsa_exception_int_div_zero 0
	.end_amdhsa_kernel
	.section	.text._ZN7rocprim17ROCPRIM_400000_NS6detail17trampoline_kernelINS0_14default_configENS1_25partition_config_selectorILNS1_17partition_subalgoE8EdNS0_10empty_typeEbEEZZNS1_14partition_implILS5_8ELb0ES3_jPKdPS6_PKS6_NS0_5tupleIJPdS6_EEENSE_IJSB_SB_EEENS0_18inequality_wrapperIN6hipcub16HIPCUB_304000_NS8EqualityEEEPlJS6_EEE10hipError_tPvRmT3_T4_T5_T6_T7_T9_mT8_P12ihipStream_tbDpT10_ENKUlT_T0_E_clISt17integral_constantIbLb0EES16_IbLb1EEEEDaS12_S13_EUlS12_E_NS1_11comp_targetILNS1_3genE8ELNS1_11target_archE1030ELNS1_3gpuE2ELNS1_3repE0EEENS1_30default_config_static_selectorELNS0_4arch9wavefront6targetE0EEEvT1_,"axG",@progbits,_ZN7rocprim17ROCPRIM_400000_NS6detail17trampoline_kernelINS0_14default_configENS1_25partition_config_selectorILNS1_17partition_subalgoE8EdNS0_10empty_typeEbEEZZNS1_14partition_implILS5_8ELb0ES3_jPKdPS6_PKS6_NS0_5tupleIJPdS6_EEENSE_IJSB_SB_EEENS0_18inequality_wrapperIN6hipcub16HIPCUB_304000_NS8EqualityEEEPlJS6_EEE10hipError_tPvRmT3_T4_T5_T6_T7_T9_mT8_P12ihipStream_tbDpT10_ENKUlT_T0_E_clISt17integral_constantIbLb0EES16_IbLb1EEEEDaS12_S13_EUlS12_E_NS1_11comp_targetILNS1_3genE8ELNS1_11target_archE1030ELNS1_3gpuE2ELNS1_3repE0EEENS1_30default_config_static_selectorELNS0_4arch9wavefront6targetE0EEEvT1_,comdat
.Lfunc_end303:
	.size	_ZN7rocprim17ROCPRIM_400000_NS6detail17trampoline_kernelINS0_14default_configENS1_25partition_config_selectorILNS1_17partition_subalgoE8EdNS0_10empty_typeEbEEZZNS1_14partition_implILS5_8ELb0ES3_jPKdPS6_PKS6_NS0_5tupleIJPdS6_EEENSE_IJSB_SB_EEENS0_18inequality_wrapperIN6hipcub16HIPCUB_304000_NS8EqualityEEEPlJS6_EEE10hipError_tPvRmT3_T4_T5_T6_T7_T9_mT8_P12ihipStream_tbDpT10_ENKUlT_T0_E_clISt17integral_constantIbLb0EES16_IbLb1EEEEDaS12_S13_EUlS12_E_NS1_11comp_targetILNS1_3genE8ELNS1_11target_archE1030ELNS1_3gpuE2ELNS1_3repE0EEENS1_30default_config_static_selectorELNS0_4arch9wavefront6targetE0EEEvT1_, .Lfunc_end303-_ZN7rocprim17ROCPRIM_400000_NS6detail17trampoline_kernelINS0_14default_configENS1_25partition_config_selectorILNS1_17partition_subalgoE8EdNS0_10empty_typeEbEEZZNS1_14partition_implILS5_8ELb0ES3_jPKdPS6_PKS6_NS0_5tupleIJPdS6_EEENSE_IJSB_SB_EEENS0_18inequality_wrapperIN6hipcub16HIPCUB_304000_NS8EqualityEEEPlJS6_EEE10hipError_tPvRmT3_T4_T5_T6_T7_T9_mT8_P12ihipStream_tbDpT10_ENKUlT_T0_E_clISt17integral_constantIbLb0EES16_IbLb1EEEEDaS12_S13_EUlS12_E_NS1_11comp_targetILNS1_3genE8ELNS1_11target_archE1030ELNS1_3gpuE2ELNS1_3repE0EEENS1_30default_config_static_selectorELNS0_4arch9wavefront6targetE0EEEvT1_
                                        ; -- End function
	.set _ZN7rocprim17ROCPRIM_400000_NS6detail17trampoline_kernelINS0_14default_configENS1_25partition_config_selectorILNS1_17partition_subalgoE8EdNS0_10empty_typeEbEEZZNS1_14partition_implILS5_8ELb0ES3_jPKdPS6_PKS6_NS0_5tupleIJPdS6_EEENSE_IJSB_SB_EEENS0_18inequality_wrapperIN6hipcub16HIPCUB_304000_NS8EqualityEEEPlJS6_EEE10hipError_tPvRmT3_T4_T5_T6_T7_T9_mT8_P12ihipStream_tbDpT10_ENKUlT_T0_E_clISt17integral_constantIbLb0EES16_IbLb1EEEEDaS12_S13_EUlS12_E_NS1_11comp_targetILNS1_3genE8ELNS1_11target_archE1030ELNS1_3gpuE2ELNS1_3repE0EEENS1_30default_config_static_selectorELNS0_4arch9wavefront6targetE0EEEvT1_.num_vgpr, 0
	.set _ZN7rocprim17ROCPRIM_400000_NS6detail17trampoline_kernelINS0_14default_configENS1_25partition_config_selectorILNS1_17partition_subalgoE8EdNS0_10empty_typeEbEEZZNS1_14partition_implILS5_8ELb0ES3_jPKdPS6_PKS6_NS0_5tupleIJPdS6_EEENSE_IJSB_SB_EEENS0_18inequality_wrapperIN6hipcub16HIPCUB_304000_NS8EqualityEEEPlJS6_EEE10hipError_tPvRmT3_T4_T5_T6_T7_T9_mT8_P12ihipStream_tbDpT10_ENKUlT_T0_E_clISt17integral_constantIbLb0EES16_IbLb1EEEEDaS12_S13_EUlS12_E_NS1_11comp_targetILNS1_3genE8ELNS1_11target_archE1030ELNS1_3gpuE2ELNS1_3repE0EEENS1_30default_config_static_selectorELNS0_4arch9wavefront6targetE0EEEvT1_.num_agpr, 0
	.set _ZN7rocprim17ROCPRIM_400000_NS6detail17trampoline_kernelINS0_14default_configENS1_25partition_config_selectorILNS1_17partition_subalgoE8EdNS0_10empty_typeEbEEZZNS1_14partition_implILS5_8ELb0ES3_jPKdPS6_PKS6_NS0_5tupleIJPdS6_EEENSE_IJSB_SB_EEENS0_18inequality_wrapperIN6hipcub16HIPCUB_304000_NS8EqualityEEEPlJS6_EEE10hipError_tPvRmT3_T4_T5_T6_T7_T9_mT8_P12ihipStream_tbDpT10_ENKUlT_T0_E_clISt17integral_constantIbLb0EES16_IbLb1EEEEDaS12_S13_EUlS12_E_NS1_11comp_targetILNS1_3genE8ELNS1_11target_archE1030ELNS1_3gpuE2ELNS1_3repE0EEENS1_30default_config_static_selectorELNS0_4arch9wavefront6targetE0EEEvT1_.numbered_sgpr, 0
	.set _ZN7rocprim17ROCPRIM_400000_NS6detail17trampoline_kernelINS0_14default_configENS1_25partition_config_selectorILNS1_17partition_subalgoE8EdNS0_10empty_typeEbEEZZNS1_14partition_implILS5_8ELb0ES3_jPKdPS6_PKS6_NS0_5tupleIJPdS6_EEENSE_IJSB_SB_EEENS0_18inequality_wrapperIN6hipcub16HIPCUB_304000_NS8EqualityEEEPlJS6_EEE10hipError_tPvRmT3_T4_T5_T6_T7_T9_mT8_P12ihipStream_tbDpT10_ENKUlT_T0_E_clISt17integral_constantIbLb0EES16_IbLb1EEEEDaS12_S13_EUlS12_E_NS1_11comp_targetILNS1_3genE8ELNS1_11target_archE1030ELNS1_3gpuE2ELNS1_3repE0EEENS1_30default_config_static_selectorELNS0_4arch9wavefront6targetE0EEEvT1_.num_named_barrier, 0
	.set _ZN7rocprim17ROCPRIM_400000_NS6detail17trampoline_kernelINS0_14default_configENS1_25partition_config_selectorILNS1_17partition_subalgoE8EdNS0_10empty_typeEbEEZZNS1_14partition_implILS5_8ELb0ES3_jPKdPS6_PKS6_NS0_5tupleIJPdS6_EEENSE_IJSB_SB_EEENS0_18inequality_wrapperIN6hipcub16HIPCUB_304000_NS8EqualityEEEPlJS6_EEE10hipError_tPvRmT3_T4_T5_T6_T7_T9_mT8_P12ihipStream_tbDpT10_ENKUlT_T0_E_clISt17integral_constantIbLb0EES16_IbLb1EEEEDaS12_S13_EUlS12_E_NS1_11comp_targetILNS1_3genE8ELNS1_11target_archE1030ELNS1_3gpuE2ELNS1_3repE0EEENS1_30default_config_static_selectorELNS0_4arch9wavefront6targetE0EEEvT1_.private_seg_size, 0
	.set _ZN7rocprim17ROCPRIM_400000_NS6detail17trampoline_kernelINS0_14default_configENS1_25partition_config_selectorILNS1_17partition_subalgoE8EdNS0_10empty_typeEbEEZZNS1_14partition_implILS5_8ELb0ES3_jPKdPS6_PKS6_NS0_5tupleIJPdS6_EEENSE_IJSB_SB_EEENS0_18inequality_wrapperIN6hipcub16HIPCUB_304000_NS8EqualityEEEPlJS6_EEE10hipError_tPvRmT3_T4_T5_T6_T7_T9_mT8_P12ihipStream_tbDpT10_ENKUlT_T0_E_clISt17integral_constantIbLb0EES16_IbLb1EEEEDaS12_S13_EUlS12_E_NS1_11comp_targetILNS1_3genE8ELNS1_11target_archE1030ELNS1_3gpuE2ELNS1_3repE0EEENS1_30default_config_static_selectorELNS0_4arch9wavefront6targetE0EEEvT1_.uses_vcc, 0
	.set _ZN7rocprim17ROCPRIM_400000_NS6detail17trampoline_kernelINS0_14default_configENS1_25partition_config_selectorILNS1_17partition_subalgoE8EdNS0_10empty_typeEbEEZZNS1_14partition_implILS5_8ELb0ES3_jPKdPS6_PKS6_NS0_5tupleIJPdS6_EEENSE_IJSB_SB_EEENS0_18inequality_wrapperIN6hipcub16HIPCUB_304000_NS8EqualityEEEPlJS6_EEE10hipError_tPvRmT3_T4_T5_T6_T7_T9_mT8_P12ihipStream_tbDpT10_ENKUlT_T0_E_clISt17integral_constantIbLb0EES16_IbLb1EEEEDaS12_S13_EUlS12_E_NS1_11comp_targetILNS1_3genE8ELNS1_11target_archE1030ELNS1_3gpuE2ELNS1_3repE0EEENS1_30default_config_static_selectorELNS0_4arch9wavefront6targetE0EEEvT1_.uses_flat_scratch, 0
	.set _ZN7rocprim17ROCPRIM_400000_NS6detail17trampoline_kernelINS0_14default_configENS1_25partition_config_selectorILNS1_17partition_subalgoE8EdNS0_10empty_typeEbEEZZNS1_14partition_implILS5_8ELb0ES3_jPKdPS6_PKS6_NS0_5tupleIJPdS6_EEENSE_IJSB_SB_EEENS0_18inequality_wrapperIN6hipcub16HIPCUB_304000_NS8EqualityEEEPlJS6_EEE10hipError_tPvRmT3_T4_T5_T6_T7_T9_mT8_P12ihipStream_tbDpT10_ENKUlT_T0_E_clISt17integral_constantIbLb0EES16_IbLb1EEEEDaS12_S13_EUlS12_E_NS1_11comp_targetILNS1_3genE8ELNS1_11target_archE1030ELNS1_3gpuE2ELNS1_3repE0EEENS1_30default_config_static_selectorELNS0_4arch9wavefront6targetE0EEEvT1_.has_dyn_sized_stack, 0
	.set _ZN7rocprim17ROCPRIM_400000_NS6detail17trampoline_kernelINS0_14default_configENS1_25partition_config_selectorILNS1_17partition_subalgoE8EdNS0_10empty_typeEbEEZZNS1_14partition_implILS5_8ELb0ES3_jPKdPS6_PKS6_NS0_5tupleIJPdS6_EEENSE_IJSB_SB_EEENS0_18inequality_wrapperIN6hipcub16HIPCUB_304000_NS8EqualityEEEPlJS6_EEE10hipError_tPvRmT3_T4_T5_T6_T7_T9_mT8_P12ihipStream_tbDpT10_ENKUlT_T0_E_clISt17integral_constantIbLb0EES16_IbLb1EEEEDaS12_S13_EUlS12_E_NS1_11comp_targetILNS1_3genE8ELNS1_11target_archE1030ELNS1_3gpuE2ELNS1_3repE0EEENS1_30default_config_static_selectorELNS0_4arch9wavefront6targetE0EEEvT1_.has_recursion, 0
	.set _ZN7rocprim17ROCPRIM_400000_NS6detail17trampoline_kernelINS0_14default_configENS1_25partition_config_selectorILNS1_17partition_subalgoE8EdNS0_10empty_typeEbEEZZNS1_14partition_implILS5_8ELb0ES3_jPKdPS6_PKS6_NS0_5tupleIJPdS6_EEENSE_IJSB_SB_EEENS0_18inequality_wrapperIN6hipcub16HIPCUB_304000_NS8EqualityEEEPlJS6_EEE10hipError_tPvRmT3_T4_T5_T6_T7_T9_mT8_P12ihipStream_tbDpT10_ENKUlT_T0_E_clISt17integral_constantIbLb0EES16_IbLb1EEEEDaS12_S13_EUlS12_E_NS1_11comp_targetILNS1_3genE8ELNS1_11target_archE1030ELNS1_3gpuE2ELNS1_3repE0EEENS1_30default_config_static_selectorELNS0_4arch9wavefront6targetE0EEEvT1_.has_indirect_call, 0
	.section	.AMDGPU.csdata,"",@progbits
; Kernel info:
; codeLenInByte = 0
; TotalNumSgprs: 0
; NumVgprs: 0
; ScratchSize: 0
; MemoryBound: 0
; FloatMode: 240
; IeeeMode: 1
; LDSByteSize: 0 bytes/workgroup (compile time only)
; SGPRBlocks: 0
; VGPRBlocks: 0
; NumSGPRsForWavesPerEU: 1
; NumVGPRsForWavesPerEU: 1
; NamedBarCnt: 0
; Occupancy: 16
; WaveLimiterHint : 0
; COMPUTE_PGM_RSRC2:SCRATCH_EN: 0
; COMPUTE_PGM_RSRC2:USER_SGPR: 2
; COMPUTE_PGM_RSRC2:TRAP_HANDLER: 0
; COMPUTE_PGM_RSRC2:TGID_X_EN: 1
; COMPUTE_PGM_RSRC2:TGID_Y_EN: 0
; COMPUTE_PGM_RSRC2:TGID_Z_EN: 0
; COMPUTE_PGM_RSRC2:TIDIG_COMP_CNT: 0
	.section	.text._ZN7rocprim17ROCPRIM_400000_NS6detail17trampoline_kernelINS0_14default_configENS1_33run_length_encode_config_selectorIdjNS0_4plusIjEEEEZZNS1_33reduce_by_key_impl_wrapped_configILNS1_25lookback_scan_determinismE0ES3_S7_PKdNS0_17constant_iteratorIjlEEPdPlSF_S6_NS0_8equal_toIdEEEE10hipError_tPvRmT2_T3_mT4_T5_T6_T7_T8_P12ihipStream_tbENKUlT_T0_E_clISt17integral_constantIbLb0EESZ_EEDaSU_SV_EUlSU_E_NS1_11comp_targetILNS1_3genE0ELNS1_11target_archE4294967295ELNS1_3gpuE0ELNS1_3repE0EEENS1_30default_config_static_selectorELNS0_4arch9wavefront6targetE0EEEvT1_,"axG",@progbits,_ZN7rocprim17ROCPRIM_400000_NS6detail17trampoline_kernelINS0_14default_configENS1_33run_length_encode_config_selectorIdjNS0_4plusIjEEEEZZNS1_33reduce_by_key_impl_wrapped_configILNS1_25lookback_scan_determinismE0ES3_S7_PKdNS0_17constant_iteratorIjlEEPdPlSF_S6_NS0_8equal_toIdEEEE10hipError_tPvRmT2_T3_mT4_T5_T6_T7_T8_P12ihipStream_tbENKUlT_T0_E_clISt17integral_constantIbLb0EESZ_EEDaSU_SV_EUlSU_E_NS1_11comp_targetILNS1_3genE0ELNS1_11target_archE4294967295ELNS1_3gpuE0ELNS1_3repE0EEENS1_30default_config_static_selectorELNS0_4arch9wavefront6targetE0EEEvT1_,comdat
	.protected	_ZN7rocprim17ROCPRIM_400000_NS6detail17trampoline_kernelINS0_14default_configENS1_33run_length_encode_config_selectorIdjNS0_4plusIjEEEEZZNS1_33reduce_by_key_impl_wrapped_configILNS1_25lookback_scan_determinismE0ES3_S7_PKdNS0_17constant_iteratorIjlEEPdPlSF_S6_NS0_8equal_toIdEEEE10hipError_tPvRmT2_T3_mT4_T5_T6_T7_T8_P12ihipStream_tbENKUlT_T0_E_clISt17integral_constantIbLb0EESZ_EEDaSU_SV_EUlSU_E_NS1_11comp_targetILNS1_3genE0ELNS1_11target_archE4294967295ELNS1_3gpuE0ELNS1_3repE0EEENS1_30default_config_static_selectorELNS0_4arch9wavefront6targetE0EEEvT1_ ; -- Begin function _ZN7rocprim17ROCPRIM_400000_NS6detail17trampoline_kernelINS0_14default_configENS1_33run_length_encode_config_selectorIdjNS0_4plusIjEEEEZZNS1_33reduce_by_key_impl_wrapped_configILNS1_25lookback_scan_determinismE0ES3_S7_PKdNS0_17constant_iteratorIjlEEPdPlSF_S6_NS0_8equal_toIdEEEE10hipError_tPvRmT2_T3_mT4_T5_T6_T7_T8_P12ihipStream_tbENKUlT_T0_E_clISt17integral_constantIbLb0EESZ_EEDaSU_SV_EUlSU_E_NS1_11comp_targetILNS1_3genE0ELNS1_11target_archE4294967295ELNS1_3gpuE0ELNS1_3repE0EEENS1_30default_config_static_selectorELNS0_4arch9wavefront6targetE0EEEvT1_
	.globl	_ZN7rocprim17ROCPRIM_400000_NS6detail17trampoline_kernelINS0_14default_configENS1_33run_length_encode_config_selectorIdjNS0_4plusIjEEEEZZNS1_33reduce_by_key_impl_wrapped_configILNS1_25lookback_scan_determinismE0ES3_S7_PKdNS0_17constant_iteratorIjlEEPdPlSF_S6_NS0_8equal_toIdEEEE10hipError_tPvRmT2_T3_mT4_T5_T6_T7_T8_P12ihipStream_tbENKUlT_T0_E_clISt17integral_constantIbLb0EESZ_EEDaSU_SV_EUlSU_E_NS1_11comp_targetILNS1_3genE0ELNS1_11target_archE4294967295ELNS1_3gpuE0ELNS1_3repE0EEENS1_30default_config_static_selectorELNS0_4arch9wavefront6targetE0EEEvT1_
	.p2align	8
	.type	_ZN7rocprim17ROCPRIM_400000_NS6detail17trampoline_kernelINS0_14default_configENS1_33run_length_encode_config_selectorIdjNS0_4plusIjEEEEZZNS1_33reduce_by_key_impl_wrapped_configILNS1_25lookback_scan_determinismE0ES3_S7_PKdNS0_17constant_iteratorIjlEEPdPlSF_S6_NS0_8equal_toIdEEEE10hipError_tPvRmT2_T3_mT4_T5_T6_T7_T8_P12ihipStream_tbENKUlT_T0_E_clISt17integral_constantIbLb0EESZ_EEDaSU_SV_EUlSU_E_NS1_11comp_targetILNS1_3genE0ELNS1_11target_archE4294967295ELNS1_3gpuE0ELNS1_3repE0EEENS1_30default_config_static_selectorELNS0_4arch9wavefront6targetE0EEEvT1_,@function
_ZN7rocprim17ROCPRIM_400000_NS6detail17trampoline_kernelINS0_14default_configENS1_33run_length_encode_config_selectorIdjNS0_4plusIjEEEEZZNS1_33reduce_by_key_impl_wrapped_configILNS1_25lookback_scan_determinismE0ES3_S7_PKdNS0_17constant_iteratorIjlEEPdPlSF_S6_NS0_8equal_toIdEEEE10hipError_tPvRmT2_T3_mT4_T5_T6_T7_T8_P12ihipStream_tbENKUlT_T0_E_clISt17integral_constantIbLb0EESZ_EEDaSU_SV_EUlSU_E_NS1_11comp_targetILNS1_3genE0ELNS1_11target_archE4294967295ELNS1_3gpuE0ELNS1_3repE0EEENS1_30default_config_static_selectorELNS0_4arch9wavefront6targetE0EEEvT1_: ; @_ZN7rocprim17ROCPRIM_400000_NS6detail17trampoline_kernelINS0_14default_configENS1_33run_length_encode_config_selectorIdjNS0_4plusIjEEEEZZNS1_33reduce_by_key_impl_wrapped_configILNS1_25lookback_scan_determinismE0ES3_S7_PKdNS0_17constant_iteratorIjlEEPdPlSF_S6_NS0_8equal_toIdEEEE10hipError_tPvRmT2_T3_mT4_T5_T6_T7_T8_P12ihipStream_tbENKUlT_T0_E_clISt17integral_constantIbLb0EESZ_EEDaSU_SV_EUlSU_E_NS1_11comp_targetILNS1_3genE0ELNS1_11target_archE4294967295ELNS1_3gpuE0ELNS1_3repE0EEENS1_30default_config_static_selectorELNS0_4arch9wavefront6targetE0EEEvT1_
; %bb.0:
	s_clause 0x1
	s_load_b128 s[8:11], s[0:1], 0x0
	s_load_b256 s[24:31], s[0:1], 0x40
	s_bfe_u32 s5, ttmp6, 0x4000c
	s_clause 0x1
	s_load_b32 s4, s[0:1], 0x10
	s_load_b128 s[20:23], s[0:1], 0x60
	s_add_co_i32 s5, s5, 1
	s_and_b32 s2, ttmp6, 15
	s_mul_i32 s5, ttmp9, s5
	s_getreg_b32 s12, hwreg(HW_REG_IB_STS2, 6, 4)
	s_add_co_i32 s2, s2, s5
	s_mov_b32 s3, 0
	s_delay_alu instid0(SALU_CYCLE_1)
	s_mov_b32 s35, s3
	s_wait_kmcnt 0x0
	s_lshl_b64 s[6:7], s[10:11], 3
	s_cmp_eq_u32 s12, 0
	s_mul_u64 s[10:11], s[28:29], s[26:27]
	s_cselect_b32 s34, ttmp9, s2
	s_add_nc_u64 s[12:13], s[30:31], -1
	s_mul_i32 s2, s34, 0xf00
	s_add_nc_u64 s[30:31], s[10:11], s[34:35]
	s_lshl_b64 s[10:11], s[2:3], 3
	s_cmp_eq_u64 s[30:31], s[12:13]
	s_add_nc_u64 s[6:7], s[8:9], s[6:7]
	s_cselect_b32 s33, -1, 0
	s_cmp_lg_u64 s[30:31], s[12:13]
	s_add_nc_u64 s[18:19], s[6:7], s[10:11]
	s_cselect_b32 s2, -1, 0
	s_and_b32 vcc_lo, exec_lo, s33
	s_mul_i32 s35, s12, 0xfffff100
	s_cbranch_vccnz .LBB304_2
; %bb.1:
	s_clause 0xe
	global_load_b64 v[2:3], v0, s[18:19] scale_offset
	global_load_b64 v[4:5], v0, s[18:19] offset:2048 scale_offset
	global_load_b64 v[6:7], v0, s[18:19] offset:4096 scale_offset
	;; [unrolled: 1-line block ×14, first 2 shown]
	v_lshlrev_b32_e32 v1, 3, v0
	s_mov_b32 s5, 0
	s_mov_b32 s3, -1
	s_wait_loadcnt 0xd
	ds_store_2addr_stride64_b64 v1, v[2:3], v[4:5] offset1:4
	s_wait_loadcnt 0xb
	ds_store_2addr_stride64_b64 v1, v[6:7], v[8:9] offset0:8 offset1:12
	s_wait_loadcnt 0x9
	ds_store_2addr_stride64_b64 v1, v[10:11], v[12:13] offset0:16 offset1:20
	;; [unrolled: 2-line block ×6, first 2 shown]
	s_wait_loadcnt 0x0
	ds_store_b64 v1, v[30:31] offset:28672
	v_mad_u32_u24 v32, 0x70, v0, v1
	s_wait_dscnt 0x0
	s_barrier_signal -1
	s_barrier_wait -1
	ds_load_2addr_b64 v[26:29], v32 offset1:1
	ds_load_2addr_b64 v[22:25], v32 offset0:2 offset1:3
	ds_load_2addr_b64 v[18:21], v32 offset0:4 offset1:5
	ds_load_2addr_b64 v[14:17], v32 offset0:6 offset1:7
	ds_load_2addr_b64 v[10:13], v32 offset0:8 offset1:9
	ds_load_2addr_b64 v[6:9], v32 offset0:10 offset1:11
	ds_load_2addr_b64 v[2:5], v32 offset0:12 offset1:13
	ds_load_b64 v[42:43], v32 offset:112
	s_wait_dscnt 0x7
	v_dual_mov_b32 v30, v26 :: v_dual_mov_b32 v31, v27
	s_wait_dscnt 0x6
	v_dual_mov_b32 v32, v22 :: v_dual_mov_b32 v33, v23
	;; [unrolled: 2-line block ×7, first 2 shown]
	s_branch .LBB304_3
.LBB304_2:
	s_mov_b32 s5, -1
                                        ; implicit-def: $vgpr42_vgpr43
                                        ; implicit-def: $vgpr2_vgpr3
                                        ; implicit-def: $vgpr6_vgpr7
                                        ; implicit-def: $vgpr10_vgpr11
                                        ; implicit-def: $vgpr14_vgpr15
                                        ; implicit-def: $vgpr18_vgpr19
                                        ; implicit-def: $vgpr22_vgpr23
                                        ; implicit-def: $vgpr26_vgpr27
                                        ; implicit-def: $vgpr38_vgpr39_vgpr40_vgpr41
                                        ; implicit-def: $vgpr34_vgpr35_vgpr36_vgpr37
                                        ; implicit-def: $vgpr30_vgpr31_vgpr32_vgpr33
                                        ; implicit-def: $vgpr44_vgpr45
.LBB304_3:
	v_dual_mov_b32 v68, s4 :: v_dual_mov_b32 v69, s4
	v_dual_mov_b32 v70, s4 :: v_dual_mov_b32 v71, s4
	;; [unrolled: 1-line block ×7, first 2 shown]
	s_and_not1_b32 vcc_lo, exec_lo, s5
	s_add_co_i32 s35, s35, s20
                                        ; implicit-def: $vgpr95
	s_cbranch_vccnz .LBB304_35
; %bb.4:
	s_mov_b32 s3, exec_lo
                                        ; implicit-def: $vgpr2_vgpr3
	v_cmpx_gt_u32_e64 s35, v0
	s_cbranch_execz .LBB304_6
; %bb.5:
	global_load_b64 v[2:3], v0, s[18:19] scale_offset
.LBB304_6:
	s_wait_xcnt 0x0
	s_or_b32 exec_lo, exec_lo, s3
	v_or_b32_e32 v1, 0x100, v0
	s_mov_b32 s3, exec_lo
                                        ; implicit-def: $vgpr4_vgpr5
	s_delay_alu instid0(VALU_DEP_1)
	v_cmpx_gt_u32_e64 s35, v1
	s_cbranch_execz .LBB304_8
; %bb.7:
	global_load_b64 v[4:5], v0, s[18:19] offset:2048 scale_offset
.LBB304_8:
	s_wait_xcnt 0x0
	s_or_b32 exec_lo, exec_lo, s3
	v_or_b32_e32 v1, 0x200, v0
	s_mov_b32 s3, exec_lo
                                        ; implicit-def: $vgpr6_vgpr7
	s_delay_alu instid0(VALU_DEP_1)
	v_cmpx_gt_u32_e64 s35, v1
	s_cbranch_execz .LBB304_10
; %bb.9:
	global_load_b64 v[6:7], v0, s[18:19] offset:4096 scale_offset
.LBB304_10:
	s_wait_xcnt 0x0
	s_or_b32 exec_lo, exec_lo, s3
	v_or_b32_e32 v1, 0x300, v0
	s_mov_b32 s3, exec_lo
                                        ; implicit-def: $vgpr8_vgpr9
	s_delay_alu instid0(VALU_DEP_1)
	v_cmpx_gt_u32_e64 s35, v1
	s_cbranch_execz .LBB304_12
; %bb.11:
	global_load_b64 v[8:9], v0, s[18:19] offset:6144 scale_offset
.LBB304_12:
	s_wait_xcnt 0x0
	s_or_b32 exec_lo, exec_lo, s3
	v_or_b32_e32 v1, 0x400, v0
	s_mov_b32 s3, exec_lo
                                        ; implicit-def: $vgpr10_vgpr11
	s_delay_alu instid0(VALU_DEP_1)
	v_cmpx_gt_u32_e64 s35, v1
	s_cbranch_execz .LBB304_14
; %bb.13:
	global_load_b64 v[10:11], v0, s[18:19] offset:8192 scale_offset
.LBB304_14:
	s_wait_xcnt 0x0
	s_or_b32 exec_lo, exec_lo, s3
	v_or_b32_e32 v1, 0x500, v0
	s_mov_b32 s3, exec_lo
                                        ; implicit-def: $vgpr12_vgpr13
	s_delay_alu instid0(VALU_DEP_1)
	v_cmpx_gt_u32_e64 s35, v1
	s_cbranch_execz .LBB304_16
; %bb.15:
	global_load_b64 v[12:13], v0, s[18:19] offset:10240 scale_offset
.LBB304_16:
	s_wait_xcnt 0x0
	s_or_b32 exec_lo, exec_lo, s3
	v_or_b32_e32 v1, 0x600, v0
	s_mov_b32 s3, exec_lo
                                        ; implicit-def: $vgpr14_vgpr15
	s_delay_alu instid0(VALU_DEP_1)
	v_cmpx_gt_u32_e64 s35, v1
	s_cbranch_execz .LBB304_18
; %bb.17:
	global_load_b64 v[14:15], v0, s[18:19] offset:12288 scale_offset
.LBB304_18:
	s_wait_xcnt 0x0
	s_or_b32 exec_lo, exec_lo, s3
	v_or_b32_e32 v1, 0x700, v0
	s_mov_b32 s3, exec_lo
                                        ; implicit-def: $vgpr16_vgpr17
	s_delay_alu instid0(VALU_DEP_1)
	v_cmpx_gt_u32_e64 s35, v1
	s_cbranch_execz .LBB304_20
; %bb.19:
	global_load_b64 v[16:17], v0, s[18:19] offset:14336 scale_offset
.LBB304_20:
	s_wait_xcnt 0x0
	s_or_b32 exec_lo, exec_lo, s3
	v_or_b32_e32 v1, 0x800, v0
	s_mov_b32 s3, exec_lo
                                        ; implicit-def: $vgpr18_vgpr19
	s_delay_alu instid0(VALU_DEP_1)
	v_cmpx_gt_u32_e64 s35, v1
	s_cbranch_execz .LBB304_22
; %bb.21:
	global_load_b64 v[18:19], v0, s[18:19] offset:16384 scale_offset
.LBB304_22:
	s_wait_xcnt 0x0
	s_or_b32 exec_lo, exec_lo, s3
	v_or_b32_e32 v1, 0x900, v0
	s_mov_b32 s3, exec_lo
                                        ; implicit-def: $vgpr20_vgpr21
	s_delay_alu instid0(VALU_DEP_1)
	v_cmpx_gt_u32_e64 s35, v1
	s_cbranch_execz .LBB304_24
; %bb.23:
	global_load_b64 v[20:21], v0, s[18:19] offset:18432 scale_offset
.LBB304_24:
	s_wait_xcnt 0x0
	s_or_b32 exec_lo, exec_lo, s3
	v_or_b32_e32 v1, 0xa00, v0
	s_mov_b32 s3, exec_lo
                                        ; implicit-def: $vgpr22_vgpr23
	s_delay_alu instid0(VALU_DEP_1)
	v_cmpx_gt_u32_e64 s35, v1
	s_cbranch_execz .LBB304_26
; %bb.25:
	global_load_b64 v[22:23], v0, s[18:19] offset:20480 scale_offset
.LBB304_26:
	s_wait_xcnt 0x0
	s_or_b32 exec_lo, exec_lo, s3
	v_or_b32_e32 v1, 0xb00, v0
	s_mov_b32 s3, exec_lo
                                        ; implicit-def: $vgpr24_vgpr25
	s_delay_alu instid0(VALU_DEP_1)
	v_cmpx_gt_u32_e64 s35, v1
	s_cbranch_execz .LBB304_28
; %bb.27:
	global_load_b64 v[24:25], v0, s[18:19] offset:22528 scale_offset
.LBB304_28:
	s_wait_xcnt 0x0
	s_or_b32 exec_lo, exec_lo, s3
	v_or_b32_e32 v1, 0xc00, v0
	s_mov_b32 s3, exec_lo
                                        ; implicit-def: $vgpr26_vgpr27
	s_delay_alu instid0(VALU_DEP_1)
	v_cmpx_gt_u32_e64 s35, v1
	s_cbranch_execz .LBB304_30
; %bb.29:
	global_load_b64 v[26:27], v0, s[18:19] offset:24576 scale_offset
.LBB304_30:
	s_wait_xcnt 0x0
	s_or_b32 exec_lo, exec_lo, s3
	v_or_b32_e32 v1, 0xd00, v0
	s_mov_b32 s3, exec_lo
                                        ; implicit-def: $vgpr28_vgpr29
	s_delay_alu instid0(VALU_DEP_1)
	v_cmpx_gt_u32_e64 s35, v1
	s_cbranch_execz .LBB304_32
; %bb.31:
	global_load_b64 v[28:29], v0, s[18:19] offset:26624 scale_offset
.LBB304_32:
	s_wait_xcnt 0x0
	s_or_b32 exec_lo, exec_lo, s3
	v_or_b32_e32 v1, 0xe00, v0
	s_mov_b32 s3, exec_lo
                                        ; implicit-def: $vgpr30_vgpr31
	s_delay_alu instid0(VALU_DEP_1)
	v_cmpx_gt_u32_e64 s35, v1
	s_cbranch_execz .LBB304_34
; %bb.33:
	global_load_b64 v[30:31], v0, s[18:19] offset:28672 scale_offset
.LBB304_34:
	s_wait_xcnt 0x0
	s_or_b32 exec_lo, exec_lo, s3
	v_lshlrev_b32_e32 v1, 3, v0
	s_wait_loadcnt 0x0
	ds_store_2addr_stride64_b64 v1, v[2:3], v[4:5] offset1:4
	ds_store_2addr_stride64_b64 v1, v[6:7], v[8:9] offset0:8 offset1:12
	ds_store_2addr_stride64_b64 v1, v[10:11], v[12:13] offset0:16 offset1:20
	;; [unrolled: 1-line block ×6, first 2 shown]
	ds_store_b64 v1, v[30:31] offset:28672
	v_mul_u32_u24_e32 v30, 15, v0
	v_mad_u32_u24 v1, 0x70, v0, v1
	v_mad_u32_u24 v31, v0, 15, 1
	s_wait_dscnt 0x0
	s_barrier_signal -1
	v_cmp_gt_u32_e32 vcc_lo, s35, v30
	s_barrier_wait -1
	ds_load_2addr_b64 v[26:29], v1 offset1:1
	ds_load_2addr_b64 v[22:25], v1 offset0:2 offset1:3
	ds_load_2addr_b64 v[18:21], v1 offset0:4 offset1:5
	;; [unrolled: 1-line block ×6, first 2 shown]
	ds_load_b64 v[42:43], v1 offset:112
	v_mad_u32_u24 v1, v0, 15, 2
	v_cndmask_b32_e64 v75, 0, s4, vcc_lo
	v_cmp_gt_u32_e32 vcc_lo, s35, v31
	v_mad_u32_u24 v30, v0, 15, 3
	v_mad_u32_u24 v31, v0, 15, 5
	v_mov_b32_e32 v95, 0
	v_cndmask_b32_e64 v72, 0, s4, vcc_lo
	v_cmp_gt_u32_e32 vcc_lo, s35, v1
	v_mad_u32_u24 v1, v0, 15, 4
	v_cndmask_b32_e64 v74, 0, s4, vcc_lo
	v_cmp_gt_u32_e32 vcc_lo, s35, v30
	v_mad_u32_u24 v30, v0, 15, 6
	s_wait_dscnt 0x5
	v_dual_mov_b32 v33, v23 :: v_dual_mov_b32 v34, v18
	s_wait_dscnt 0x4
	v_dual_mov_b32 v35, v19 :: v_dual_mov_b32 v36, v14
	v_cndmask_b32_e64 v92, 0, s4, vcc_lo
	v_cmp_gt_u32_e32 vcc_lo, s35, v1
	v_mad_u32_u24 v1, v0, 15, 7
	s_wait_dscnt 0x3
	v_dual_mov_b32 v37, v15 :: v_dual_mov_b32 v38, v10
	s_wait_dscnt 0x2
	v_dual_mov_b32 v39, v11 :: v_dual_mov_b32 v40, v6
	v_cndmask_b32_e64 v94, 0, s4, vcc_lo
	v_cmp_gt_u32_e32 vcc_lo, s35, v31
	v_mad_u32_u24 v31, v0, 15, 9
	s_wait_dscnt 0x1
	v_dual_mov_b32 v41, v7 :: v_dual_mov_b32 v44, v2
	v_mov_b32_e32 v45, v3
	v_cndmask_b32_e64 v90, 0, s4, vcc_lo
	v_cmp_gt_u32_e32 vcc_lo, s35, v30
	v_mad_u32_u24 v30, v0, 15, 8
	v_mov_b32_e32 v32, v22
	v_cndmask_b32_e64 v89, 0, s4, vcc_lo
	v_cmp_gt_u32_e32 vcc_lo, s35, v1
	v_mad_u32_u24 v1, v0, 15, 10
	v_cndmask_b32_e64 v93, 0, s4, vcc_lo
	v_cmp_gt_u32_e32 vcc_lo, s35, v30
	v_mad_u32_u24 v30, v0, 15, 11
	v_cndmask_b32_e64 v91, 0, s4, vcc_lo
	v_cmp_gt_u32_e32 vcc_lo, s35, v31
	v_mad_u32_u24 v31, v0, 15, 13
	v_cndmask_b32_e64 v73, 0, s4, vcc_lo
	v_cmp_gt_u32_e32 vcc_lo, s35, v1
	v_mad_u32_u24 v1, v0, 15, 12
	v_cndmask_b32_e64 v71, 0, s4, vcc_lo
	v_cmp_gt_u32_e32 vcc_lo, s35, v30
	v_mad_u32_u24 v30, v0, 15, 14
	v_cndmask_b32_e64 v70, 0, s4, vcc_lo
	v_cmp_gt_u32_e32 vcc_lo, s35, v1
	s_delay_alu instid0(VALU_DEP_3)
	v_cmp_gt_u32_e64 s3, s35, v30
	v_mov_b32_e32 v30, v26
	v_cndmask_b32_e64 v69, 0, s4, vcc_lo
	v_cmp_gt_u32_e32 vcc_lo, s35, v31
	v_mov_b32_e32 v31, v27
	v_cndmask_b32_e64 v68, 0, s4, vcc_lo
.LBB304_35:
	s_and_saveexec_b32 s5, s3
; %bb.36:
	v_mov_b32_e32 v95, s4
; %bb.37:
	s_or_b32 exec_lo, exec_lo, s5
	s_load_b64 s[28:29], s[0:1], 0x70
	s_cmp_eq_u64 s[30:31], 0
	s_wait_dscnt 0x0
	s_cselect_b32 s36, -1, 0
	s_cmp_lg_u64 s[30:31], 0
	s_barrier_signal -1
	s_cselect_b32 s17, -1, 0
	s_and_b32 vcc_lo, exec_lo, s2
	s_barrier_wait -1
	s_cbranch_vccz .LBB304_42
; %bb.38:
	s_and_b32 vcc_lo, exec_lo, s17
	s_cbranch_vccz .LBB304_43
; %bb.39:
	s_add_nc_u64 s[2:3], s[18:19], -8
	v_lshlrev_b32_e32 v1, 3, v0
	s_load_b64 s[2:3], s[2:3], 0x0
	ds_store_b64 v1, v[42:43]
	s_wait_dscnt 0x0
	s_barrier_signal -1
	s_barrier_wait -1
	s_wait_kmcnt 0x0
	v_mov_b64_e32 v[46:47], s[2:3]
	s_mov_b32 s2, 0
	s_mov_b32 s3, exec_lo
	v_cmpx_ne_u32_e32 0, v0
; %bb.40:
	v_add_nc_u32_e32 v1, -8, v1
	ds_load_b64 v[46:47], v1
; %bb.41:
	s_or_b32 exec_lo, exec_lo, s3
	v_cmp_neq_f64_e32 vcc_lo, v[30:31], v[28:29]
	s_wait_dscnt 0x0
	v_cmp_neq_f64_e64 s16, v[46:47], v[26:27]
	s_mov_b32 s37, -1
	v_cndmask_b32_e64 v88, 0, 1, vcc_lo
	v_cmp_neq_f64_e32 vcc_lo, v[32:33], v[28:29]
	v_cndmask_b32_e64 v87, 0, 1, vcc_lo
	v_cmp_neq_f64_e32 vcc_lo, v[32:33], v[24:25]
	;; [unrolled: 2-line block ×13, first 2 shown]
	v_cndmask_b32_e64 v86, 0, 1, vcc_lo
	s_and_b32 vcc_lo, exec_lo, s2
	s_cbranch_vccnz .LBB304_44
	s_branch .LBB304_47
.LBB304_42:
	s_mov_b32 s37, 0
                                        ; implicit-def: $sgpr16
                                        ; implicit-def: $vgpr86
                                        ; implicit-def: $vgpr83
                                        ; implicit-def: $vgpr84
                                        ; implicit-def: $vgpr77
                                        ; implicit-def: $vgpr1
                                        ; implicit-def: $vgpr76
                                        ; implicit-def: $vgpr78
                                        ; implicit-def: $vgpr79
                                        ; implicit-def: $vgpr81
                                        ; implicit-def: $vgpr80
                                        ; implicit-def: $vgpr82
                                        ; implicit-def: $vgpr85
                                        ; implicit-def: $vgpr87
                                        ; implicit-def: $vgpr88
	s_cbranch_execnz .LBB304_48
	s_branch .LBB304_56
.LBB304_43:
	s_mov_b32 s37, 0
                                        ; implicit-def: $sgpr16
                                        ; implicit-def: $vgpr86
                                        ; implicit-def: $vgpr83
                                        ; implicit-def: $vgpr84
                                        ; implicit-def: $vgpr77
                                        ; implicit-def: $vgpr1
                                        ; implicit-def: $vgpr76
                                        ; implicit-def: $vgpr78
                                        ; implicit-def: $vgpr79
                                        ; implicit-def: $vgpr81
                                        ; implicit-def: $vgpr80
                                        ; implicit-def: $vgpr82
                                        ; implicit-def: $vgpr85
                                        ; implicit-def: $vgpr87
                                        ; implicit-def: $vgpr88
	s_cbranch_execz .LBB304_47
.LBB304_44:
	v_cmp_neq_f64_e64 s2, v[4:5], v[44:45]
	v_cmp_neq_f64_e64 s3, v[44:45], v[8:9]
	;; [unrolled: 1-line block ×13, first 2 shown]
	v_lshlrev_b32_e32 v1, 3, v0
	v_cmp_ne_u32_e64 s15, 0, v0
	v_cmp_neq_f64_e32 vcc_lo, v[4:5], v[42:43]
                                        ; implicit-def: $sgpr16
	ds_store_b64 v1, v[42:43]
	s_wait_dscnt 0x0
	s_barrier_signal -1
	s_barrier_wait -1
	s_and_saveexec_b32 s38, s15
	s_delay_alu instid0(SALU_CYCLE_1)
	s_xor_b32 s15, exec_lo, s38
	s_cbranch_execz .LBB304_46
; %bb.45:
	v_add_nc_u32_e32 v1, -8, v1
	s_or_b32 s37, s37, exec_lo
	ds_load_b64 v[30:31], v1
	s_wait_dscnt 0x0
	v_cmp_neq_f64_e64 s16, v[30:31], v[26:27]
.LBB304_46:
	s_or_b32 exec_lo, exec_lo, s15
	v_cndmask_b32_e64 v88, 0, 1, s14
	v_cndmask_b32_e64 v87, 0, 1, s13
	;; [unrolled: 1-line block ×13, first 2 shown]
	v_cndmask_b32_e64 v86, 0, 1, vcc_lo
.LBB304_47:
	s_branch .LBB304_56
.LBB304_48:
	v_cmp_neq_f64_e64 s15, v[4:5], v[42:43]
	v_cmp_neq_f64_e64 s16, v[2:3], v[4:5]
	;; [unrolled: 1-line block ×14, first 2 shown]
	s_mov_b64 s[38:39], 0xfffffffffffff100
	v_mad_u32_u24 v30, v0, 15, 14
	v_mad_u32_u24 v58, v0, 15, 13
	;; [unrolled: 1-line block ×14, first 2 shown]
	v_cmp_ne_u32_e64 s9, 0, v0
	s_mul_u64 s[30:31], s[30:31], s[38:39]
	s_and_b32 vcc_lo, exec_lo, s17
	s_add_nc_u64 s[30:31], s[30:31], s[20:21]
	s_cbranch_vccz .LBB304_52
; %bb.49:
	v_dual_mov_b32 v31, 0 :: v_dual_lshlrev_b32 v1, 3, v0
	s_add_nc_u64 s[18:19], s[18:19], -8
	v_mul_u32_u24_e32 v60, 15, v0
	s_load_b64 s[38:39], s[18:19], 0x0
	s_delay_alu instid0(VALU_DEP_2) | instskip(SKIP_2) | instid1(VALU_DEP_3)
	v_dual_mov_b32 v59, v31 :: v_dual_mov_b32 v57, v31
	v_cmp_gt_u64_e32 vcc_lo, s[30:31], v[30:31]
	v_dual_mov_b32 v55, v31 :: v_dual_mov_b32 v53, v31
	v_cmp_gt_u64_e64 s17, s[30:31], v[58:59]
	v_dual_mov_b32 v51, v31 :: v_dual_mov_b32 v49, v31
	s_wait_xcnt 0x0
	v_cmp_gt_u64_e64 s18, s[30:31], v[56:57]
	v_cmp_gt_u64_e64 s19, s[30:31], v[54:55]
	s_and_b32 s20, vcc_lo, s15
	v_cmp_gt_u64_e32 vcc_lo, s[30:31], v[52:53]
	s_and_b32 s17, s17, s16
	v_cmp_gt_u64_e64 s15, s[30:31], v[50:51]
	v_cmp_gt_u64_e64 s16, s[30:31], v[48:49]
	v_dual_mov_b32 v47, v31 :: v_dual_mov_b32 v45, v31
	v_dual_mov_b32 v41, v31 :: v_dual_mov_b32 v39, v31
	v_dual_mov_b32 v37, v31 :: v_dual_mov_b32 v35, v31
	v_mov_b32_e32 v33, v31
	s_and_b32 s18, s18, s13
	s_and_b32 s19, s19, s14
	s_and_b32 s37, vcc_lo, s10
	s_and_b32 s21, s15, s11
	s_and_b32 s16, s16, s12
	v_cmp_gt_u64_e32 vcc_lo, s[30:31], v[46:47]
	v_cmp_gt_u64_e64 s10, s[30:31], v[44:45]
	v_cmp_gt_u64_e64 s11, s[30:31], v[40:41]
	;; [unrolled: 1-line block ×6, first 2 shown]
	s_wait_kmcnt 0x0
	v_mov_b64_e32 v[62:63], s[38:39]
	s_and_b32 s2, vcc_lo, s2
	s_and_b32 s10, s10, s3
	s_and_b32 s4, s11, s4
	;; [unrolled: 1-line block ×6, first 2 shown]
	s_mov_b32 s3, 0
	ds_store_b64 v1, v[42:43]
	s_wait_dscnt 0x0
	s_barrier_signal -1
	s_barrier_wait -1
	s_and_saveexec_b32 s11, s9
; %bb.50:
	v_add_nc_u32_e32 v1, -8, v1
	ds_load_b64 v[62:63], v1
; %bb.51:
	s_or_b32 exec_lo, exec_lo, s11
	s_wait_dscnt 0x0
	v_cmp_neq_f64_e32 vcc_lo, v[62:63], v[26:27]
	v_mov_b32_e32 v61, v31
	v_cndmask_b32_e64 v79, 0, 1, s2
	v_cndmask_b32_e64 v86, 0, 1, s20
	;; [unrolled: 1-line block ×4, first 2 shown]
	v_cmp_gt_u64_e64 s2, s[30:31], v[60:61]
	v_cndmask_b32_e64 v77, 0, 1, s19
	v_cndmask_b32_e64 v1, 0, 1, s37
	;; [unrolled: 1-line block ×10, first 2 shown]
	s_mov_b32 s37, -1
	s_and_b32 s16, s2, vcc_lo
	s_and_b32 vcc_lo, exec_lo, s3
	s_cbranch_vccnz .LBB304_53
	s_branch .LBB304_56
.LBB304_52:
                                        ; implicit-def: $sgpr16
                                        ; implicit-def: $vgpr86
                                        ; implicit-def: $vgpr83
                                        ; implicit-def: $vgpr84
                                        ; implicit-def: $vgpr77
                                        ; implicit-def: $vgpr1
                                        ; implicit-def: $vgpr76
                                        ; implicit-def: $vgpr78
                                        ; implicit-def: $vgpr79
                                        ; implicit-def: $vgpr81
                                        ; implicit-def: $vgpr80
                                        ; implicit-def: $vgpr82
                                        ; implicit-def: $vgpr85
                                        ; implicit-def: $vgpr87
                                        ; implicit-def: $vgpr88
	s_cbranch_execz .LBB304_56
.LBB304_53:
	v_cmp_neq_f64_e32 vcc_lo, v[4:5], v[42:43]
	v_cmp_neq_f64_e64 s2, v[2:3], v[4:5]
	v_cmp_neq_f64_e64 s3, v[8:9], v[2:3]
	;; [unrolled: 1-line block ×13, first 2 shown]
	v_dual_lshlrev_b32 v1, 3, v0 :: v_dual_mov_b32 v31, 0
	ds_store_b64 v1, v[42:43]
	v_dual_mov_b32 v59, v31 :: v_dual_mov_b32 v57, v31
	v_dual_mov_b32 v55, v31 :: v_dual_mov_b32 v53, v31
	;; [unrolled: 1-line block ×3, first 2 shown]
	v_cmp_gt_u64_e64 s15, s[30:31], v[30:31]
	s_delay_alu instid0(VALU_DEP_4)
	v_cmp_gt_u64_e64 s16, s[30:31], v[58:59]
	v_cmp_gt_u64_e64 s17, s[30:31], v[56:57]
	;; [unrolled: 1-line block ×6, first 2 shown]
	v_dual_mov_b32 v47, v31 :: v_dual_mov_b32 v45, v31
	v_dual_mov_b32 v41, v31 :: v_dual_mov_b32 v39, v31
	;; [unrolled: 1-line block ×3, first 2 shown]
	v_mov_b32_e32 v33, v31
	s_and_b32 s15, s15, vcc_lo
	s_and_b32 s38, s16, s2
	s_and_b32 s17, s17, s3
	;; [unrolled: 1-line block ×6, first 2 shown]
	v_cmp_gt_u64_e32 vcc_lo, s[30:31], v[46:47]
	v_cmp_gt_u64_e64 s2, s[30:31], v[44:45]
	v_cmp_gt_u64_e64 s3, s[30:31], v[40:41]
	;; [unrolled: 1-line block ×6, first 2 shown]
	s_and_b32 s8, vcc_lo, s8
	s_and_b32 s9, s2, s9
	s_and_b32 s3, s3, s10
	;; [unrolled: 1-line block ×6, first 2 shown]
	s_mov_b32 s10, exec_lo
	s_wait_dscnt 0x0
	s_barrier_signal -1
	s_barrier_wait -1
                                        ; implicit-def: $sgpr16
	v_cmpx_ne_u32_e32 0, v0
	s_cbranch_execz .LBB304_55
; %bb.54:
	v_add_nc_u32_e32 v1, -8, v1
	v_mul_u32_u24_e32 v30, 15, v0
	s_or_b32 s37, s37, exec_lo
	ds_load_b64 v[32:33], v1
	v_cmp_gt_u64_e64 s2, s[30:31], v[30:31]
	s_wait_dscnt 0x0
	v_cmp_neq_f64_e32 vcc_lo, v[32:33], v[26:27]
	s_and_b32 s16, s2, vcc_lo
.LBB304_55:
	s_or_b32 exec_lo, exec_lo, s10
	v_cndmask_b32_e64 v86, 0, 1, s15
	v_cndmask_b32_e64 v83, 0, 1, s38
	;; [unrolled: 1-line block ×14, first 2 shown]
.LBB304_56:
	v_mov_b32_e32 v96, 1
	s_and_saveexec_b32 s2, s37
; %bb.57:
	v_cndmask_b32_e64 v96, 0, 1, s16
; %bb.58:
	s_or_b32 exec_lo, exec_lo, s2
	s_clause 0x1
	s_load_b128 s[16:19], s[0:1], 0x20
	s_load_b64 s[20:21], s[0:1], 0x30
	v_add3_u32 v30, v88, v96, v87
	v_cmp_eq_u32_e64 s12, 0, v88
	v_cmp_eq_u32_e64 s11, 0, v87
	;; [unrolled: 1-line block ×4, first 2 shown]
	v_add3_u32 v100, v30, v85, v82
	v_cmp_eq_u32_e64 s8, 0, v80
	v_cmp_eq_u32_e64 s7, 0, v81
	;; [unrolled: 1-line block ×7, first 2 shown]
	s_wait_xcnt 0x0
	v_cmp_eq_u32_e64 s1, 0, v84
	v_cmp_eq_u32_e64 s0, 0, v83
	v_mbcnt_lo_u32_b32 v97, -1, 0
	v_dual_lshrrev_b32 v98, 5, v0 :: v_dual_bitop2_b32 v99, 31, v0 bitop3:0x54
	s_cmp_eq_u64 s[26:27], 0
	v_cmp_eq_u32_e32 vcc_lo, 0, v86
	s_cselect_b32 s26, -1, 0
	s_cmp_lg_u32 s34, 0
	s_cbranch_scc0 .LBB304_79
; %bb.59:
	v_dual_cndmask_b32 v30, 0, v75, s12 :: v_dual_bitop2_b32 v33, 15, v97 bitop3:0x40
	v_add3_u32 v31, v100, v80, v81
	s_delay_alu instid0(VALU_DEP_2) | instskip(NEXT) | instid1(VALU_DEP_2)
	v_add_nc_u32_e32 v30, v30, v72
	v_add3_u32 v31, v31, v79, v78
	s_delay_alu instid0(VALU_DEP_2) | instskip(NEXT) | instid1(VALU_DEP_2)
	v_cndmask_b32_e64 v30, 0, v30, s11
	v_add3_u32 v31, v31, v76, v1
	s_delay_alu instid0(VALU_DEP_2) | instskip(NEXT) | instid1(VALU_DEP_2)
	v_add_nc_u32_e32 v30, v30, v74
	v_add3_u32 v31, v31, v77, v84
	s_delay_alu instid0(VALU_DEP_1) | instskip(NEXT) | instid1(VALU_DEP_3)
	v_add3_u32 v31, v31, v83, v86
	v_cndmask_b32_e64 v30, 0, v30, s10
	s_delay_alu instid0(VALU_DEP_2) | instskip(NEXT) | instid1(VALU_DEP_2)
	v_mov_b32_dpp v34, v31 row_shr:1 row_mask:0xf bank_mask:0xf
	v_add_nc_u32_e32 v30, v30, v92
	s_delay_alu instid0(VALU_DEP_1) | instskip(NEXT) | instid1(VALU_DEP_1)
	v_cndmask_b32_e64 v30, 0, v30, s9
	v_add_nc_u32_e32 v30, v30, v94
	s_delay_alu instid0(VALU_DEP_1) | instskip(NEXT) | instid1(VALU_DEP_1)
	v_cndmask_b32_e64 v30, 0, v30, s8
	;; [unrolled: 3-line block ×10, first 2 shown]
	v_add_nc_u32_e32 v30, v30, v68
	s_delay_alu instid0(VALU_DEP_1) | instskip(SKIP_1) | instid1(VALU_DEP_2)
	v_cndmask_b32_e32 v30, 0, v30, vcc_lo
	v_cmp_eq_u32_e32 vcc_lo, 0, v31
	v_add_nc_u32_e32 v30, v30, v95
	s_delay_alu instid0(VALU_DEP_1) | instskip(NEXT) | instid1(VALU_DEP_1)
	v_mov_b32_dpp v32, v30 row_shr:1 row_mask:0xf bank_mask:0xf
	v_cndmask_b32_e32 v32, 0, v32, vcc_lo
	v_cmp_eq_u32_e32 vcc_lo, 0, v33
	v_cndmask_b32_e64 v34, v34, 0, vcc_lo
	s_delay_alu instid0(VALU_DEP_3) | instskip(SKIP_1) | instid1(VALU_DEP_2)
	v_cndmask_b32_e64 v32, v32, 0, vcc_lo
	v_cmp_lt_u32_e32 vcc_lo, 1, v33
	v_dual_add_nc_u32 v31, v34, v31 :: v_dual_add_nc_u32 v30, v32, v30
	s_delay_alu instid0(VALU_DEP_1) | instskip(SKIP_1) | instid1(VALU_DEP_3)
	v_mov_b32_dpp v32, v31 row_shr:2 row_mask:0xf bank_mask:0xf
	v_cmp_eq_u32_e64 s13, 0, v31
	v_mov_b32_dpp v34, v30 row_shr:2 row_mask:0xf bank_mask:0xf
	s_delay_alu instid0(VALU_DEP_3) | instskip(SKIP_1) | instid1(VALU_DEP_2)
	v_cndmask_b32_e32 v32, 0, v32, vcc_lo
	s_and_b32 vcc_lo, vcc_lo, s13
	v_cndmask_b32_e32 v34, 0, v34, vcc_lo
	v_cmp_lt_u32_e32 vcc_lo, 3, v33
	s_delay_alu instid0(VALU_DEP_2) | instskip(NEXT) | instid1(VALU_DEP_1)
	v_dual_add_nc_u32 v31, v31, v32 :: v_dual_add_nc_u32 v30, v34, v30
	v_mov_b32_dpp v32, v31 row_shr:4 row_mask:0xf bank_mask:0xf
	v_cmp_eq_u32_e64 s13, 0, v31
	s_delay_alu instid0(VALU_DEP_3) | instskip(NEXT) | instid1(VALU_DEP_3)
	v_mov_b32_dpp v34, v30 row_shr:4 row_mask:0xf bank_mask:0xf
	v_cndmask_b32_e32 v32, 0, v32, vcc_lo
	s_and_b32 vcc_lo, vcc_lo, s13
	s_delay_alu instid0(VALU_DEP_2) | instskip(SKIP_1) | instid1(VALU_DEP_2)
	v_cndmask_b32_e32 v34, 0, v34, vcc_lo
	v_cmp_lt_u32_e32 vcc_lo, 7, v33
	v_dual_add_nc_u32 v31, v32, v31 :: v_dual_add_nc_u32 v30, v30, v34
	v_bfe_i32 v34, v97, 4, 1
	s_delay_alu instid0(VALU_DEP_2) | instskip(SKIP_1) | instid1(VALU_DEP_4)
	v_mov_b32_dpp v32, v31 row_shr:8 row_mask:0xf bank_mask:0xf
	v_cmp_eq_u32_e64 s13, 0, v31
	v_mov_b32_dpp v33, v30 row_shr:8 row_mask:0xf bank_mask:0xf
	s_delay_alu instid0(VALU_DEP_3) | instskip(SKIP_2) | instid1(VALU_DEP_2)
	v_cndmask_b32_e32 v32, 0, v32, vcc_lo
	s_and_b32 vcc_lo, vcc_lo, s13
	s_mov_b32 s13, exec_lo
	v_cndmask_b32_e32 v33, 0, v33, vcc_lo
	s_delay_alu instid0(VALU_DEP_1)
	v_dual_add_nc_u32 v33, v33, v30 :: v_dual_add_nc_u32 v30, v32, v31
	ds_swizzle_b32 v31, v33 offset:swizzle(BROADCAST,32,15)
	ds_swizzle_b32 v32, v30 offset:swizzle(BROADCAST,32,15)
	v_cmp_eq_u32_e32 vcc_lo, 0, v30
	s_wait_dscnt 0x0
	v_dual_cndmask_b32 v31, 0, v31, vcc_lo :: v_dual_bitop2_b32 v32, v34, v32 bitop3:0x40
	s_delay_alu instid0(VALU_DEP_1) | instskip(NEXT) | instid1(VALU_DEP_1)
	v_dual_add_nc_u32 v30, v32, v30 :: v_dual_bitop2_b32 v31, v34, v31 bitop3:0x40
	v_dual_lshlrev_b32 v32, 3, v98 :: v_dual_add_nc_u32 v31, v31, v33
	v_cmpx_eq_u32_e64 v0, v99
; %bb.60:
	ds_store_b64 v32, v[30:31] offset:4112
; %bb.61:
	s_or_b32 exec_lo, exec_lo, s13
	s_delay_alu instid0(SALU_CYCLE_1)
	s_mov_b32 s14, exec_lo
	s_wait_dscnt 0x0
	s_barrier_signal -1
	s_barrier_wait -1
	v_cmpx_gt_u32_e32 8, v0
	s_cbranch_execz .LBB304_63
; %bb.62:
	v_dual_lshlrev_b32 v33, 3, v0 :: v_dual_bitop2_b32 v37, 7, v97 bitop3:0x40
	ds_load_b64 v[34:35], v33 offset:4112
	s_wait_dscnt 0x0
	v_mov_b32_dpp v36, v35 row_shr:1 row_mask:0xf bank_mask:0xf
	v_cmp_eq_u32_e32 vcc_lo, 0, v34
	v_mov_b32_dpp v38, v34 row_shr:1 row_mask:0xf bank_mask:0xf
	s_delay_alu instid0(VALU_DEP_3) | instskip(SKIP_1) | instid1(VALU_DEP_3)
	v_cndmask_b32_e32 v36, 0, v36, vcc_lo
	v_cmp_eq_u32_e32 vcc_lo, 0, v37
	v_cndmask_b32_e64 v38, v38, 0, vcc_lo
	s_delay_alu instid0(VALU_DEP_1) | instskip(NEXT) | instid1(VALU_DEP_4)
	v_add_nc_u32_e32 v34, v38, v34
	v_cndmask_b32_e64 v36, v36, 0, vcc_lo
	v_cmp_lt_u32_e32 vcc_lo, 1, v37
	s_delay_alu instid0(VALU_DEP_3) | instskip(NEXT) | instid1(VALU_DEP_3)
	v_cmp_eq_u32_e64 s13, 0, v34
	v_add_nc_u32_e32 v35, v36, v35
	v_mov_b32_dpp v36, v34 row_shr:2 row_mask:0xf bank_mask:0xf
	s_delay_alu instid0(VALU_DEP_1) | instskip(NEXT) | instid1(VALU_DEP_3)
	v_cndmask_b32_e32 v36, 0, v36, vcc_lo
	v_mov_b32_dpp v38, v35 row_shr:2 row_mask:0xf bank_mask:0xf
	s_and_b32 vcc_lo, vcc_lo, s13
	s_delay_alu instid0(VALU_DEP_2) | instskip(NEXT) | instid1(VALU_DEP_1)
	v_add_nc_u32_e32 v34, v36, v34
	v_mov_b32_dpp v36, v34 row_shr:4 row_mask:0xf bank_mask:0xf
	s_delay_alu instid0(VALU_DEP_3) | instskip(SKIP_1) | instid1(VALU_DEP_2)
	v_cndmask_b32_e32 v38, 0, v38, vcc_lo
	v_cmp_lt_u32_e32 vcc_lo, 3, v37
	v_dual_cndmask_b32 v36, 0, v36 :: v_dual_add_nc_u32 v35, v38, v35
	v_cmp_eq_u32_e64 s13, 0, v34
	s_delay_alu instid0(VALU_DEP_2) | instskip(NEXT) | instid1(VALU_DEP_3)
	v_add_nc_u32_e32 v34, v36, v34
	v_mov_b32_dpp v37, v35 row_shr:4 row_mask:0xf bank_mask:0xf
	s_and_b32 vcc_lo, vcc_lo, s13
	s_delay_alu instid0(VALU_DEP_1) | instskip(NEXT) | instid1(VALU_DEP_1)
	v_cndmask_b32_e32 v37, 0, v37, vcc_lo
	v_add_nc_u32_e32 v35, v37, v35
	ds_store_b64 v33, v[34:35] offset:4112
.LBB304_63:
	s_or_b32 exec_lo, exec_lo, s14
	v_dual_mov_b32 v38, 0 :: v_dual_mov_b32 v39, 0
	s_mov_b32 s14, exec_lo
	v_cmp_gt_u32_e32 vcc_lo, 32, v0
	s_wait_dscnt 0x0
	s_barrier_signal -1
	s_barrier_wait -1
	v_cmpx_lt_u32_e32 31, v0
	s_cbranch_execz .LBB304_65
; %bb.64:
	ds_load_b64 v[38:39], v32 offset:4104
	v_cmp_eq_u32_e64 s13, 0, v30
	s_wait_dscnt 0x0
	s_delay_alu instid0(VALU_DEP_1) | instskip(NEXT) | instid1(VALU_DEP_1)
	v_dual_cndmask_b32 v32, 0, v39, s13 :: v_dual_add_nc_u32 v30, v38, v30
	v_add_nc_u32_e32 v31, v32, v31
.LBB304_65:
	s_or_b32 exec_lo, exec_lo, s14
	v_sub_co_u32 v32, s13, v97, 1
	s_delay_alu instid0(VALU_DEP_1) | instskip(NEXT) | instid1(VALU_DEP_1)
	v_cmp_gt_i32_e64 s14, 0, v32
	v_cndmask_b32_e64 v32, v32, v97, s14
	s_delay_alu instid0(VALU_DEP_1)
	v_lshlrev_b32_e32 v32, 2, v32
	ds_bpermute_b32 v46, v32, v30
	ds_bpermute_b32 v47, v32, v31
	s_and_saveexec_b32 s27, vcc_lo
	s_cbranch_execz .LBB304_84
; %bb.66:
	v_mov_b32_e32 v33, 0
	ds_load_b64 v[30:31], v33 offset:4168
	s_and_saveexec_b32 s14, s13
	s_cbranch_execz .LBB304_68
; %bb.67:
	s_add_co_i32 s30, s34, 32
	s_mov_b32 s31, 0
	v_mov_b32_e32 v32, 1
	s_lshl_b64 s[30:31], s[30:31], 4
	s_delay_alu instid0(SALU_CYCLE_1) | instskip(NEXT) | instid1(SALU_CYCLE_1)
	s_add_nc_u64 s[30:31], s[24:25], s[30:31]
	v_mov_b64_e32 v[34:35], s[30:31]
	s_wait_dscnt 0x0
	;;#ASMSTART
	global_store_b128 v[34:35], v[30:33] off scope:SCOPE_DEV	
s_wait_storecnt 0x0
	;;#ASMEND
.LBB304_68:
	s_or_b32 exec_lo, exec_lo, s14
	v_xad_u32 v40, v97, -1, s34
	s_mov_b32 s15, 0
	s_mov_b32 s14, exec_lo
	s_delay_alu instid0(VALU_DEP_1) | instskip(NEXT) | instid1(VALU_DEP_1)
	v_add_nc_u32_e32 v32, 32, v40
	v_lshl_add_u64 v[32:33], v[32:33], 4, s[24:25]
	;;#ASMSTART
	global_load_b128 v[34:37], v[32:33] off scope:SCOPE_DEV	
s_wait_loadcnt 0x0
	;;#ASMEND
	v_and_b32_e32 v37, 0xff, v36
	s_delay_alu instid0(VALU_DEP_1)
	v_cmpx_eq_u16_e32 0, v37
	s_cbranch_execz .LBB304_71
.LBB304_69:                             ; =>This Inner Loop Header: Depth=1
	;;#ASMSTART
	global_load_b128 v[34:37], v[32:33] off scope:SCOPE_DEV	
s_wait_loadcnt 0x0
	;;#ASMEND
	v_and_b32_e32 v37, 0xff, v36
	s_delay_alu instid0(VALU_DEP_1) | instskip(SKIP_1) | instid1(SALU_CYCLE_1)
	v_cmp_ne_u16_e32 vcc_lo, 0, v37
	s_or_b32 s15, vcc_lo, s15
	s_and_not1_b32 exec_lo, exec_lo, s15
	s_cbranch_execnz .LBB304_69
; %bb.70:
	s_or_b32 exec_lo, exec_lo, s15
.LBB304_71:
	s_delay_alu instid0(SALU_CYCLE_1)
	s_or_b32 exec_lo, exec_lo, s14
	v_cmp_ne_u32_e32 vcc_lo, 31, v97
	v_lshlrev_b32_e64 v49, v97, -1
	v_cmp_gt_u32_e64 s15, 30, v97
	v_lshl_or_b32 v56, v97, 2, 64
	v_add_nc_u32_e32 v51, 2, v97
	v_add_co_ci_u32_e64 v32, null, 0, v97, vcc_lo
	s_delay_alu instid0(VALU_DEP_4) | instskip(SKIP_1) | instid1(VALU_DEP_3)
	v_cndmask_b32_e64 v41, 0, 2, s15
	v_dual_add_nc_u32 v53, 4, v97 :: v_dual_add_nc_u32 v55, 8, v97
	v_lshlrev_b32_e32 v48, 2, v32
	v_and_b32_e32 v32, 0xff, v36
	s_delay_alu instid0(VALU_DEP_4)
	v_add_lshl_u32 v50, v41, v97, 2
	v_add_nc_u32_e32 v57, 16, v97
	ds_bpermute_b32 v33, v48, v34
	v_cmp_eq_u16_e32 vcc_lo, 2, v32
	v_and_or_b32 v37, vcc_lo, v49, 0x80000000
	v_cmp_eq_u32_e32 vcc_lo, 0, v34
	s_delay_alu instid0(VALU_DEP_2) | instskip(NEXT) | instid1(VALU_DEP_1)
	v_ctz_i32_b32_e32 v37, v37
	v_cmp_lt_u32_e64 s14, v97, v37
	s_wait_dscnt 0x0
	s_delay_alu instid0(VALU_DEP_1) | instskip(SKIP_4) | instid1(VALU_DEP_1)
	v_cndmask_b32_e64 v33, 0, v33, s14
	ds_bpermute_b32 v32, v48, v35
	s_and_b32 vcc_lo, s14, vcc_lo
	s_wait_dscnt 0x0
	v_dual_cndmask_b32 v32, 0, v32 :: v_dual_add_nc_u32 v33, v33, v34
	v_cmp_eq_u32_e32 vcc_lo, 0, v33
	s_delay_alu instid0(VALU_DEP_2)
	v_add_nc_u32_e32 v32, v32, v35
	ds_bpermute_b32 v35, v50, v32
	s_wait_dscnt 0x0
	v_cndmask_b32_e32 v34, 0, v35, vcc_lo
	ds_bpermute_b32 v35, v50, v33
	v_cmp_gt_u32_e32 vcc_lo, 28, v97
	v_cndmask_b32_e64 v41, 0, 4, vcc_lo
	v_cmp_gt_u32_e32 vcc_lo, v51, v37
	s_delay_alu instid0(VALU_DEP_2) | instskip(SKIP_2) | instid1(VALU_DEP_1)
	v_add_lshl_u32 v52, v41, v97, 2
	s_wait_dscnt 0x0
	v_cndmask_b32_e64 v35, v35, 0, vcc_lo
	v_add_nc_u32_e32 v33, v33, v35
	v_cndmask_b32_e64 v34, v34, 0, vcc_lo
	ds_bpermute_b32 v35, v52, v33
	v_add_nc_u32_e32 v32, v34, v32
	v_cmp_eq_u32_e32 vcc_lo, 0, v33
	ds_bpermute_b32 v34, v52, v32
	s_wait_dscnt 0x0
	v_cndmask_b32_e32 v34, 0, v34, vcc_lo
	v_cmp_gt_u32_e32 vcc_lo, 24, v97
	v_cndmask_b32_e64 v41, 0, 8, vcc_lo
	v_cmp_gt_u32_e32 vcc_lo, v53, v37
	s_delay_alu instid0(VALU_DEP_2) | instskip(SKIP_1) | instid1(VALU_DEP_1)
	v_add_lshl_u32 v54, v41, v97, 2
	v_cndmask_b32_e64 v35, v35, 0, vcc_lo
	v_dual_mov_b32 v41, 0 :: v_dual_add_nc_u32 v33, v33, v35
	v_cndmask_b32_e64 v34, v34, 0, vcc_lo
	ds_bpermute_b32 v35, v54, v33
	v_add_nc_u32_e32 v32, v32, v34
	v_cmp_eq_u32_e32 vcc_lo, 0, v33
	ds_bpermute_b32 v34, v54, v32
	s_wait_dscnt 0x0
	v_cndmask_b32_e32 v34, 0, v34, vcc_lo
	v_cmp_gt_u32_e32 vcc_lo, v55, v37
	s_delay_alu instid0(VALU_DEP_2) | instskip(NEXT) | instid1(VALU_DEP_1)
	v_cndmask_b32_e64 v34, v34, 0, vcc_lo
	v_add_nc_u32_e32 v32, v32, v34
	v_cndmask_b32_e64 v34, v35, 0, vcc_lo
	s_delay_alu instid0(VALU_DEP_1)
	v_add_nc_u32_e32 v33, v33, v34
	ds_bpermute_b32 v35, v56, v32
	ds_bpermute_b32 v34, v56, v33
	v_cmp_eq_u32_e32 vcc_lo, 0, v33
	s_wait_dscnt 0x1
	v_cndmask_b32_e32 v35, 0, v35, vcc_lo
	v_cmp_gt_u32_e32 vcc_lo, v57, v37
	s_wait_dscnt 0x0
	v_cndmask_b32_e64 v34, v34, 0, vcc_lo
	s_delay_alu instid0(VALU_DEP_1) | instskip(SKIP_1) | instid1(VALU_DEP_1)
	v_add_nc_u32_e32 v34, v34, v33
	v_cndmask_b32_e64 v35, v35, 0, vcc_lo
	v_add_nc_u32_e32 v35, v35, v32
	s_branch .LBB304_75
.LBB304_72:                             ;   in Loop: Header=BB304_75 Depth=1
	s_or_b32 exec_lo, exec_lo, s15
.LBB304_73:                             ;   in Loop: Header=BB304_75 Depth=1
	s_delay_alu instid0(SALU_CYCLE_1)
	s_or_b32 exec_lo, exec_lo, s14
	v_and_b32_e32 v37, 0xff, v36
	ds_bpermute_b32 v44, v48, v34
	v_subrev_nc_u32_e32 v40, 32, v40
	v_cmp_eq_u16_e32 vcc_lo, 2, v37
	ds_bpermute_b32 v37, v48, v35
	v_and_or_b32 v45, vcc_lo, v49, 0x80000000
	v_cmp_eq_u32_e32 vcc_lo, 0, v34
	s_delay_alu instid0(VALU_DEP_2) | instskip(NEXT) | instid1(VALU_DEP_1)
	v_ctz_i32_b32_e32 v45, v45
	v_cmp_lt_u32_e64 s14, v97, v45
	s_and_b32 vcc_lo, s14, vcc_lo
	s_wait_dscnt 0x0
	v_dual_cndmask_b32 v44, 0, v44, s14 :: v_dual_cndmask_b32 v37, 0, v37, vcc_lo
	s_mov_b32 s14, 0
	s_delay_alu instid0(VALU_DEP_1)
	v_dual_add_nc_u32 v34, v44, v34 :: v_dual_add_nc_u32 v35, v37, v35
	ds_bpermute_b32 v44, v50, v34
	ds_bpermute_b32 v37, v50, v35
	v_cmp_eq_u32_e32 vcc_lo, 0, v34
	s_wait_dscnt 0x0
	v_cndmask_b32_e32 v37, 0, v37, vcc_lo
	v_cmp_gt_u32_e32 vcc_lo, v51, v45
	v_cndmask_b32_e64 v44, v44, 0, vcc_lo
	s_delay_alu instid0(VALU_DEP_1) | instskip(NEXT) | instid1(VALU_DEP_4)
	v_add_nc_u32_e32 v34, v34, v44
	v_cndmask_b32_e64 v37, v37, 0, vcc_lo
	s_delay_alu instid0(VALU_DEP_2) | instskip(NEXT) | instid1(VALU_DEP_2)
	v_cmp_eq_u32_e32 vcc_lo, 0, v34
	v_add_nc_u32_e32 v35, v37, v35
	ds_bpermute_b32 v44, v52, v34
	ds_bpermute_b32 v37, v52, v35
	s_wait_dscnt 0x0
	v_cndmask_b32_e32 v37, 0, v37, vcc_lo
	v_cmp_gt_u32_e32 vcc_lo, v53, v45
	s_delay_alu instid0(VALU_DEP_2) | instskip(SKIP_1) | instid1(VALU_DEP_1)
	v_cndmask_b32_e64 v37, v37, 0, vcc_lo
	v_cndmask_b32_e64 v44, v44, 0, vcc_lo
	v_dual_add_nc_u32 v35, v35, v37 :: v_dual_add_nc_u32 v34, v34, v44
	ds_bpermute_b32 v37, v54, v35
	ds_bpermute_b32 v44, v54, v34
	v_cmp_eq_u32_e32 vcc_lo, 0, v34
	s_wait_dscnt 0x1
	v_cndmask_b32_e32 v37, 0, v37, vcc_lo
	v_cmp_gt_u32_e32 vcc_lo, v55, v45
	s_wait_dscnt 0x0
	v_cndmask_b32_e64 v44, v44, 0, vcc_lo
	s_delay_alu instid0(VALU_DEP_1) | instskip(SKIP_1) | instid1(VALU_DEP_2)
	v_add_nc_u32_e32 v34, v34, v44
	v_cndmask_b32_e64 v37, v37, 0, vcc_lo
	v_cmp_eq_u32_e32 vcc_lo, 0, v34
	s_delay_alu instid0(VALU_DEP_2)
	v_add_nc_u32_e32 v35, v35, v37
	ds_bpermute_b32 v44, v56, v34
	ds_bpermute_b32 v37, v56, v35
	s_wait_dscnt 0x0
	v_cndmask_b32_e32 v37, 0, v37, vcc_lo
	v_cmp_gt_u32_e32 vcc_lo, v57, v45
	s_delay_alu instid0(VALU_DEP_2) | instskip(NEXT) | instid1(VALU_DEP_1)
	v_cndmask_b32_e64 v37, v37, 0, vcc_lo
	v_add_nc_u32_e32 v35, v37, v35
	v_cndmask_b32_e64 v37, v44, 0, vcc_lo
	v_cmp_eq_u32_e32 vcc_lo, 0, v32
	s_delay_alu instid0(VALU_DEP_2) | instskip(NEXT) | instid1(VALU_DEP_4)
	v_add3_u32 v34, v34, v32, v37
	v_cndmask_b32_e32 v35, 0, v35, vcc_lo
	s_delay_alu instid0(VALU_DEP_1)
	v_add_nc_u32_e32 v35, v35, v33
.LBB304_74:                             ;   in Loop: Header=BB304_75 Depth=1
	s_and_b32 vcc_lo, exec_lo, s14
	s_cbranch_vccnz .LBB304_80
.LBB304_75:                             ; =>This Loop Header: Depth=1
                                        ;     Child Loop BB304_78 Depth 2
	v_and_b32_e32 v32, 0xff, v36
	s_delay_alu instid0(VALU_DEP_2) | instskip(SKIP_1) | instid1(VALU_DEP_2)
	v_mov_b32_e32 v33, v35
	s_mov_b32 s14, -1
                                        ; implicit-def: $vgpr35
                                        ; implicit-def: $vgpr36
	v_cmp_ne_u16_e32 vcc_lo, 2, v32
	v_mov_b32_e32 v32, v34
                                        ; implicit-def: $vgpr34
	s_cmp_lg_u32 vcc_lo, exec_lo
	s_cbranch_scc1 .LBB304_74
; %bb.76:                               ;   in Loop: Header=BB304_75 Depth=1
	v_lshl_add_u64 v[44:45], v[40:41], 4, s[24:25]
	;;#ASMSTART
	global_load_b128 v[34:37], v[44:45] off scope:SCOPE_DEV	
s_wait_loadcnt 0x0
	;;#ASMEND
	v_and_b32_e32 v37, 0xff, v36
	s_mov_b32 s14, exec_lo
	s_delay_alu instid0(VALU_DEP_1)
	v_cmpx_eq_u16_e32 0, v37
	s_cbranch_execz .LBB304_73
; %bb.77:                               ;   in Loop: Header=BB304_75 Depth=1
	s_mov_b32 s15, 0
.LBB304_78:                             ;   Parent Loop BB304_75 Depth=1
                                        ; =>  This Inner Loop Header: Depth=2
	;;#ASMSTART
	global_load_b128 v[34:37], v[44:45] off scope:SCOPE_DEV	
s_wait_loadcnt 0x0
	;;#ASMEND
	v_and_b32_e32 v37, 0xff, v36
	s_delay_alu instid0(VALU_DEP_1) | instskip(SKIP_1) | instid1(SALU_CYCLE_1)
	v_cmp_ne_u16_e32 vcc_lo, 0, v37
	s_or_b32 s15, vcc_lo, s15
	s_and_not1_b32 exec_lo, exec_lo, s15
	s_cbranch_execnz .LBB304_78
	s_branch .LBB304_72
.LBB304_79:
                                        ; implicit-def: $vgpr30
                                        ; implicit-def: $vgpr34
                                        ; implicit-def: $vgpr36_vgpr37
                                        ; implicit-def: $vgpr44_vgpr45
                                        ; implicit-def: $vgpr50_vgpr51
                                        ; implicit-def: $vgpr46_vgpr47
                                        ; implicit-def: $vgpr62_vgpr63
                                        ; implicit-def: $vgpr66_vgpr67
                                        ; implicit-def: $vgpr64_vgpr65
                                        ; implicit-def: $vgpr60_vgpr61
                                        ; implicit-def: $vgpr56_vgpr57
                                        ; implicit-def: $vgpr52_vgpr53
                                        ; implicit-def: $vgpr48_vgpr49
                                        ; implicit-def: $vgpr54_vgpr55
                                        ; implicit-def: $vgpr58_vgpr59
                                        ; implicit-def: $vgpr38_vgpr39
                                        ; implicit-def: $vgpr40_vgpr41
	s_cbranch_execnz .LBB304_85
	s_branch .LBB304_96
.LBB304_80:
	s_and_saveexec_b32 s14, s13
	s_cbranch_execz .LBB304_82
; %bb.81:
	v_cmp_eq_u32_e32 vcc_lo, 0, v30
	s_mov_b32 s31, 0
	s_add_co_i32 s30, s34, 32
	v_mov_b32_e32 v37, 0
	s_lshl_b64 s[30:31], s[30:31], 4
	v_dual_cndmask_b32 v35, 0, v33 :: v_dual_add_nc_u32 v34, v32, v30
	s_add_nc_u64 s[30:31], s[24:25], s[30:31]
	v_mov_b32_e32 v36, 2
	v_mov_b64_e32 v[40:41], s[30:31]
	s_delay_alu instid0(VALU_DEP_3)
	v_add_nc_u32_e32 v35, v35, v31
	;;#ASMSTART
	global_store_b128 v[40:41], v[34:37] off scope:SCOPE_DEV	
s_wait_storecnt 0x0
	;;#ASMEND
	ds_store_b128 v37, v[30:33] offset:4096
.LBB304_82:
	s_or_b32 exec_lo, exec_lo, s14
	v_cmp_eq_u32_e32 vcc_lo, 0, v0
	s_and_b32 exec_lo, exec_lo, vcc_lo
; %bb.83:
	v_mov_b32_e32 v30, 0
	ds_store_b64 v30, v[32:33] offset:4168
.LBB304_84:
	s_or_b32 exec_lo, exec_lo, s27
	s_wait_dscnt 0x1
	v_dual_mov_b32 v32, 0 :: v_dual_cndmask_b32 v33, v46, v38, s13
	s_wait_dscnt 0x0
	s_barrier_signal -1
	s_barrier_wait -1
	ds_load_b64 v[30:31], v32 offset:4168
	v_cmp_eq_u32_e32 vcc_lo, 0, v33
	v_cndmask_b32_e64 v34, v47, v39, s13
	v_cmp_eq_u32_e64 s13, 0, v96
	s_wait_dscnt 0x0
	s_barrier_signal -1
	s_barrier_wait -1
	v_cndmask_b32_e32 v35, 0, v31, vcc_lo
	v_cmp_eq_u32_e32 vcc_lo, 0, v0
	s_delay_alu instid0(VALU_DEP_2) | instskip(NEXT) | instid1(VALU_DEP_1)
	v_add_nc_u32_e32 v34, v35, v34
	v_cndmask_b32_e32 v63, v34, v31, vcc_lo
	s_delay_alu instid0(VALU_DEP_1) | instskip(NEXT) | instid1(VALU_DEP_1)
	v_cndmask_b32_e64 v31, 0, v63, s13
	v_add_nc_u32_e32 v67, v31, v75
	s_delay_alu instid0(VALU_DEP_1) | instskip(NEXT) | instid1(VALU_DEP_1)
	v_cndmask_b32_e64 v31, 0, v67, s12
	v_add_nc_u32_e32 v65, v31, v72
	;; [unrolled: 3-line block ×6, first 2 shown]
	v_cndmask_b32_e64 v31, v33, 0, vcc_lo
	s_delay_alu instid0(VALU_DEP_1) | instskip(NEXT) | instid1(VALU_DEP_1)
	v_dual_cndmask_b32 v33, 0, v49, s7 :: v_dual_add_nc_u32 v62, v30, v31
	v_dual_add_nc_u32 v55, v33, v89 :: v_dual_add_nc_u32 v66, v62, v96
	s_delay_alu instid0(VALU_DEP_1) | instskip(NEXT) | instid1(VALU_DEP_1)
	v_dual_cndmask_b32 v30, 0, v55, s6 :: v_dual_add_nc_u32 v64, v66, v88
	v_dual_add_nc_u32 v59, v30, v93 :: v_dual_add_nc_u32 v60, v64, v87
	s_delay_alu instid0(VALU_DEP_1) | instskip(NEXT) | instid1(VALU_DEP_1)
	v_dual_cndmask_b32 v30, 0, v59, s5 :: v_dual_add_nc_u32 v56, v60, v85
	v_dual_add_nc_u32 v39, v30, v91 :: v_dual_add_nc_u32 v52, v56, v82
	s_delay_alu instid0(VALU_DEP_1) | instskip(NEXT) | instid1(VALU_DEP_1)
	v_dual_cndmask_b32 v30, 0, v39, s4 :: v_dual_add_nc_u32 v48, v52, v80
	v_add_nc_u32_e32 v41, v30, v73
	s_delay_alu instid0(VALU_DEP_2) | instskip(NEXT) | instid1(VALU_DEP_1)
	v_add_nc_u32_e32 v54, v48, v81
	v_dual_cndmask_b32 v30, 0, v41, s3 :: v_dual_add_nc_u32 v58, v54, v79
	s_delay_alu instid0(VALU_DEP_1) | instskip(NEXT) | instid1(VALU_DEP_2)
	v_add_nc_u32_e32 v47, v30, v71
	v_add_nc_u32_e32 v38, v58, v78
	ds_load_b128 v[30:33], v32 offset:4096
	v_dual_cndmask_b32 v34, 0, v47, s2 :: v_dual_add_nc_u32 v40, v38, v76
	s_delay_alu instid0(VALU_DEP_1) | instskip(NEXT) | instid1(VALU_DEP_1)
	v_dual_add_nc_u32 v51, v34, v70 :: v_dual_add_nc_u32 v46, v40, v1
	v_dual_cndmask_b32 v34, 0, v51, s1 :: v_dual_add_nc_u32 v50, v46, v77
	s_delay_alu instid0(VALU_DEP_1) | instskip(NEXT) | instid1(VALU_DEP_2)
	v_add_nc_u32_e32 v44, v50, v84
	v_add_nc_u32_e32 v45, v34, v69
	s_wait_dscnt 0x0
	v_cmp_eq_u32_e32 vcc_lo, 0, v30
	s_delay_alu instid0(VALU_DEP_2) | instskip(SKIP_1) | instid1(VALU_DEP_1)
	v_dual_add_nc_u32 v36, v44, v83 :: v_dual_cndmask_b32 v34, 0, v45, s0
	v_cndmask_b32_e32 v33, 0, v33, vcc_lo
	v_dual_add_nc_u32 v37, v34, v68 :: v_dual_add_nc_u32 v34, v33, v31
	s_branch .LBB304_96
.LBB304_85:
	s_wait_kmcnt 0x0
	s_cmp_eq_u64 s[28:29], 0
	v_mov_b32_e32 v34, v75
	s_cselect_b32 s0, -1, 0
	s_delay_alu instid0(SALU_CYCLE_1) | instskip(NEXT) | instid1(SALU_CYCLE_1)
	s_or_b32 s0, s26, s0
	s_and_b32 vcc_lo, exec_lo, s0
	s_cbranch_vccnz .LBB304_87
; %bb.86:
	v_mov_b32_e32 v30, 0
	global_load_b32 v34, v30, s[28:29]
.LBB304_87:
	v_add3_u32 v31, v100, v80, v81
	v_cmp_eq_u32_e64 s6, 0, v88
	v_cmp_eq_u32_e64 s7, 0, v87
	;; [unrolled: 1-line block ×4, first 2 shown]
	v_add3_u32 v31, v31, v79, v78
	s_wait_xcnt 0x0
	v_dual_cndmask_b32 v30, 0, v75, s6 :: v_dual_bitop2_b32 v33, 15, v97 bitop3:0x40
	v_cmp_eq_u32_e64 s10, 0, v80
	v_cmp_eq_u32_e64 s11, 0, v81
	v_add3_u32 v31, v31, v76, v1
	v_cmp_eq_u32_e64 s5, 0, v79
	v_cmp_eq_u32_e64 s4, 0, v78
	;; [unrolled: 1-line block ×4, first 2 shown]
	v_add3_u32 v31, v31, v77, v84
	v_cmp_eq_u32_e64 s1, 0, v77
	v_cmp_eq_u32_e32 vcc_lo, 0, v84
	v_cmp_eq_u32_e64 s0, 0, v83
	v_cmp_eq_u32_e64 s12, 0, v86
	v_add3_u32 v31, v31, v83, v86
	v_add_nc_u32_e32 v30, v30, v72
	s_delay_alu instid0(VALU_DEP_2) | instskip(NEXT) | instid1(VALU_DEP_2)
	v_mov_b32_dpp v35, v31 row_shr:1 row_mask:0xf bank_mask:0xf
	v_cndmask_b32_e64 v30, 0, v30, s7
	s_delay_alu instid0(VALU_DEP_1) | instskip(NEXT) | instid1(VALU_DEP_1)
	v_add_nc_u32_e32 v30, v30, v74
	v_cndmask_b32_e64 v30, 0, v30, s8
	s_delay_alu instid0(VALU_DEP_1) | instskip(NEXT) | instid1(VALU_DEP_1)
	v_add_nc_u32_e32 v30, v30, v92
	;; [unrolled: 3-line block ×10, first 2 shown]
	v_cndmask_b32_e32 v30, 0, v30, vcc_lo
	s_delay_alu instid0(VALU_DEP_1) | instskip(NEXT) | instid1(VALU_DEP_1)
	v_add_nc_u32_e32 v30, v30, v69
	v_cndmask_b32_e64 v30, 0, v30, s0
	s_delay_alu instid0(VALU_DEP_1) | instskip(NEXT) | instid1(VALU_DEP_1)
	v_add_nc_u32_e32 v30, v30, v68
	v_cndmask_b32_e64 v30, 0, v30, s12
	v_cmp_eq_u32_e64 s12, 0, v31
	s_delay_alu instid0(VALU_DEP_2) | instskip(NEXT) | instid1(VALU_DEP_1)
	v_add_nc_u32_e32 v30, v30, v95
	v_mov_b32_dpp v32, v30 row_shr:1 row_mask:0xf bank_mask:0xf
	s_delay_alu instid0(VALU_DEP_1) | instskip(SKIP_1) | instid1(VALU_DEP_1)
	v_cndmask_b32_e64 v32, 0, v32, s12
	v_cmp_eq_u32_e64 s12, 0, v33
	v_cndmask_b32_e64 v35, v35, 0, s12
	s_delay_alu instid0(VALU_DEP_3) | instskip(SKIP_1) | instid1(VALU_DEP_2)
	v_cndmask_b32_e64 v32, v32, 0, s12
	v_cmp_lt_u32_e64 s12, 1, v33
	v_dual_add_nc_u32 v31, v35, v31 :: v_dual_add_nc_u32 v30, v32, v30
	s_delay_alu instid0(VALU_DEP_1) | instskip(SKIP_1) | instid1(VALU_DEP_3)
	v_mov_b32_dpp v32, v31 row_shr:2 row_mask:0xf bank_mask:0xf
	v_cmp_eq_u32_e64 s13, 0, v31
	v_mov_b32_dpp v35, v30 row_shr:2 row_mask:0xf bank_mask:0xf
	s_delay_alu instid0(VALU_DEP_3)
	v_cndmask_b32_e64 v32, 0, v32, s12
	s_and_b32 s12, s12, s13
	s_delay_alu instid0(VALU_DEP_2) | instid1(SALU_CYCLE_1)
	v_cndmask_b32_e64 v35, 0, v35, s12
	v_cmp_lt_u32_e64 s12, 3, v33
	s_delay_alu instid0(VALU_DEP_3) | instskip(NEXT) | instid1(VALU_DEP_3)
	v_add_nc_u32_e32 v31, v31, v32
	v_add_nc_u32_e32 v30, v35, v30
	s_delay_alu instid0(VALU_DEP_2) | instskip(SKIP_1) | instid1(VALU_DEP_3)
	v_mov_b32_dpp v32, v31 row_shr:4 row_mask:0xf bank_mask:0xf
	v_cmp_eq_u32_e64 s13, 0, v31
	v_mov_b32_dpp v35, v30 row_shr:4 row_mask:0xf bank_mask:0xf
	s_delay_alu instid0(VALU_DEP_3)
	v_cndmask_b32_e64 v32, 0, v32, s12
	s_and_b32 s12, s12, s13
	s_delay_alu instid0(VALU_DEP_2) | instid1(SALU_CYCLE_1)
	v_cndmask_b32_e64 v35, 0, v35, s12
	v_cmp_lt_u32_e64 s12, 7, v33
	s_delay_alu instid0(VALU_DEP_3) | instskip(NEXT) | instid1(VALU_DEP_3)
	v_add_nc_u32_e32 v31, v32, v31
	v_add_nc_u32_e32 v30, v30, v35
	v_bfe_i32 v35, v97, 4, 1
	s_delay_alu instid0(VALU_DEP_3) | instskip(SKIP_1) | instid1(VALU_DEP_4)
	v_mov_b32_dpp v32, v31 row_shr:8 row_mask:0xf bank_mask:0xf
	v_cmp_eq_u32_e64 s13, 0, v31
	v_mov_b32_dpp v33, v30 row_shr:8 row_mask:0xf bank_mask:0xf
	s_delay_alu instid0(VALU_DEP_3) | instskip(SKIP_2) | instid1(VALU_DEP_2)
	v_cndmask_b32_e64 v32, 0, v32, s12
	s_and_b32 s12, s12, s13
	s_mov_b32 s13, exec_lo
	v_cndmask_b32_e64 v33, 0, v33, s12
	s_delay_alu instid0(VALU_DEP_1) | instskip(SKIP_4) | instid1(VALU_DEP_1)
	v_dual_add_nc_u32 v33, v33, v30 :: v_dual_add_nc_u32 v30, v32, v31
	ds_swizzle_b32 v31, v33 offset:swizzle(BROADCAST,32,15)
	ds_swizzle_b32 v32, v30 offset:swizzle(BROADCAST,32,15)
	v_cmp_eq_u32_e64 s12, 0, v30
	s_wait_dscnt 0x0
	v_dual_cndmask_b32 v31, 0, v31, s12 :: v_dual_bitop2_b32 v32, v35, v32 bitop3:0x40
	s_delay_alu instid0(VALU_DEP_1) | instskip(NEXT) | instid1(VALU_DEP_1)
	v_dual_add_nc_u32 v30, v32, v30 :: v_dual_bitop2_b32 v31, v35, v31 bitop3:0x40
	v_dual_add_nc_u32 v31, v31, v33 :: v_dual_lshlrev_b32 v33, 3, v98
	v_cmpx_eq_u32_e64 v0, v99
; %bb.88:
	ds_store_b64 v33, v[30:31] offset:4112
; %bb.89:
	s_or_b32 exec_lo, exec_lo, s13
	s_delay_alu instid0(SALU_CYCLE_1)
	s_mov_b32 s14, exec_lo
	s_wait_loadcnt_dscnt 0x0
	s_barrier_signal -1
	s_barrier_wait -1
	v_cmpx_gt_u32_e32 8, v0
	s_cbranch_execz .LBB304_91
; %bb.90:
	v_dual_lshlrev_b32 v32, 3, v0 :: v_dual_bitop2_b32 v38, 7, v97 bitop3:0x40
	ds_load_b64 v[36:37], v32 offset:4112
	s_wait_dscnt 0x0
	v_mov_b32_dpp v35, v37 row_shr:1 row_mask:0xf bank_mask:0xf
	v_cmp_eq_u32_e64 s12, 0, v36
	v_mov_b32_dpp v39, v36 row_shr:1 row_mask:0xf bank_mask:0xf
	s_delay_alu instid0(VALU_DEP_2) | instskip(SKIP_1) | instid1(VALU_DEP_1)
	v_cndmask_b32_e64 v35, 0, v35, s12
	v_cmp_eq_u32_e64 s12, 0, v38
	v_cndmask_b32_e64 v39, v39, 0, s12
	s_delay_alu instid0(VALU_DEP_1) | instskip(NEXT) | instid1(VALU_DEP_4)
	v_add_nc_u32_e32 v36, v39, v36
	v_cndmask_b32_e64 v35, v35, 0, s12
	v_cmp_lt_u32_e64 s12, 1, v38
	s_delay_alu instid0(VALU_DEP_3) | instskip(NEXT) | instid1(VALU_DEP_3)
	v_cmp_eq_u32_e64 s13, 0, v36
	v_add_nc_u32_e32 v35, v35, v37
	v_mov_b32_dpp v37, v36 row_shr:2 row_mask:0xf bank_mask:0xf
	s_delay_alu instid0(VALU_DEP_1) | instskip(NEXT) | instid1(VALU_DEP_3)
	v_cndmask_b32_e64 v37, 0, v37, s12
	v_mov_b32_dpp v39, v35 row_shr:2 row_mask:0xf bank_mask:0xf
	s_and_b32 s12, s12, s13
	s_delay_alu instid0(VALU_DEP_1) | instid1(SALU_CYCLE_1)
	v_dual_add_nc_u32 v36, v37, v36 :: v_dual_cndmask_b32 v39, 0, v39, s12
	v_cmp_lt_u32_e64 s12, 3, v38
	s_delay_alu instid0(VALU_DEP_2) | instskip(NEXT) | instid1(VALU_DEP_3)
	v_mov_b32_dpp v37, v36 row_shr:4 row_mask:0xf bank_mask:0xf
	v_add_nc_u32_e32 v35, v39, v35
	v_cmp_eq_u32_e64 s13, 0, v36
	s_delay_alu instid0(VALU_DEP_3) | instskip(NEXT) | instid1(VALU_DEP_3)
	v_cndmask_b32_e64 v37, 0, v37, s12
	v_mov_b32_dpp v38, v35 row_shr:4 row_mask:0xf bank_mask:0xf
	s_and_b32 s12, s12, s13
	s_delay_alu instid0(VALU_DEP_1) | instid1(SALU_CYCLE_1)
	v_dual_add_nc_u32 v36, v37, v36 :: v_dual_cndmask_b32 v38, 0, v38, s12
	s_delay_alu instid0(VALU_DEP_1)
	v_add_nc_u32_e32 v37, v38, v35
	ds_store_b64 v32, v[36:37] offset:4112
.LBB304_91:
	s_or_b32 exec_lo, exec_lo, s14
	v_dual_mov_b32 v35, 0 :: v_dual_mov_b32 v32, 0
	v_mov_b32_e32 v36, v34
	s_mov_b32 s13, exec_lo
	s_wait_dscnt 0x0
	s_barrier_signal -1
	s_barrier_wait -1
	v_cmpx_lt_u32_e32 31, v0
	s_cbranch_execz .LBB304_93
; %bb.92:
	ds_load_b64 v[32:33], v33 offset:4104
	s_wait_dscnt 0x0
	v_cmp_eq_u32_e64 s12, 0, v32
	s_delay_alu instid0(VALU_DEP_1) | instskip(NEXT) | instid1(VALU_DEP_1)
	v_cndmask_b32_e64 v36, 0, v34, s12
	v_add_nc_u32_e32 v36, v36, v33
.LBB304_93:
	s_or_b32 exec_lo, exec_lo, s13
	v_sub_co_u32 v33, s12, v97, 1
	s_delay_alu instid0(VALU_DEP_1) | instskip(NEXT) | instid1(VALU_DEP_1)
	v_cmp_gt_i32_e64 s13, 0, v33
	v_cndmask_b32_e64 v33, v33, v97, s13
	v_cmp_eq_u32_e64 s13, 0, v30
	s_delay_alu instid0(VALU_DEP_1) | instskip(NEXT) | instid1(VALU_DEP_3)
	v_dual_cndmask_b32 v37, 0, v36, s13 :: v_dual_add_nc_u32 v30, v32, v30
	v_lshlrev_b32_e32 v33, 2, v33
	v_cmp_eq_u32_e64 s13, 0, v96
	ds_bpermute_b32 v30, v33, v30
	s_wait_dscnt 0x0
	v_dual_add_nc_u32 v31, v37, v31 :: v_dual_cndmask_b32 v30, v30, v32, s12
	ds_bpermute_b32 v31, v33, v31
	s_wait_dscnt 0x0
	v_cndmask_b32_e64 v31, v31, v36, s12
	v_cmp_eq_u32_e64 s12, 0, v0
	s_delay_alu instid0(VALU_DEP_1) | instskip(SKIP_1) | instid1(VALU_DEP_1)
	v_cndmask_b32_e64 v63, v31, v34, s12
	v_cndmask_b32_e64 v62, v30, 0, s12
	v_dual_cndmask_b32 v31, 0, v63, s13 :: v_dual_add_nc_u32 v66, v62, v96
	s_delay_alu instid0(VALU_DEP_1) | instskip(NEXT) | instid1(VALU_DEP_1)
	v_dual_add_nc_u32 v67, v31, v75 :: v_dual_add_nc_u32 v64, v66, v88
	v_cndmask_b32_e64 v31, 0, v67, s6
	s_delay_alu instid0(VALU_DEP_1) | instskip(NEXT) | instid1(VALU_DEP_1)
	v_dual_add_nc_u32 v60, v64, v87 :: v_dual_add_nc_u32 v65, v31, v72
	v_add_nc_u32_e32 v56, v60, v85
	s_delay_alu instid0(VALU_DEP_1) | instskip(NEXT) | instid1(VALU_DEP_1)
	v_dual_cndmask_b32 v31, 0, v65, s7 :: v_dual_add_nc_u32 v52, v56, v82
	v_dual_add_nc_u32 v61, v31, v74 :: v_dual_add_nc_u32 v48, v52, v80
	s_delay_alu instid0(VALU_DEP_1) | instskip(NEXT) | instid1(VALU_DEP_1)
	v_cndmask_b32_e64 v31, 0, v61, s8
	v_dual_add_nc_u32 v54, v48, v81 :: v_dual_add_nc_u32 v57, v31, v92
	s_delay_alu instid0(VALU_DEP_1) | instskip(NEXT) | instid1(VALU_DEP_1)
	v_dual_add_nc_u32 v58, v54, v79 :: v_dual_cndmask_b32 v31, 0, v57, s9
	v_add_nc_u32_e32 v38, v58, v78
	s_delay_alu instid0(VALU_DEP_2) | instskip(NEXT) | instid1(VALU_DEP_1)
	v_add_nc_u32_e32 v53, v31, v94
	v_cndmask_b32_e64 v31, 0, v53, s10
	s_delay_alu instid0(VALU_DEP_1) | instskip(NEXT) | instid1(VALU_DEP_1)
	v_add_nc_u32_e32 v49, v31, v90
	v_cndmask_b32_e64 v31, 0, v49, s11
	s_delay_alu instid0(VALU_DEP_1) | instskip(NEXT) | instid1(VALU_DEP_1)
	;; [unrolled: 3-line block ×5, first 2 shown]
	v_add_nc_u32_e32 v41, v30, v73
	v_cndmask_b32_e64 v30, 0, v41, s2
	s_delay_alu instid0(VALU_DEP_1) | instskip(SKIP_2) | instid1(VALU_DEP_1)
	v_add_nc_u32_e32 v47, v30, v71
	ds_load_b64 v[30:31], v35 offset:4168
	v_dual_cndmask_b32 v32, 0, v47, s1 :: v_dual_add_nc_u32 v40, v38, v76
	v_add_nc_u32_e32 v51, v32, v70
	s_delay_alu instid0(VALU_DEP_1) | instskip(SKIP_2) | instid1(VALU_DEP_2)
	v_dual_add_nc_u32 v46, v40, v1 :: v_dual_cndmask_b32 v32, 0, v51, vcc_lo
	s_wait_dscnt 0x0
	v_cmp_eq_u32_e32 vcc_lo, 0, v30
	v_dual_cndmask_b32 v33, 0, v34 :: v_dual_add_nc_u32 v50, v46, v77
	s_delay_alu instid0(VALU_DEP_1) | instskip(NEXT) | instid1(VALU_DEP_1)
	v_dual_add_nc_u32 v45, v32, v69 :: v_dual_add_nc_u32 v44, v50, v84
	v_dual_add_nc_u32 v34, v33, v31 :: v_dual_cndmask_b32 v32, 0, v45, s0
	s_delay_alu instid0(VALU_DEP_2) | instskip(NEXT) | instid1(VALU_DEP_2)
	v_add_nc_u32_e32 v36, v44, v83
	v_add_nc_u32_e32 v37, v32, v68
	s_and_saveexec_b32 s0, s12
	s_cbranch_execz .LBB304_95
; %bb.94:
	s_add_nc_u64 s[2:3], s[24:25], 0x200
	v_dual_mov_b32 v32, 2 :: v_dual_mov_b32 v33, 0
	v_mov_b32_e32 v31, v34
	v_mov_b64_e32 v[68:69], s[2:3]
	;;#ASMSTART
	global_store_b128 v[68:69], v[30:33] off scope:SCOPE_DEV	
s_wait_storecnt 0x0
	;;#ASMEND
.LBB304_95:
	s_or_b32 exec_lo, exec_lo, s0
	v_mov_b32_e32 v32, 0
.LBB304_96:
	s_cmp_eq_u64 s[22:23], 0
	v_mov_b64_e32 v[68:69], 0
	s_cselect_b32 s0, -1, 0
	s_delay_alu instid0(SALU_CYCLE_1)
	s_or_b32 s0, s26, s0
	s_barrier_signal -1
	s_and_b32 vcc_lo, exec_lo, s0
	s_barrier_wait -1
	s_cbranch_vccnz .LBB304_98
; %bb.97:
	v_mov_b32_e32 v31, 0
	global_load_b64 v[68:69], v31, s[22:23]
.LBB304_98:
	v_cmp_eq_u32_e32 vcc_lo, 0, v96
	s_wait_loadcnt 0x0
	v_lshlrev_b64_e32 v[70:71], 3, v[68:69]
	v_cmp_ne_u32_e64 s14, 0, v96
	v_cmp_ne_u32_e64 s13, 0, v88
	;; [unrolled: 1-line block ×3, first 2 shown]
	v_cndmask_b32_e64 v31, 1, 2, vcc_lo
	v_cmp_eq_u32_e32 vcc_lo, 0, v88
	v_cmp_ne_u32_e64 s11, 0, v85
	s_wait_kmcnt 0x0
	v_add_nc_u64_e32 v[74:75], s[16:17], v[70:71]
	v_cmp_ne_u32_e64 s10, 0, v82
	v_cmp_ne_u32_e64 s9, 0, v80
	v_cndmask_b32_e64 v33, 1, 2, vcc_lo
	v_cmp_eq_u32_e32 vcc_lo, 0, v87
	v_cmp_ne_u32_e64 s8, 0, v81
	v_cmp_ne_u32_e64 s7, 0, v79
	;; [unrolled: 1-line block ×4, first 2 shown]
	v_cndmask_b32_e64 v35, 1, 2, vcc_lo
	v_cmp_eq_u32_e32 vcc_lo, 0, v85
	v_cmp_ne_u32_e64 s4, 0, v1
	v_cmp_ne_u32_e64 s3, 0, v77
	;; [unrolled: 1-line block ×3, first 2 shown]
	v_bitop3_b16 v31, v33, v35, v31 bitop3:0x80
	v_cndmask_b32_e64 v35, 1, 2, vcc_lo
	v_cmp_eq_u32_e32 vcc_lo, 0, v82
	v_mov_b32_e32 v33, 0
	v_cmp_ne_u32_e64 s1, 0, v83
	v_cmp_ne_u32_e64 s0, 0, v86
	s_mov_b32 s16, -1
	v_cndmask_b32_e64 v72, 1, 2, vcc_lo
	v_cmp_eq_u32_e32 vcc_lo, 0, v80
	s_delay_alu instid0(VALU_DEP_2)
	v_bitop3_b16 v31, v31, v72, v35 bitop3:0x80
	v_cndmask_b32_e64 v35, 1, 2, vcc_lo
	v_cmp_eq_u32_e32 vcc_lo, 0, v81
	v_lshlrev_b64_e32 v[72:73], 3, v[32:33]
	v_cndmask_b32_e64 v89, 1, 2, vcc_lo
	v_cmp_eq_u32_e32 vcc_lo, 0, v79
	s_delay_alu instid0(VALU_DEP_3) | instskip(NEXT) | instid1(VALU_DEP_3)
	v_add_nc_u64_e32 v[74:75], v[74:75], v[72:73]
	v_bitop3_b16 v31, v31, v89, v35 bitop3:0x80
	v_cndmask_b32_e64 v35, 1, 2, vcc_lo
	v_cmp_eq_u32_e32 vcc_lo, 0, v78
	v_cndmask_b32_e64 v89, 1, 2, vcc_lo
	v_cmp_eq_u32_e32 vcc_lo, 0, v76
	s_delay_alu instid0(VALU_DEP_2) | instskip(SKIP_4) | instid1(VALU_DEP_2)
	v_bitop3_b16 v31, v31, v89, v35 bitop3:0x80
	v_cndmask_b32_e64 v35, 1, 2, vcc_lo
	v_cmp_eq_u32_e32 vcc_lo, 0, v1
	v_cndmask_b32_e64 v89, 1, 2, vcc_lo
	v_cmp_eq_u32_e32 vcc_lo, 0, v77
	v_bitop3_b16 v31, v31, v89, v35 bitop3:0x80
	v_cndmask_b32_e64 v35, 1, 2, vcc_lo
	v_cmp_eq_u32_e32 vcc_lo, 0, v84
	v_cndmask_b32_e64 v89, 1, 2, vcc_lo
	v_cmp_eq_u32_e32 vcc_lo, 0, v83
	s_delay_alu instid0(VALU_DEP_2) | instskip(SKIP_4) | instid1(VALU_DEP_2)
	v_bitop3_b16 v31, v31, v89, v35 bitop3:0x80
	v_cndmask_b32_e64 v35, 1, 2, vcc_lo
	v_cmp_eq_u32_e32 vcc_lo, 0, v86
	v_cndmask_b32_e64 v89, 1, 2, vcc_lo
	v_cmp_gt_u32_e32 vcc_lo, 0x100, v30
	v_bitop3_b16 v31, v31, v89, v35 bitop3:0x80
	s_delay_alu instid0(VALU_DEP_1)
	v_cmp_gt_i16_e64 s15, 2, v31
	s_cbranch_vccz .LBB304_105
; %bb.99:
	s_and_saveexec_b32 s16, s15
	s_cbranch_execz .LBB304_104
; %bb.100:
	s_mov_b32 s17, 0
	s_mov_b32 s15, exec_lo
	v_cmpx_ne_u16_e32 1, v31
	s_xor_b32 s15, exec_lo, s15
	s_cbranch_execnz .LBB304_136
; %bb.101:
	s_and_not1_saveexec_b32 s15, s15
	s_cbranch_execnz .LBB304_152
.LBB304_102:
	s_or_b32 exec_lo, exec_lo, s15
	s_delay_alu instid0(SALU_CYCLE_1)
	s_and_b32 exec_lo, exec_lo, s17
	s_cbranch_execz .LBB304_104
.LBB304_103:
	v_sub_nc_u32_e32 v35, v36, v32
	v_readfirstlane_b32 s22, v74
	v_readfirstlane_b32 s23, v75
	global_store_b64 v35, v[42:43], s[22:23] scale_offset
.LBB304_104:
	s_wait_xcnt 0x0
	s_or_b32 exec_lo, exec_lo, s16
	s_mov_b32 s16, 0
.LBB304_105:
	s_delay_alu instid0(SALU_CYCLE_1)
	s_and_b32 vcc_lo, exec_lo, s16
	s_cbranch_vccz .LBB304_115
; %bb.106:
	s_mov_b32 s15, exec_lo
	v_cmpx_gt_i16_e32 2, v31
	s_cbranch_execz .LBB304_111
; %bb.107:
	s_mov_b32 s17, 0
	s_mov_b32 s16, exec_lo
	v_cmpx_ne_u16_e32 1, v31
	s_xor_b32 s16, exec_lo, s16
	s_cbranch_execnz .LBB304_153
; %bb.108:
	s_and_not1_saveexec_b32 s0, s16
	s_cbranch_execnz .LBB304_169
.LBB304_109:
	s_or_b32 exec_lo, exec_lo, s0
	s_delay_alu instid0(SALU_CYCLE_1)
	s_and_b32 exec_lo, exec_lo, s17
.LBB304_110:
	v_sub_nc_u32_e32 v2, v36, v32
	s_delay_alu instid0(VALU_DEP_1)
	v_lshlrev_b32_e32 v2, 3, v2
	ds_store_b64 v2, v[42:43]
.LBB304_111:
	s_or_b32 exec_lo, exec_lo, s15
	s_delay_alu instid0(SALU_CYCLE_1)
	s_mov_b32 s0, exec_lo
	s_wait_storecnt_dscnt 0x0
	s_barrier_signal -1
	s_barrier_wait -1
	v_cmpx_lt_u32_e64 v0, v30
	s_cbranch_execz .LBB304_114
; %bb.112:
	v_dual_mov_b32 v3, v0 :: v_dual_lshlrev_b32 v2, 3, v0
	s_mov_b32 s1, 0
.LBB304_113:                            ; =>This Inner Loop Header: Depth=1
	ds_load_b64 v[4:5], v2
	v_readfirstlane_b32 s2, v74
	v_readfirstlane_b32 s3, v75
	v_add_nc_u32_e32 v2, 0x800, v2
	s_wait_dscnt 0x0
	global_store_b64 v3, v[4:5], s[2:3] scale_offset
	s_wait_xcnt 0x0
	v_add_nc_u32_e32 v3, 0x100, v3
	s_delay_alu instid0(VALU_DEP_1) | instskip(SKIP_1) | instid1(SALU_CYCLE_1)
	v_cmp_ge_u32_e32 vcc_lo, v3, v30
	s_or_b32 s1, vcc_lo, s1
	s_and_not1_b32 exec_lo, exec_lo, s1
	s_cbranch_execnz .LBB304_113
.LBB304_114:
	s_or_b32 exec_lo, exec_lo, s0
.LBB304_115:
	s_cmp_lg_u32 s35, 0xf00
	v_cmp_eq_u32_e32 vcc_lo, 0, v0
	s_cselect_b32 s0, -1, 0
	v_cndmask_b32_e64 v6, 0, 1, s36
	s_and_b32 s0, s33, s0
	v_mad_i32_i24 v4, v0, -15, s35
	v_cndmask_b32_e64 v3, 0, 1, s0
	s_mul_hi_u32 s0, s35, 0x88888889
	s_and_b32 s1, vcc_lo, s36
	s_lshr_b32 s0, s0, 3
	v_sub_nc_u32_e32 v2, v30, v6
	v_cndmask_b32_e64 v5, v96, 0, s1
	v_cmp_eq_u32_e32 vcc_lo, s0, v0
	v_cmp_ne_u32_e64 s0, 0, v4
	s_mov_b32 s16, -1
	v_add_nc_u32_e32 v8, v2, v3
	s_wait_storecnt 0x0
	s_and_b32 vcc_lo, s33, vcc_lo
	v_cndmask_b32_e64 v2, 1, v5, s0
	v_cmp_ne_u32_e64 s0, 1, v4
	s_barrier_signal -1
	s_barrier_wait -1
	s_delay_alu instid0(VALU_DEP_1) | instskip(SKIP_1) | instid1(VALU_DEP_1)
	v_cndmask_b32_e64 v3, 1, v88, s0
	v_cmp_ne_u32_e64 s0, 2, v4
	v_cndmask_b32_e64 v7, 1, v87, s0
	v_cmp_ne_u32_e64 s0, 3, v4
	s_delay_alu instid0(VALU_DEP_1) | instskip(SKIP_2) | instid1(VALU_DEP_3)
	v_cndmask_b32_e64 v9, 1, v85, s0
	v_cmp_ne_u32_e64 s0, 4, v4
	v_cndmask_b32_e32 v21, v88, v3, vcc_lo
	v_dual_cndmask_b32 v7, v87, v7, vcc_lo :: v_dual_cndmask_b32 v9, v85, v9, vcc_lo
	s_delay_alu instid0(VALU_DEP_3) | instskip(SKIP_1) | instid1(VALU_DEP_4)
	v_cndmask_b32_e64 v10, 1, v82, s0
	v_cmp_ne_u32_e64 s0, 5, v4
	v_cmp_ne_u32_e64 s13, 0, v21
	s_delay_alu instid0(VALU_DEP_4) | instskip(SKIP_1) | instid1(VALU_DEP_4)
	v_cmp_ne_u32_e64 s12, 0, v7
	v_cmp_ne_u32_e64 s11, 0, v9
	v_cndmask_b32_e64 v11, 1, v80, s0
	v_cmp_ne_u32_e64 s0, 6, v4
	s_delay_alu instid0(VALU_DEP_2) | instskip(NEXT) | instid1(VALU_DEP_2)
	v_dual_cndmask_b32 v10, v82, v10 :: v_dual_cndmask_b32 v11, v80, v11
	v_cndmask_b32_e64 v12, 1, v81, s0
	v_cmp_ne_u32_e64 s0, 7, v4
	s_delay_alu instid0(VALU_DEP_3) | instskip(NEXT) | instid1(VALU_DEP_2)
	v_cmp_ne_u32_e64 s10, 0, v10
	v_cndmask_b32_e64 v13, 1, v79, s0
	v_cmp_ne_u32_e64 s0, 8, v4
	s_delay_alu instid0(VALU_DEP_2) | instskip(NEXT) | instid1(VALU_DEP_2)
	v_dual_cndmask_b32 v12, v81, v12 :: v_dual_cndmask_b32 v13, v79, v13
	v_cndmask_b32_e64 v14, 1, v78, s0
	v_cmp_ne_u32_e64 s0, 9, v4
	s_delay_alu instid0(VALU_DEP_3) | instskip(NEXT) | instid1(VALU_DEP_4)
	v_cmp_ne_u32_e64 s8, 0, v12
	v_cmp_ne_u32_e64 s7, 0, v13
	s_delay_alu instid0(VALU_DEP_3) | instskip(SKIP_1) | instid1(VALU_DEP_1)
	v_cndmask_b32_e64 v15, 1, v76, s0
	v_cmp_ne_u32_e64 s0, 10, v4
	v_dual_cndmask_b32 v14, v78, v14, vcc_lo :: v_dual_cndmask_b32 v16, 1, v1, s0
	v_cmp_ne_u32_e64 s0, 11, v4
	s_delay_alu instid0(VALU_DEP_2) | instskip(NEXT) | instid1(VALU_DEP_2)
	v_cmp_ne_u32_e64 s6, 0, v14
	v_cndmask_b32_e64 v17, 1, v77, s0
	v_cmp_ne_u32_e64 s0, 14, v4
	s_delay_alu instid0(VALU_DEP_1) | instskip(SKIP_3) | instid1(VALU_DEP_3)
	v_cndmask_b32_e64 v18, 1, v86, s0
	v_cmp_ne_u32_e64 s0, 13, v4
	v_dual_cndmask_b32 v15, v76, v15 :: v_dual_cndmask_b32 v16, v1, v16
	v_add_nc_u32_e32 v1, v32, v6
	v_dual_cndmask_b32 v18, v86, v18, vcc_lo :: v_dual_cndmask_b32 v19, 1, v83, s0
	v_cmp_ne_u32_e64 s0, 12, v4
	v_cndmask_b32_e32 v20, v5, v2, vcc_lo
	v_cndmask_b32_e32 v17, v77, v17, vcc_lo
	v_add_nc_u64_e32 v[2:3], s[18:19], v[70:71]
	s_delay_alu instid0(VALU_DEP_4) | instskip(NEXT) | instid1(VALU_DEP_4)
	v_dual_cndmask_b32 v19, v83, v19, vcc_lo :: v_dual_cndmask_b32 v4, 1, v84, s0
	v_cmp_eq_u32_e64 s0, 0, v20
	v_cmp_ne_u32_e64 s14, 0, v20
	v_cmp_ne_u32_e64 s5, 0, v15
	v_cmp_ne_u32_e64 s4, 0, v16
	v_cndmask_b32_e32 v22, v84, v4, vcc_lo
	v_cndmask_b32_e64 v4, 1, 2, s0
	v_cmp_eq_u32_e64 s0, 0, v21
	v_cmp_eq_u32_e32 vcc_lo, 0, v15
	v_add_nc_u64_e32 v[2:3], v[2:3], v[72:73]
	v_cmp_ne_u32_e64 s3, 0, v17
	v_cmp_ne_u32_e64 s2, 0, v22
	v_cndmask_b32_e64 v5, 1, 2, s0
	v_cmp_eq_u32_e64 s0, 0, v7
	v_cmp_ne_u32_e64 s1, 0, v19
	s_delay_alu instid0(VALU_DEP_2) | instskip(SKIP_1) | instid1(VALU_DEP_2)
	v_cndmask_b32_e64 v23, 1, 2, s0
	v_cmp_eq_u32_e64 s0, 0, v9
	v_bitop3_b16 v23, v5, v23, v4 bitop3:0x80
	s_delay_alu instid0(VALU_DEP_2) | instskip(SKIP_3) | instid1(VALU_DEP_3)
	v_cndmask_b32_e64 v24, 1, 2, s0
	v_cmp_eq_u32_e64 s0, 0, v10
	v_dual_mov_b32 v5, 0 :: v_dual_lshlrev_b32 v4, 3, v6
	v_cmp_ne_u32_e64 s9, 0, v11
	v_cndmask_b32_e64 v25, 1, 2, s0
	v_cmp_eq_u32_e64 s0, 0, v11
	s_delay_alu instid0(VALU_DEP_4) | instskip(NEXT) | instid1(VALU_DEP_3)
	v_add_nc_u64_e32 v[4:5], v[2:3], v[4:5]
	v_bitop3_b16 v23, v23, v25, v24 bitop3:0x80
	s_delay_alu instid0(VALU_DEP_3) | instskip(SKIP_1) | instid1(VALU_DEP_4)
	v_cndmask_b32_e64 v24, 1, 2, s0
	v_cmp_eq_u32_e64 s0, 0, v12
	v_add_nc_u64_e32 v[4:5], -8, v[4:5]
	s_delay_alu instid0(VALU_DEP_2) | instskip(SKIP_1) | instid1(VALU_DEP_2)
	v_cndmask_b32_e64 v25, 1, 2, s0
	v_cmp_eq_u32_e64 s0, 0, v13
	v_bitop3_b16 v23, v23, v25, v24 bitop3:0x80
	s_delay_alu instid0(VALU_DEP_2) | instskip(SKIP_1) | instid1(VALU_DEP_1)
	v_cndmask_b32_e64 v24, 1, 2, s0
	v_cmp_eq_u32_e64 s0, 0, v14
	v_cndmask_b32_e64 v25, 1, 2, s0
	v_cmp_ne_u32_e64 s0, 0, v18
	s_delay_alu instid0(VALU_DEP_2) | instskip(SKIP_4) | instid1(VALU_DEP_2)
	v_bitop3_b16 v6, v23, v25, v24 bitop3:0x80
	v_cndmask_b32_e64 v23, 1, 2, vcc_lo
	v_cmp_eq_u32_e32 vcc_lo, 0, v16
	v_cndmask_b32_e64 v24, 1, 2, vcc_lo
	v_cmp_eq_u32_e32 vcc_lo, 0, v17
	v_bitop3_b16 v6, v6, v24, v23 bitop3:0x80
	v_cndmask_b32_e64 v7, 1, 2, vcc_lo
	v_cmp_eq_u32_e32 vcc_lo, 0, v22
	v_cndmask_b32_e64 v9, 1, 2, vcc_lo
	v_cmp_eq_u32_e32 vcc_lo, 0, v19
	s_delay_alu instid0(VALU_DEP_2) | instskip(SKIP_4) | instid1(VALU_DEP_2)
	v_bitop3_b16 v6, v6, v9, v7 bitop3:0x80
	v_cndmask_b32_e64 v7, 1, 2, vcc_lo
	v_cmp_eq_u32_e32 vcc_lo, 0, v18
	v_cndmask_b32_e64 v9, 1, 2, vcc_lo
	v_cmp_gt_u32_e32 vcc_lo, 0x100, v8
	v_bitop3_b16 v6, v6, v9, v7 bitop3:0x80
	s_delay_alu instid0(VALU_DEP_1)
	v_cmp_gt_i16_e64 s15, 2, v6
	s_cbranch_vccnz .LBB304_119
; %bb.116:
	s_and_b32 vcc_lo, exec_lo, s16
	s_cbranch_vccnz .LBB304_125
.LBB304_117:
	v_cmp_eq_u32_e32 vcc_lo, 0xff, v0
	s_and_b32 s0, vcc_lo, s33
	s_delay_alu instid0(SALU_CYCLE_1)
	s_and_saveexec_b32 s1, s0
	s_cbranch_execnz .LBB304_134
.LBB304_118:
	s_sendmsg sendmsg(MSG_DEALLOC_VGPRS)
	s_endpgm
.LBB304_119:
	s_and_saveexec_b32 s16, s15
	s_cbranch_execz .LBB304_124
; %bb.120:
	s_mov_b32 s17, 0
	s_mov_b32 s15, exec_lo
	v_cmpx_ne_u16_e32 1, v6
	s_xor_b32 s15, exec_lo, s15
	s_cbranch_execnz .LBB304_170
; %bb.121:
	s_and_not1_saveexec_b32 s15, s15
	s_cbranch_execnz .LBB304_186
.LBB304_122:
	s_or_b32 exec_lo, exec_lo, s15
	s_delay_alu instid0(SALU_CYCLE_1)
	s_and_b32 exec_lo, exec_lo, s17
	s_cbranch_execz .LBB304_124
.LBB304_123:
	v_dual_mov_b32 v11, 0 :: v_dual_mov_b32 v10, v37
	v_sub_nc_u32_e32 v7, v36, v1
	v_readfirstlane_b32 s18, v4
	v_readfirstlane_b32 s19, v5
	global_store_b64 v7, v[10:11], s[18:19] scale_offset
.LBB304_124:
	s_wait_xcnt 0x0
	s_or_b32 exec_lo, exec_lo, s16
	s_branch .LBB304_117
.LBB304_125:
	s_mov_b32 s15, exec_lo
	v_cmpx_gt_i16_e32 2, v6
	s_cbranch_execz .LBB304_130
; %bb.126:
	s_mov_b32 s17, 0
	s_mov_b32 s16, exec_lo
	v_cmpx_ne_u16_e32 1, v6
	s_xor_b32 s16, exec_lo, s16
	s_cbranch_execnz .LBB304_187
; %bb.127:
	s_and_not1_saveexec_b32 s0, s16
	s_cbranch_execnz .LBB304_203
.LBB304_128:
	s_or_b32 exec_lo, exec_lo, s0
	s_delay_alu instid0(SALU_CYCLE_1)
	s_and_b32 exec_lo, exec_lo, s17
.LBB304_129:
	v_sub_nc_u32_e32 v1, v36, v1
	s_delay_alu instid0(VALU_DEP_1)
	v_lshlrev_b32_e32 v1, 2, v1
	ds_store_b32 v1, v37
.LBB304_130:
	s_or_b32 exec_lo, exec_lo, s15
	s_delay_alu instid0(SALU_CYCLE_1)
	s_mov_b32 s0, exec_lo
	s_wait_storecnt_dscnt 0x0
	s_barrier_signal -1
	s_barrier_wait -1
	v_cmpx_lt_u32_e64 v0, v8
	s_cbranch_execz .LBB304_133
; %bb.131:
	v_dual_lshlrev_b32 v1, 2, v0 :: v_dual_mov_b32 v7, 0
	v_mov_b32_e32 v9, v0
	s_mov_b32 s1, 0
.LBB304_132:                            ; =>This Inner Loop Header: Depth=1
	ds_load_b32 v6, v1
	v_readfirstlane_b32 s2, v4
	v_readfirstlane_b32 s3, v5
	v_add_nc_u32_e32 v1, 0x400, v1
	s_wait_dscnt 0x0
	global_store_b64 v9, v[6:7], s[2:3] scale_offset
	s_wait_xcnt 0x0
	v_add_nc_u32_e32 v9, 0x100, v9
	s_delay_alu instid0(VALU_DEP_1) | instskip(SKIP_1) | instid1(SALU_CYCLE_1)
	v_cmp_ge_u32_e32 vcc_lo, v9, v8
	s_or_b32 s1, vcc_lo, s1
	s_and_not1_b32 exec_lo, exec_lo, s1
	s_cbranch_execnz .LBB304_132
.LBB304_133:
	s_or_b32 exec_lo, exec_lo, s0
	v_cmp_eq_u32_e32 vcc_lo, 0xff, v0
	s_and_b32 s0, vcc_lo, s33
	s_delay_alu instid0(SALU_CYCLE_1)
	s_and_saveexec_b32 s1, s0
	s_cbranch_execz .LBB304_118
.LBB304_134:
	v_mov_b32_e32 v31, 0
	s_cmp_lg_u32 s35, 0xf00
	s_delay_alu instid0(VALU_DEP_1) | instskip(NEXT) | instid1(VALU_DEP_1)
	v_add_nc_u64_e32 v[0:1], v[30:31], v[32:33]
	v_add_nc_u64_e32 v[0:1], v[0:1], v[68:69]
	global_store_b64 v31, v[0:1], s[20:21]
	s_cbranch_scc1 .LBB304_118
; %bb.135:
	s_wait_xcnt 0x0
	v_lshlrev_b64_e32 v[0:1], 3, v[30:31]
	v_mov_b32_e32 v35, v31
	s_delay_alu instid0(VALU_DEP_2)
	v_add_nc_u64_e32 v[0:1], v[2:3], v[0:1]
	global_store_b64 v[0:1], v[34:35], off offset:-8
	s_sendmsg sendmsg(MSG_DEALLOC_VGPRS)
	s_endpgm
.LBB304_136:
	s_and_saveexec_b32 s17, s14
	s_cbranch_execnz .LBB304_204
; %bb.137:
	s_or_b32 exec_lo, exec_lo, s17
	s_and_saveexec_b32 s17, s13
	s_cbranch_execnz .LBB304_205
.LBB304_138:
	s_or_b32 exec_lo, exec_lo, s17
	s_and_saveexec_b32 s17, s12
	s_cbranch_execnz .LBB304_206
.LBB304_139:
	s_or_b32 exec_lo, exec_lo, s17
	s_and_saveexec_b32 s17, s11
	s_cbranch_execnz .LBB304_207
.LBB304_140:
	s_or_b32 exec_lo, exec_lo, s17
	s_and_saveexec_b32 s17, s10
	s_cbranch_execnz .LBB304_208
.LBB304_141:
	s_or_b32 exec_lo, exec_lo, s17
	s_and_saveexec_b32 s17, s9
	s_cbranch_execnz .LBB304_209
.LBB304_142:
	s_or_b32 exec_lo, exec_lo, s17
	s_and_saveexec_b32 s17, s8
	s_cbranch_execnz .LBB304_210
.LBB304_143:
	s_or_b32 exec_lo, exec_lo, s17
	s_and_saveexec_b32 s17, s7
	s_cbranch_execnz .LBB304_211
.LBB304_144:
	s_or_b32 exec_lo, exec_lo, s17
	s_and_saveexec_b32 s17, s6
	s_cbranch_execnz .LBB304_212
.LBB304_145:
	s_or_b32 exec_lo, exec_lo, s17
	s_and_saveexec_b32 s17, s5
	s_cbranch_execnz .LBB304_213
.LBB304_146:
	s_or_b32 exec_lo, exec_lo, s17
	s_and_saveexec_b32 s17, s4
	s_cbranch_execnz .LBB304_214
.LBB304_147:
	s_or_b32 exec_lo, exec_lo, s17
	s_and_saveexec_b32 s17, s3
	s_cbranch_execnz .LBB304_215
.LBB304_148:
	s_or_b32 exec_lo, exec_lo, s17
	s_and_saveexec_b32 s17, s2
	s_cbranch_execnz .LBB304_216
.LBB304_149:
	s_or_b32 exec_lo, exec_lo, s17
	s_and_saveexec_b32 s17, s1
	s_cbranch_execz .LBB304_151
.LBB304_150:
	v_sub_nc_u32_e32 v35, v44, v32
	v_readfirstlane_b32 s22, v74
	v_readfirstlane_b32 s23, v75
	global_store_b64 v35, v[4:5], s[22:23] scale_offset
.LBB304_151:
	s_wait_xcnt 0x0
	s_or_b32 exec_lo, exec_lo, s17
	s_delay_alu instid0(SALU_CYCLE_1)
	s_and_b32 s17, s0, exec_lo
	s_and_not1_saveexec_b32 s15, s15
	s_cbranch_execz .LBB304_102
.LBB304_152:
	v_dual_sub_nc_u32 v35, v62, v32 :: v_dual_sub_nc_u32 v90, v64, v32
	v_readfirstlane_b32 s22, v74
	v_readfirstlane_b32 s23, v75
	v_dual_sub_nc_u32 v89, v66, v32 :: v_dual_sub_nc_u32 v91, v60, v32
	s_clause 0x2
	global_store_b64 v35, v[26:27], s[22:23] scale_offset
	global_store_b64 v89, v[28:29], s[22:23] scale_offset
	;; [unrolled: 1-line block ×3, first 2 shown]
	s_wait_xcnt 0x2
	v_sub_nc_u32_e32 v35, v56, v32
	s_wait_xcnt 0x1
	v_sub_nc_u32_e32 v89, v52, v32
	;; [unrolled: 2-line block ×3, first 2 shown]
	global_store_b64 v91, v[24:25], s[22:23] scale_offset
	s_wait_xcnt 0x0
	v_sub_nc_u32_e32 v91, v54, v32
	global_store_b64 v35, v[18:19], s[22:23] scale_offset
	s_wait_xcnt 0x0
	v_sub_nc_u32_e32 v35, v58, v32
	s_clause 0x2
	global_store_b64 v89, v[20:21], s[22:23] scale_offset
	global_store_b64 v90, v[14:15], s[22:23] scale_offset
	;; [unrolled: 1-line block ×3, first 2 shown]
	s_wait_xcnt 0x2
	v_sub_nc_u32_e32 v89, v38, v32
	s_wait_xcnt 0x0
	v_sub_nc_u32_e32 v91, v50, v32
	v_sub_nc_u32_e32 v90, v46, v32
	global_store_b64 v35, v[10:11], s[22:23] scale_offset
	s_wait_xcnt 0x0
	v_sub_nc_u32_e32 v35, v40, v32
	global_store_b64 v89, v[12:13], s[22:23] scale_offset
	s_wait_xcnt 0x0
	v_sub_nc_u32_e32 v89, v44, v32
	s_or_b32 s17, s17, exec_lo
	s_clause 0x3
	global_store_b64 v35, v[6:7], s[22:23] scale_offset
	global_store_b64 v90, v[8:9], s[22:23] scale_offset
	;; [unrolled: 1-line block ×4, first 2 shown]
	s_wait_xcnt 0x0
	s_or_b32 exec_lo, exec_lo, s15
	s_delay_alu instid0(SALU_CYCLE_1)
	s_and_b32 exec_lo, exec_lo, s17
	s_cbranch_execnz .LBB304_103
	s_branch .LBB304_104
.LBB304_153:
	s_and_saveexec_b32 s17, s14
	s_cbranch_execnz .LBB304_217
; %bb.154:
	s_or_b32 exec_lo, exec_lo, s17
	s_and_saveexec_b32 s14, s13
	s_cbranch_execnz .LBB304_218
.LBB304_155:
	s_or_b32 exec_lo, exec_lo, s14
	s_and_saveexec_b32 s13, s12
	s_cbranch_execnz .LBB304_219
.LBB304_156:
	s_or_b32 exec_lo, exec_lo, s13
	s_and_saveexec_b32 s12, s11
	s_cbranch_execnz .LBB304_220
.LBB304_157:
	s_or_b32 exec_lo, exec_lo, s12
	s_and_saveexec_b32 s11, s10
	s_cbranch_execnz .LBB304_221
.LBB304_158:
	s_or_b32 exec_lo, exec_lo, s11
	s_and_saveexec_b32 s10, s9
	s_cbranch_execnz .LBB304_222
.LBB304_159:
	s_or_b32 exec_lo, exec_lo, s10
	s_and_saveexec_b32 s9, s8
	s_cbranch_execnz .LBB304_223
.LBB304_160:
	s_or_b32 exec_lo, exec_lo, s9
	s_and_saveexec_b32 s8, s7
	s_cbranch_execnz .LBB304_224
.LBB304_161:
	s_or_b32 exec_lo, exec_lo, s8
	s_and_saveexec_b32 s7, s6
	s_cbranch_execnz .LBB304_225
.LBB304_162:
	s_or_b32 exec_lo, exec_lo, s7
	s_and_saveexec_b32 s6, s5
	s_cbranch_execnz .LBB304_226
.LBB304_163:
	s_or_b32 exec_lo, exec_lo, s6
	s_and_saveexec_b32 s5, s4
	s_cbranch_execnz .LBB304_227
.LBB304_164:
	s_or_b32 exec_lo, exec_lo, s5
	s_and_saveexec_b32 s4, s3
	s_cbranch_execnz .LBB304_228
.LBB304_165:
	s_or_b32 exec_lo, exec_lo, s4
	s_and_saveexec_b32 s3, s2
	s_cbranch_execnz .LBB304_229
.LBB304_166:
	s_or_b32 exec_lo, exec_lo, s3
	s_and_saveexec_b32 s2, s1
.LBB304_167:
	v_sub_nc_u32_e32 v2, v44, v32
	s_delay_alu instid0(VALU_DEP_1)
	v_lshlrev_b32_e32 v2, 3, v2
	ds_store_b64 v2, v[4:5]
.LBB304_168:
	s_or_b32 exec_lo, exec_lo, s2
	s_delay_alu instid0(SALU_CYCLE_1)
	s_and_b32 s17, s0, exec_lo
                                        ; implicit-def: $vgpr2_vgpr3
                                        ; implicit-def: $vgpr6_vgpr7
                                        ; implicit-def: $vgpr10_vgpr11
                                        ; implicit-def: $vgpr14_vgpr15
                                        ; implicit-def: $vgpr18_vgpr19
                                        ; implicit-def: $vgpr22_vgpr23
                                        ; implicit-def: $vgpr26_vgpr27
	s_and_not1_saveexec_b32 s0, s16
	s_cbranch_execz .LBB304_109
.LBB304_169:
	v_dual_sub_nc_u32 v31, v62, v32 :: v_dual_sub_nc_u32 v89, v64, v32
	v_dual_sub_nc_u32 v35, v66, v32 :: v_dual_sub_nc_u32 v90, v60, v32
	s_or_b32 s17, s17, exec_lo
	s_delay_alu instid0(VALU_DEP_2) | instskip(NEXT) | instid1(VALU_DEP_2)
	v_dual_lshlrev_b32 v31, 3, v31 :: v_dual_lshlrev_b32 v89, 3, v89
	v_dual_lshlrev_b32 v35, 3, v35 :: v_dual_lshlrev_b32 v90, 3, v90
	ds_store_b64 v31, v[26:27]
	ds_store_b64 v35, v[28:29]
	;; [unrolled: 1-line block ×3, first 2 shown]
	v_sub_nc_u32_e32 v22, v56, v32
	ds_store_b64 v90, v[24:25]
	v_dual_sub_nc_u32 v25, v54, v32 :: v_dual_sub_nc_u32 v23, v52, v32
	v_dual_sub_nc_u32 v24, v48, v32 :: v_dual_sub_nc_u32 v26, v58, v32
	s_delay_alu instid0(VALU_DEP_2) | instskip(NEXT) | instid1(VALU_DEP_2)
	v_dual_lshlrev_b32 v22, 3, v22 :: v_dual_lshlrev_b32 v25, 3, v25
	v_dual_lshlrev_b32 v23, 3, v23 :: v_dual_lshlrev_b32 v24, 3, v24
	ds_store_b64 v22, v[18:19]
	v_lshlrev_b32_e32 v18, 3, v26
	ds_store_b64 v23, v[20:21]
	ds_store_b64 v24, v[14:15]
	;; [unrolled: 1-line block ×3, first 2 shown]
	v_sub_nc_u32_e32 v14, v38, v32
	v_dual_sub_nc_u32 v15, v50, v32 :: v_dual_sub_nc_u32 v16, v44, v32
	ds_store_b64 v18, v[10:11]
	v_dual_sub_nc_u32 v10, v40, v32 :: v_dual_sub_nc_u32 v11, v46, v32
	v_dual_lshlrev_b32 v14, 3, v14 :: v_dual_lshlrev_b32 v15, 3, v15
	s_delay_alu instid0(VALU_DEP_2)
	v_dual_lshlrev_b32 v10, 3, v10 :: v_dual_lshlrev_b32 v11, 3, v11
	ds_store_b64 v14, v[12:13]
	v_lshlrev_b32_e32 v12, 3, v16
	ds_store_b64 v10, v[6:7]
	ds_store_b64 v11, v[8:9]
	;; [unrolled: 1-line block ×4, first 2 shown]
	s_or_b32 exec_lo, exec_lo, s0
	s_delay_alu instid0(SALU_CYCLE_1)
	s_and_b32 exec_lo, exec_lo, s17
	s_cbranch_execnz .LBB304_110
	s_branch .LBB304_111
.LBB304_170:
	s_and_saveexec_b32 s17, s14
	s_cbranch_execnz .LBB304_230
; %bb.171:
	s_or_b32 exec_lo, exec_lo, s17
	s_and_saveexec_b32 s17, s13
	s_cbranch_execnz .LBB304_231
.LBB304_172:
	s_or_b32 exec_lo, exec_lo, s17
	s_and_saveexec_b32 s17, s12
	s_cbranch_execnz .LBB304_232
.LBB304_173:
	s_or_b32 exec_lo, exec_lo, s17
	s_and_saveexec_b32 s17, s11
	s_cbranch_execnz .LBB304_233
.LBB304_174:
	s_or_b32 exec_lo, exec_lo, s17
	s_and_saveexec_b32 s17, s10
	s_cbranch_execnz .LBB304_234
.LBB304_175:
	s_or_b32 exec_lo, exec_lo, s17
	s_and_saveexec_b32 s17, s9
	s_cbranch_execnz .LBB304_235
.LBB304_176:
	s_or_b32 exec_lo, exec_lo, s17
	s_and_saveexec_b32 s17, s8
	s_cbranch_execnz .LBB304_236
.LBB304_177:
	s_or_b32 exec_lo, exec_lo, s17
	s_and_saveexec_b32 s17, s7
	s_cbranch_execnz .LBB304_237
.LBB304_178:
	s_or_b32 exec_lo, exec_lo, s17
	s_and_saveexec_b32 s17, s6
	s_cbranch_execnz .LBB304_238
.LBB304_179:
	s_or_b32 exec_lo, exec_lo, s17
	s_and_saveexec_b32 s17, s5
	s_cbranch_execnz .LBB304_239
.LBB304_180:
	s_or_b32 exec_lo, exec_lo, s17
	s_and_saveexec_b32 s17, s4
	s_cbranch_execnz .LBB304_240
.LBB304_181:
	s_or_b32 exec_lo, exec_lo, s17
	s_and_saveexec_b32 s17, s3
	s_cbranch_execnz .LBB304_241
.LBB304_182:
	s_or_b32 exec_lo, exec_lo, s17
	s_and_saveexec_b32 s17, s2
	s_cbranch_execnz .LBB304_242
.LBB304_183:
	s_or_b32 exec_lo, exec_lo, s17
	s_and_saveexec_b32 s17, s1
	s_cbranch_execz .LBB304_185
.LBB304_184:
	v_dual_sub_nc_u32 v7, v44, v1 :: v_dual_mov_b32 v11, 0
	v_mov_b32_e32 v10, v45
	v_readfirstlane_b32 s18, v4
	v_readfirstlane_b32 s19, v5
	global_store_b64 v7, v[10:11], s[18:19] scale_offset
.LBB304_185:
	s_wait_xcnt 0x0
	s_or_b32 exec_lo, exec_lo, s17
	s_delay_alu instid0(SALU_CYCLE_1)
	s_and_b32 s17, s0, exec_lo
	s_and_not1_saveexec_b32 s15, s15
	s_cbranch_execz .LBB304_122
.LBB304_186:
	v_dual_mov_b32 v11, 0 :: v_dual_mov_b32 v10, v63
	v_sub_nc_u32_e32 v7, v62, v1
	v_readfirstlane_b32 s18, v4
	v_readfirstlane_b32 s19, v5
	v_sub_nc_u32_e32 v9, v64, v1
	s_or_b32 s17, s17, exec_lo
	global_store_b64 v7, v[10:11], s[18:19] scale_offset
	s_wait_xcnt 0x0
	v_dual_mov_b32 v10, v67 :: v_dual_sub_nc_u32 v7, v66, v1
	global_store_b64 v7, v[10:11], s[18:19] scale_offset
	s_wait_xcnt 0x0
	v_dual_mov_b32 v10, v65 :: v_dual_sub_nc_u32 v7, v60, v1
	;; [unrolled: 3-line block ×12, first 2 shown]
	global_store_b64 v9, v[10:11], s[18:19] scale_offset
	s_wait_xcnt 0x0
	v_mov_b32_e32 v10, v45
	global_store_b64 v7, v[10:11], s[18:19] scale_offset
	s_wait_xcnt 0x0
	s_or_b32 exec_lo, exec_lo, s15
	s_delay_alu instid0(SALU_CYCLE_1)
	s_and_b32 exec_lo, exec_lo, s17
	s_cbranch_execnz .LBB304_123
	s_branch .LBB304_124
.LBB304_187:
	s_and_saveexec_b32 s17, s14
	s_cbranch_execnz .LBB304_243
; %bb.188:
	s_or_b32 exec_lo, exec_lo, s17
	s_and_saveexec_b32 s14, s13
	s_cbranch_execnz .LBB304_244
.LBB304_189:
	s_or_b32 exec_lo, exec_lo, s14
	s_and_saveexec_b32 s13, s12
	s_cbranch_execnz .LBB304_245
.LBB304_190:
	s_or_b32 exec_lo, exec_lo, s13
	s_and_saveexec_b32 s12, s11
	s_cbranch_execnz .LBB304_246
.LBB304_191:
	s_or_b32 exec_lo, exec_lo, s12
	s_and_saveexec_b32 s11, s10
	s_cbranch_execnz .LBB304_247
.LBB304_192:
	s_or_b32 exec_lo, exec_lo, s11
	s_and_saveexec_b32 s10, s9
	s_cbranch_execnz .LBB304_248
.LBB304_193:
	s_or_b32 exec_lo, exec_lo, s10
	s_and_saveexec_b32 s9, s8
	s_cbranch_execnz .LBB304_249
.LBB304_194:
	s_or_b32 exec_lo, exec_lo, s9
	s_and_saveexec_b32 s8, s7
	s_cbranch_execnz .LBB304_250
.LBB304_195:
	s_or_b32 exec_lo, exec_lo, s8
	s_and_saveexec_b32 s7, s6
	s_cbranch_execnz .LBB304_251
.LBB304_196:
	s_or_b32 exec_lo, exec_lo, s7
	s_and_saveexec_b32 s6, s5
	s_cbranch_execnz .LBB304_252
.LBB304_197:
	s_or_b32 exec_lo, exec_lo, s6
	s_and_saveexec_b32 s5, s4
	s_cbranch_execnz .LBB304_253
.LBB304_198:
	s_or_b32 exec_lo, exec_lo, s5
	s_and_saveexec_b32 s4, s3
	s_cbranch_execnz .LBB304_254
.LBB304_199:
	s_or_b32 exec_lo, exec_lo, s4
	s_and_saveexec_b32 s3, s2
	s_cbranch_execnz .LBB304_255
.LBB304_200:
	s_or_b32 exec_lo, exec_lo, s3
	s_and_saveexec_b32 s2, s1
.LBB304_201:
	v_sub_nc_u32_e32 v6, v44, v1
	s_delay_alu instid0(VALU_DEP_1)
	v_lshlrev_b32_e32 v6, 2, v6
	ds_store_b32 v6, v45
.LBB304_202:
	s_or_b32 exec_lo, exec_lo, s2
	s_delay_alu instid0(SALU_CYCLE_1)
	s_and_b32 s17, s0, exec_lo
                                        ; implicit-def: $vgpr44_vgpr45
                                        ; implicit-def: $vgpr50_vgpr51
                                        ; implicit-def: $vgpr46_vgpr47
                                        ; implicit-def: $vgpr62_vgpr63
                                        ; implicit-def: $vgpr66_vgpr67
                                        ; implicit-def: $vgpr64_vgpr65
                                        ; implicit-def: $vgpr60_vgpr61
                                        ; implicit-def: $vgpr56_vgpr57
                                        ; implicit-def: $vgpr52_vgpr53
                                        ; implicit-def: $vgpr48_vgpr49
                                        ; implicit-def: $vgpr54_vgpr55
                                        ; implicit-def: $vgpr58_vgpr59
                                        ; implicit-def: $vgpr38_vgpr39
                                        ; implicit-def: $vgpr40_vgpr41
	s_and_not1_saveexec_b32 s0, s16
	s_cbranch_execz .LBB304_128
.LBB304_203:
	v_dual_sub_nc_u32 v6, v62, v1 :: v_dual_sub_nc_u32 v9, v64, v1
	v_dual_sub_nc_u32 v7, v66, v1 :: v_dual_sub_nc_u32 v10, v60, v1
	s_or_b32 s17, s17, exec_lo
	s_delay_alu instid0(VALU_DEP_2) | instskip(NEXT) | instid1(VALU_DEP_2)
	v_dual_lshlrev_b32 v6, 2, v6 :: v_dual_lshlrev_b32 v9, 2, v9
	v_dual_lshlrev_b32 v7, 2, v7 :: v_dual_lshlrev_b32 v10, 2, v10
	ds_store_b32 v6, v63
	ds_store_b32 v7, v67
	;; [unrolled: 1-line block ×3, first 2 shown]
	v_sub_nc_u32_e32 v6, v56, v1
	ds_store_b32 v10, v61
	v_dual_sub_nc_u32 v10, v54, v1 :: v_dual_sub_nc_u32 v7, v52, v1
	v_dual_sub_nc_u32 v9, v48, v1 :: v_dual_sub_nc_u32 v11, v58, v1
	v_lshlrev_b32_e32 v6, 2, v6
	s_delay_alu instid0(VALU_DEP_3) | instskip(NEXT) | instid1(VALU_DEP_3)
	v_dual_lshlrev_b32 v10, 2, v10 :: v_dual_lshlrev_b32 v7, 2, v7
	v_lshlrev_b32_e32 v9, 2, v9
	ds_store_b32 v6, v57
	v_lshlrev_b32_e32 v6, 2, v11
	ds_store_b32 v7, v53
	ds_store_b32 v9, v49
	;; [unrolled: 1-line block ×3, first 2 shown]
	v_sub_nc_u32_e32 v7, v38, v1
	v_dual_sub_nc_u32 v10, v50, v1 :: v_dual_sub_nc_u32 v11, v44, v1
	ds_store_b32 v6, v59
	v_dual_sub_nc_u32 v6, v40, v1 :: v_dual_sub_nc_u32 v9, v46, v1
	v_dual_lshlrev_b32 v7, 2, v7 :: v_dual_lshlrev_b32 v10, 2, v10
	s_delay_alu instid0(VALU_DEP_2)
	v_dual_lshlrev_b32 v6, 2, v6 :: v_dual_lshlrev_b32 v9, 2, v9
	ds_store_b32 v7, v39
	v_lshlrev_b32_e32 v7, 2, v11
	ds_store_b32 v6, v41
	ds_store_b32 v9, v47
	;; [unrolled: 1-line block ×4, first 2 shown]
	s_or_b32 exec_lo, exec_lo, s0
	s_delay_alu instid0(SALU_CYCLE_1)
	s_and_b32 exec_lo, exec_lo, s17
	s_cbranch_execnz .LBB304_129
	s_branch .LBB304_130
.LBB304_204:
	v_sub_nc_u32_e32 v35, v62, v32
	v_readfirstlane_b32 s22, v74
	v_readfirstlane_b32 s23, v75
	global_store_b64 v35, v[26:27], s[22:23] scale_offset
	s_wait_xcnt 0x0
	s_or_b32 exec_lo, exec_lo, s17
	s_and_saveexec_b32 s17, s13
	s_cbranch_execz .LBB304_138
.LBB304_205:
	v_sub_nc_u32_e32 v35, v66, v32
	v_readfirstlane_b32 s22, v74
	v_readfirstlane_b32 s23, v75
	global_store_b64 v35, v[28:29], s[22:23] scale_offset
	s_wait_xcnt 0x0
	s_or_b32 exec_lo, exec_lo, s17
	s_and_saveexec_b32 s17, s12
	s_cbranch_execz .LBB304_139
.LBB304_206:
	v_sub_nc_u32_e32 v35, v64, v32
	v_readfirstlane_b32 s22, v74
	v_readfirstlane_b32 s23, v75
	global_store_b64 v35, v[22:23], s[22:23] scale_offset
	s_wait_xcnt 0x0
	s_or_b32 exec_lo, exec_lo, s17
	s_and_saveexec_b32 s17, s11
	s_cbranch_execz .LBB304_140
.LBB304_207:
	v_sub_nc_u32_e32 v35, v60, v32
	v_readfirstlane_b32 s22, v74
	v_readfirstlane_b32 s23, v75
	global_store_b64 v35, v[24:25], s[22:23] scale_offset
	s_wait_xcnt 0x0
	s_or_b32 exec_lo, exec_lo, s17
	s_and_saveexec_b32 s17, s10
	s_cbranch_execz .LBB304_141
.LBB304_208:
	v_sub_nc_u32_e32 v35, v56, v32
	v_readfirstlane_b32 s22, v74
	v_readfirstlane_b32 s23, v75
	global_store_b64 v35, v[18:19], s[22:23] scale_offset
	s_wait_xcnt 0x0
	s_or_b32 exec_lo, exec_lo, s17
	s_and_saveexec_b32 s17, s9
	s_cbranch_execz .LBB304_142
.LBB304_209:
	v_sub_nc_u32_e32 v35, v52, v32
	v_readfirstlane_b32 s22, v74
	v_readfirstlane_b32 s23, v75
	global_store_b64 v35, v[20:21], s[22:23] scale_offset
	s_wait_xcnt 0x0
	s_or_b32 exec_lo, exec_lo, s17
	s_and_saveexec_b32 s17, s8
	s_cbranch_execz .LBB304_143
.LBB304_210:
	v_sub_nc_u32_e32 v35, v48, v32
	v_readfirstlane_b32 s22, v74
	v_readfirstlane_b32 s23, v75
	global_store_b64 v35, v[14:15], s[22:23] scale_offset
	s_wait_xcnt 0x0
	s_or_b32 exec_lo, exec_lo, s17
	s_and_saveexec_b32 s17, s7
	s_cbranch_execz .LBB304_144
.LBB304_211:
	v_sub_nc_u32_e32 v35, v54, v32
	v_readfirstlane_b32 s22, v74
	v_readfirstlane_b32 s23, v75
	global_store_b64 v35, v[16:17], s[22:23] scale_offset
	s_wait_xcnt 0x0
	s_or_b32 exec_lo, exec_lo, s17
	s_and_saveexec_b32 s17, s6
	s_cbranch_execz .LBB304_145
.LBB304_212:
	v_sub_nc_u32_e32 v35, v58, v32
	v_readfirstlane_b32 s22, v74
	v_readfirstlane_b32 s23, v75
	global_store_b64 v35, v[10:11], s[22:23] scale_offset
	s_wait_xcnt 0x0
	s_or_b32 exec_lo, exec_lo, s17
	s_and_saveexec_b32 s17, s5
	s_cbranch_execz .LBB304_146
.LBB304_213:
	v_sub_nc_u32_e32 v35, v38, v32
	v_readfirstlane_b32 s22, v74
	v_readfirstlane_b32 s23, v75
	global_store_b64 v35, v[12:13], s[22:23] scale_offset
	s_wait_xcnt 0x0
	s_or_b32 exec_lo, exec_lo, s17
	s_and_saveexec_b32 s17, s4
	s_cbranch_execz .LBB304_147
.LBB304_214:
	v_sub_nc_u32_e32 v35, v40, v32
	v_readfirstlane_b32 s22, v74
	v_readfirstlane_b32 s23, v75
	global_store_b64 v35, v[6:7], s[22:23] scale_offset
	s_wait_xcnt 0x0
	s_or_b32 exec_lo, exec_lo, s17
	s_and_saveexec_b32 s17, s3
	s_cbranch_execz .LBB304_148
.LBB304_215:
	v_sub_nc_u32_e32 v35, v46, v32
	v_readfirstlane_b32 s22, v74
	v_readfirstlane_b32 s23, v75
	global_store_b64 v35, v[8:9], s[22:23] scale_offset
	s_wait_xcnt 0x0
	s_or_b32 exec_lo, exec_lo, s17
	s_and_saveexec_b32 s17, s2
	s_cbranch_execz .LBB304_149
.LBB304_216:
	v_sub_nc_u32_e32 v35, v50, v32
	v_readfirstlane_b32 s22, v74
	v_readfirstlane_b32 s23, v75
	global_store_b64 v35, v[2:3], s[22:23] scale_offset
	s_wait_xcnt 0x0
	s_or_b32 exec_lo, exec_lo, s17
	s_and_saveexec_b32 s17, s1
	s_cbranch_execnz .LBB304_150
	s_branch .LBB304_151
.LBB304_217:
	v_sub_nc_u32_e32 v31, v62, v32
	s_delay_alu instid0(VALU_DEP_1)
	v_lshlrev_b32_e32 v31, 3, v31
	ds_store_b64 v31, v[26:27]
	s_or_b32 exec_lo, exec_lo, s17
	s_and_saveexec_b32 s14, s13
	s_cbranch_execz .LBB304_155
.LBB304_218:
	v_sub_nc_u32_e32 v26, v66, v32
	s_delay_alu instid0(VALU_DEP_1)
	v_lshlrev_b32_e32 v26, 3, v26
	ds_store_b64 v26, v[28:29]
	s_or_b32 exec_lo, exec_lo, s14
	s_and_saveexec_b32 s13, s12
	s_cbranch_execz .LBB304_156
.LBB304_219:
	v_sub_nc_u32_e32 v26, v64, v32
	s_delay_alu instid0(VALU_DEP_1)
	v_lshlrev_b32_e32 v26, 3, v26
	ds_store_b64 v26, v[22:23]
	s_or_b32 exec_lo, exec_lo, s13
	s_and_saveexec_b32 s12, s11
	s_cbranch_execz .LBB304_157
.LBB304_220:
	v_sub_nc_u32_e32 v22, v60, v32
	s_delay_alu instid0(VALU_DEP_1)
	v_lshlrev_b32_e32 v22, 3, v22
	ds_store_b64 v22, v[24:25]
	s_or_b32 exec_lo, exec_lo, s12
	s_and_saveexec_b32 s11, s10
	s_cbranch_execz .LBB304_158
.LBB304_221:
	v_sub_nc_u32_e32 v22, v56, v32
	s_delay_alu instid0(VALU_DEP_1)
	v_lshlrev_b32_e32 v22, 3, v22
	ds_store_b64 v22, v[18:19]
	s_or_b32 exec_lo, exec_lo, s11
	s_and_saveexec_b32 s10, s9
	s_cbranch_execz .LBB304_159
.LBB304_222:
	v_sub_nc_u32_e32 v18, v52, v32
	s_delay_alu instid0(VALU_DEP_1)
	v_lshlrev_b32_e32 v18, 3, v18
	ds_store_b64 v18, v[20:21]
	s_or_b32 exec_lo, exec_lo, s10
	s_and_saveexec_b32 s9, s8
	s_cbranch_execz .LBB304_160
.LBB304_223:
	v_sub_nc_u32_e32 v18, v48, v32
	s_delay_alu instid0(VALU_DEP_1)
	v_lshlrev_b32_e32 v18, 3, v18
	ds_store_b64 v18, v[14:15]
	s_or_b32 exec_lo, exec_lo, s9
	s_and_saveexec_b32 s8, s7
	s_cbranch_execz .LBB304_161
.LBB304_224:
	v_sub_nc_u32_e32 v14, v54, v32
	s_delay_alu instid0(VALU_DEP_1)
	v_lshlrev_b32_e32 v14, 3, v14
	ds_store_b64 v14, v[16:17]
	s_or_b32 exec_lo, exec_lo, s8
	s_and_saveexec_b32 s7, s6
	s_cbranch_execz .LBB304_162
.LBB304_225:
	v_sub_nc_u32_e32 v14, v58, v32
	s_delay_alu instid0(VALU_DEP_1)
	v_lshlrev_b32_e32 v14, 3, v14
	ds_store_b64 v14, v[10:11]
	s_or_b32 exec_lo, exec_lo, s7
	s_and_saveexec_b32 s6, s5
	s_cbranch_execz .LBB304_163
.LBB304_226:
	v_sub_nc_u32_e32 v10, v38, v32
	s_delay_alu instid0(VALU_DEP_1)
	v_lshlrev_b32_e32 v10, 3, v10
	ds_store_b64 v10, v[12:13]
	s_or_b32 exec_lo, exec_lo, s6
	s_and_saveexec_b32 s5, s4
	s_cbranch_execz .LBB304_164
.LBB304_227:
	v_sub_nc_u32_e32 v10, v40, v32
	s_delay_alu instid0(VALU_DEP_1)
	v_lshlrev_b32_e32 v10, 3, v10
	ds_store_b64 v10, v[6:7]
	s_or_b32 exec_lo, exec_lo, s5
	s_and_saveexec_b32 s4, s3
	s_cbranch_execz .LBB304_165
.LBB304_228:
	v_sub_nc_u32_e32 v6, v46, v32
	s_delay_alu instid0(VALU_DEP_1)
	v_lshlrev_b32_e32 v6, 3, v6
	ds_store_b64 v6, v[8:9]
	s_or_b32 exec_lo, exec_lo, s4
	s_and_saveexec_b32 s3, s2
	s_cbranch_execz .LBB304_166
.LBB304_229:
	v_sub_nc_u32_e32 v6, v50, v32
	s_delay_alu instid0(VALU_DEP_1)
	v_lshlrev_b32_e32 v6, 3, v6
	ds_store_b64 v6, v[2:3]
	s_or_b32 exec_lo, exec_lo, s3
	s_and_saveexec_b32 s2, s1
	s_cbranch_execnz .LBB304_167
	s_branch .LBB304_168
.LBB304_230:
	v_dual_sub_nc_u32 v7, v62, v1 :: v_dual_mov_b32 v11, 0
	v_mov_b32_e32 v10, v63
	v_readfirstlane_b32 s18, v4
	v_readfirstlane_b32 s19, v5
	global_store_b64 v7, v[10:11], s[18:19] scale_offset
	s_wait_xcnt 0x0
	s_or_b32 exec_lo, exec_lo, s17
	s_and_saveexec_b32 s17, s13
	s_cbranch_execz .LBB304_172
.LBB304_231:
	v_dual_sub_nc_u32 v7, v66, v1 :: v_dual_mov_b32 v11, 0
	v_mov_b32_e32 v10, v67
	v_readfirstlane_b32 s18, v4
	v_readfirstlane_b32 s19, v5
	global_store_b64 v7, v[10:11], s[18:19] scale_offset
	s_wait_xcnt 0x0
	s_or_b32 exec_lo, exec_lo, s17
	s_and_saveexec_b32 s17, s12
	s_cbranch_execz .LBB304_173
.LBB304_232:
	v_dual_sub_nc_u32 v7, v64, v1 :: v_dual_mov_b32 v11, 0
	v_mov_b32_e32 v10, v65
	v_readfirstlane_b32 s18, v4
	v_readfirstlane_b32 s19, v5
	global_store_b64 v7, v[10:11], s[18:19] scale_offset
	s_wait_xcnt 0x0
	s_or_b32 exec_lo, exec_lo, s17
	s_and_saveexec_b32 s17, s11
	s_cbranch_execz .LBB304_174
.LBB304_233:
	v_dual_sub_nc_u32 v7, v60, v1 :: v_dual_mov_b32 v11, 0
	v_mov_b32_e32 v10, v61
	v_readfirstlane_b32 s18, v4
	v_readfirstlane_b32 s19, v5
	global_store_b64 v7, v[10:11], s[18:19] scale_offset
	s_wait_xcnt 0x0
	s_or_b32 exec_lo, exec_lo, s17
	s_and_saveexec_b32 s17, s10
	s_cbranch_execz .LBB304_175
.LBB304_234:
	v_dual_sub_nc_u32 v7, v56, v1 :: v_dual_mov_b32 v11, 0
	v_mov_b32_e32 v10, v57
	v_readfirstlane_b32 s18, v4
	v_readfirstlane_b32 s19, v5
	global_store_b64 v7, v[10:11], s[18:19] scale_offset
	s_wait_xcnt 0x0
	s_or_b32 exec_lo, exec_lo, s17
	s_and_saveexec_b32 s17, s9
	s_cbranch_execz .LBB304_176
.LBB304_235:
	v_dual_sub_nc_u32 v7, v52, v1 :: v_dual_mov_b32 v11, 0
	v_mov_b32_e32 v10, v53
	v_readfirstlane_b32 s18, v4
	v_readfirstlane_b32 s19, v5
	global_store_b64 v7, v[10:11], s[18:19] scale_offset
	s_wait_xcnt 0x0
	s_or_b32 exec_lo, exec_lo, s17
	s_and_saveexec_b32 s17, s8
	s_cbranch_execz .LBB304_177
.LBB304_236:
	v_dual_sub_nc_u32 v7, v48, v1 :: v_dual_mov_b32 v11, 0
	v_mov_b32_e32 v10, v49
	v_readfirstlane_b32 s18, v4
	v_readfirstlane_b32 s19, v5
	global_store_b64 v7, v[10:11], s[18:19] scale_offset
	s_wait_xcnt 0x0
	s_or_b32 exec_lo, exec_lo, s17
	s_and_saveexec_b32 s17, s7
	s_cbranch_execz .LBB304_178
.LBB304_237:
	v_dual_sub_nc_u32 v7, v54, v1 :: v_dual_mov_b32 v11, 0
	v_mov_b32_e32 v10, v55
	v_readfirstlane_b32 s18, v4
	v_readfirstlane_b32 s19, v5
	global_store_b64 v7, v[10:11], s[18:19] scale_offset
	s_wait_xcnt 0x0
	s_or_b32 exec_lo, exec_lo, s17
	s_and_saveexec_b32 s17, s6
	s_cbranch_execz .LBB304_179
.LBB304_238:
	v_dual_sub_nc_u32 v7, v58, v1 :: v_dual_mov_b32 v11, 0
	v_mov_b32_e32 v10, v59
	v_readfirstlane_b32 s18, v4
	v_readfirstlane_b32 s19, v5
	global_store_b64 v7, v[10:11], s[18:19] scale_offset
	s_wait_xcnt 0x0
	s_or_b32 exec_lo, exec_lo, s17
	s_and_saveexec_b32 s17, s5
	s_cbranch_execz .LBB304_180
.LBB304_239:
	v_dual_sub_nc_u32 v7, v38, v1 :: v_dual_mov_b32 v11, 0
	v_mov_b32_e32 v10, v39
	v_readfirstlane_b32 s18, v4
	v_readfirstlane_b32 s19, v5
	global_store_b64 v7, v[10:11], s[18:19] scale_offset
	s_wait_xcnt 0x0
	s_or_b32 exec_lo, exec_lo, s17
	s_and_saveexec_b32 s17, s4
	s_cbranch_execz .LBB304_181
.LBB304_240:
	v_dual_sub_nc_u32 v7, v40, v1 :: v_dual_mov_b32 v11, 0
	v_mov_b32_e32 v10, v41
	v_readfirstlane_b32 s18, v4
	v_readfirstlane_b32 s19, v5
	global_store_b64 v7, v[10:11], s[18:19] scale_offset
	s_wait_xcnt 0x0
	s_or_b32 exec_lo, exec_lo, s17
	s_and_saveexec_b32 s17, s3
	s_cbranch_execz .LBB304_182
.LBB304_241:
	v_dual_sub_nc_u32 v7, v46, v1 :: v_dual_mov_b32 v11, 0
	v_mov_b32_e32 v10, v47
	v_readfirstlane_b32 s18, v4
	v_readfirstlane_b32 s19, v5
	global_store_b64 v7, v[10:11], s[18:19] scale_offset
	s_wait_xcnt 0x0
	s_or_b32 exec_lo, exec_lo, s17
	s_and_saveexec_b32 s17, s2
	s_cbranch_execz .LBB304_183
.LBB304_242:
	v_dual_sub_nc_u32 v7, v50, v1 :: v_dual_mov_b32 v11, 0
	v_mov_b32_e32 v10, v51
	v_readfirstlane_b32 s18, v4
	v_readfirstlane_b32 s19, v5
	global_store_b64 v7, v[10:11], s[18:19] scale_offset
	s_wait_xcnt 0x0
	s_or_b32 exec_lo, exec_lo, s17
	s_and_saveexec_b32 s17, s1
	s_cbranch_execnz .LBB304_184
	s_branch .LBB304_185
.LBB304_243:
	v_sub_nc_u32_e32 v6, v62, v1
	s_delay_alu instid0(VALU_DEP_1)
	v_lshlrev_b32_e32 v6, 2, v6
	ds_store_b32 v6, v63
	s_or_b32 exec_lo, exec_lo, s17
	s_and_saveexec_b32 s14, s13
	s_cbranch_execz .LBB304_189
.LBB304_244:
	v_sub_nc_u32_e32 v6, v66, v1
	s_delay_alu instid0(VALU_DEP_1)
	v_lshlrev_b32_e32 v6, 2, v6
	ds_store_b32 v6, v67
	s_or_b32 exec_lo, exec_lo, s14
	s_and_saveexec_b32 s13, s12
	s_cbranch_execz .LBB304_190
.LBB304_245:
	v_sub_nc_u32_e32 v6, v64, v1
	s_delay_alu instid0(VALU_DEP_1)
	v_lshlrev_b32_e32 v6, 2, v6
	ds_store_b32 v6, v65
	s_or_b32 exec_lo, exec_lo, s13
	s_and_saveexec_b32 s12, s11
	s_cbranch_execz .LBB304_191
.LBB304_246:
	v_sub_nc_u32_e32 v6, v60, v1
	s_delay_alu instid0(VALU_DEP_1)
	v_lshlrev_b32_e32 v6, 2, v6
	ds_store_b32 v6, v61
	s_or_b32 exec_lo, exec_lo, s12
	s_and_saveexec_b32 s11, s10
	s_cbranch_execz .LBB304_192
.LBB304_247:
	v_sub_nc_u32_e32 v6, v56, v1
	s_delay_alu instid0(VALU_DEP_1)
	v_lshlrev_b32_e32 v6, 2, v6
	ds_store_b32 v6, v57
	s_or_b32 exec_lo, exec_lo, s11
	s_and_saveexec_b32 s10, s9
	s_cbranch_execz .LBB304_193
.LBB304_248:
	v_sub_nc_u32_e32 v6, v52, v1
	s_delay_alu instid0(VALU_DEP_1)
	v_lshlrev_b32_e32 v6, 2, v6
	ds_store_b32 v6, v53
	s_or_b32 exec_lo, exec_lo, s10
	s_and_saveexec_b32 s9, s8
	s_cbranch_execz .LBB304_194
.LBB304_249:
	v_sub_nc_u32_e32 v6, v48, v1
	s_delay_alu instid0(VALU_DEP_1)
	v_lshlrev_b32_e32 v6, 2, v6
	ds_store_b32 v6, v49
	s_or_b32 exec_lo, exec_lo, s9
	s_and_saveexec_b32 s8, s7
	s_cbranch_execz .LBB304_195
.LBB304_250:
	v_sub_nc_u32_e32 v6, v54, v1
	s_delay_alu instid0(VALU_DEP_1)
	v_lshlrev_b32_e32 v6, 2, v6
	ds_store_b32 v6, v55
	s_or_b32 exec_lo, exec_lo, s8
	s_and_saveexec_b32 s7, s6
	s_cbranch_execz .LBB304_196
.LBB304_251:
	v_sub_nc_u32_e32 v6, v58, v1
	s_delay_alu instid0(VALU_DEP_1)
	v_lshlrev_b32_e32 v6, 2, v6
	ds_store_b32 v6, v59
	s_or_b32 exec_lo, exec_lo, s7
	s_and_saveexec_b32 s6, s5
	s_cbranch_execz .LBB304_197
.LBB304_252:
	v_sub_nc_u32_e32 v6, v38, v1
	s_delay_alu instid0(VALU_DEP_1)
	v_lshlrev_b32_e32 v6, 2, v6
	ds_store_b32 v6, v39
	s_or_b32 exec_lo, exec_lo, s6
	s_and_saveexec_b32 s5, s4
	s_cbranch_execz .LBB304_198
.LBB304_253:
	v_sub_nc_u32_e32 v6, v40, v1
	s_delay_alu instid0(VALU_DEP_1)
	v_lshlrev_b32_e32 v6, 2, v6
	ds_store_b32 v6, v41
	s_or_b32 exec_lo, exec_lo, s5
	s_and_saveexec_b32 s4, s3
	s_cbranch_execz .LBB304_199
.LBB304_254:
	v_sub_nc_u32_e32 v6, v46, v1
	s_delay_alu instid0(VALU_DEP_1)
	v_lshlrev_b32_e32 v6, 2, v6
	ds_store_b32 v6, v47
	s_or_b32 exec_lo, exec_lo, s4
	s_and_saveexec_b32 s3, s2
	s_cbranch_execz .LBB304_200
.LBB304_255:
	v_sub_nc_u32_e32 v6, v50, v1
	s_delay_alu instid0(VALU_DEP_1)
	v_lshlrev_b32_e32 v6, 2, v6
	ds_store_b32 v6, v51
	s_or_b32 exec_lo, exec_lo, s3
	s_and_saveexec_b32 s2, s1
	s_cbranch_execnz .LBB304_201
	s_branch .LBB304_202
	.section	.rodata,"a",@progbits
	.p2align	6, 0x0
	.amdhsa_kernel _ZN7rocprim17ROCPRIM_400000_NS6detail17trampoline_kernelINS0_14default_configENS1_33run_length_encode_config_selectorIdjNS0_4plusIjEEEEZZNS1_33reduce_by_key_impl_wrapped_configILNS1_25lookback_scan_determinismE0ES3_S7_PKdNS0_17constant_iteratorIjlEEPdPlSF_S6_NS0_8equal_toIdEEEE10hipError_tPvRmT2_T3_mT4_T5_T6_T7_T8_P12ihipStream_tbENKUlT_T0_E_clISt17integral_constantIbLb0EESZ_EEDaSU_SV_EUlSU_E_NS1_11comp_targetILNS1_3genE0ELNS1_11target_archE4294967295ELNS1_3gpuE0ELNS1_3repE0EEENS1_30default_config_static_selectorELNS0_4arch9wavefront6targetE0EEEvT1_
		.amdhsa_group_segment_fixed_size 30720
		.amdhsa_private_segment_fixed_size 0
		.amdhsa_kernarg_size 128
		.amdhsa_user_sgpr_count 2
		.amdhsa_user_sgpr_dispatch_ptr 0
		.amdhsa_user_sgpr_queue_ptr 0
		.amdhsa_user_sgpr_kernarg_segment_ptr 1
		.amdhsa_user_sgpr_dispatch_id 0
		.amdhsa_user_sgpr_kernarg_preload_length 0
		.amdhsa_user_sgpr_kernarg_preload_offset 0
		.amdhsa_user_sgpr_private_segment_size 0
		.amdhsa_wavefront_size32 1
		.amdhsa_uses_dynamic_stack 0
		.amdhsa_enable_private_segment 0
		.amdhsa_system_sgpr_workgroup_id_x 1
		.amdhsa_system_sgpr_workgroup_id_y 0
		.amdhsa_system_sgpr_workgroup_id_z 0
		.amdhsa_system_sgpr_workgroup_info 0
		.amdhsa_system_vgpr_workitem_id 0
		.amdhsa_next_free_vgpr 101
		.amdhsa_next_free_sgpr 40
		.amdhsa_named_barrier_count 0
		.amdhsa_reserve_vcc 1
		.amdhsa_float_round_mode_32 0
		.amdhsa_float_round_mode_16_64 0
		.amdhsa_float_denorm_mode_32 3
		.amdhsa_float_denorm_mode_16_64 3
		.amdhsa_fp16_overflow 0
		.amdhsa_memory_ordered 1
		.amdhsa_forward_progress 1
		.amdhsa_inst_pref_size 116
		.amdhsa_round_robin_scheduling 0
		.amdhsa_exception_fp_ieee_invalid_op 0
		.amdhsa_exception_fp_denorm_src 0
		.amdhsa_exception_fp_ieee_div_zero 0
		.amdhsa_exception_fp_ieee_overflow 0
		.amdhsa_exception_fp_ieee_underflow 0
		.amdhsa_exception_fp_ieee_inexact 0
		.amdhsa_exception_int_div_zero 0
	.end_amdhsa_kernel
	.section	.text._ZN7rocprim17ROCPRIM_400000_NS6detail17trampoline_kernelINS0_14default_configENS1_33run_length_encode_config_selectorIdjNS0_4plusIjEEEEZZNS1_33reduce_by_key_impl_wrapped_configILNS1_25lookback_scan_determinismE0ES3_S7_PKdNS0_17constant_iteratorIjlEEPdPlSF_S6_NS0_8equal_toIdEEEE10hipError_tPvRmT2_T3_mT4_T5_T6_T7_T8_P12ihipStream_tbENKUlT_T0_E_clISt17integral_constantIbLb0EESZ_EEDaSU_SV_EUlSU_E_NS1_11comp_targetILNS1_3genE0ELNS1_11target_archE4294967295ELNS1_3gpuE0ELNS1_3repE0EEENS1_30default_config_static_selectorELNS0_4arch9wavefront6targetE0EEEvT1_,"axG",@progbits,_ZN7rocprim17ROCPRIM_400000_NS6detail17trampoline_kernelINS0_14default_configENS1_33run_length_encode_config_selectorIdjNS0_4plusIjEEEEZZNS1_33reduce_by_key_impl_wrapped_configILNS1_25lookback_scan_determinismE0ES3_S7_PKdNS0_17constant_iteratorIjlEEPdPlSF_S6_NS0_8equal_toIdEEEE10hipError_tPvRmT2_T3_mT4_T5_T6_T7_T8_P12ihipStream_tbENKUlT_T0_E_clISt17integral_constantIbLb0EESZ_EEDaSU_SV_EUlSU_E_NS1_11comp_targetILNS1_3genE0ELNS1_11target_archE4294967295ELNS1_3gpuE0ELNS1_3repE0EEENS1_30default_config_static_selectorELNS0_4arch9wavefront6targetE0EEEvT1_,comdat
.Lfunc_end304:
	.size	_ZN7rocprim17ROCPRIM_400000_NS6detail17trampoline_kernelINS0_14default_configENS1_33run_length_encode_config_selectorIdjNS0_4plusIjEEEEZZNS1_33reduce_by_key_impl_wrapped_configILNS1_25lookback_scan_determinismE0ES3_S7_PKdNS0_17constant_iteratorIjlEEPdPlSF_S6_NS0_8equal_toIdEEEE10hipError_tPvRmT2_T3_mT4_T5_T6_T7_T8_P12ihipStream_tbENKUlT_T0_E_clISt17integral_constantIbLb0EESZ_EEDaSU_SV_EUlSU_E_NS1_11comp_targetILNS1_3genE0ELNS1_11target_archE4294967295ELNS1_3gpuE0ELNS1_3repE0EEENS1_30default_config_static_selectorELNS0_4arch9wavefront6targetE0EEEvT1_, .Lfunc_end304-_ZN7rocprim17ROCPRIM_400000_NS6detail17trampoline_kernelINS0_14default_configENS1_33run_length_encode_config_selectorIdjNS0_4plusIjEEEEZZNS1_33reduce_by_key_impl_wrapped_configILNS1_25lookback_scan_determinismE0ES3_S7_PKdNS0_17constant_iteratorIjlEEPdPlSF_S6_NS0_8equal_toIdEEEE10hipError_tPvRmT2_T3_mT4_T5_T6_T7_T8_P12ihipStream_tbENKUlT_T0_E_clISt17integral_constantIbLb0EESZ_EEDaSU_SV_EUlSU_E_NS1_11comp_targetILNS1_3genE0ELNS1_11target_archE4294967295ELNS1_3gpuE0ELNS1_3repE0EEENS1_30default_config_static_selectorELNS0_4arch9wavefront6targetE0EEEvT1_
                                        ; -- End function
	.set _ZN7rocprim17ROCPRIM_400000_NS6detail17trampoline_kernelINS0_14default_configENS1_33run_length_encode_config_selectorIdjNS0_4plusIjEEEEZZNS1_33reduce_by_key_impl_wrapped_configILNS1_25lookback_scan_determinismE0ES3_S7_PKdNS0_17constant_iteratorIjlEEPdPlSF_S6_NS0_8equal_toIdEEEE10hipError_tPvRmT2_T3_mT4_T5_T6_T7_T8_P12ihipStream_tbENKUlT_T0_E_clISt17integral_constantIbLb0EESZ_EEDaSU_SV_EUlSU_E_NS1_11comp_targetILNS1_3genE0ELNS1_11target_archE4294967295ELNS1_3gpuE0ELNS1_3repE0EEENS1_30default_config_static_selectorELNS0_4arch9wavefront6targetE0EEEvT1_.num_vgpr, 101
	.set _ZN7rocprim17ROCPRIM_400000_NS6detail17trampoline_kernelINS0_14default_configENS1_33run_length_encode_config_selectorIdjNS0_4plusIjEEEEZZNS1_33reduce_by_key_impl_wrapped_configILNS1_25lookback_scan_determinismE0ES3_S7_PKdNS0_17constant_iteratorIjlEEPdPlSF_S6_NS0_8equal_toIdEEEE10hipError_tPvRmT2_T3_mT4_T5_T6_T7_T8_P12ihipStream_tbENKUlT_T0_E_clISt17integral_constantIbLb0EESZ_EEDaSU_SV_EUlSU_E_NS1_11comp_targetILNS1_3genE0ELNS1_11target_archE4294967295ELNS1_3gpuE0ELNS1_3repE0EEENS1_30default_config_static_selectorELNS0_4arch9wavefront6targetE0EEEvT1_.num_agpr, 0
	.set _ZN7rocprim17ROCPRIM_400000_NS6detail17trampoline_kernelINS0_14default_configENS1_33run_length_encode_config_selectorIdjNS0_4plusIjEEEEZZNS1_33reduce_by_key_impl_wrapped_configILNS1_25lookback_scan_determinismE0ES3_S7_PKdNS0_17constant_iteratorIjlEEPdPlSF_S6_NS0_8equal_toIdEEEE10hipError_tPvRmT2_T3_mT4_T5_T6_T7_T8_P12ihipStream_tbENKUlT_T0_E_clISt17integral_constantIbLb0EESZ_EEDaSU_SV_EUlSU_E_NS1_11comp_targetILNS1_3genE0ELNS1_11target_archE4294967295ELNS1_3gpuE0ELNS1_3repE0EEENS1_30default_config_static_selectorELNS0_4arch9wavefront6targetE0EEEvT1_.numbered_sgpr, 40
	.set _ZN7rocprim17ROCPRIM_400000_NS6detail17trampoline_kernelINS0_14default_configENS1_33run_length_encode_config_selectorIdjNS0_4plusIjEEEEZZNS1_33reduce_by_key_impl_wrapped_configILNS1_25lookback_scan_determinismE0ES3_S7_PKdNS0_17constant_iteratorIjlEEPdPlSF_S6_NS0_8equal_toIdEEEE10hipError_tPvRmT2_T3_mT4_T5_T6_T7_T8_P12ihipStream_tbENKUlT_T0_E_clISt17integral_constantIbLb0EESZ_EEDaSU_SV_EUlSU_E_NS1_11comp_targetILNS1_3genE0ELNS1_11target_archE4294967295ELNS1_3gpuE0ELNS1_3repE0EEENS1_30default_config_static_selectorELNS0_4arch9wavefront6targetE0EEEvT1_.num_named_barrier, 0
	.set _ZN7rocprim17ROCPRIM_400000_NS6detail17trampoline_kernelINS0_14default_configENS1_33run_length_encode_config_selectorIdjNS0_4plusIjEEEEZZNS1_33reduce_by_key_impl_wrapped_configILNS1_25lookback_scan_determinismE0ES3_S7_PKdNS0_17constant_iteratorIjlEEPdPlSF_S6_NS0_8equal_toIdEEEE10hipError_tPvRmT2_T3_mT4_T5_T6_T7_T8_P12ihipStream_tbENKUlT_T0_E_clISt17integral_constantIbLb0EESZ_EEDaSU_SV_EUlSU_E_NS1_11comp_targetILNS1_3genE0ELNS1_11target_archE4294967295ELNS1_3gpuE0ELNS1_3repE0EEENS1_30default_config_static_selectorELNS0_4arch9wavefront6targetE0EEEvT1_.private_seg_size, 0
	.set _ZN7rocprim17ROCPRIM_400000_NS6detail17trampoline_kernelINS0_14default_configENS1_33run_length_encode_config_selectorIdjNS0_4plusIjEEEEZZNS1_33reduce_by_key_impl_wrapped_configILNS1_25lookback_scan_determinismE0ES3_S7_PKdNS0_17constant_iteratorIjlEEPdPlSF_S6_NS0_8equal_toIdEEEE10hipError_tPvRmT2_T3_mT4_T5_T6_T7_T8_P12ihipStream_tbENKUlT_T0_E_clISt17integral_constantIbLb0EESZ_EEDaSU_SV_EUlSU_E_NS1_11comp_targetILNS1_3genE0ELNS1_11target_archE4294967295ELNS1_3gpuE0ELNS1_3repE0EEENS1_30default_config_static_selectorELNS0_4arch9wavefront6targetE0EEEvT1_.uses_vcc, 1
	.set _ZN7rocprim17ROCPRIM_400000_NS6detail17trampoline_kernelINS0_14default_configENS1_33run_length_encode_config_selectorIdjNS0_4plusIjEEEEZZNS1_33reduce_by_key_impl_wrapped_configILNS1_25lookback_scan_determinismE0ES3_S7_PKdNS0_17constant_iteratorIjlEEPdPlSF_S6_NS0_8equal_toIdEEEE10hipError_tPvRmT2_T3_mT4_T5_T6_T7_T8_P12ihipStream_tbENKUlT_T0_E_clISt17integral_constantIbLb0EESZ_EEDaSU_SV_EUlSU_E_NS1_11comp_targetILNS1_3genE0ELNS1_11target_archE4294967295ELNS1_3gpuE0ELNS1_3repE0EEENS1_30default_config_static_selectorELNS0_4arch9wavefront6targetE0EEEvT1_.uses_flat_scratch, 0
	.set _ZN7rocprim17ROCPRIM_400000_NS6detail17trampoline_kernelINS0_14default_configENS1_33run_length_encode_config_selectorIdjNS0_4plusIjEEEEZZNS1_33reduce_by_key_impl_wrapped_configILNS1_25lookback_scan_determinismE0ES3_S7_PKdNS0_17constant_iteratorIjlEEPdPlSF_S6_NS0_8equal_toIdEEEE10hipError_tPvRmT2_T3_mT4_T5_T6_T7_T8_P12ihipStream_tbENKUlT_T0_E_clISt17integral_constantIbLb0EESZ_EEDaSU_SV_EUlSU_E_NS1_11comp_targetILNS1_3genE0ELNS1_11target_archE4294967295ELNS1_3gpuE0ELNS1_3repE0EEENS1_30default_config_static_selectorELNS0_4arch9wavefront6targetE0EEEvT1_.has_dyn_sized_stack, 0
	.set _ZN7rocprim17ROCPRIM_400000_NS6detail17trampoline_kernelINS0_14default_configENS1_33run_length_encode_config_selectorIdjNS0_4plusIjEEEEZZNS1_33reduce_by_key_impl_wrapped_configILNS1_25lookback_scan_determinismE0ES3_S7_PKdNS0_17constant_iteratorIjlEEPdPlSF_S6_NS0_8equal_toIdEEEE10hipError_tPvRmT2_T3_mT4_T5_T6_T7_T8_P12ihipStream_tbENKUlT_T0_E_clISt17integral_constantIbLb0EESZ_EEDaSU_SV_EUlSU_E_NS1_11comp_targetILNS1_3genE0ELNS1_11target_archE4294967295ELNS1_3gpuE0ELNS1_3repE0EEENS1_30default_config_static_selectorELNS0_4arch9wavefront6targetE0EEEvT1_.has_recursion, 0
	.set _ZN7rocprim17ROCPRIM_400000_NS6detail17trampoline_kernelINS0_14default_configENS1_33run_length_encode_config_selectorIdjNS0_4plusIjEEEEZZNS1_33reduce_by_key_impl_wrapped_configILNS1_25lookback_scan_determinismE0ES3_S7_PKdNS0_17constant_iteratorIjlEEPdPlSF_S6_NS0_8equal_toIdEEEE10hipError_tPvRmT2_T3_mT4_T5_T6_T7_T8_P12ihipStream_tbENKUlT_T0_E_clISt17integral_constantIbLb0EESZ_EEDaSU_SV_EUlSU_E_NS1_11comp_targetILNS1_3genE0ELNS1_11target_archE4294967295ELNS1_3gpuE0ELNS1_3repE0EEENS1_30default_config_static_selectorELNS0_4arch9wavefront6targetE0EEEvT1_.has_indirect_call, 0
	.section	.AMDGPU.csdata,"",@progbits
; Kernel info:
; codeLenInByte = 14804
; TotalNumSgprs: 42
; NumVgprs: 101
; ScratchSize: 0
; MemoryBound: 0
; FloatMode: 240
; IeeeMode: 1
; LDSByteSize: 30720 bytes/workgroup (compile time only)
; SGPRBlocks: 0
; VGPRBlocks: 6
; NumSGPRsForWavesPerEU: 42
; NumVGPRsForWavesPerEU: 101
; NamedBarCnt: 0
; Occupancy: 9
; WaveLimiterHint : 1
; COMPUTE_PGM_RSRC2:SCRATCH_EN: 0
; COMPUTE_PGM_RSRC2:USER_SGPR: 2
; COMPUTE_PGM_RSRC2:TRAP_HANDLER: 0
; COMPUTE_PGM_RSRC2:TGID_X_EN: 1
; COMPUTE_PGM_RSRC2:TGID_Y_EN: 0
; COMPUTE_PGM_RSRC2:TGID_Z_EN: 0
; COMPUTE_PGM_RSRC2:TIDIG_COMP_CNT: 0
	.section	.text._ZN7rocprim17ROCPRIM_400000_NS6detail17trampoline_kernelINS0_14default_configENS1_33run_length_encode_config_selectorIdjNS0_4plusIjEEEEZZNS1_33reduce_by_key_impl_wrapped_configILNS1_25lookback_scan_determinismE0ES3_S7_PKdNS0_17constant_iteratorIjlEEPdPlSF_S6_NS0_8equal_toIdEEEE10hipError_tPvRmT2_T3_mT4_T5_T6_T7_T8_P12ihipStream_tbENKUlT_T0_E_clISt17integral_constantIbLb0EESZ_EEDaSU_SV_EUlSU_E_NS1_11comp_targetILNS1_3genE5ELNS1_11target_archE942ELNS1_3gpuE9ELNS1_3repE0EEENS1_30default_config_static_selectorELNS0_4arch9wavefront6targetE0EEEvT1_,"axG",@progbits,_ZN7rocprim17ROCPRIM_400000_NS6detail17trampoline_kernelINS0_14default_configENS1_33run_length_encode_config_selectorIdjNS0_4plusIjEEEEZZNS1_33reduce_by_key_impl_wrapped_configILNS1_25lookback_scan_determinismE0ES3_S7_PKdNS0_17constant_iteratorIjlEEPdPlSF_S6_NS0_8equal_toIdEEEE10hipError_tPvRmT2_T3_mT4_T5_T6_T7_T8_P12ihipStream_tbENKUlT_T0_E_clISt17integral_constantIbLb0EESZ_EEDaSU_SV_EUlSU_E_NS1_11comp_targetILNS1_3genE5ELNS1_11target_archE942ELNS1_3gpuE9ELNS1_3repE0EEENS1_30default_config_static_selectorELNS0_4arch9wavefront6targetE0EEEvT1_,comdat
	.protected	_ZN7rocprim17ROCPRIM_400000_NS6detail17trampoline_kernelINS0_14default_configENS1_33run_length_encode_config_selectorIdjNS0_4plusIjEEEEZZNS1_33reduce_by_key_impl_wrapped_configILNS1_25lookback_scan_determinismE0ES3_S7_PKdNS0_17constant_iteratorIjlEEPdPlSF_S6_NS0_8equal_toIdEEEE10hipError_tPvRmT2_T3_mT4_T5_T6_T7_T8_P12ihipStream_tbENKUlT_T0_E_clISt17integral_constantIbLb0EESZ_EEDaSU_SV_EUlSU_E_NS1_11comp_targetILNS1_3genE5ELNS1_11target_archE942ELNS1_3gpuE9ELNS1_3repE0EEENS1_30default_config_static_selectorELNS0_4arch9wavefront6targetE0EEEvT1_ ; -- Begin function _ZN7rocprim17ROCPRIM_400000_NS6detail17trampoline_kernelINS0_14default_configENS1_33run_length_encode_config_selectorIdjNS0_4plusIjEEEEZZNS1_33reduce_by_key_impl_wrapped_configILNS1_25lookback_scan_determinismE0ES3_S7_PKdNS0_17constant_iteratorIjlEEPdPlSF_S6_NS0_8equal_toIdEEEE10hipError_tPvRmT2_T3_mT4_T5_T6_T7_T8_P12ihipStream_tbENKUlT_T0_E_clISt17integral_constantIbLb0EESZ_EEDaSU_SV_EUlSU_E_NS1_11comp_targetILNS1_3genE5ELNS1_11target_archE942ELNS1_3gpuE9ELNS1_3repE0EEENS1_30default_config_static_selectorELNS0_4arch9wavefront6targetE0EEEvT1_
	.globl	_ZN7rocprim17ROCPRIM_400000_NS6detail17trampoline_kernelINS0_14default_configENS1_33run_length_encode_config_selectorIdjNS0_4plusIjEEEEZZNS1_33reduce_by_key_impl_wrapped_configILNS1_25lookback_scan_determinismE0ES3_S7_PKdNS0_17constant_iteratorIjlEEPdPlSF_S6_NS0_8equal_toIdEEEE10hipError_tPvRmT2_T3_mT4_T5_T6_T7_T8_P12ihipStream_tbENKUlT_T0_E_clISt17integral_constantIbLb0EESZ_EEDaSU_SV_EUlSU_E_NS1_11comp_targetILNS1_3genE5ELNS1_11target_archE942ELNS1_3gpuE9ELNS1_3repE0EEENS1_30default_config_static_selectorELNS0_4arch9wavefront6targetE0EEEvT1_
	.p2align	8
	.type	_ZN7rocprim17ROCPRIM_400000_NS6detail17trampoline_kernelINS0_14default_configENS1_33run_length_encode_config_selectorIdjNS0_4plusIjEEEEZZNS1_33reduce_by_key_impl_wrapped_configILNS1_25lookback_scan_determinismE0ES3_S7_PKdNS0_17constant_iteratorIjlEEPdPlSF_S6_NS0_8equal_toIdEEEE10hipError_tPvRmT2_T3_mT4_T5_T6_T7_T8_P12ihipStream_tbENKUlT_T0_E_clISt17integral_constantIbLb0EESZ_EEDaSU_SV_EUlSU_E_NS1_11comp_targetILNS1_3genE5ELNS1_11target_archE942ELNS1_3gpuE9ELNS1_3repE0EEENS1_30default_config_static_selectorELNS0_4arch9wavefront6targetE0EEEvT1_,@function
_ZN7rocprim17ROCPRIM_400000_NS6detail17trampoline_kernelINS0_14default_configENS1_33run_length_encode_config_selectorIdjNS0_4plusIjEEEEZZNS1_33reduce_by_key_impl_wrapped_configILNS1_25lookback_scan_determinismE0ES3_S7_PKdNS0_17constant_iteratorIjlEEPdPlSF_S6_NS0_8equal_toIdEEEE10hipError_tPvRmT2_T3_mT4_T5_T6_T7_T8_P12ihipStream_tbENKUlT_T0_E_clISt17integral_constantIbLb0EESZ_EEDaSU_SV_EUlSU_E_NS1_11comp_targetILNS1_3genE5ELNS1_11target_archE942ELNS1_3gpuE9ELNS1_3repE0EEENS1_30default_config_static_selectorELNS0_4arch9wavefront6targetE0EEEvT1_: ; @_ZN7rocprim17ROCPRIM_400000_NS6detail17trampoline_kernelINS0_14default_configENS1_33run_length_encode_config_selectorIdjNS0_4plusIjEEEEZZNS1_33reduce_by_key_impl_wrapped_configILNS1_25lookback_scan_determinismE0ES3_S7_PKdNS0_17constant_iteratorIjlEEPdPlSF_S6_NS0_8equal_toIdEEEE10hipError_tPvRmT2_T3_mT4_T5_T6_T7_T8_P12ihipStream_tbENKUlT_T0_E_clISt17integral_constantIbLb0EESZ_EEDaSU_SV_EUlSU_E_NS1_11comp_targetILNS1_3genE5ELNS1_11target_archE942ELNS1_3gpuE9ELNS1_3repE0EEENS1_30default_config_static_selectorELNS0_4arch9wavefront6targetE0EEEvT1_
; %bb.0:
	.section	.rodata,"a",@progbits
	.p2align	6, 0x0
	.amdhsa_kernel _ZN7rocprim17ROCPRIM_400000_NS6detail17trampoline_kernelINS0_14default_configENS1_33run_length_encode_config_selectorIdjNS0_4plusIjEEEEZZNS1_33reduce_by_key_impl_wrapped_configILNS1_25lookback_scan_determinismE0ES3_S7_PKdNS0_17constant_iteratorIjlEEPdPlSF_S6_NS0_8equal_toIdEEEE10hipError_tPvRmT2_T3_mT4_T5_T6_T7_T8_P12ihipStream_tbENKUlT_T0_E_clISt17integral_constantIbLb0EESZ_EEDaSU_SV_EUlSU_E_NS1_11comp_targetILNS1_3genE5ELNS1_11target_archE942ELNS1_3gpuE9ELNS1_3repE0EEENS1_30default_config_static_selectorELNS0_4arch9wavefront6targetE0EEEvT1_
		.amdhsa_group_segment_fixed_size 0
		.amdhsa_private_segment_fixed_size 0
		.amdhsa_kernarg_size 128
		.amdhsa_user_sgpr_count 2
		.amdhsa_user_sgpr_dispatch_ptr 0
		.amdhsa_user_sgpr_queue_ptr 0
		.amdhsa_user_sgpr_kernarg_segment_ptr 1
		.amdhsa_user_sgpr_dispatch_id 0
		.amdhsa_user_sgpr_kernarg_preload_length 0
		.amdhsa_user_sgpr_kernarg_preload_offset 0
		.amdhsa_user_sgpr_private_segment_size 0
		.amdhsa_wavefront_size32 1
		.amdhsa_uses_dynamic_stack 0
		.amdhsa_enable_private_segment 0
		.amdhsa_system_sgpr_workgroup_id_x 1
		.amdhsa_system_sgpr_workgroup_id_y 0
		.amdhsa_system_sgpr_workgroup_id_z 0
		.amdhsa_system_sgpr_workgroup_info 0
		.amdhsa_system_vgpr_workitem_id 0
		.amdhsa_next_free_vgpr 1
		.amdhsa_next_free_sgpr 1
		.amdhsa_named_barrier_count 0
		.amdhsa_reserve_vcc 0
		.amdhsa_float_round_mode_32 0
		.amdhsa_float_round_mode_16_64 0
		.amdhsa_float_denorm_mode_32 3
		.amdhsa_float_denorm_mode_16_64 3
		.amdhsa_fp16_overflow 0
		.amdhsa_memory_ordered 1
		.amdhsa_forward_progress 1
		.amdhsa_inst_pref_size 0
		.amdhsa_round_robin_scheduling 0
		.amdhsa_exception_fp_ieee_invalid_op 0
		.amdhsa_exception_fp_denorm_src 0
		.amdhsa_exception_fp_ieee_div_zero 0
		.amdhsa_exception_fp_ieee_overflow 0
		.amdhsa_exception_fp_ieee_underflow 0
		.amdhsa_exception_fp_ieee_inexact 0
		.amdhsa_exception_int_div_zero 0
	.end_amdhsa_kernel
	.section	.text._ZN7rocprim17ROCPRIM_400000_NS6detail17trampoline_kernelINS0_14default_configENS1_33run_length_encode_config_selectorIdjNS0_4plusIjEEEEZZNS1_33reduce_by_key_impl_wrapped_configILNS1_25lookback_scan_determinismE0ES3_S7_PKdNS0_17constant_iteratorIjlEEPdPlSF_S6_NS0_8equal_toIdEEEE10hipError_tPvRmT2_T3_mT4_T5_T6_T7_T8_P12ihipStream_tbENKUlT_T0_E_clISt17integral_constantIbLb0EESZ_EEDaSU_SV_EUlSU_E_NS1_11comp_targetILNS1_3genE5ELNS1_11target_archE942ELNS1_3gpuE9ELNS1_3repE0EEENS1_30default_config_static_selectorELNS0_4arch9wavefront6targetE0EEEvT1_,"axG",@progbits,_ZN7rocprim17ROCPRIM_400000_NS6detail17trampoline_kernelINS0_14default_configENS1_33run_length_encode_config_selectorIdjNS0_4plusIjEEEEZZNS1_33reduce_by_key_impl_wrapped_configILNS1_25lookback_scan_determinismE0ES3_S7_PKdNS0_17constant_iteratorIjlEEPdPlSF_S6_NS0_8equal_toIdEEEE10hipError_tPvRmT2_T3_mT4_T5_T6_T7_T8_P12ihipStream_tbENKUlT_T0_E_clISt17integral_constantIbLb0EESZ_EEDaSU_SV_EUlSU_E_NS1_11comp_targetILNS1_3genE5ELNS1_11target_archE942ELNS1_3gpuE9ELNS1_3repE0EEENS1_30default_config_static_selectorELNS0_4arch9wavefront6targetE0EEEvT1_,comdat
.Lfunc_end305:
	.size	_ZN7rocprim17ROCPRIM_400000_NS6detail17trampoline_kernelINS0_14default_configENS1_33run_length_encode_config_selectorIdjNS0_4plusIjEEEEZZNS1_33reduce_by_key_impl_wrapped_configILNS1_25lookback_scan_determinismE0ES3_S7_PKdNS0_17constant_iteratorIjlEEPdPlSF_S6_NS0_8equal_toIdEEEE10hipError_tPvRmT2_T3_mT4_T5_T6_T7_T8_P12ihipStream_tbENKUlT_T0_E_clISt17integral_constantIbLb0EESZ_EEDaSU_SV_EUlSU_E_NS1_11comp_targetILNS1_3genE5ELNS1_11target_archE942ELNS1_3gpuE9ELNS1_3repE0EEENS1_30default_config_static_selectorELNS0_4arch9wavefront6targetE0EEEvT1_, .Lfunc_end305-_ZN7rocprim17ROCPRIM_400000_NS6detail17trampoline_kernelINS0_14default_configENS1_33run_length_encode_config_selectorIdjNS0_4plusIjEEEEZZNS1_33reduce_by_key_impl_wrapped_configILNS1_25lookback_scan_determinismE0ES3_S7_PKdNS0_17constant_iteratorIjlEEPdPlSF_S6_NS0_8equal_toIdEEEE10hipError_tPvRmT2_T3_mT4_T5_T6_T7_T8_P12ihipStream_tbENKUlT_T0_E_clISt17integral_constantIbLb0EESZ_EEDaSU_SV_EUlSU_E_NS1_11comp_targetILNS1_3genE5ELNS1_11target_archE942ELNS1_3gpuE9ELNS1_3repE0EEENS1_30default_config_static_selectorELNS0_4arch9wavefront6targetE0EEEvT1_
                                        ; -- End function
	.set _ZN7rocprim17ROCPRIM_400000_NS6detail17trampoline_kernelINS0_14default_configENS1_33run_length_encode_config_selectorIdjNS0_4plusIjEEEEZZNS1_33reduce_by_key_impl_wrapped_configILNS1_25lookback_scan_determinismE0ES3_S7_PKdNS0_17constant_iteratorIjlEEPdPlSF_S6_NS0_8equal_toIdEEEE10hipError_tPvRmT2_T3_mT4_T5_T6_T7_T8_P12ihipStream_tbENKUlT_T0_E_clISt17integral_constantIbLb0EESZ_EEDaSU_SV_EUlSU_E_NS1_11comp_targetILNS1_3genE5ELNS1_11target_archE942ELNS1_3gpuE9ELNS1_3repE0EEENS1_30default_config_static_selectorELNS0_4arch9wavefront6targetE0EEEvT1_.num_vgpr, 0
	.set _ZN7rocprim17ROCPRIM_400000_NS6detail17trampoline_kernelINS0_14default_configENS1_33run_length_encode_config_selectorIdjNS0_4plusIjEEEEZZNS1_33reduce_by_key_impl_wrapped_configILNS1_25lookback_scan_determinismE0ES3_S7_PKdNS0_17constant_iteratorIjlEEPdPlSF_S6_NS0_8equal_toIdEEEE10hipError_tPvRmT2_T3_mT4_T5_T6_T7_T8_P12ihipStream_tbENKUlT_T0_E_clISt17integral_constantIbLb0EESZ_EEDaSU_SV_EUlSU_E_NS1_11comp_targetILNS1_3genE5ELNS1_11target_archE942ELNS1_3gpuE9ELNS1_3repE0EEENS1_30default_config_static_selectorELNS0_4arch9wavefront6targetE0EEEvT1_.num_agpr, 0
	.set _ZN7rocprim17ROCPRIM_400000_NS6detail17trampoline_kernelINS0_14default_configENS1_33run_length_encode_config_selectorIdjNS0_4plusIjEEEEZZNS1_33reduce_by_key_impl_wrapped_configILNS1_25lookback_scan_determinismE0ES3_S7_PKdNS0_17constant_iteratorIjlEEPdPlSF_S6_NS0_8equal_toIdEEEE10hipError_tPvRmT2_T3_mT4_T5_T6_T7_T8_P12ihipStream_tbENKUlT_T0_E_clISt17integral_constantIbLb0EESZ_EEDaSU_SV_EUlSU_E_NS1_11comp_targetILNS1_3genE5ELNS1_11target_archE942ELNS1_3gpuE9ELNS1_3repE0EEENS1_30default_config_static_selectorELNS0_4arch9wavefront6targetE0EEEvT1_.numbered_sgpr, 0
	.set _ZN7rocprim17ROCPRIM_400000_NS6detail17trampoline_kernelINS0_14default_configENS1_33run_length_encode_config_selectorIdjNS0_4plusIjEEEEZZNS1_33reduce_by_key_impl_wrapped_configILNS1_25lookback_scan_determinismE0ES3_S7_PKdNS0_17constant_iteratorIjlEEPdPlSF_S6_NS0_8equal_toIdEEEE10hipError_tPvRmT2_T3_mT4_T5_T6_T7_T8_P12ihipStream_tbENKUlT_T0_E_clISt17integral_constantIbLb0EESZ_EEDaSU_SV_EUlSU_E_NS1_11comp_targetILNS1_3genE5ELNS1_11target_archE942ELNS1_3gpuE9ELNS1_3repE0EEENS1_30default_config_static_selectorELNS0_4arch9wavefront6targetE0EEEvT1_.num_named_barrier, 0
	.set _ZN7rocprim17ROCPRIM_400000_NS6detail17trampoline_kernelINS0_14default_configENS1_33run_length_encode_config_selectorIdjNS0_4plusIjEEEEZZNS1_33reduce_by_key_impl_wrapped_configILNS1_25lookback_scan_determinismE0ES3_S7_PKdNS0_17constant_iteratorIjlEEPdPlSF_S6_NS0_8equal_toIdEEEE10hipError_tPvRmT2_T3_mT4_T5_T6_T7_T8_P12ihipStream_tbENKUlT_T0_E_clISt17integral_constantIbLb0EESZ_EEDaSU_SV_EUlSU_E_NS1_11comp_targetILNS1_3genE5ELNS1_11target_archE942ELNS1_3gpuE9ELNS1_3repE0EEENS1_30default_config_static_selectorELNS0_4arch9wavefront6targetE0EEEvT1_.private_seg_size, 0
	.set _ZN7rocprim17ROCPRIM_400000_NS6detail17trampoline_kernelINS0_14default_configENS1_33run_length_encode_config_selectorIdjNS0_4plusIjEEEEZZNS1_33reduce_by_key_impl_wrapped_configILNS1_25lookback_scan_determinismE0ES3_S7_PKdNS0_17constant_iteratorIjlEEPdPlSF_S6_NS0_8equal_toIdEEEE10hipError_tPvRmT2_T3_mT4_T5_T6_T7_T8_P12ihipStream_tbENKUlT_T0_E_clISt17integral_constantIbLb0EESZ_EEDaSU_SV_EUlSU_E_NS1_11comp_targetILNS1_3genE5ELNS1_11target_archE942ELNS1_3gpuE9ELNS1_3repE0EEENS1_30default_config_static_selectorELNS0_4arch9wavefront6targetE0EEEvT1_.uses_vcc, 0
	.set _ZN7rocprim17ROCPRIM_400000_NS6detail17trampoline_kernelINS0_14default_configENS1_33run_length_encode_config_selectorIdjNS0_4plusIjEEEEZZNS1_33reduce_by_key_impl_wrapped_configILNS1_25lookback_scan_determinismE0ES3_S7_PKdNS0_17constant_iteratorIjlEEPdPlSF_S6_NS0_8equal_toIdEEEE10hipError_tPvRmT2_T3_mT4_T5_T6_T7_T8_P12ihipStream_tbENKUlT_T0_E_clISt17integral_constantIbLb0EESZ_EEDaSU_SV_EUlSU_E_NS1_11comp_targetILNS1_3genE5ELNS1_11target_archE942ELNS1_3gpuE9ELNS1_3repE0EEENS1_30default_config_static_selectorELNS0_4arch9wavefront6targetE0EEEvT1_.uses_flat_scratch, 0
	.set _ZN7rocprim17ROCPRIM_400000_NS6detail17trampoline_kernelINS0_14default_configENS1_33run_length_encode_config_selectorIdjNS0_4plusIjEEEEZZNS1_33reduce_by_key_impl_wrapped_configILNS1_25lookback_scan_determinismE0ES3_S7_PKdNS0_17constant_iteratorIjlEEPdPlSF_S6_NS0_8equal_toIdEEEE10hipError_tPvRmT2_T3_mT4_T5_T6_T7_T8_P12ihipStream_tbENKUlT_T0_E_clISt17integral_constantIbLb0EESZ_EEDaSU_SV_EUlSU_E_NS1_11comp_targetILNS1_3genE5ELNS1_11target_archE942ELNS1_3gpuE9ELNS1_3repE0EEENS1_30default_config_static_selectorELNS0_4arch9wavefront6targetE0EEEvT1_.has_dyn_sized_stack, 0
	.set _ZN7rocprim17ROCPRIM_400000_NS6detail17trampoline_kernelINS0_14default_configENS1_33run_length_encode_config_selectorIdjNS0_4plusIjEEEEZZNS1_33reduce_by_key_impl_wrapped_configILNS1_25lookback_scan_determinismE0ES3_S7_PKdNS0_17constant_iteratorIjlEEPdPlSF_S6_NS0_8equal_toIdEEEE10hipError_tPvRmT2_T3_mT4_T5_T6_T7_T8_P12ihipStream_tbENKUlT_T0_E_clISt17integral_constantIbLb0EESZ_EEDaSU_SV_EUlSU_E_NS1_11comp_targetILNS1_3genE5ELNS1_11target_archE942ELNS1_3gpuE9ELNS1_3repE0EEENS1_30default_config_static_selectorELNS0_4arch9wavefront6targetE0EEEvT1_.has_recursion, 0
	.set _ZN7rocprim17ROCPRIM_400000_NS6detail17trampoline_kernelINS0_14default_configENS1_33run_length_encode_config_selectorIdjNS0_4plusIjEEEEZZNS1_33reduce_by_key_impl_wrapped_configILNS1_25lookback_scan_determinismE0ES3_S7_PKdNS0_17constant_iteratorIjlEEPdPlSF_S6_NS0_8equal_toIdEEEE10hipError_tPvRmT2_T3_mT4_T5_T6_T7_T8_P12ihipStream_tbENKUlT_T0_E_clISt17integral_constantIbLb0EESZ_EEDaSU_SV_EUlSU_E_NS1_11comp_targetILNS1_3genE5ELNS1_11target_archE942ELNS1_3gpuE9ELNS1_3repE0EEENS1_30default_config_static_selectorELNS0_4arch9wavefront6targetE0EEEvT1_.has_indirect_call, 0
	.section	.AMDGPU.csdata,"",@progbits
; Kernel info:
; codeLenInByte = 0
; TotalNumSgprs: 0
; NumVgprs: 0
; ScratchSize: 0
; MemoryBound: 0
; FloatMode: 240
; IeeeMode: 1
; LDSByteSize: 0 bytes/workgroup (compile time only)
; SGPRBlocks: 0
; VGPRBlocks: 0
; NumSGPRsForWavesPerEU: 1
; NumVGPRsForWavesPerEU: 1
; NamedBarCnt: 0
; Occupancy: 16
; WaveLimiterHint : 0
; COMPUTE_PGM_RSRC2:SCRATCH_EN: 0
; COMPUTE_PGM_RSRC2:USER_SGPR: 2
; COMPUTE_PGM_RSRC2:TRAP_HANDLER: 0
; COMPUTE_PGM_RSRC2:TGID_X_EN: 1
; COMPUTE_PGM_RSRC2:TGID_Y_EN: 0
; COMPUTE_PGM_RSRC2:TGID_Z_EN: 0
; COMPUTE_PGM_RSRC2:TIDIG_COMP_CNT: 0
	.section	.text._ZN7rocprim17ROCPRIM_400000_NS6detail17trampoline_kernelINS0_14default_configENS1_33run_length_encode_config_selectorIdjNS0_4plusIjEEEEZZNS1_33reduce_by_key_impl_wrapped_configILNS1_25lookback_scan_determinismE0ES3_S7_PKdNS0_17constant_iteratorIjlEEPdPlSF_S6_NS0_8equal_toIdEEEE10hipError_tPvRmT2_T3_mT4_T5_T6_T7_T8_P12ihipStream_tbENKUlT_T0_E_clISt17integral_constantIbLb0EESZ_EEDaSU_SV_EUlSU_E_NS1_11comp_targetILNS1_3genE4ELNS1_11target_archE910ELNS1_3gpuE8ELNS1_3repE0EEENS1_30default_config_static_selectorELNS0_4arch9wavefront6targetE0EEEvT1_,"axG",@progbits,_ZN7rocprim17ROCPRIM_400000_NS6detail17trampoline_kernelINS0_14default_configENS1_33run_length_encode_config_selectorIdjNS0_4plusIjEEEEZZNS1_33reduce_by_key_impl_wrapped_configILNS1_25lookback_scan_determinismE0ES3_S7_PKdNS0_17constant_iteratorIjlEEPdPlSF_S6_NS0_8equal_toIdEEEE10hipError_tPvRmT2_T3_mT4_T5_T6_T7_T8_P12ihipStream_tbENKUlT_T0_E_clISt17integral_constantIbLb0EESZ_EEDaSU_SV_EUlSU_E_NS1_11comp_targetILNS1_3genE4ELNS1_11target_archE910ELNS1_3gpuE8ELNS1_3repE0EEENS1_30default_config_static_selectorELNS0_4arch9wavefront6targetE0EEEvT1_,comdat
	.protected	_ZN7rocprim17ROCPRIM_400000_NS6detail17trampoline_kernelINS0_14default_configENS1_33run_length_encode_config_selectorIdjNS0_4plusIjEEEEZZNS1_33reduce_by_key_impl_wrapped_configILNS1_25lookback_scan_determinismE0ES3_S7_PKdNS0_17constant_iteratorIjlEEPdPlSF_S6_NS0_8equal_toIdEEEE10hipError_tPvRmT2_T3_mT4_T5_T6_T7_T8_P12ihipStream_tbENKUlT_T0_E_clISt17integral_constantIbLb0EESZ_EEDaSU_SV_EUlSU_E_NS1_11comp_targetILNS1_3genE4ELNS1_11target_archE910ELNS1_3gpuE8ELNS1_3repE0EEENS1_30default_config_static_selectorELNS0_4arch9wavefront6targetE0EEEvT1_ ; -- Begin function _ZN7rocprim17ROCPRIM_400000_NS6detail17trampoline_kernelINS0_14default_configENS1_33run_length_encode_config_selectorIdjNS0_4plusIjEEEEZZNS1_33reduce_by_key_impl_wrapped_configILNS1_25lookback_scan_determinismE0ES3_S7_PKdNS0_17constant_iteratorIjlEEPdPlSF_S6_NS0_8equal_toIdEEEE10hipError_tPvRmT2_T3_mT4_T5_T6_T7_T8_P12ihipStream_tbENKUlT_T0_E_clISt17integral_constantIbLb0EESZ_EEDaSU_SV_EUlSU_E_NS1_11comp_targetILNS1_3genE4ELNS1_11target_archE910ELNS1_3gpuE8ELNS1_3repE0EEENS1_30default_config_static_selectorELNS0_4arch9wavefront6targetE0EEEvT1_
	.globl	_ZN7rocprim17ROCPRIM_400000_NS6detail17trampoline_kernelINS0_14default_configENS1_33run_length_encode_config_selectorIdjNS0_4plusIjEEEEZZNS1_33reduce_by_key_impl_wrapped_configILNS1_25lookback_scan_determinismE0ES3_S7_PKdNS0_17constant_iteratorIjlEEPdPlSF_S6_NS0_8equal_toIdEEEE10hipError_tPvRmT2_T3_mT4_T5_T6_T7_T8_P12ihipStream_tbENKUlT_T0_E_clISt17integral_constantIbLb0EESZ_EEDaSU_SV_EUlSU_E_NS1_11comp_targetILNS1_3genE4ELNS1_11target_archE910ELNS1_3gpuE8ELNS1_3repE0EEENS1_30default_config_static_selectorELNS0_4arch9wavefront6targetE0EEEvT1_
	.p2align	8
	.type	_ZN7rocprim17ROCPRIM_400000_NS6detail17trampoline_kernelINS0_14default_configENS1_33run_length_encode_config_selectorIdjNS0_4plusIjEEEEZZNS1_33reduce_by_key_impl_wrapped_configILNS1_25lookback_scan_determinismE0ES3_S7_PKdNS0_17constant_iteratorIjlEEPdPlSF_S6_NS0_8equal_toIdEEEE10hipError_tPvRmT2_T3_mT4_T5_T6_T7_T8_P12ihipStream_tbENKUlT_T0_E_clISt17integral_constantIbLb0EESZ_EEDaSU_SV_EUlSU_E_NS1_11comp_targetILNS1_3genE4ELNS1_11target_archE910ELNS1_3gpuE8ELNS1_3repE0EEENS1_30default_config_static_selectorELNS0_4arch9wavefront6targetE0EEEvT1_,@function
_ZN7rocprim17ROCPRIM_400000_NS6detail17trampoline_kernelINS0_14default_configENS1_33run_length_encode_config_selectorIdjNS0_4plusIjEEEEZZNS1_33reduce_by_key_impl_wrapped_configILNS1_25lookback_scan_determinismE0ES3_S7_PKdNS0_17constant_iteratorIjlEEPdPlSF_S6_NS0_8equal_toIdEEEE10hipError_tPvRmT2_T3_mT4_T5_T6_T7_T8_P12ihipStream_tbENKUlT_T0_E_clISt17integral_constantIbLb0EESZ_EEDaSU_SV_EUlSU_E_NS1_11comp_targetILNS1_3genE4ELNS1_11target_archE910ELNS1_3gpuE8ELNS1_3repE0EEENS1_30default_config_static_selectorELNS0_4arch9wavefront6targetE0EEEvT1_: ; @_ZN7rocprim17ROCPRIM_400000_NS6detail17trampoline_kernelINS0_14default_configENS1_33run_length_encode_config_selectorIdjNS0_4plusIjEEEEZZNS1_33reduce_by_key_impl_wrapped_configILNS1_25lookback_scan_determinismE0ES3_S7_PKdNS0_17constant_iteratorIjlEEPdPlSF_S6_NS0_8equal_toIdEEEE10hipError_tPvRmT2_T3_mT4_T5_T6_T7_T8_P12ihipStream_tbENKUlT_T0_E_clISt17integral_constantIbLb0EESZ_EEDaSU_SV_EUlSU_E_NS1_11comp_targetILNS1_3genE4ELNS1_11target_archE910ELNS1_3gpuE8ELNS1_3repE0EEENS1_30default_config_static_selectorELNS0_4arch9wavefront6targetE0EEEvT1_
; %bb.0:
	.section	.rodata,"a",@progbits
	.p2align	6, 0x0
	.amdhsa_kernel _ZN7rocprim17ROCPRIM_400000_NS6detail17trampoline_kernelINS0_14default_configENS1_33run_length_encode_config_selectorIdjNS0_4plusIjEEEEZZNS1_33reduce_by_key_impl_wrapped_configILNS1_25lookback_scan_determinismE0ES3_S7_PKdNS0_17constant_iteratorIjlEEPdPlSF_S6_NS0_8equal_toIdEEEE10hipError_tPvRmT2_T3_mT4_T5_T6_T7_T8_P12ihipStream_tbENKUlT_T0_E_clISt17integral_constantIbLb0EESZ_EEDaSU_SV_EUlSU_E_NS1_11comp_targetILNS1_3genE4ELNS1_11target_archE910ELNS1_3gpuE8ELNS1_3repE0EEENS1_30default_config_static_selectorELNS0_4arch9wavefront6targetE0EEEvT1_
		.amdhsa_group_segment_fixed_size 0
		.amdhsa_private_segment_fixed_size 0
		.amdhsa_kernarg_size 128
		.amdhsa_user_sgpr_count 2
		.amdhsa_user_sgpr_dispatch_ptr 0
		.amdhsa_user_sgpr_queue_ptr 0
		.amdhsa_user_sgpr_kernarg_segment_ptr 1
		.amdhsa_user_sgpr_dispatch_id 0
		.amdhsa_user_sgpr_kernarg_preload_length 0
		.amdhsa_user_sgpr_kernarg_preload_offset 0
		.amdhsa_user_sgpr_private_segment_size 0
		.amdhsa_wavefront_size32 1
		.amdhsa_uses_dynamic_stack 0
		.amdhsa_enable_private_segment 0
		.amdhsa_system_sgpr_workgroup_id_x 1
		.amdhsa_system_sgpr_workgroup_id_y 0
		.amdhsa_system_sgpr_workgroup_id_z 0
		.amdhsa_system_sgpr_workgroup_info 0
		.amdhsa_system_vgpr_workitem_id 0
		.amdhsa_next_free_vgpr 1
		.amdhsa_next_free_sgpr 1
		.amdhsa_named_barrier_count 0
		.amdhsa_reserve_vcc 0
		.amdhsa_float_round_mode_32 0
		.amdhsa_float_round_mode_16_64 0
		.amdhsa_float_denorm_mode_32 3
		.amdhsa_float_denorm_mode_16_64 3
		.amdhsa_fp16_overflow 0
		.amdhsa_memory_ordered 1
		.amdhsa_forward_progress 1
		.amdhsa_inst_pref_size 0
		.amdhsa_round_robin_scheduling 0
		.amdhsa_exception_fp_ieee_invalid_op 0
		.amdhsa_exception_fp_denorm_src 0
		.amdhsa_exception_fp_ieee_div_zero 0
		.amdhsa_exception_fp_ieee_overflow 0
		.amdhsa_exception_fp_ieee_underflow 0
		.amdhsa_exception_fp_ieee_inexact 0
		.amdhsa_exception_int_div_zero 0
	.end_amdhsa_kernel
	.section	.text._ZN7rocprim17ROCPRIM_400000_NS6detail17trampoline_kernelINS0_14default_configENS1_33run_length_encode_config_selectorIdjNS0_4plusIjEEEEZZNS1_33reduce_by_key_impl_wrapped_configILNS1_25lookback_scan_determinismE0ES3_S7_PKdNS0_17constant_iteratorIjlEEPdPlSF_S6_NS0_8equal_toIdEEEE10hipError_tPvRmT2_T3_mT4_T5_T6_T7_T8_P12ihipStream_tbENKUlT_T0_E_clISt17integral_constantIbLb0EESZ_EEDaSU_SV_EUlSU_E_NS1_11comp_targetILNS1_3genE4ELNS1_11target_archE910ELNS1_3gpuE8ELNS1_3repE0EEENS1_30default_config_static_selectorELNS0_4arch9wavefront6targetE0EEEvT1_,"axG",@progbits,_ZN7rocprim17ROCPRIM_400000_NS6detail17trampoline_kernelINS0_14default_configENS1_33run_length_encode_config_selectorIdjNS0_4plusIjEEEEZZNS1_33reduce_by_key_impl_wrapped_configILNS1_25lookback_scan_determinismE0ES3_S7_PKdNS0_17constant_iteratorIjlEEPdPlSF_S6_NS0_8equal_toIdEEEE10hipError_tPvRmT2_T3_mT4_T5_T6_T7_T8_P12ihipStream_tbENKUlT_T0_E_clISt17integral_constantIbLb0EESZ_EEDaSU_SV_EUlSU_E_NS1_11comp_targetILNS1_3genE4ELNS1_11target_archE910ELNS1_3gpuE8ELNS1_3repE0EEENS1_30default_config_static_selectorELNS0_4arch9wavefront6targetE0EEEvT1_,comdat
.Lfunc_end306:
	.size	_ZN7rocprim17ROCPRIM_400000_NS6detail17trampoline_kernelINS0_14default_configENS1_33run_length_encode_config_selectorIdjNS0_4plusIjEEEEZZNS1_33reduce_by_key_impl_wrapped_configILNS1_25lookback_scan_determinismE0ES3_S7_PKdNS0_17constant_iteratorIjlEEPdPlSF_S6_NS0_8equal_toIdEEEE10hipError_tPvRmT2_T3_mT4_T5_T6_T7_T8_P12ihipStream_tbENKUlT_T0_E_clISt17integral_constantIbLb0EESZ_EEDaSU_SV_EUlSU_E_NS1_11comp_targetILNS1_3genE4ELNS1_11target_archE910ELNS1_3gpuE8ELNS1_3repE0EEENS1_30default_config_static_selectorELNS0_4arch9wavefront6targetE0EEEvT1_, .Lfunc_end306-_ZN7rocprim17ROCPRIM_400000_NS6detail17trampoline_kernelINS0_14default_configENS1_33run_length_encode_config_selectorIdjNS0_4plusIjEEEEZZNS1_33reduce_by_key_impl_wrapped_configILNS1_25lookback_scan_determinismE0ES3_S7_PKdNS0_17constant_iteratorIjlEEPdPlSF_S6_NS0_8equal_toIdEEEE10hipError_tPvRmT2_T3_mT4_T5_T6_T7_T8_P12ihipStream_tbENKUlT_T0_E_clISt17integral_constantIbLb0EESZ_EEDaSU_SV_EUlSU_E_NS1_11comp_targetILNS1_3genE4ELNS1_11target_archE910ELNS1_3gpuE8ELNS1_3repE0EEENS1_30default_config_static_selectorELNS0_4arch9wavefront6targetE0EEEvT1_
                                        ; -- End function
	.set _ZN7rocprim17ROCPRIM_400000_NS6detail17trampoline_kernelINS0_14default_configENS1_33run_length_encode_config_selectorIdjNS0_4plusIjEEEEZZNS1_33reduce_by_key_impl_wrapped_configILNS1_25lookback_scan_determinismE0ES3_S7_PKdNS0_17constant_iteratorIjlEEPdPlSF_S6_NS0_8equal_toIdEEEE10hipError_tPvRmT2_T3_mT4_T5_T6_T7_T8_P12ihipStream_tbENKUlT_T0_E_clISt17integral_constantIbLb0EESZ_EEDaSU_SV_EUlSU_E_NS1_11comp_targetILNS1_3genE4ELNS1_11target_archE910ELNS1_3gpuE8ELNS1_3repE0EEENS1_30default_config_static_selectorELNS0_4arch9wavefront6targetE0EEEvT1_.num_vgpr, 0
	.set _ZN7rocprim17ROCPRIM_400000_NS6detail17trampoline_kernelINS0_14default_configENS1_33run_length_encode_config_selectorIdjNS0_4plusIjEEEEZZNS1_33reduce_by_key_impl_wrapped_configILNS1_25lookback_scan_determinismE0ES3_S7_PKdNS0_17constant_iteratorIjlEEPdPlSF_S6_NS0_8equal_toIdEEEE10hipError_tPvRmT2_T3_mT4_T5_T6_T7_T8_P12ihipStream_tbENKUlT_T0_E_clISt17integral_constantIbLb0EESZ_EEDaSU_SV_EUlSU_E_NS1_11comp_targetILNS1_3genE4ELNS1_11target_archE910ELNS1_3gpuE8ELNS1_3repE0EEENS1_30default_config_static_selectorELNS0_4arch9wavefront6targetE0EEEvT1_.num_agpr, 0
	.set _ZN7rocprim17ROCPRIM_400000_NS6detail17trampoline_kernelINS0_14default_configENS1_33run_length_encode_config_selectorIdjNS0_4plusIjEEEEZZNS1_33reduce_by_key_impl_wrapped_configILNS1_25lookback_scan_determinismE0ES3_S7_PKdNS0_17constant_iteratorIjlEEPdPlSF_S6_NS0_8equal_toIdEEEE10hipError_tPvRmT2_T3_mT4_T5_T6_T7_T8_P12ihipStream_tbENKUlT_T0_E_clISt17integral_constantIbLb0EESZ_EEDaSU_SV_EUlSU_E_NS1_11comp_targetILNS1_3genE4ELNS1_11target_archE910ELNS1_3gpuE8ELNS1_3repE0EEENS1_30default_config_static_selectorELNS0_4arch9wavefront6targetE0EEEvT1_.numbered_sgpr, 0
	.set _ZN7rocprim17ROCPRIM_400000_NS6detail17trampoline_kernelINS0_14default_configENS1_33run_length_encode_config_selectorIdjNS0_4plusIjEEEEZZNS1_33reduce_by_key_impl_wrapped_configILNS1_25lookback_scan_determinismE0ES3_S7_PKdNS0_17constant_iteratorIjlEEPdPlSF_S6_NS0_8equal_toIdEEEE10hipError_tPvRmT2_T3_mT4_T5_T6_T7_T8_P12ihipStream_tbENKUlT_T0_E_clISt17integral_constantIbLb0EESZ_EEDaSU_SV_EUlSU_E_NS1_11comp_targetILNS1_3genE4ELNS1_11target_archE910ELNS1_3gpuE8ELNS1_3repE0EEENS1_30default_config_static_selectorELNS0_4arch9wavefront6targetE0EEEvT1_.num_named_barrier, 0
	.set _ZN7rocprim17ROCPRIM_400000_NS6detail17trampoline_kernelINS0_14default_configENS1_33run_length_encode_config_selectorIdjNS0_4plusIjEEEEZZNS1_33reduce_by_key_impl_wrapped_configILNS1_25lookback_scan_determinismE0ES3_S7_PKdNS0_17constant_iteratorIjlEEPdPlSF_S6_NS0_8equal_toIdEEEE10hipError_tPvRmT2_T3_mT4_T5_T6_T7_T8_P12ihipStream_tbENKUlT_T0_E_clISt17integral_constantIbLb0EESZ_EEDaSU_SV_EUlSU_E_NS1_11comp_targetILNS1_3genE4ELNS1_11target_archE910ELNS1_3gpuE8ELNS1_3repE0EEENS1_30default_config_static_selectorELNS0_4arch9wavefront6targetE0EEEvT1_.private_seg_size, 0
	.set _ZN7rocprim17ROCPRIM_400000_NS6detail17trampoline_kernelINS0_14default_configENS1_33run_length_encode_config_selectorIdjNS0_4plusIjEEEEZZNS1_33reduce_by_key_impl_wrapped_configILNS1_25lookback_scan_determinismE0ES3_S7_PKdNS0_17constant_iteratorIjlEEPdPlSF_S6_NS0_8equal_toIdEEEE10hipError_tPvRmT2_T3_mT4_T5_T6_T7_T8_P12ihipStream_tbENKUlT_T0_E_clISt17integral_constantIbLb0EESZ_EEDaSU_SV_EUlSU_E_NS1_11comp_targetILNS1_3genE4ELNS1_11target_archE910ELNS1_3gpuE8ELNS1_3repE0EEENS1_30default_config_static_selectorELNS0_4arch9wavefront6targetE0EEEvT1_.uses_vcc, 0
	.set _ZN7rocprim17ROCPRIM_400000_NS6detail17trampoline_kernelINS0_14default_configENS1_33run_length_encode_config_selectorIdjNS0_4plusIjEEEEZZNS1_33reduce_by_key_impl_wrapped_configILNS1_25lookback_scan_determinismE0ES3_S7_PKdNS0_17constant_iteratorIjlEEPdPlSF_S6_NS0_8equal_toIdEEEE10hipError_tPvRmT2_T3_mT4_T5_T6_T7_T8_P12ihipStream_tbENKUlT_T0_E_clISt17integral_constantIbLb0EESZ_EEDaSU_SV_EUlSU_E_NS1_11comp_targetILNS1_3genE4ELNS1_11target_archE910ELNS1_3gpuE8ELNS1_3repE0EEENS1_30default_config_static_selectorELNS0_4arch9wavefront6targetE0EEEvT1_.uses_flat_scratch, 0
	.set _ZN7rocprim17ROCPRIM_400000_NS6detail17trampoline_kernelINS0_14default_configENS1_33run_length_encode_config_selectorIdjNS0_4plusIjEEEEZZNS1_33reduce_by_key_impl_wrapped_configILNS1_25lookback_scan_determinismE0ES3_S7_PKdNS0_17constant_iteratorIjlEEPdPlSF_S6_NS0_8equal_toIdEEEE10hipError_tPvRmT2_T3_mT4_T5_T6_T7_T8_P12ihipStream_tbENKUlT_T0_E_clISt17integral_constantIbLb0EESZ_EEDaSU_SV_EUlSU_E_NS1_11comp_targetILNS1_3genE4ELNS1_11target_archE910ELNS1_3gpuE8ELNS1_3repE0EEENS1_30default_config_static_selectorELNS0_4arch9wavefront6targetE0EEEvT1_.has_dyn_sized_stack, 0
	.set _ZN7rocprim17ROCPRIM_400000_NS6detail17trampoline_kernelINS0_14default_configENS1_33run_length_encode_config_selectorIdjNS0_4plusIjEEEEZZNS1_33reduce_by_key_impl_wrapped_configILNS1_25lookback_scan_determinismE0ES3_S7_PKdNS0_17constant_iteratorIjlEEPdPlSF_S6_NS0_8equal_toIdEEEE10hipError_tPvRmT2_T3_mT4_T5_T6_T7_T8_P12ihipStream_tbENKUlT_T0_E_clISt17integral_constantIbLb0EESZ_EEDaSU_SV_EUlSU_E_NS1_11comp_targetILNS1_3genE4ELNS1_11target_archE910ELNS1_3gpuE8ELNS1_3repE0EEENS1_30default_config_static_selectorELNS0_4arch9wavefront6targetE0EEEvT1_.has_recursion, 0
	.set _ZN7rocprim17ROCPRIM_400000_NS6detail17trampoline_kernelINS0_14default_configENS1_33run_length_encode_config_selectorIdjNS0_4plusIjEEEEZZNS1_33reduce_by_key_impl_wrapped_configILNS1_25lookback_scan_determinismE0ES3_S7_PKdNS0_17constant_iteratorIjlEEPdPlSF_S6_NS0_8equal_toIdEEEE10hipError_tPvRmT2_T3_mT4_T5_T6_T7_T8_P12ihipStream_tbENKUlT_T0_E_clISt17integral_constantIbLb0EESZ_EEDaSU_SV_EUlSU_E_NS1_11comp_targetILNS1_3genE4ELNS1_11target_archE910ELNS1_3gpuE8ELNS1_3repE0EEENS1_30default_config_static_selectorELNS0_4arch9wavefront6targetE0EEEvT1_.has_indirect_call, 0
	.section	.AMDGPU.csdata,"",@progbits
; Kernel info:
; codeLenInByte = 0
; TotalNumSgprs: 0
; NumVgprs: 0
; ScratchSize: 0
; MemoryBound: 0
; FloatMode: 240
; IeeeMode: 1
; LDSByteSize: 0 bytes/workgroup (compile time only)
; SGPRBlocks: 0
; VGPRBlocks: 0
; NumSGPRsForWavesPerEU: 1
; NumVGPRsForWavesPerEU: 1
; NamedBarCnt: 0
; Occupancy: 16
; WaveLimiterHint : 0
; COMPUTE_PGM_RSRC2:SCRATCH_EN: 0
; COMPUTE_PGM_RSRC2:USER_SGPR: 2
; COMPUTE_PGM_RSRC2:TRAP_HANDLER: 0
; COMPUTE_PGM_RSRC2:TGID_X_EN: 1
; COMPUTE_PGM_RSRC2:TGID_Y_EN: 0
; COMPUTE_PGM_RSRC2:TGID_Z_EN: 0
; COMPUTE_PGM_RSRC2:TIDIG_COMP_CNT: 0
	.section	.text._ZN7rocprim17ROCPRIM_400000_NS6detail17trampoline_kernelINS0_14default_configENS1_33run_length_encode_config_selectorIdjNS0_4plusIjEEEEZZNS1_33reduce_by_key_impl_wrapped_configILNS1_25lookback_scan_determinismE0ES3_S7_PKdNS0_17constant_iteratorIjlEEPdPlSF_S6_NS0_8equal_toIdEEEE10hipError_tPvRmT2_T3_mT4_T5_T6_T7_T8_P12ihipStream_tbENKUlT_T0_E_clISt17integral_constantIbLb0EESZ_EEDaSU_SV_EUlSU_E_NS1_11comp_targetILNS1_3genE3ELNS1_11target_archE908ELNS1_3gpuE7ELNS1_3repE0EEENS1_30default_config_static_selectorELNS0_4arch9wavefront6targetE0EEEvT1_,"axG",@progbits,_ZN7rocprim17ROCPRIM_400000_NS6detail17trampoline_kernelINS0_14default_configENS1_33run_length_encode_config_selectorIdjNS0_4plusIjEEEEZZNS1_33reduce_by_key_impl_wrapped_configILNS1_25lookback_scan_determinismE0ES3_S7_PKdNS0_17constant_iteratorIjlEEPdPlSF_S6_NS0_8equal_toIdEEEE10hipError_tPvRmT2_T3_mT4_T5_T6_T7_T8_P12ihipStream_tbENKUlT_T0_E_clISt17integral_constantIbLb0EESZ_EEDaSU_SV_EUlSU_E_NS1_11comp_targetILNS1_3genE3ELNS1_11target_archE908ELNS1_3gpuE7ELNS1_3repE0EEENS1_30default_config_static_selectorELNS0_4arch9wavefront6targetE0EEEvT1_,comdat
	.protected	_ZN7rocprim17ROCPRIM_400000_NS6detail17trampoline_kernelINS0_14default_configENS1_33run_length_encode_config_selectorIdjNS0_4plusIjEEEEZZNS1_33reduce_by_key_impl_wrapped_configILNS1_25lookback_scan_determinismE0ES3_S7_PKdNS0_17constant_iteratorIjlEEPdPlSF_S6_NS0_8equal_toIdEEEE10hipError_tPvRmT2_T3_mT4_T5_T6_T7_T8_P12ihipStream_tbENKUlT_T0_E_clISt17integral_constantIbLb0EESZ_EEDaSU_SV_EUlSU_E_NS1_11comp_targetILNS1_3genE3ELNS1_11target_archE908ELNS1_3gpuE7ELNS1_3repE0EEENS1_30default_config_static_selectorELNS0_4arch9wavefront6targetE0EEEvT1_ ; -- Begin function _ZN7rocprim17ROCPRIM_400000_NS6detail17trampoline_kernelINS0_14default_configENS1_33run_length_encode_config_selectorIdjNS0_4plusIjEEEEZZNS1_33reduce_by_key_impl_wrapped_configILNS1_25lookback_scan_determinismE0ES3_S7_PKdNS0_17constant_iteratorIjlEEPdPlSF_S6_NS0_8equal_toIdEEEE10hipError_tPvRmT2_T3_mT4_T5_T6_T7_T8_P12ihipStream_tbENKUlT_T0_E_clISt17integral_constantIbLb0EESZ_EEDaSU_SV_EUlSU_E_NS1_11comp_targetILNS1_3genE3ELNS1_11target_archE908ELNS1_3gpuE7ELNS1_3repE0EEENS1_30default_config_static_selectorELNS0_4arch9wavefront6targetE0EEEvT1_
	.globl	_ZN7rocprim17ROCPRIM_400000_NS6detail17trampoline_kernelINS0_14default_configENS1_33run_length_encode_config_selectorIdjNS0_4plusIjEEEEZZNS1_33reduce_by_key_impl_wrapped_configILNS1_25lookback_scan_determinismE0ES3_S7_PKdNS0_17constant_iteratorIjlEEPdPlSF_S6_NS0_8equal_toIdEEEE10hipError_tPvRmT2_T3_mT4_T5_T6_T7_T8_P12ihipStream_tbENKUlT_T0_E_clISt17integral_constantIbLb0EESZ_EEDaSU_SV_EUlSU_E_NS1_11comp_targetILNS1_3genE3ELNS1_11target_archE908ELNS1_3gpuE7ELNS1_3repE0EEENS1_30default_config_static_selectorELNS0_4arch9wavefront6targetE0EEEvT1_
	.p2align	8
	.type	_ZN7rocprim17ROCPRIM_400000_NS6detail17trampoline_kernelINS0_14default_configENS1_33run_length_encode_config_selectorIdjNS0_4plusIjEEEEZZNS1_33reduce_by_key_impl_wrapped_configILNS1_25lookback_scan_determinismE0ES3_S7_PKdNS0_17constant_iteratorIjlEEPdPlSF_S6_NS0_8equal_toIdEEEE10hipError_tPvRmT2_T3_mT4_T5_T6_T7_T8_P12ihipStream_tbENKUlT_T0_E_clISt17integral_constantIbLb0EESZ_EEDaSU_SV_EUlSU_E_NS1_11comp_targetILNS1_3genE3ELNS1_11target_archE908ELNS1_3gpuE7ELNS1_3repE0EEENS1_30default_config_static_selectorELNS0_4arch9wavefront6targetE0EEEvT1_,@function
_ZN7rocprim17ROCPRIM_400000_NS6detail17trampoline_kernelINS0_14default_configENS1_33run_length_encode_config_selectorIdjNS0_4plusIjEEEEZZNS1_33reduce_by_key_impl_wrapped_configILNS1_25lookback_scan_determinismE0ES3_S7_PKdNS0_17constant_iteratorIjlEEPdPlSF_S6_NS0_8equal_toIdEEEE10hipError_tPvRmT2_T3_mT4_T5_T6_T7_T8_P12ihipStream_tbENKUlT_T0_E_clISt17integral_constantIbLb0EESZ_EEDaSU_SV_EUlSU_E_NS1_11comp_targetILNS1_3genE3ELNS1_11target_archE908ELNS1_3gpuE7ELNS1_3repE0EEENS1_30default_config_static_selectorELNS0_4arch9wavefront6targetE0EEEvT1_: ; @_ZN7rocprim17ROCPRIM_400000_NS6detail17trampoline_kernelINS0_14default_configENS1_33run_length_encode_config_selectorIdjNS0_4plusIjEEEEZZNS1_33reduce_by_key_impl_wrapped_configILNS1_25lookback_scan_determinismE0ES3_S7_PKdNS0_17constant_iteratorIjlEEPdPlSF_S6_NS0_8equal_toIdEEEE10hipError_tPvRmT2_T3_mT4_T5_T6_T7_T8_P12ihipStream_tbENKUlT_T0_E_clISt17integral_constantIbLb0EESZ_EEDaSU_SV_EUlSU_E_NS1_11comp_targetILNS1_3genE3ELNS1_11target_archE908ELNS1_3gpuE7ELNS1_3repE0EEENS1_30default_config_static_selectorELNS0_4arch9wavefront6targetE0EEEvT1_
; %bb.0:
	.section	.rodata,"a",@progbits
	.p2align	6, 0x0
	.amdhsa_kernel _ZN7rocprim17ROCPRIM_400000_NS6detail17trampoline_kernelINS0_14default_configENS1_33run_length_encode_config_selectorIdjNS0_4plusIjEEEEZZNS1_33reduce_by_key_impl_wrapped_configILNS1_25lookback_scan_determinismE0ES3_S7_PKdNS0_17constant_iteratorIjlEEPdPlSF_S6_NS0_8equal_toIdEEEE10hipError_tPvRmT2_T3_mT4_T5_T6_T7_T8_P12ihipStream_tbENKUlT_T0_E_clISt17integral_constantIbLb0EESZ_EEDaSU_SV_EUlSU_E_NS1_11comp_targetILNS1_3genE3ELNS1_11target_archE908ELNS1_3gpuE7ELNS1_3repE0EEENS1_30default_config_static_selectorELNS0_4arch9wavefront6targetE0EEEvT1_
		.amdhsa_group_segment_fixed_size 0
		.amdhsa_private_segment_fixed_size 0
		.amdhsa_kernarg_size 128
		.amdhsa_user_sgpr_count 2
		.amdhsa_user_sgpr_dispatch_ptr 0
		.amdhsa_user_sgpr_queue_ptr 0
		.amdhsa_user_sgpr_kernarg_segment_ptr 1
		.amdhsa_user_sgpr_dispatch_id 0
		.amdhsa_user_sgpr_kernarg_preload_length 0
		.amdhsa_user_sgpr_kernarg_preload_offset 0
		.amdhsa_user_sgpr_private_segment_size 0
		.amdhsa_wavefront_size32 1
		.amdhsa_uses_dynamic_stack 0
		.amdhsa_enable_private_segment 0
		.amdhsa_system_sgpr_workgroup_id_x 1
		.amdhsa_system_sgpr_workgroup_id_y 0
		.amdhsa_system_sgpr_workgroup_id_z 0
		.amdhsa_system_sgpr_workgroup_info 0
		.amdhsa_system_vgpr_workitem_id 0
		.amdhsa_next_free_vgpr 1
		.amdhsa_next_free_sgpr 1
		.amdhsa_named_barrier_count 0
		.amdhsa_reserve_vcc 0
		.amdhsa_float_round_mode_32 0
		.amdhsa_float_round_mode_16_64 0
		.amdhsa_float_denorm_mode_32 3
		.amdhsa_float_denorm_mode_16_64 3
		.amdhsa_fp16_overflow 0
		.amdhsa_memory_ordered 1
		.amdhsa_forward_progress 1
		.amdhsa_inst_pref_size 0
		.amdhsa_round_robin_scheduling 0
		.amdhsa_exception_fp_ieee_invalid_op 0
		.amdhsa_exception_fp_denorm_src 0
		.amdhsa_exception_fp_ieee_div_zero 0
		.amdhsa_exception_fp_ieee_overflow 0
		.amdhsa_exception_fp_ieee_underflow 0
		.amdhsa_exception_fp_ieee_inexact 0
		.amdhsa_exception_int_div_zero 0
	.end_amdhsa_kernel
	.section	.text._ZN7rocprim17ROCPRIM_400000_NS6detail17trampoline_kernelINS0_14default_configENS1_33run_length_encode_config_selectorIdjNS0_4plusIjEEEEZZNS1_33reduce_by_key_impl_wrapped_configILNS1_25lookback_scan_determinismE0ES3_S7_PKdNS0_17constant_iteratorIjlEEPdPlSF_S6_NS0_8equal_toIdEEEE10hipError_tPvRmT2_T3_mT4_T5_T6_T7_T8_P12ihipStream_tbENKUlT_T0_E_clISt17integral_constantIbLb0EESZ_EEDaSU_SV_EUlSU_E_NS1_11comp_targetILNS1_3genE3ELNS1_11target_archE908ELNS1_3gpuE7ELNS1_3repE0EEENS1_30default_config_static_selectorELNS0_4arch9wavefront6targetE0EEEvT1_,"axG",@progbits,_ZN7rocprim17ROCPRIM_400000_NS6detail17trampoline_kernelINS0_14default_configENS1_33run_length_encode_config_selectorIdjNS0_4plusIjEEEEZZNS1_33reduce_by_key_impl_wrapped_configILNS1_25lookback_scan_determinismE0ES3_S7_PKdNS0_17constant_iteratorIjlEEPdPlSF_S6_NS0_8equal_toIdEEEE10hipError_tPvRmT2_T3_mT4_T5_T6_T7_T8_P12ihipStream_tbENKUlT_T0_E_clISt17integral_constantIbLb0EESZ_EEDaSU_SV_EUlSU_E_NS1_11comp_targetILNS1_3genE3ELNS1_11target_archE908ELNS1_3gpuE7ELNS1_3repE0EEENS1_30default_config_static_selectorELNS0_4arch9wavefront6targetE0EEEvT1_,comdat
.Lfunc_end307:
	.size	_ZN7rocprim17ROCPRIM_400000_NS6detail17trampoline_kernelINS0_14default_configENS1_33run_length_encode_config_selectorIdjNS0_4plusIjEEEEZZNS1_33reduce_by_key_impl_wrapped_configILNS1_25lookback_scan_determinismE0ES3_S7_PKdNS0_17constant_iteratorIjlEEPdPlSF_S6_NS0_8equal_toIdEEEE10hipError_tPvRmT2_T3_mT4_T5_T6_T7_T8_P12ihipStream_tbENKUlT_T0_E_clISt17integral_constantIbLb0EESZ_EEDaSU_SV_EUlSU_E_NS1_11comp_targetILNS1_3genE3ELNS1_11target_archE908ELNS1_3gpuE7ELNS1_3repE0EEENS1_30default_config_static_selectorELNS0_4arch9wavefront6targetE0EEEvT1_, .Lfunc_end307-_ZN7rocprim17ROCPRIM_400000_NS6detail17trampoline_kernelINS0_14default_configENS1_33run_length_encode_config_selectorIdjNS0_4plusIjEEEEZZNS1_33reduce_by_key_impl_wrapped_configILNS1_25lookback_scan_determinismE0ES3_S7_PKdNS0_17constant_iteratorIjlEEPdPlSF_S6_NS0_8equal_toIdEEEE10hipError_tPvRmT2_T3_mT4_T5_T6_T7_T8_P12ihipStream_tbENKUlT_T0_E_clISt17integral_constantIbLb0EESZ_EEDaSU_SV_EUlSU_E_NS1_11comp_targetILNS1_3genE3ELNS1_11target_archE908ELNS1_3gpuE7ELNS1_3repE0EEENS1_30default_config_static_selectorELNS0_4arch9wavefront6targetE0EEEvT1_
                                        ; -- End function
	.set _ZN7rocprim17ROCPRIM_400000_NS6detail17trampoline_kernelINS0_14default_configENS1_33run_length_encode_config_selectorIdjNS0_4plusIjEEEEZZNS1_33reduce_by_key_impl_wrapped_configILNS1_25lookback_scan_determinismE0ES3_S7_PKdNS0_17constant_iteratorIjlEEPdPlSF_S6_NS0_8equal_toIdEEEE10hipError_tPvRmT2_T3_mT4_T5_T6_T7_T8_P12ihipStream_tbENKUlT_T0_E_clISt17integral_constantIbLb0EESZ_EEDaSU_SV_EUlSU_E_NS1_11comp_targetILNS1_3genE3ELNS1_11target_archE908ELNS1_3gpuE7ELNS1_3repE0EEENS1_30default_config_static_selectorELNS0_4arch9wavefront6targetE0EEEvT1_.num_vgpr, 0
	.set _ZN7rocprim17ROCPRIM_400000_NS6detail17trampoline_kernelINS0_14default_configENS1_33run_length_encode_config_selectorIdjNS0_4plusIjEEEEZZNS1_33reduce_by_key_impl_wrapped_configILNS1_25lookback_scan_determinismE0ES3_S7_PKdNS0_17constant_iteratorIjlEEPdPlSF_S6_NS0_8equal_toIdEEEE10hipError_tPvRmT2_T3_mT4_T5_T6_T7_T8_P12ihipStream_tbENKUlT_T0_E_clISt17integral_constantIbLb0EESZ_EEDaSU_SV_EUlSU_E_NS1_11comp_targetILNS1_3genE3ELNS1_11target_archE908ELNS1_3gpuE7ELNS1_3repE0EEENS1_30default_config_static_selectorELNS0_4arch9wavefront6targetE0EEEvT1_.num_agpr, 0
	.set _ZN7rocprim17ROCPRIM_400000_NS6detail17trampoline_kernelINS0_14default_configENS1_33run_length_encode_config_selectorIdjNS0_4plusIjEEEEZZNS1_33reduce_by_key_impl_wrapped_configILNS1_25lookback_scan_determinismE0ES3_S7_PKdNS0_17constant_iteratorIjlEEPdPlSF_S6_NS0_8equal_toIdEEEE10hipError_tPvRmT2_T3_mT4_T5_T6_T7_T8_P12ihipStream_tbENKUlT_T0_E_clISt17integral_constantIbLb0EESZ_EEDaSU_SV_EUlSU_E_NS1_11comp_targetILNS1_3genE3ELNS1_11target_archE908ELNS1_3gpuE7ELNS1_3repE0EEENS1_30default_config_static_selectorELNS0_4arch9wavefront6targetE0EEEvT1_.numbered_sgpr, 0
	.set _ZN7rocprim17ROCPRIM_400000_NS6detail17trampoline_kernelINS0_14default_configENS1_33run_length_encode_config_selectorIdjNS0_4plusIjEEEEZZNS1_33reduce_by_key_impl_wrapped_configILNS1_25lookback_scan_determinismE0ES3_S7_PKdNS0_17constant_iteratorIjlEEPdPlSF_S6_NS0_8equal_toIdEEEE10hipError_tPvRmT2_T3_mT4_T5_T6_T7_T8_P12ihipStream_tbENKUlT_T0_E_clISt17integral_constantIbLb0EESZ_EEDaSU_SV_EUlSU_E_NS1_11comp_targetILNS1_3genE3ELNS1_11target_archE908ELNS1_3gpuE7ELNS1_3repE0EEENS1_30default_config_static_selectorELNS0_4arch9wavefront6targetE0EEEvT1_.num_named_barrier, 0
	.set _ZN7rocprim17ROCPRIM_400000_NS6detail17trampoline_kernelINS0_14default_configENS1_33run_length_encode_config_selectorIdjNS0_4plusIjEEEEZZNS1_33reduce_by_key_impl_wrapped_configILNS1_25lookback_scan_determinismE0ES3_S7_PKdNS0_17constant_iteratorIjlEEPdPlSF_S6_NS0_8equal_toIdEEEE10hipError_tPvRmT2_T3_mT4_T5_T6_T7_T8_P12ihipStream_tbENKUlT_T0_E_clISt17integral_constantIbLb0EESZ_EEDaSU_SV_EUlSU_E_NS1_11comp_targetILNS1_3genE3ELNS1_11target_archE908ELNS1_3gpuE7ELNS1_3repE0EEENS1_30default_config_static_selectorELNS0_4arch9wavefront6targetE0EEEvT1_.private_seg_size, 0
	.set _ZN7rocprim17ROCPRIM_400000_NS6detail17trampoline_kernelINS0_14default_configENS1_33run_length_encode_config_selectorIdjNS0_4plusIjEEEEZZNS1_33reduce_by_key_impl_wrapped_configILNS1_25lookback_scan_determinismE0ES3_S7_PKdNS0_17constant_iteratorIjlEEPdPlSF_S6_NS0_8equal_toIdEEEE10hipError_tPvRmT2_T3_mT4_T5_T6_T7_T8_P12ihipStream_tbENKUlT_T0_E_clISt17integral_constantIbLb0EESZ_EEDaSU_SV_EUlSU_E_NS1_11comp_targetILNS1_3genE3ELNS1_11target_archE908ELNS1_3gpuE7ELNS1_3repE0EEENS1_30default_config_static_selectorELNS0_4arch9wavefront6targetE0EEEvT1_.uses_vcc, 0
	.set _ZN7rocprim17ROCPRIM_400000_NS6detail17trampoline_kernelINS0_14default_configENS1_33run_length_encode_config_selectorIdjNS0_4plusIjEEEEZZNS1_33reduce_by_key_impl_wrapped_configILNS1_25lookback_scan_determinismE0ES3_S7_PKdNS0_17constant_iteratorIjlEEPdPlSF_S6_NS0_8equal_toIdEEEE10hipError_tPvRmT2_T3_mT4_T5_T6_T7_T8_P12ihipStream_tbENKUlT_T0_E_clISt17integral_constantIbLb0EESZ_EEDaSU_SV_EUlSU_E_NS1_11comp_targetILNS1_3genE3ELNS1_11target_archE908ELNS1_3gpuE7ELNS1_3repE0EEENS1_30default_config_static_selectorELNS0_4arch9wavefront6targetE0EEEvT1_.uses_flat_scratch, 0
	.set _ZN7rocprim17ROCPRIM_400000_NS6detail17trampoline_kernelINS0_14default_configENS1_33run_length_encode_config_selectorIdjNS0_4plusIjEEEEZZNS1_33reduce_by_key_impl_wrapped_configILNS1_25lookback_scan_determinismE0ES3_S7_PKdNS0_17constant_iteratorIjlEEPdPlSF_S6_NS0_8equal_toIdEEEE10hipError_tPvRmT2_T3_mT4_T5_T6_T7_T8_P12ihipStream_tbENKUlT_T0_E_clISt17integral_constantIbLb0EESZ_EEDaSU_SV_EUlSU_E_NS1_11comp_targetILNS1_3genE3ELNS1_11target_archE908ELNS1_3gpuE7ELNS1_3repE0EEENS1_30default_config_static_selectorELNS0_4arch9wavefront6targetE0EEEvT1_.has_dyn_sized_stack, 0
	.set _ZN7rocprim17ROCPRIM_400000_NS6detail17trampoline_kernelINS0_14default_configENS1_33run_length_encode_config_selectorIdjNS0_4plusIjEEEEZZNS1_33reduce_by_key_impl_wrapped_configILNS1_25lookback_scan_determinismE0ES3_S7_PKdNS0_17constant_iteratorIjlEEPdPlSF_S6_NS0_8equal_toIdEEEE10hipError_tPvRmT2_T3_mT4_T5_T6_T7_T8_P12ihipStream_tbENKUlT_T0_E_clISt17integral_constantIbLb0EESZ_EEDaSU_SV_EUlSU_E_NS1_11comp_targetILNS1_3genE3ELNS1_11target_archE908ELNS1_3gpuE7ELNS1_3repE0EEENS1_30default_config_static_selectorELNS0_4arch9wavefront6targetE0EEEvT1_.has_recursion, 0
	.set _ZN7rocprim17ROCPRIM_400000_NS6detail17trampoline_kernelINS0_14default_configENS1_33run_length_encode_config_selectorIdjNS0_4plusIjEEEEZZNS1_33reduce_by_key_impl_wrapped_configILNS1_25lookback_scan_determinismE0ES3_S7_PKdNS0_17constant_iteratorIjlEEPdPlSF_S6_NS0_8equal_toIdEEEE10hipError_tPvRmT2_T3_mT4_T5_T6_T7_T8_P12ihipStream_tbENKUlT_T0_E_clISt17integral_constantIbLb0EESZ_EEDaSU_SV_EUlSU_E_NS1_11comp_targetILNS1_3genE3ELNS1_11target_archE908ELNS1_3gpuE7ELNS1_3repE0EEENS1_30default_config_static_selectorELNS0_4arch9wavefront6targetE0EEEvT1_.has_indirect_call, 0
	.section	.AMDGPU.csdata,"",@progbits
; Kernel info:
; codeLenInByte = 0
; TotalNumSgprs: 0
; NumVgprs: 0
; ScratchSize: 0
; MemoryBound: 0
; FloatMode: 240
; IeeeMode: 1
; LDSByteSize: 0 bytes/workgroup (compile time only)
; SGPRBlocks: 0
; VGPRBlocks: 0
; NumSGPRsForWavesPerEU: 1
; NumVGPRsForWavesPerEU: 1
; NamedBarCnt: 0
; Occupancy: 16
; WaveLimiterHint : 0
; COMPUTE_PGM_RSRC2:SCRATCH_EN: 0
; COMPUTE_PGM_RSRC2:USER_SGPR: 2
; COMPUTE_PGM_RSRC2:TRAP_HANDLER: 0
; COMPUTE_PGM_RSRC2:TGID_X_EN: 1
; COMPUTE_PGM_RSRC2:TGID_Y_EN: 0
; COMPUTE_PGM_RSRC2:TGID_Z_EN: 0
; COMPUTE_PGM_RSRC2:TIDIG_COMP_CNT: 0
	.section	.text._ZN7rocprim17ROCPRIM_400000_NS6detail17trampoline_kernelINS0_14default_configENS1_33run_length_encode_config_selectorIdjNS0_4plusIjEEEEZZNS1_33reduce_by_key_impl_wrapped_configILNS1_25lookback_scan_determinismE0ES3_S7_PKdNS0_17constant_iteratorIjlEEPdPlSF_S6_NS0_8equal_toIdEEEE10hipError_tPvRmT2_T3_mT4_T5_T6_T7_T8_P12ihipStream_tbENKUlT_T0_E_clISt17integral_constantIbLb0EESZ_EEDaSU_SV_EUlSU_E_NS1_11comp_targetILNS1_3genE2ELNS1_11target_archE906ELNS1_3gpuE6ELNS1_3repE0EEENS1_30default_config_static_selectorELNS0_4arch9wavefront6targetE0EEEvT1_,"axG",@progbits,_ZN7rocprim17ROCPRIM_400000_NS6detail17trampoline_kernelINS0_14default_configENS1_33run_length_encode_config_selectorIdjNS0_4plusIjEEEEZZNS1_33reduce_by_key_impl_wrapped_configILNS1_25lookback_scan_determinismE0ES3_S7_PKdNS0_17constant_iteratorIjlEEPdPlSF_S6_NS0_8equal_toIdEEEE10hipError_tPvRmT2_T3_mT4_T5_T6_T7_T8_P12ihipStream_tbENKUlT_T0_E_clISt17integral_constantIbLb0EESZ_EEDaSU_SV_EUlSU_E_NS1_11comp_targetILNS1_3genE2ELNS1_11target_archE906ELNS1_3gpuE6ELNS1_3repE0EEENS1_30default_config_static_selectorELNS0_4arch9wavefront6targetE0EEEvT1_,comdat
	.protected	_ZN7rocprim17ROCPRIM_400000_NS6detail17trampoline_kernelINS0_14default_configENS1_33run_length_encode_config_selectorIdjNS0_4plusIjEEEEZZNS1_33reduce_by_key_impl_wrapped_configILNS1_25lookback_scan_determinismE0ES3_S7_PKdNS0_17constant_iteratorIjlEEPdPlSF_S6_NS0_8equal_toIdEEEE10hipError_tPvRmT2_T3_mT4_T5_T6_T7_T8_P12ihipStream_tbENKUlT_T0_E_clISt17integral_constantIbLb0EESZ_EEDaSU_SV_EUlSU_E_NS1_11comp_targetILNS1_3genE2ELNS1_11target_archE906ELNS1_3gpuE6ELNS1_3repE0EEENS1_30default_config_static_selectorELNS0_4arch9wavefront6targetE0EEEvT1_ ; -- Begin function _ZN7rocprim17ROCPRIM_400000_NS6detail17trampoline_kernelINS0_14default_configENS1_33run_length_encode_config_selectorIdjNS0_4plusIjEEEEZZNS1_33reduce_by_key_impl_wrapped_configILNS1_25lookback_scan_determinismE0ES3_S7_PKdNS0_17constant_iteratorIjlEEPdPlSF_S6_NS0_8equal_toIdEEEE10hipError_tPvRmT2_T3_mT4_T5_T6_T7_T8_P12ihipStream_tbENKUlT_T0_E_clISt17integral_constantIbLb0EESZ_EEDaSU_SV_EUlSU_E_NS1_11comp_targetILNS1_3genE2ELNS1_11target_archE906ELNS1_3gpuE6ELNS1_3repE0EEENS1_30default_config_static_selectorELNS0_4arch9wavefront6targetE0EEEvT1_
	.globl	_ZN7rocprim17ROCPRIM_400000_NS6detail17trampoline_kernelINS0_14default_configENS1_33run_length_encode_config_selectorIdjNS0_4plusIjEEEEZZNS1_33reduce_by_key_impl_wrapped_configILNS1_25lookback_scan_determinismE0ES3_S7_PKdNS0_17constant_iteratorIjlEEPdPlSF_S6_NS0_8equal_toIdEEEE10hipError_tPvRmT2_T3_mT4_T5_T6_T7_T8_P12ihipStream_tbENKUlT_T0_E_clISt17integral_constantIbLb0EESZ_EEDaSU_SV_EUlSU_E_NS1_11comp_targetILNS1_3genE2ELNS1_11target_archE906ELNS1_3gpuE6ELNS1_3repE0EEENS1_30default_config_static_selectorELNS0_4arch9wavefront6targetE0EEEvT1_
	.p2align	8
	.type	_ZN7rocprim17ROCPRIM_400000_NS6detail17trampoline_kernelINS0_14default_configENS1_33run_length_encode_config_selectorIdjNS0_4plusIjEEEEZZNS1_33reduce_by_key_impl_wrapped_configILNS1_25lookback_scan_determinismE0ES3_S7_PKdNS0_17constant_iteratorIjlEEPdPlSF_S6_NS0_8equal_toIdEEEE10hipError_tPvRmT2_T3_mT4_T5_T6_T7_T8_P12ihipStream_tbENKUlT_T0_E_clISt17integral_constantIbLb0EESZ_EEDaSU_SV_EUlSU_E_NS1_11comp_targetILNS1_3genE2ELNS1_11target_archE906ELNS1_3gpuE6ELNS1_3repE0EEENS1_30default_config_static_selectorELNS0_4arch9wavefront6targetE0EEEvT1_,@function
_ZN7rocprim17ROCPRIM_400000_NS6detail17trampoline_kernelINS0_14default_configENS1_33run_length_encode_config_selectorIdjNS0_4plusIjEEEEZZNS1_33reduce_by_key_impl_wrapped_configILNS1_25lookback_scan_determinismE0ES3_S7_PKdNS0_17constant_iteratorIjlEEPdPlSF_S6_NS0_8equal_toIdEEEE10hipError_tPvRmT2_T3_mT4_T5_T6_T7_T8_P12ihipStream_tbENKUlT_T0_E_clISt17integral_constantIbLb0EESZ_EEDaSU_SV_EUlSU_E_NS1_11comp_targetILNS1_3genE2ELNS1_11target_archE906ELNS1_3gpuE6ELNS1_3repE0EEENS1_30default_config_static_selectorELNS0_4arch9wavefront6targetE0EEEvT1_: ; @_ZN7rocprim17ROCPRIM_400000_NS6detail17trampoline_kernelINS0_14default_configENS1_33run_length_encode_config_selectorIdjNS0_4plusIjEEEEZZNS1_33reduce_by_key_impl_wrapped_configILNS1_25lookback_scan_determinismE0ES3_S7_PKdNS0_17constant_iteratorIjlEEPdPlSF_S6_NS0_8equal_toIdEEEE10hipError_tPvRmT2_T3_mT4_T5_T6_T7_T8_P12ihipStream_tbENKUlT_T0_E_clISt17integral_constantIbLb0EESZ_EEDaSU_SV_EUlSU_E_NS1_11comp_targetILNS1_3genE2ELNS1_11target_archE906ELNS1_3gpuE6ELNS1_3repE0EEENS1_30default_config_static_selectorELNS0_4arch9wavefront6targetE0EEEvT1_
; %bb.0:
	.section	.rodata,"a",@progbits
	.p2align	6, 0x0
	.amdhsa_kernel _ZN7rocprim17ROCPRIM_400000_NS6detail17trampoline_kernelINS0_14default_configENS1_33run_length_encode_config_selectorIdjNS0_4plusIjEEEEZZNS1_33reduce_by_key_impl_wrapped_configILNS1_25lookback_scan_determinismE0ES3_S7_PKdNS0_17constant_iteratorIjlEEPdPlSF_S6_NS0_8equal_toIdEEEE10hipError_tPvRmT2_T3_mT4_T5_T6_T7_T8_P12ihipStream_tbENKUlT_T0_E_clISt17integral_constantIbLb0EESZ_EEDaSU_SV_EUlSU_E_NS1_11comp_targetILNS1_3genE2ELNS1_11target_archE906ELNS1_3gpuE6ELNS1_3repE0EEENS1_30default_config_static_selectorELNS0_4arch9wavefront6targetE0EEEvT1_
		.amdhsa_group_segment_fixed_size 0
		.amdhsa_private_segment_fixed_size 0
		.amdhsa_kernarg_size 128
		.amdhsa_user_sgpr_count 2
		.amdhsa_user_sgpr_dispatch_ptr 0
		.amdhsa_user_sgpr_queue_ptr 0
		.amdhsa_user_sgpr_kernarg_segment_ptr 1
		.amdhsa_user_sgpr_dispatch_id 0
		.amdhsa_user_sgpr_kernarg_preload_length 0
		.amdhsa_user_sgpr_kernarg_preload_offset 0
		.amdhsa_user_sgpr_private_segment_size 0
		.amdhsa_wavefront_size32 1
		.amdhsa_uses_dynamic_stack 0
		.amdhsa_enable_private_segment 0
		.amdhsa_system_sgpr_workgroup_id_x 1
		.amdhsa_system_sgpr_workgroup_id_y 0
		.amdhsa_system_sgpr_workgroup_id_z 0
		.amdhsa_system_sgpr_workgroup_info 0
		.amdhsa_system_vgpr_workitem_id 0
		.amdhsa_next_free_vgpr 1
		.amdhsa_next_free_sgpr 1
		.amdhsa_named_barrier_count 0
		.amdhsa_reserve_vcc 0
		.amdhsa_float_round_mode_32 0
		.amdhsa_float_round_mode_16_64 0
		.amdhsa_float_denorm_mode_32 3
		.amdhsa_float_denorm_mode_16_64 3
		.amdhsa_fp16_overflow 0
		.amdhsa_memory_ordered 1
		.amdhsa_forward_progress 1
		.amdhsa_inst_pref_size 0
		.amdhsa_round_robin_scheduling 0
		.amdhsa_exception_fp_ieee_invalid_op 0
		.amdhsa_exception_fp_denorm_src 0
		.amdhsa_exception_fp_ieee_div_zero 0
		.amdhsa_exception_fp_ieee_overflow 0
		.amdhsa_exception_fp_ieee_underflow 0
		.amdhsa_exception_fp_ieee_inexact 0
		.amdhsa_exception_int_div_zero 0
	.end_amdhsa_kernel
	.section	.text._ZN7rocprim17ROCPRIM_400000_NS6detail17trampoline_kernelINS0_14default_configENS1_33run_length_encode_config_selectorIdjNS0_4plusIjEEEEZZNS1_33reduce_by_key_impl_wrapped_configILNS1_25lookback_scan_determinismE0ES3_S7_PKdNS0_17constant_iteratorIjlEEPdPlSF_S6_NS0_8equal_toIdEEEE10hipError_tPvRmT2_T3_mT4_T5_T6_T7_T8_P12ihipStream_tbENKUlT_T0_E_clISt17integral_constantIbLb0EESZ_EEDaSU_SV_EUlSU_E_NS1_11comp_targetILNS1_3genE2ELNS1_11target_archE906ELNS1_3gpuE6ELNS1_3repE0EEENS1_30default_config_static_selectorELNS0_4arch9wavefront6targetE0EEEvT1_,"axG",@progbits,_ZN7rocprim17ROCPRIM_400000_NS6detail17trampoline_kernelINS0_14default_configENS1_33run_length_encode_config_selectorIdjNS0_4plusIjEEEEZZNS1_33reduce_by_key_impl_wrapped_configILNS1_25lookback_scan_determinismE0ES3_S7_PKdNS0_17constant_iteratorIjlEEPdPlSF_S6_NS0_8equal_toIdEEEE10hipError_tPvRmT2_T3_mT4_T5_T6_T7_T8_P12ihipStream_tbENKUlT_T0_E_clISt17integral_constantIbLb0EESZ_EEDaSU_SV_EUlSU_E_NS1_11comp_targetILNS1_3genE2ELNS1_11target_archE906ELNS1_3gpuE6ELNS1_3repE0EEENS1_30default_config_static_selectorELNS0_4arch9wavefront6targetE0EEEvT1_,comdat
.Lfunc_end308:
	.size	_ZN7rocprim17ROCPRIM_400000_NS6detail17trampoline_kernelINS0_14default_configENS1_33run_length_encode_config_selectorIdjNS0_4plusIjEEEEZZNS1_33reduce_by_key_impl_wrapped_configILNS1_25lookback_scan_determinismE0ES3_S7_PKdNS0_17constant_iteratorIjlEEPdPlSF_S6_NS0_8equal_toIdEEEE10hipError_tPvRmT2_T3_mT4_T5_T6_T7_T8_P12ihipStream_tbENKUlT_T0_E_clISt17integral_constantIbLb0EESZ_EEDaSU_SV_EUlSU_E_NS1_11comp_targetILNS1_3genE2ELNS1_11target_archE906ELNS1_3gpuE6ELNS1_3repE0EEENS1_30default_config_static_selectorELNS0_4arch9wavefront6targetE0EEEvT1_, .Lfunc_end308-_ZN7rocprim17ROCPRIM_400000_NS6detail17trampoline_kernelINS0_14default_configENS1_33run_length_encode_config_selectorIdjNS0_4plusIjEEEEZZNS1_33reduce_by_key_impl_wrapped_configILNS1_25lookback_scan_determinismE0ES3_S7_PKdNS0_17constant_iteratorIjlEEPdPlSF_S6_NS0_8equal_toIdEEEE10hipError_tPvRmT2_T3_mT4_T5_T6_T7_T8_P12ihipStream_tbENKUlT_T0_E_clISt17integral_constantIbLb0EESZ_EEDaSU_SV_EUlSU_E_NS1_11comp_targetILNS1_3genE2ELNS1_11target_archE906ELNS1_3gpuE6ELNS1_3repE0EEENS1_30default_config_static_selectorELNS0_4arch9wavefront6targetE0EEEvT1_
                                        ; -- End function
	.set _ZN7rocprim17ROCPRIM_400000_NS6detail17trampoline_kernelINS0_14default_configENS1_33run_length_encode_config_selectorIdjNS0_4plusIjEEEEZZNS1_33reduce_by_key_impl_wrapped_configILNS1_25lookback_scan_determinismE0ES3_S7_PKdNS0_17constant_iteratorIjlEEPdPlSF_S6_NS0_8equal_toIdEEEE10hipError_tPvRmT2_T3_mT4_T5_T6_T7_T8_P12ihipStream_tbENKUlT_T0_E_clISt17integral_constantIbLb0EESZ_EEDaSU_SV_EUlSU_E_NS1_11comp_targetILNS1_3genE2ELNS1_11target_archE906ELNS1_3gpuE6ELNS1_3repE0EEENS1_30default_config_static_selectorELNS0_4arch9wavefront6targetE0EEEvT1_.num_vgpr, 0
	.set _ZN7rocprim17ROCPRIM_400000_NS6detail17trampoline_kernelINS0_14default_configENS1_33run_length_encode_config_selectorIdjNS0_4plusIjEEEEZZNS1_33reduce_by_key_impl_wrapped_configILNS1_25lookback_scan_determinismE0ES3_S7_PKdNS0_17constant_iteratorIjlEEPdPlSF_S6_NS0_8equal_toIdEEEE10hipError_tPvRmT2_T3_mT4_T5_T6_T7_T8_P12ihipStream_tbENKUlT_T0_E_clISt17integral_constantIbLb0EESZ_EEDaSU_SV_EUlSU_E_NS1_11comp_targetILNS1_3genE2ELNS1_11target_archE906ELNS1_3gpuE6ELNS1_3repE0EEENS1_30default_config_static_selectorELNS0_4arch9wavefront6targetE0EEEvT1_.num_agpr, 0
	.set _ZN7rocprim17ROCPRIM_400000_NS6detail17trampoline_kernelINS0_14default_configENS1_33run_length_encode_config_selectorIdjNS0_4plusIjEEEEZZNS1_33reduce_by_key_impl_wrapped_configILNS1_25lookback_scan_determinismE0ES3_S7_PKdNS0_17constant_iteratorIjlEEPdPlSF_S6_NS0_8equal_toIdEEEE10hipError_tPvRmT2_T3_mT4_T5_T6_T7_T8_P12ihipStream_tbENKUlT_T0_E_clISt17integral_constantIbLb0EESZ_EEDaSU_SV_EUlSU_E_NS1_11comp_targetILNS1_3genE2ELNS1_11target_archE906ELNS1_3gpuE6ELNS1_3repE0EEENS1_30default_config_static_selectorELNS0_4arch9wavefront6targetE0EEEvT1_.numbered_sgpr, 0
	.set _ZN7rocprim17ROCPRIM_400000_NS6detail17trampoline_kernelINS0_14default_configENS1_33run_length_encode_config_selectorIdjNS0_4plusIjEEEEZZNS1_33reduce_by_key_impl_wrapped_configILNS1_25lookback_scan_determinismE0ES3_S7_PKdNS0_17constant_iteratorIjlEEPdPlSF_S6_NS0_8equal_toIdEEEE10hipError_tPvRmT2_T3_mT4_T5_T6_T7_T8_P12ihipStream_tbENKUlT_T0_E_clISt17integral_constantIbLb0EESZ_EEDaSU_SV_EUlSU_E_NS1_11comp_targetILNS1_3genE2ELNS1_11target_archE906ELNS1_3gpuE6ELNS1_3repE0EEENS1_30default_config_static_selectorELNS0_4arch9wavefront6targetE0EEEvT1_.num_named_barrier, 0
	.set _ZN7rocprim17ROCPRIM_400000_NS6detail17trampoline_kernelINS0_14default_configENS1_33run_length_encode_config_selectorIdjNS0_4plusIjEEEEZZNS1_33reduce_by_key_impl_wrapped_configILNS1_25lookback_scan_determinismE0ES3_S7_PKdNS0_17constant_iteratorIjlEEPdPlSF_S6_NS0_8equal_toIdEEEE10hipError_tPvRmT2_T3_mT4_T5_T6_T7_T8_P12ihipStream_tbENKUlT_T0_E_clISt17integral_constantIbLb0EESZ_EEDaSU_SV_EUlSU_E_NS1_11comp_targetILNS1_3genE2ELNS1_11target_archE906ELNS1_3gpuE6ELNS1_3repE0EEENS1_30default_config_static_selectorELNS0_4arch9wavefront6targetE0EEEvT1_.private_seg_size, 0
	.set _ZN7rocprim17ROCPRIM_400000_NS6detail17trampoline_kernelINS0_14default_configENS1_33run_length_encode_config_selectorIdjNS0_4plusIjEEEEZZNS1_33reduce_by_key_impl_wrapped_configILNS1_25lookback_scan_determinismE0ES3_S7_PKdNS0_17constant_iteratorIjlEEPdPlSF_S6_NS0_8equal_toIdEEEE10hipError_tPvRmT2_T3_mT4_T5_T6_T7_T8_P12ihipStream_tbENKUlT_T0_E_clISt17integral_constantIbLb0EESZ_EEDaSU_SV_EUlSU_E_NS1_11comp_targetILNS1_3genE2ELNS1_11target_archE906ELNS1_3gpuE6ELNS1_3repE0EEENS1_30default_config_static_selectorELNS0_4arch9wavefront6targetE0EEEvT1_.uses_vcc, 0
	.set _ZN7rocprim17ROCPRIM_400000_NS6detail17trampoline_kernelINS0_14default_configENS1_33run_length_encode_config_selectorIdjNS0_4plusIjEEEEZZNS1_33reduce_by_key_impl_wrapped_configILNS1_25lookback_scan_determinismE0ES3_S7_PKdNS0_17constant_iteratorIjlEEPdPlSF_S6_NS0_8equal_toIdEEEE10hipError_tPvRmT2_T3_mT4_T5_T6_T7_T8_P12ihipStream_tbENKUlT_T0_E_clISt17integral_constantIbLb0EESZ_EEDaSU_SV_EUlSU_E_NS1_11comp_targetILNS1_3genE2ELNS1_11target_archE906ELNS1_3gpuE6ELNS1_3repE0EEENS1_30default_config_static_selectorELNS0_4arch9wavefront6targetE0EEEvT1_.uses_flat_scratch, 0
	.set _ZN7rocprim17ROCPRIM_400000_NS6detail17trampoline_kernelINS0_14default_configENS1_33run_length_encode_config_selectorIdjNS0_4plusIjEEEEZZNS1_33reduce_by_key_impl_wrapped_configILNS1_25lookback_scan_determinismE0ES3_S7_PKdNS0_17constant_iteratorIjlEEPdPlSF_S6_NS0_8equal_toIdEEEE10hipError_tPvRmT2_T3_mT4_T5_T6_T7_T8_P12ihipStream_tbENKUlT_T0_E_clISt17integral_constantIbLb0EESZ_EEDaSU_SV_EUlSU_E_NS1_11comp_targetILNS1_3genE2ELNS1_11target_archE906ELNS1_3gpuE6ELNS1_3repE0EEENS1_30default_config_static_selectorELNS0_4arch9wavefront6targetE0EEEvT1_.has_dyn_sized_stack, 0
	.set _ZN7rocprim17ROCPRIM_400000_NS6detail17trampoline_kernelINS0_14default_configENS1_33run_length_encode_config_selectorIdjNS0_4plusIjEEEEZZNS1_33reduce_by_key_impl_wrapped_configILNS1_25lookback_scan_determinismE0ES3_S7_PKdNS0_17constant_iteratorIjlEEPdPlSF_S6_NS0_8equal_toIdEEEE10hipError_tPvRmT2_T3_mT4_T5_T6_T7_T8_P12ihipStream_tbENKUlT_T0_E_clISt17integral_constantIbLb0EESZ_EEDaSU_SV_EUlSU_E_NS1_11comp_targetILNS1_3genE2ELNS1_11target_archE906ELNS1_3gpuE6ELNS1_3repE0EEENS1_30default_config_static_selectorELNS0_4arch9wavefront6targetE0EEEvT1_.has_recursion, 0
	.set _ZN7rocprim17ROCPRIM_400000_NS6detail17trampoline_kernelINS0_14default_configENS1_33run_length_encode_config_selectorIdjNS0_4plusIjEEEEZZNS1_33reduce_by_key_impl_wrapped_configILNS1_25lookback_scan_determinismE0ES3_S7_PKdNS0_17constant_iteratorIjlEEPdPlSF_S6_NS0_8equal_toIdEEEE10hipError_tPvRmT2_T3_mT4_T5_T6_T7_T8_P12ihipStream_tbENKUlT_T0_E_clISt17integral_constantIbLb0EESZ_EEDaSU_SV_EUlSU_E_NS1_11comp_targetILNS1_3genE2ELNS1_11target_archE906ELNS1_3gpuE6ELNS1_3repE0EEENS1_30default_config_static_selectorELNS0_4arch9wavefront6targetE0EEEvT1_.has_indirect_call, 0
	.section	.AMDGPU.csdata,"",@progbits
; Kernel info:
; codeLenInByte = 0
; TotalNumSgprs: 0
; NumVgprs: 0
; ScratchSize: 0
; MemoryBound: 0
; FloatMode: 240
; IeeeMode: 1
; LDSByteSize: 0 bytes/workgroup (compile time only)
; SGPRBlocks: 0
; VGPRBlocks: 0
; NumSGPRsForWavesPerEU: 1
; NumVGPRsForWavesPerEU: 1
; NamedBarCnt: 0
; Occupancy: 16
; WaveLimiterHint : 0
; COMPUTE_PGM_RSRC2:SCRATCH_EN: 0
; COMPUTE_PGM_RSRC2:USER_SGPR: 2
; COMPUTE_PGM_RSRC2:TRAP_HANDLER: 0
; COMPUTE_PGM_RSRC2:TGID_X_EN: 1
; COMPUTE_PGM_RSRC2:TGID_Y_EN: 0
; COMPUTE_PGM_RSRC2:TGID_Z_EN: 0
; COMPUTE_PGM_RSRC2:TIDIG_COMP_CNT: 0
	.section	.text._ZN7rocprim17ROCPRIM_400000_NS6detail17trampoline_kernelINS0_14default_configENS1_33run_length_encode_config_selectorIdjNS0_4plusIjEEEEZZNS1_33reduce_by_key_impl_wrapped_configILNS1_25lookback_scan_determinismE0ES3_S7_PKdNS0_17constant_iteratorIjlEEPdPlSF_S6_NS0_8equal_toIdEEEE10hipError_tPvRmT2_T3_mT4_T5_T6_T7_T8_P12ihipStream_tbENKUlT_T0_E_clISt17integral_constantIbLb0EESZ_EEDaSU_SV_EUlSU_E_NS1_11comp_targetILNS1_3genE10ELNS1_11target_archE1201ELNS1_3gpuE5ELNS1_3repE0EEENS1_30default_config_static_selectorELNS0_4arch9wavefront6targetE0EEEvT1_,"axG",@progbits,_ZN7rocprim17ROCPRIM_400000_NS6detail17trampoline_kernelINS0_14default_configENS1_33run_length_encode_config_selectorIdjNS0_4plusIjEEEEZZNS1_33reduce_by_key_impl_wrapped_configILNS1_25lookback_scan_determinismE0ES3_S7_PKdNS0_17constant_iteratorIjlEEPdPlSF_S6_NS0_8equal_toIdEEEE10hipError_tPvRmT2_T3_mT4_T5_T6_T7_T8_P12ihipStream_tbENKUlT_T0_E_clISt17integral_constantIbLb0EESZ_EEDaSU_SV_EUlSU_E_NS1_11comp_targetILNS1_3genE10ELNS1_11target_archE1201ELNS1_3gpuE5ELNS1_3repE0EEENS1_30default_config_static_selectorELNS0_4arch9wavefront6targetE0EEEvT1_,comdat
	.protected	_ZN7rocprim17ROCPRIM_400000_NS6detail17trampoline_kernelINS0_14default_configENS1_33run_length_encode_config_selectorIdjNS0_4plusIjEEEEZZNS1_33reduce_by_key_impl_wrapped_configILNS1_25lookback_scan_determinismE0ES3_S7_PKdNS0_17constant_iteratorIjlEEPdPlSF_S6_NS0_8equal_toIdEEEE10hipError_tPvRmT2_T3_mT4_T5_T6_T7_T8_P12ihipStream_tbENKUlT_T0_E_clISt17integral_constantIbLb0EESZ_EEDaSU_SV_EUlSU_E_NS1_11comp_targetILNS1_3genE10ELNS1_11target_archE1201ELNS1_3gpuE5ELNS1_3repE0EEENS1_30default_config_static_selectorELNS0_4arch9wavefront6targetE0EEEvT1_ ; -- Begin function _ZN7rocprim17ROCPRIM_400000_NS6detail17trampoline_kernelINS0_14default_configENS1_33run_length_encode_config_selectorIdjNS0_4plusIjEEEEZZNS1_33reduce_by_key_impl_wrapped_configILNS1_25lookback_scan_determinismE0ES3_S7_PKdNS0_17constant_iteratorIjlEEPdPlSF_S6_NS0_8equal_toIdEEEE10hipError_tPvRmT2_T3_mT4_T5_T6_T7_T8_P12ihipStream_tbENKUlT_T0_E_clISt17integral_constantIbLb0EESZ_EEDaSU_SV_EUlSU_E_NS1_11comp_targetILNS1_3genE10ELNS1_11target_archE1201ELNS1_3gpuE5ELNS1_3repE0EEENS1_30default_config_static_selectorELNS0_4arch9wavefront6targetE0EEEvT1_
	.globl	_ZN7rocprim17ROCPRIM_400000_NS6detail17trampoline_kernelINS0_14default_configENS1_33run_length_encode_config_selectorIdjNS0_4plusIjEEEEZZNS1_33reduce_by_key_impl_wrapped_configILNS1_25lookback_scan_determinismE0ES3_S7_PKdNS0_17constant_iteratorIjlEEPdPlSF_S6_NS0_8equal_toIdEEEE10hipError_tPvRmT2_T3_mT4_T5_T6_T7_T8_P12ihipStream_tbENKUlT_T0_E_clISt17integral_constantIbLb0EESZ_EEDaSU_SV_EUlSU_E_NS1_11comp_targetILNS1_3genE10ELNS1_11target_archE1201ELNS1_3gpuE5ELNS1_3repE0EEENS1_30default_config_static_selectorELNS0_4arch9wavefront6targetE0EEEvT1_
	.p2align	8
	.type	_ZN7rocprim17ROCPRIM_400000_NS6detail17trampoline_kernelINS0_14default_configENS1_33run_length_encode_config_selectorIdjNS0_4plusIjEEEEZZNS1_33reduce_by_key_impl_wrapped_configILNS1_25lookback_scan_determinismE0ES3_S7_PKdNS0_17constant_iteratorIjlEEPdPlSF_S6_NS0_8equal_toIdEEEE10hipError_tPvRmT2_T3_mT4_T5_T6_T7_T8_P12ihipStream_tbENKUlT_T0_E_clISt17integral_constantIbLb0EESZ_EEDaSU_SV_EUlSU_E_NS1_11comp_targetILNS1_3genE10ELNS1_11target_archE1201ELNS1_3gpuE5ELNS1_3repE0EEENS1_30default_config_static_selectorELNS0_4arch9wavefront6targetE0EEEvT1_,@function
_ZN7rocprim17ROCPRIM_400000_NS6detail17trampoline_kernelINS0_14default_configENS1_33run_length_encode_config_selectorIdjNS0_4plusIjEEEEZZNS1_33reduce_by_key_impl_wrapped_configILNS1_25lookback_scan_determinismE0ES3_S7_PKdNS0_17constant_iteratorIjlEEPdPlSF_S6_NS0_8equal_toIdEEEE10hipError_tPvRmT2_T3_mT4_T5_T6_T7_T8_P12ihipStream_tbENKUlT_T0_E_clISt17integral_constantIbLb0EESZ_EEDaSU_SV_EUlSU_E_NS1_11comp_targetILNS1_3genE10ELNS1_11target_archE1201ELNS1_3gpuE5ELNS1_3repE0EEENS1_30default_config_static_selectorELNS0_4arch9wavefront6targetE0EEEvT1_: ; @_ZN7rocprim17ROCPRIM_400000_NS6detail17trampoline_kernelINS0_14default_configENS1_33run_length_encode_config_selectorIdjNS0_4plusIjEEEEZZNS1_33reduce_by_key_impl_wrapped_configILNS1_25lookback_scan_determinismE0ES3_S7_PKdNS0_17constant_iteratorIjlEEPdPlSF_S6_NS0_8equal_toIdEEEE10hipError_tPvRmT2_T3_mT4_T5_T6_T7_T8_P12ihipStream_tbENKUlT_T0_E_clISt17integral_constantIbLb0EESZ_EEDaSU_SV_EUlSU_E_NS1_11comp_targetILNS1_3genE10ELNS1_11target_archE1201ELNS1_3gpuE5ELNS1_3repE0EEENS1_30default_config_static_selectorELNS0_4arch9wavefront6targetE0EEEvT1_
; %bb.0:
	.section	.rodata,"a",@progbits
	.p2align	6, 0x0
	.amdhsa_kernel _ZN7rocprim17ROCPRIM_400000_NS6detail17trampoline_kernelINS0_14default_configENS1_33run_length_encode_config_selectorIdjNS0_4plusIjEEEEZZNS1_33reduce_by_key_impl_wrapped_configILNS1_25lookback_scan_determinismE0ES3_S7_PKdNS0_17constant_iteratorIjlEEPdPlSF_S6_NS0_8equal_toIdEEEE10hipError_tPvRmT2_T3_mT4_T5_T6_T7_T8_P12ihipStream_tbENKUlT_T0_E_clISt17integral_constantIbLb0EESZ_EEDaSU_SV_EUlSU_E_NS1_11comp_targetILNS1_3genE10ELNS1_11target_archE1201ELNS1_3gpuE5ELNS1_3repE0EEENS1_30default_config_static_selectorELNS0_4arch9wavefront6targetE0EEEvT1_
		.amdhsa_group_segment_fixed_size 0
		.amdhsa_private_segment_fixed_size 0
		.amdhsa_kernarg_size 128
		.amdhsa_user_sgpr_count 2
		.amdhsa_user_sgpr_dispatch_ptr 0
		.amdhsa_user_sgpr_queue_ptr 0
		.amdhsa_user_sgpr_kernarg_segment_ptr 1
		.amdhsa_user_sgpr_dispatch_id 0
		.amdhsa_user_sgpr_kernarg_preload_length 0
		.amdhsa_user_sgpr_kernarg_preload_offset 0
		.amdhsa_user_sgpr_private_segment_size 0
		.amdhsa_wavefront_size32 1
		.amdhsa_uses_dynamic_stack 0
		.amdhsa_enable_private_segment 0
		.amdhsa_system_sgpr_workgroup_id_x 1
		.amdhsa_system_sgpr_workgroup_id_y 0
		.amdhsa_system_sgpr_workgroup_id_z 0
		.amdhsa_system_sgpr_workgroup_info 0
		.amdhsa_system_vgpr_workitem_id 0
		.amdhsa_next_free_vgpr 1
		.amdhsa_next_free_sgpr 1
		.amdhsa_named_barrier_count 0
		.amdhsa_reserve_vcc 0
		.amdhsa_float_round_mode_32 0
		.amdhsa_float_round_mode_16_64 0
		.amdhsa_float_denorm_mode_32 3
		.amdhsa_float_denorm_mode_16_64 3
		.amdhsa_fp16_overflow 0
		.amdhsa_memory_ordered 1
		.amdhsa_forward_progress 1
		.amdhsa_inst_pref_size 0
		.amdhsa_round_robin_scheduling 0
		.amdhsa_exception_fp_ieee_invalid_op 0
		.amdhsa_exception_fp_denorm_src 0
		.amdhsa_exception_fp_ieee_div_zero 0
		.amdhsa_exception_fp_ieee_overflow 0
		.amdhsa_exception_fp_ieee_underflow 0
		.amdhsa_exception_fp_ieee_inexact 0
		.amdhsa_exception_int_div_zero 0
	.end_amdhsa_kernel
	.section	.text._ZN7rocprim17ROCPRIM_400000_NS6detail17trampoline_kernelINS0_14default_configENS1_33run_length_encode_config_selectorIdjNS0_4plusIjEEEEZZNS1_33reduce_by_key_impl_wrapped_configILNS1_25lookback_scan_determinismE0ES3_S7_PKdNS0_17constant_iteratorIjlEEPdPlSF_S6_NS0_8equal_toIdEEEE10hipError_tPvRmT2_T3_mT4_T5_T6_T7_T8_P12ihipStream_tbENKUlT_T0_E_clISt17integral_constantIbLb0EESZ_EEDaSU_SV_EUlSU_E_NS1_11comp_targetILNS1_3genE10ELNS1_11target_archE1201ELNS1_3gpuE5ELNS1_3repE0EEENS1_30default_config_static_selectorELNS0_4arch9wavefront6targetE0EEEvT1_,"axG",@progbits,_ZN7rocprim17ROCPRIM_400000_NS6detail17trampoline_kernelINS0_14default_configENS1_33run_length_encode_config_selectorIdjNS0_4plusIjEEEEZZNS1_33reduce_by_key_impl_wrapped_configILNS1_25lookback_scan_determinismE0ES3_S7_PKdNS0_17constant_iteratorIjlEEPdPlSF_S6_NS0_8equal_toIdEEEE10hipError_tPvRmT2_T3_mT4_T5_T6_T7_T8_P12ihipStream_tbENKUlT_T0_E_clISt17integral_constantIbLb0EESZ_EEDaSU_SV_EUlSU_E_NS1_11comp_targetILNS1_3genE10ELNS1_11target_archE1201ELNS1_3gpuE5ELNS1_3repE0EEENS1_30default_config_static_selectorELNS0_4arch9wavefront6targetE0EEEvT1_,comdat
.Lfunc_end309:
	.size	_ZN7rocprim17ROCPRIM_400000_NS6detail17trampoline_kernelINS0_14default_configENS1_33run_length_encode_config_selectorIdjNS0_4plusIjEEEEZZNS1_33reduce_by_key_impl_wrapped_configILNS1_25lookback_scan_determinismE0ES3_S7_PKdNS0_17constant_iteratorIjlEEPdPlSF_S6_NS0_8equal_toIdEEEE10hipError_tPvRmT2_T3_mT4_T5_T6_T7_T8_P12ihipStream_tbENKUlT_T0_E_clISt17integral_constantIbLb0EESZ_EEDaSU_SV_EUlSU_E_NS1_11comp_targetILNS1_3genE10ELNS1_11target_archE1201ELNS1_3gpuE5ELNS1_3repE0EEENS1_30default_config_static_selectorELNS0_4arch9wavefront6targetE0EEEvT1_, .Lfunc_end309-_ZN7rocprim17ROCPRIM_400000_NS6detail17trampoline_kernelINS0_14default_configENS1_33run_length_encode_config_selectorIdjNS0_4plusIjEEEEZZNS1_33reduce_by_key_impl_wrapped_configILNS1_25lookback_scan_determinismE0ES3_S7_PKdNS0_17constant_iteratorIjlEEPdPlSF_S6_NS0_8equal_toIdEEEE10hipError_tPvRmT2_T3_mT4_T5_T6_T7_T8_P12ihipStream_tbENKUlT_T0_E_clISt17integral_constantIbLb0EESZ_EEDaSU_SV_EUlSU_E_NS1_11comp_targetILNS1_3genE10ELNS1_11target_archE1201ELNS1_3gpuE5ELNS1_3repE0EEENS1_30default_config_static_selectorELNS0_4arch9wavefront6targetE0EEEvT1_
                                        ; -- End function
	.set _ZN7rocprim17ROCPRIM_400000_NS6detail17trampoline_kernelINS0_14default_configENS1_33run_length_encode_config_selectorIdjNS0_4plusIjEEEEZZNS1_33reduce_by_key_impl_wrapped_configILNS1_25lookback_scan_determinismE0ES3_S7_PKdNS0_17constant_iteratorIjlEEPdPlSF_S6_NS0_8equal_toIdEEEE10hipError_tPvRmT2_T3_mT4_T5_T6_T7_T8_P12ihipStream_tbENKUlT_T0_E_clISt17integral_constantIbLb0EESZ_EEDaSU_SV_EUlSU_E_NS1_11comp_targetILNS1_3genE10ELNS1_11target_archE1201ELNS1_3gpuE5ELNS1_3repE0EEENS1_30default_config_static_selectorELNS0_4arch9wavefront6targetE0EEEvT1_.num_vgpr, 0
	.set _ZN7rocprim17ROCPRIM_400000_NS6detail17trampoline_kernelINS0_14default_configENS1_33run_length_encode_config_selectorIdjNS0_4plusIjEEEEZZNS1_33reduce_by_key_impl_wrapped_configILNS1_25lookback_scan_determinismE0ES3_S7_PKdNS0_17constant_iteratorIjlEEPdPlSF_S6_NS0_8equal_toIdEEEE10hipError_tPvRmT2_T3_mT4_T5_T6_T7_T8_P12ihipStream_tbENKUlT_T0_E_clISt17integral_constantIbLb0EESZ_EEDaSU_SV_EUlSU_E_NS1_11comp_targetILNS1_3genE10ELNS1_11target_archE1201ELNS1_3gpuE5ELNS1_3repE0EEENS1_30default_config_static_selectorELNS0_4arch9wavefront6targetE0EEEvT1_.num_agpr, 0
	.set _ZN7rocprim17ROCPRIM_400000_NS6detail17trampoline_kernelINS0_14default_configENS1_33run_length_encode_config_selectorIdjNS0_4plusIjEEEEZZNS1_33reduce_by_key_impl_wrapped_configILNS1_25lookback_scan_determinismE0ES3_S7_PKdNS0_17constant_iteratorIjlEEPdPlSF_S6_NS0_8equal_toIdEEEE10hipError_tPvRmT2_T3_mT4_T5_T6_T7_T8_P12ihipStream_tbENKUlT_T0_E_clISt17integral_constantIbLb0EESZ_EEDaSU_SV_EUlSU_E_NS1_11comp_targetILNS1_3genE10ELNS1_11target_archE1201ELNS1_3gpuE5ELNS1_3repE0EEENS1_30default_config_static_selectorELNS0_4arch9wavefront6targetE0EEEvT1_.numbered_sgpr, 0
	.set _ZN7rocprim17ROCPRIM_400000_NS6detail17trampoline_kernelINS0_14default_configENS1_33run_length_encode_config_selectorIdjNS0_4plusIjEEEEZZNS1_33reduce_by_key_impl_wrapped_configILNS1_25lookback_scan_determinismE0ES3_S7_PKdNS0_17constant_iteratorIjlEEPdPlSF_S6_NS0_8equal_toIdEEEE10hipError_tPvRmT2_T3_mT4_T5_T6_T7_T8_P12ihipStream_tbENKUlT_T0_E_clISt17integral_constantIbLb0EESZ_EEDaSU_SV_EUlSU_E_NS1_11comp_targetILNS1_3genE10ELNS1_11target_archE1201ELNS1_3gpuE5ELNS1_3repE0EEENS1_30default_config_static_selectorELNS0_4arch9wavefront6targetE0EEEvT1_.num_named_barrier, 0
	.set _ZN7rocprim17ROCPRIM_400000_NS6detail17trampoline_kernelINS0_14default_configENS1_33run_length_encode_config_selectorIdjNS0_4plusIjEEEEZZNS1_33reduce_by_key_impl_wrapped_configILNS1_25lookback_scan_determinismE0ES3_S7_PKdNS0_17constant_iteratorIjlEEPdPlSF_S6_NS0_8equal_toIdEEEE10hipError_tPvRmT2_T3_mT4_T5_T6_T7_T8_P12ihipStream_tbENKUlT_T0_E_clISt17integral_constantIbLb0EESZ_EEDaSU_SV_EUlSU_E_NS1_11comp_targetILNS1_3genE10ELNS1_11target_archE1201ELNS1_3gpuE5ELNS1_3repE0EEENS1_30default_config_static_selectorELNS0_4arch9wavefront6targetE0EEEvT1_.private_seg_size, 0
	.set _ZN7rocprim17ROCPRIM_400000_NS6detail17trampoline_kernelINS0_14default_configENS1_33run_length_encode_config_selectorIdjNS0_4plusIjEEEEZZNS1_33reduce_by_key_impl_wrapped_configILNS1_25lookback_scan_determinismE0ES3_S7_PKdNS0_17constant_iteratorIjlEEPdPlSF_S6_NS0_8equal_toIdEEEE10hipError_tPvRmT2_T3_mT4_T5_T6_T7_T8_P12ihipStream_tbENKUlT_T0_E_clISt17integral_constantIbLb0EESZ_EEDaSU_SV_EUlSU_E_NS1_11comp_targetILNS1_3genE10ELNS1_11target_archE1201ELNS1_3gpuE5ELNS1_3repE0EEENS1_30default_config_static_selectorELNS0_4arch9wavefront6targetE0EEEvT1_.uses_vcc, 0
	.set _ZN7rocprim17ROCPRIM_400000_NS6detail17trampoline_kernelINS0_14default_configENS1_33run_length_encode_config_selectorIdjNS0_4plusIjEEEEZZNS1_33reduce_by_key_impl_wrapped_configILNS1_25lookback_scan_determinismE0ES3_S7_PKdNS0_17constant_iteratorIjlEEPdPlSF_S6_NS0_8equal_toIdEEEE10hipError_tPvRmT2_T3_mT4_T5_T6_T7_T8_P12ihipStream_tbENKUlT_T0_E_clISt17integral_constantIbLb0EESZ_EEDaSU_SV_EUlSU_E_NS1_11comp_targetILNS1_3genE10ELNS1_11target_archE1201ELNS1_3gpuE5ELNS1_3repE0EEENS1_30default_config_static_selectorELNS0_4arch9wavefront6targetE0EEEvT1_.uses_flat_scratch, 0
	.set _ZN7rocprim17ROCPRIM_400000_NS6detail17trampoline_kernelINS0_14default_configENS1_33run_length_encode_config_selectorIdjNS0_4plusIjEEEEZZNS1_33reduce_by_key_impl_wrapped_configILNS1_25lookback_scan_determinismE0ES3_S7_PKdNS0_17constant_iteratorIjlEEPdPlSF_S6_NS0_8equal_toIdEEEE10hipError_tPvRmT2_T3_mT4_T5_T6_T7_T8_P12ihipStream_tbENKUlT_T0_E_clISt17integral_constantIbLb0EESZ_EEDaSU_SV_EUlSU_E_NS1_11comp_targetILNS1_3genE10ELNS1_11target_archE1201ELNS1_3gpuE5ELNS1_3repE0EEENS1_30default_config_static_selectorELNS0_4arch9wavefront6targetE0EEEvT1_.has_dyn_sized_stack, 0
	.set _ZN7rocprim17ROCPRIM_400000_NS6detail17trampoline_kernelINS0_14default_configENS1_33run_length_encode_config_selectorIdjNS0_4plusIjEEEEZZNS1_33reduce_by_key_impl_wrapped_configILNS1_25lookback_scan_determinismE0ES3_S7_PKdNS0_17constant_iteratorIjlEEPdPlSF_S6_NS0_8equal_toIdEEEE10hipError_tPvRmT2_T3_mT4_T5_T6_T7_T8_P12ihipStream_tbENKUlT_T0_E_clISt17integral_constantIbLb0EESZ_EEDaSU_SV_EUlSU_E_NS1_11comp_targetILNS1_3genE10ELNS1_11target_archE1201ELNS1_3gpuE5ELNS1_3repE0EEENS1_30default_config_static_selectorELNS0_4arch9wavefront6targetE0EEEvT1_.has_recursion, 0
	.set _ZN7rocprim17ROCPRIM_400000_NS6detail17trampoline_kernelINS0_14default_configENS1_33run_length_encode_config_selectorIdjNS0_4plusIjEEEEZZNS1_33reduce_by_key_impl_wrapped_configILNS1_25lookback_scan_determinismE0ES3_S7_PKdNS0_17constant_iteratorIjlEEPdPlSF_S6_NS0_8equal_toIdEEEE10hipError_tPvRmT2_T3_mT4_T5_T6_T7_T8_P12ihipStream_tbENKUlT_T0_E_clISt17integral_constantIbLb0EESZ_EEDaSU_SV_EUlSU_E_NS1_11comp_targetILNS1_3genE10ELNS1_11target_archE1201ELNS1_3gpuE5ELNS1_3repE0EEENS1_30default_config_static_selectorELNS0_4arch9wavefront6targetE0EEEvT1_.has_indirect_call, 0
	.section	.AMDGPU.csdata,"",@progbits
; Kernel info:
; codeLenInByte = 0
; TotalNumSgprs: 0
; NumVgprs: 0
; ScratchSize: 0
; MemoryBound: 0
; FloatMode: 240
; IeeeMode: 1
; LDSByteSize: 0 bytes/workgroup (compile time only)
; SGPRBlocks: 0
; VGPRBlocks: 0
; NumSGPRsForWavesPerEU: 1
; NumVGPRsForWavesPerEU: 1
; NamedBarCnt: 0
; Occupancy: 16
; WaveLimiterHint : 0
; COMPUTE_PGM_RSRC2:SCRATCH_EN: 0
; COMPUTE_PGM_RSRC2:USER_SGPR: 2
; COMPUTE_PGM_RSRC2:TRAP_HANDLER: 0
; COMPUTE_PGM_RSRC2:TGID_X_EN: 1
; COMPUTE_PGM_RSRC2:TGID_Y_EN: 0
; COMPUTE_PGM_RSRC2:TGID_Z_EN: 0
; COMPUTE_PGM_RSRC2:TIDIG_COMP_CNT: 0
	.section	.text._ZN7rocprim17ROCPRIM_400000_NS6detail17trampoline_kernelINS0_14default_configENS1_33run_length_encode_config_selectorIdjNS0_4plusIjEEEEZZNS1_33reduce_by_key_impl_wrapped_configILNS1_25lookback_scan_determinismE0ES3_S7_PKdNS0_17constant_iteratorIjlEEPdPlSF_S6_NS0_8equal_toIdEEEE10hipError_tPvRmT2_T3_mT4_T5_T6_T7_T8_P12ihipStream_tbENKUlT_T0_E_clISt17integral_constantIbLb0EESZ_EEDaSU_SV_EUlSU_E_NS1_11comp_targetILNS1_3genE10ELNS1_11target_archE1200ELNS1_3gpuE4ELNS1_3repE0EEENS1_30default_config_static_selectorELNS0_4arch9wavefront6targetE0EEEvT1_,"axG",@progbits,_ZN7rocprim17ROCPRIM_400000_NS6detail17trampoline_kernelINS0_14default_configENS1_33run_length_encode_config_selectorIdjNS0_4plusIjEEEEZZNS1_33reduce_by_key_impl_wrapped_configILNS1_25lookback_scan_determinismE0ES3_S7_PKdNS0_17constant_iteratorIjlEEPdPlSF_S6_NS0_8equal_toIdEEEE10hipError_tPvRmT2_T3_mT4_T5_T6_T7_T8_P12ihipStream_tbENKUlT_T0_E_clISt17integral_constantIbLb0EESZ_EEDaSU_SV_EUlSU_E_NS1_11comp_targetILNS1_3genE10ELNS1_11target_archE1200ELNS1_3gpuE4ELNS1_3repE0EEENS1_30default_config_static_selectorELNS0_4arch9wavefront6targetE0EEEvT1_,comdat
	.protected	_ZN7rocprim17ROCPRIM_400000_NS6detail17trampoline_kernelINS0_14default_configENS1_33run_length_encode_config_selectorIdjNS0_4plusIjEEEEZZNS1_33reduce_by_key_impl_wrapped_configILNS1_25lookback_scan_determinismE0ES3_S7_PKdNS0_17constant_iteratorIjlEEPdPlSF_S6_NS0_8equal_toIdEEEE10hipError_tPvRmT2_T3_mT4_T5_T6_T7_T8_P12ihipStream_tbENKUlT_T0_E_clISt17integral_constantIbLb0EESZ_EEDaSU_SV_EUlSU_E_NS1_11comp_targetILNS1_3genE10ELNS1_11target_archE1200ELNS1_3gpuE4ELNS1_3repE0EEENS1_30default_config_static_selectorELNS0_4arch9wavefront6targetE0EEEvT1_ ; -- Begin function _ZN7rocprim17ROCPRIM_400000_NS6detail17trampoline_kernelINS0_14default_configENS1_33run_length_encode_config_selectorIdjNS0_4plusIjEEEEZZNS1_33reduce_by_key_impl_wrapped_configILNS1_25lookback_scan_determinismE0ES3_S7_PKdNS0_17constant_iteratorIjlEEPdPlSF_S6_NS0_8equal_toIdEEEE10hipError_tPvRmT2_T3_mT4_T5_T6_T7_T8_P12ihipStream_tbENKUlT_T0_E_clISt17integral_constantIbLb0EESZ_EEDaSU_SV_EUlSU_E_NS1_11comp_targetILNS1_3genE10ELNS1_11target_archE1200ELNS1_3gpuE4ELNS1_3repE0EEENS1_30default_config_static_selectorELNS0_4arch9wavefront6targetE0EEEvT1_
	.globl	_ZN7rocprim17ROCPRIM_400000_NS6detail17trampoline_kernelINS0_14default_configENS1_33run_length_encode_config_selectorIdjNS0_4plusIjEEEEZZNS1_33reduce_by_key_impl_wrapped_configILNS1_25lookback_scan_determinismE0ES3_S7_PKdNS0_17constant_iteratorIjlEEPdPlSF_S6_NS0_8equal_toIdEEEE10hipError_tPvRmT2_T3_mT4_T5_T6_T7_T8_P12ihipStream_tbENKUlT_T0_E_clISt17integral_constantIbLb0EESZ_EEDaSU_SV_EUlSU_E_NS1_11comp_targetILNS1_3genE10ELNS1_11target_archE1200ELNS1_3gpuE4ELNS1_3repE0EEENS1_30default_config_static_selectorELNS0_4arch9wavefront6targetE0EEEvT1_
	.p2align	8
	.type	_ZN7rocprim17ROCPRIM_400000_NS6detail17trampoline_kernelINS0_14default_configENS1_33run_length_encode_config_selectorIdjNS0_4plusIjEEEEZZNS1_33reduce_by_key_impl_wrapped_configILNS1_25lookback_scan_determinismE0ES3_S7_PKdNS0_17constant_iteratorIjlEEPdPlSF_S6_NS0_8equal_toIdEEEE10hipError_tPvRmT2_T3_mT4_T5_T6_T7_T8_P12ihipStream_tbENKUlT_T0_E_clISt17integral_constantIbLb0EESZ_EEDaSU_SV_EUlSU_E_NS1_11comp_targetILNS1_3genE10ELNS1_11target_archE1200ELNS1_3gpuE4ELNS1_3repE0EEENS1_30default_config_static_selectorELNS0_4arch9wavefront6targetE0EEEvT1_,@function
_ZN7rocprim17ROCPRIM_400000_NS6detail17trampoline_kernelINS0_14default_configENS1_33run_length_encode_config_selectorIdjNS0_4plusIjEEEEZZNS1_33reduce_by_key_impl_wrapped_configILNS1_25lookback_scan_determinismE0ES3_S7_PKdNS0_17constant_iteratorIjlEEPdPlSF_S6_NS0_8equal_toIdEEEE10hipError_tPvRmT2_T3_mT4_T5_T6_T7_T8_P12ihipStream_tbENKUlT_T0_E_clISt17integral_constantIbLb0EESZ_EEDaSU_SV_EUlSU_E_NS1_11comp_targetILNS1_3genE10ELNS1_11target_archE1200ELNS1_3gpuE4ELNS1_3repE0EEENS1_30default_config_static_selectorELNS0_4arch9wavefront6targetE0EEEvT1_: ; @_ZN7rocprim17ROCPRIM_400000_NS6detail17trampoline_kernelINS0_14default_configENS1_33run_length_encode_config_selectorIdjNS0_4plusIjEEEEZZNS1_33reduce_by_key_impl_wrapped_configILNS1_25lookback_scan_determinismE0ES3_S7_PKdNS0_17constant_iteratorIjlEEPdPlSF_S6_NS0_8equal_toIdEEEE10hipError_tPvRmT2_T3_mT4_T5_T6_T7_T8_P12ihipStream_tbENKUlT_T0_E_clISt17integral_constantIbLb0EESZ_EEDaSU_SV_EUlSU_E_NS1_11comp_targetILNS1_3genE10ELNS1_11target_archE1200ELNS1_3gpuE4ELNS1_3repE0EEENS1_30default_config_static_selectorELNS0_4arch9wavefront6targetE0EEEvT1_
; %bb.0:
	.section	.rodata,"a",@progbits
	.p2align	6, 0x0
	.amdhsa_kernel _ZN7rocprim17ROCPRIM_400000_NS6detail17trampoline_kernelINS0_14default_configENS1_33run_length_encode_config_selectorIdjNS0_4plusIjEEEEZZNS1_33reduce_by_key_impl_wrapped_configILNS1_25lookback_scan_determinismE0ES3_S7_PKdNS0_17constant_iteratorIjlEEPdPlSF_S6_NS0_8equal_toIdEEEE10hipError_tPvRmT2_T3_mT4_T5_T6_T7_T8_P12ihipStream_tbENKUlT_T0_E_clISt17integral_constantIbLb0EESZ_EEDaSU_SV_EUlSU_E_NS1_11comp_targetILNS1_3genE10ELNS1_11target_archE1200ELNS1_3gpuE4ELNS1_3repE0EEENS1_30default_config_static_selectorELNS0_4arch9wavefront6targetE0EEEvT1_
		.amdhsa_group_segment_fixed_size 0
		.amdhsa_private_segment_fixed_size 0
		.amdhsa_kernarg_size 128
		.amdhsa_user_sgpr_count 2
		.amdhsa_user_sgpr_dispatch_ptr 0
		.amdhsa_user_sgpr_queue_ptr 0
		.amdhsa_user_sgpr_kernarg_segment_ptr 1
		.amdhsa_user_sgpr_dispatch_id 0
		.amdhsa_user_sgpr_kernarg_preload_length 0
		.amdhsa_user_sgpr_kernarg_preload_offset 0
		.amdhsa_user_sgpr_private_segment_size 0
		.amdhsa_wavefront_size32 1
		.amdhsa_uses_dynamic_stack 0
		.amdhsa_enable_private_segment 0
		.amdhsa_system_sgpr_workgroup_id_x 1
		.amdhsa_system_sgpr_workgroup_id_y 0
		.amdhsa_system_sgpr_workgroup_id_z 0
		.amdhsa_system_sgpr_workgroup_info 0
		.amdhsa_system_vgpr_workitem_id 0
		.amdhsa_next_free_vgpr 1
		.amdhsa_next_free_sgpr 1
		.amdhsa_named_barrier_count 0
		.amdhsa_reserve_vcc 0
		.amdhsa_float_round_mode_32 0
		.amdhsa_float_round_mode_16_64 0
		.amdhsa_float_denorm_mode_32 3
		.amdhsa_float_denorm_mode_16_64 3
		.amdhsa_fp16_overflow 0
		.amdhsa_memory_ordered 1
		.amdhsa_forward_progress 1
		.amdhsa_inst_pref_size 0
		.amdhsa_round_robin_scheduling 0
		.amdhsa_exception_fp_ieee_invalid_op 0
		.amdhsa_exception_fp_denorm_src 0
		.amdhsa_exception_fp_ieee_div_zero 0
		.amdhsa_exception_fp_ieee_overflow 0
		.amdhsa_exception_fp_ieee_underflow 0
		.amdhsa_exception_fp_ieee_inexact 0
		.amdhsa_exception_int_div_zero 0
	.end_amdhsa_kernel
	.section	.text._ZN7rocprim17ROCPRIM_400000_NS6detail17trampoline_kernelINS0_14default_configENS1_33run_length_encode_config_selectorIdjNS0_4plusIjEEEEZZNS1_33reduce_by_key_impl_wrapped_configILNS1_25lookback_scan_determinismE0ES3_S7_PKdNS0_17constant_iteratorIjlEEPdPlSF_S6_NS0_8equal_toIdEEEE10hipError_tPvRmT2_T3_mT4_T5_T6_T7_T8_P12ihipStream_tbENKUlT_T0_E_clISt17integral_constantIbLb0EESZ_EEDaSU_SV_EUlSU_E_NS1_11comp_targetILNS1_3genE10ELNS1_11target_archE1200ELNS1_3gpuE4ELNS1_3repE0EEENS1_30default_config_static_selectorELNS0_4arch9wavefront6targetE0EEEvT1_,"axG",@progbits,_ZN7rocprim17ROCPRIM_400000_NS6detail17trampoline_kernelINS0_14default_configENS1_33run_length_encode_config_selectorIdjNS0_4plusIjEEEEZZNS1_33reduce_by_key_impl_wrapped_configILNS1_25lookback_scan_determinismE0ES3_S7_PKdNS0_17constant_iteratorIjlEEPdPlSF_S6_NS0_8equal_toIdEEEE10hipError_tPvRmT2_T3_mT4_T5_T6_T7_T8_P12ihipStream_tbENKUlT_T0_E_clISt17integral_constantIbLb0EESZ_EEDaSU_SV_EUlSU_E_NS1_11comp_targetILNS1_3genE10ELNS1_11target_archE1200ELNS1_3gpuE4ELNS1_3repE0EEENS1_30default_config_static_selectorELNS0_4arch9wavefront6targetE0EEEvT1_,comdat
.Lfunc_end310:
	.size	_ZN7rocprim17ROCPRIM_400000_NS6detail17trampoline_kernelINS0_14default_configENS1_33run_length_encode_config_selectorIdjNS0_4plusIjEEEEZZNS1_33reduce_by_key_impl_wrapped_configILNS1_25lookback_scan_determinismE0ES3_S7_PKdNS0_17constant_iteratorIjlEEPdPlSF_S6_NS0_8equal_toIdEEEE10hipError_tPvRmT2_T3_mT4_T5_T6_T7_T8_P12ihipStream_tbENKUlT_T0_E_clISt17integral_constantIbLb0EESZ_EEDaSU_SV_EUlSU_E_NS1_11comp_targetILNS1_3genE10ELNS1_11target_archE1200ELNS1_3gpuE4ELNS1_3repE0EEENS1_30default_config_static_selectorELNS0_4arch9wavefront6targetE0EEEvT1_, .Lfunc_end310-_ZN7rocprim17ROCPRIM_400000_NS6detail17trampoline_kernelINS0_14default_configENS1_33run_length_encode_config_selectorIdjNS0_4plusIjEEEEZZNS1_33reduce_by_key_impl_wrapped_configILNS1_25lookback_scan_determinismE0ES3_S7_PKdNS0_17constant_iteratorIjlEEPdPlSF_S6_NS0_8equal_toIdEEEE10hipError_tPvRmT2_T3_mT4_T5_T6_T7_T8_P12ihipStream_tbENKUlT_T0_E_clISt17integral_constantIbLb0EESZ_EEDaSU_SV_EUlSU_E_NS1_11comp_targetILNS1_3genE10ELNS1_11target_archE1200ELNS1_3gpuE4ELNS1_3repE0EEENS1_30default_config_static_selectorELNS0_4arch9wavefront6targetE0EEEvT1_
                                        ; -- End function
	.set _ZN7rocprim17ROCPRIM_400000_NS6detail17trampoline_kernelINS0_14default_configENS1_33run_length_encode_config_selectorIdjNS0_4plusIjEEEEZZNS1_33reduce_by_key_impl_wrapped_configILNS1_25lookback_scan_determinismE0ES3_S7_PKdNS0_17constant_iteratorIjlEEPdPlSF_S6_NS0_8equal_toIdEEEE10hipError_tPvRmT2_T3_mT4_T5_T6_T7_T8_P12ihipStream_tbENKUlT_T0_E_clISt17integral_constantIbLb0EESZ_EEDaSU_SV_EUlSU_E_NS1_11comp_targetILNS1_3genE10ELNS1_11target_archE1200ELNS1_3gpuE4ELNS1_3repE0EEENS1_30default_config_static_selectorELNS0_4arch9wavefront6targetE0EEEvT1_.num_vgpr, 0
	.set _ZN7rocprim17ROCPRIM_400000_NS6detail17trampoline_kernelINS0_14default_configENS1_33run_length_encode_config_selectorIdjNS0_4plusIjEEEEZZNS1_33reduce_by_key_impl_wrapped_configILNS1_25lookback_scan_determinismE0ES3_S7_PKdNS0_17constant_iteratorIjlEEPdPlSF_S6_NS0_8equal_toIdEEEE10hipError_tPvRmT2_T3_mT4_T5_T6_T7_T8_P12ihipStream_tbENKUlT_T0_E_clISt17integral_constantIbLb0EESZ_EEDaSU_SV_EUlSU_E_NS1_11comp_targetILNS1_3genE10ELNS1_11target_archE1200ELNS1_3gpuE4ELNS1_3repE0EEENS1_30default_config_static_selectorELNS0_4arch9wavefront6targetE0EEEvT1_.num_agpr, 0
	.set _ZN7rocprim17ROCPRIM_400000_NS6detail17trampoline_kernelINS0_14default_configENS1_33run_length_encode_config_selectorIdjNS0_4plusIjEEEEZZNS1_33reduce_by_key_impl_wrapped_configILNS1_25lookback_scan_determinismE0ES3_S7_PKdNS0_17constant_iteratorIjlEEPdPlSF_S6_NS0_8equal_toIdEEEE10hipError_tPvRmT2_T3_mT4_T5_T6_T7_T8_P12ihipStream_tbENKUlT_T0_E_clISt17integral_constantIbLb0EESZ_EEDaSU_SV_EUlSU_E_NS1_11comp_targetILNS1_3genE10ELNS1_11target_archE1200ELNS1_3gpuE4ELNS1_3repE0EEENS1_30default_config_static_selectorELNS0_4arch9wavefront6targetE0EEEvT1_.numbered_sgpr, 0
	.set _ZN7rocprim17ROCPRIM_400000_NS6detail17trampoline_kernelINS0_14default_configENS1_33run_length_encode_config_selectorIdjNS0_4plusIjEEEEZZNS1_33reduce_by_key_impl_wrapped_configILNS1_25lookback_scan_determinismE0ES3_S7_PKdNS0_17constant_iteratorIjlEEPdPlSF_S6_NS0_8equal_toIdEEEE10hipError_tPvRmT2_T3_mT4_T5_T6_T7_T8_P12ihipStream_tbENKUlT_T0_E_clISt17integral_constantIbLb0EESZ_EEDaSU_SV_EUlSU_E_NS1_11comp_targetILNS1_3genE10ELNS1_11target_archE1200ELNS1_3gpuE4ELNS1_3repE0EEENS1_30default_config_static_selectorELNS0_4arch9wavefront6targetE0EEEvT1_.num_named_barrier, 0
	.set _ZN7rocprim17ROCPRIM_400000_NS6detail17trampoline_kernelINS0_14default_configENS1_33run_length_encode_config_selectorIdjNS0_4plusIjEEEEZZNS1_33reduce_by_key_impl_wrapped_configILNS1_25lookback_scan_determinismE0ES3_S7_PKdNS0_17constant_iteratorIjlEEPdPlSF_S6_NS0_8equal_toIdEEEE10hipError_tPvRmT2_T3_mT4_T5_T6_T7_T8_P12ihipStream_tbENKUlT_T0_E_clISt17integral_constantIbLb0EESZ_EEDaSU_SV_EUlSU_E_NS1_11comp_targetILNS1_3genE10ELNS1_11target_archE1200ELNS1_3gpuE4ELNS1_3repE0EEENS1_30default_config_static_selectorELNS0_4arch9wavefront6targetE0EEEvT1_.private_seg_size, 0
	.set _ZN7rocprim17ROCPRIM_400000_NS6detail17trampoline_kernelINS0_14default_configENS1_33run_length_encode_config_selectorIdjNS0_4plusIjEEEEZZNS1_33reduce_by_key_impl_wrapped_configILNS1_25lookback_scan_determinismE0ES3_S7_PKdNS0_17constant_iteratorIjlEEPdPlSF_S6_NS0_8equal_toIdEEEE10hipError_tPvRmT2_T3_mT4_T5_T6_T7_T8_P12ihipStream_tbENKUlT_T0_E_clISt17integral_constantIbLb0EESZ_EEDaSU_SV_EUlSU_E_NS1_11comp_targetILNS1_3genE10ELNS1_11target_archE1200ELNS1_3gpuE4ELNS1_3repE0EEENS1_30default_config_static_selectorELNS0_4arch9wavefront6targetE0EEEvT1_.uses_vcc, 0
	.set _ZN7rocprim17ROCPRIM_400000_NS6detail17trampoline_kernelINS0_14default_configENS1_33run_length_encode_config_selectorIdjNS0_4plusIjEEEEZZNS1_33reduce_by_key_impl_wrapped_configILNS1_25lookback_scan_determinismE0ES3_S7_PKdNS0_17constant_iteratorIjlEEPdPlSF_S6_NS0_8equal_toIdEEEE10hipError_tPvRmT2_T3_mT4_T5_T6_T7_T8_P12ihipStream_tbENKUlT_T0_E_clISt17integral_constantIbLb0EESZ_EEDaSU_SV_EUlSU_E_NS1_11comp_targetILNS1_3genE10ELNS1_11target_archE1200ELNS1_3gpuE4ELNS1_3repE0EEENS1_30default_config_static_selectorELNS0_4arch9wavefront6targetE0EEEvT1_.uses_flat_scratch, 0
	.set _ZN7rocprim17ROCPRIM_400000_NS6detail17trampoline_kernelINS0_14default_configENS1_33run_length_encode_config_selectorIdjNS0_4plusIjEEEEZZNS1_33reduce_by_key_impl_wrapped_configILNS1_25lookback_scan_determinismE0ES3_S7_PKdNS0_17constant_iteratorIjlEEPdPlSF_S6_NS0_8equal_toIdEEEE10hipError_tPvRmT2_T3_mT4_T5_T6_T7_T8_P12ihipStream_tbENKUlT_T0_E_clISt17integral_constantIbLb0EESZ_EEDaSU_SV_EUlSU_E_NS1_11comp_targetILNS1_3genE10ELNS1_11target_archE1200ELNS1_3gpuE4ELNS1_3repE0EEENS1_30default_config_static_selectorELNS0_4arch9wavefront6targetE0EEEvT1_.has_dyn_sized_stack, 0
	.set _ZN7rocprim17ROCPRIM_400000_NS6detail17trampoline_kernelINS0_14default_configENS1_33run_length_encode_config_selectorIdjNS0_4plusIjEEEEZZNS1_33reduce_by_key_impl_wrapped_configILNS1_25lookback_scan_determinismE0ES3_S7_PKdNS0_17constant_iteratorIjlEEPdPlSF_S6_NS0_8equal_toIdEEEE10hipError_tPvRmT2_T3_mT4_T5_T6_T7_T8_P12ihipStream_tbENKUlT_T0_E_clISt17integral_constantIbLb0EESZ_EEDaSU_SV_EUlSU_E_NS1_11comp_targetILNS1_3genE10ELNS1_11target_archE1200ELNS1_3gpuE4ELNS1_3repE0EEENS1_30default_config_static_selectorELNS0_4arch9wavefront6targetE0EEEvT1_.has_recursion, 0
	.set _ZN7rocprim17ROCPRIM_400000_NS6detail17trampoline_kernelINS0_14default_configENS1_33run_length_encode_config_selectorIdjNS0_4plusIjEEEEZZNS1_33reduce_by_key_impl_wrapped_configILNS1_25lookback_scan_determinismE0ES3_S7_PKdNS0_17constant_iteratorIjlEEPdPlSF_S6_NS0_8equal_toIdEEEE10hipError_tPvRmT2_T3_mT4_T5_T6_T7_T8_P12ihipStream_tbENKUlT_T0_E_clISt17integral_constantIbLb0EESZ_EEDaSU_SV_EUlSU_E_NS1_11comp_targetILNS1_3genE10ELNS1_11target_archE1200ELNS1_3gpuE4ELNS1_3repE0EEENS1_30default_config_static_selectorELNS0_4arch9wavefront6targetE0EEEvT1_.has_indirect_call, 0
	.section	.AMDGPU.csdata,"",@progbits
; Kernel info:
; codeLenInByte = 0
; TotalNumSgprs: 0
; NumVgprs: 0
; ScratchSize: 0
; MemoryBound: 0
; FloatMode: 240
; IeeeMode: 1
; LDSByteSize: 0 bytes/workgroup (compile time only)
; SGPRBlocks: 0
; VGPRBlocks: 0
; NumSGPRsForWavesPerEU: 1
; NumVGPRsForWavesPerEU: 1
; NamedBarCnt: 0
; Occupancy: 16
; WaveLimiterHint : 0
; COMPUTE_PGM_RSRC2:SCRATCH_EN: 0
; COMPUTE_PGM_RSRC2:USER_SGPR: 2
; COMPUTE_PGM_RSRC2:TRAP_HANDLER: 0
; COMPUTE_PGM_RSRC2:TGID_X_EN: 1
; COMPUTE_PGM_RSRC2:TGID_Y_EN: 0
; COMPUTE_PGM_RSRC2:TGID_Z_EN: 0
; COMPUTE_PGM_RSRC2:TIDIG_COMP_CNT: 0
	.section	.text._ZN7rocprim17ROCPRIM_400000_NS6detail17trampoline_kernelINS0_14default_configENS1_33run_length_encode_config_selectorIdjNS0_4plusIjEEEEZZNS1_33reduce_by_key_impl_wrapped_configILNS1_25lookback_scan_determinismE0ES3_S7_PKdNS0_17constant_iteratorIjlEEPdPlSF_S6_NS0_8equal_toIdEEEE10hipError_tPvRmT2_T3_mT4_T5_T6_T7_T8_P12ihipStream_tbENKUlT_T0_E_clISt17integral_constantIbLb0EESZ_EEDaSU_SV_EUlSU_E_NS1_11comp_targetILNS1_3genE9ELNS1_11target_archE1100ELNS1_3gpuE3ELNS1_3repE0EEENS1_30default_config_static_selectorELNS0_4arch9wavefront6targetE0EEEvT1_,"axG",@progbits,_ZN7rocprim17ROCPRIM_400000_NS6detail17trampoline_kernelINS0_14default_configENS1_33run_length_encode_config_selectorIdjNS0_4plusIjEEEEZZNS1_33reduce_by_key_impl_wrapped_configILNS1_25lookback_scan_determinismE0ES3_S7_PKdNS0_17constant_iteratorIjlEEPdPlSF_S6_NS0_8equal_toIdEEEE10hipError_tPvRmT2_T3_mT4_T5_T6_T7_T8_P12ihipStream_tbENKUlT_T0_E_clISt17integral_constantIbLb0EESZ_EEDaSU_SV_EUlSU_E_NS1_11comp_targetILNS1_3genE9ELNS1_11target_archE1100ELNS1_3gpuE3ELNS1_3repE0EEENS1_30default_config_static_selectorELNS0_4arch9wavefront6targetE0EEEvT1_,comdat
	.protected	_ZN7rocprim17ROCPRIM_400000_NS6detail17trampoline_kernelINS0_14default_configENS1_33run_length_encode_config_selectorIdjNS0_4plusIjEEEEZZNS1_33reduce_by_key_impl_wrapped_configILNS1_25lookback_scan_determinismE0ES3_S7_PKdNS0_17constant_iteratorIjlEEPdPlSF_S6_NS0_8equal_toIdEEEE10hipError_tPvRmT2_T3_mT4_T5_T6_T7_T8_P12ihipStream_tbENKUlT_T0_E_clISt17integral_constantIbLb0EESZ_EEDaSU_SV_EUlSU_E_NS1_11comp_targetILNS1_3genE9ELNS1_11target_archE1100ELNS1_3gpuE3ELNS1_3repE0EEENS1_30default_config_static_selectorELNS0_4arch9wavefront6targetE0EEEvT1_ ; -- Begin function _ZN7rocprim17ROCPRIM_400000_NS6detail17trampoline_kernelINS0_14default_configENS1_33run_length_encode_config_selectorIdjNS0_4plusIjEEEEZZNS1_33reduce_by_key_impl_wrapped_configILNS1_25lookback_scan_determinismE0ES3_S7_PKdNS0_17constant_iteratorIjlEEPdPlSF_S6_NS0_8equal_toIdEEEE10hipError_tPvRmT2_T3_mT4_T5_T6_T7_T8_P12ihipStream_tbENKUlT_T0_E_clISt17integral_constantIbLb0EESZ_EEDaSU_SV_EUlSU_E_NS1_11comp_targetILNS1_3genE9ELNS1_11target_archE1100ELNS1_3gpuE3ELNS1_3repE0EEENS1_30default_config_static_selectorELNS0_4arch9wavefront6targetE0EEEvT1_
	.globl	_ZN7rocprim17ROCPRIM_400000_NS6detail17trampoline_kernelINS0_14default_configENS1_33run_length_encode_config_selectorIdjNS0_4plusIjEEEEZZNS1_33reduce_by_key_impl_wrapped_configILNS1_25lookback_scan_determinismE0ES3_S7_PKdNS0_17constant_iteratorIjlEEPdPlSF_S6_NS0_8equal_toIdEEEE10hipError_tPvRmT2_T3_mT4_T5_T6_T7_T8_P12ihipStream_tbENKUlT_T0_E_clISt17integral_constantIbLb0EESZ_EEDaSU_SV_EUlSU_E_NS1_11comp_targetILNS1_3genE9ELNS1_11target_archE1100ELNS1_3gpuE3ELNS1_3repE0EEENS1_30default_config_static_selectorELNS0_4arch9wavefront6targetE0EEEvT1_
	.p2align	8
	.type	_ZN7rocprim17ROCPRIM_400000_NS6detail17trampoline_kernelINS0_14default_configENS1_33run_length_encode_config_selectorIdjNS0_4plusIjEEEEZZNS1_33reduce_by_key_impl_wrapped_configILNS1_25lookback_scan_determinismE0ES3_S7_PKdNS0_17constant_iteratorIjlEEPdPlSF_S6_NS0_8equal_toIdEEEE10hipError_tPvRmT2_T3_mT4_T5_T6_T7_T8_P12ihipStream_tbENKUlT_T0_E_clISt17integral_constantIbLb0EESZ_EEDaSU_SV_EUlSU_E_NS1_11comp_targetILNS1_3genE9ELNS1_11target_archE1100ELNS1_3gpuE3ELNS1_3repE0EEENS1_30default_config_static_selectorELNS0_4arch9wavefront6targetE0EEEvT1_,@function
_ZN7rocprim17ROCPRIM_400000_NS6detail17trampoline_kernelINS0_14default_configENS1_33run_length_encode_config_selectorIdjNS0_4plusIjEEEEZZNS1_33reduce_by_key_impl_wrapped_configILNS1_25lookback_scan_determinismE0ES3_S7_PKdNS0_17constant_iteratorIjlEEPdPlSF_S6_NS0_8equal_toIdEEEE10hipError_tPvRmT2_T3_mT4_T5_T6_T7_T8_P12ihipStream_tbENKUlT_T0_E_clISt17integral_constantIbLb0EESZ_EEDaSU_SV_EUlSU_E_NS1_11comp_targetILNS1_3genE9ELNS1_11target_archE1100ELNS1_3gpuE3ELNS1_3repE0EEENS1_30default_config_static_selectorELNS0_4arch9wavefront6targetE0EEEvT1_: ; @_ZN7rocprim17ROCPRIM_400000_NS6detail17trampoline_kernelINS0_14default_configENS1_33run_length_encode_config_selectorIdjNS0_4plusIjEEEEZZNS1_33reduce_by_key_impl_wrapped_configILNS1_25lookback_scan_determinismE0ES3_S7_PKdNS0_17constant_iteratorIjlEEPdPlSF_S6_NS0_8equal_toIdEEEE10hipError_tPvRmT2_T3_mT4_T5_T6_T7_T8_P12ihipStream_tbENKUlT_T0_E_clISt17integral_constantIbLb0EESZ_EEDaSU_SV_EUlSU_E_NS1_11comp_targetILNS1_3genE9ELNS1_11target_archE1100ELNS1_3gpuE3ELNS1_3repE0EEENS1_30default_config_static_selectorELNS0_4arch9wavefront6targetE0EEEvT1_
; %bb.0:
	.section	.rodata,"a",@progbits
	.p2align	6, 0x0
	.amdhsa_kernel _ZN7rocprim17ROCPRIM_400000_NS6detail17trampoline_kernelINS0_14default_configENS1_33run_length_encode_config_selectorIdjNS0_4plusIjEEEEZZNS1_33reduce_by_key_impl_wrapped_configILNS1_25lookback_scan_determinismE0ES3_S7_PKdNS0_17constant_iteratorIjlEEPdPlSF_S6_NS0_8equal_toIdEEEE10hipError_tPvRmT2_T3_mT4_T5_T6_T7_T8_P12ihipStream_tbENKUlT_T0_E_clISt17integral_constantIbLb0EESZ_EEDaSU_SV_EUlSU_E_NS1_11comp_targetILNS1_3genE9ELNS1_11target_archE1100ELNS1_3gpuE3ELNS1_3repE0EEENS1_30default_config_static_selectorELNS0_4arch9wavefront6targetE0EEEvT1_
		.amdhsa_group_segment_fixed_size 0
		.amdhsa_private_segment_fixed_size 0
		.amdhsa_kernarg_size 128
		.amdhsa_user_sgpr_count 2
		.amdhsa_user_sgpr_dispatch_ptr 0
		.amdhsa_user_sgpr_queue_ptr 0
		.amdhsa_user_sgpr_kernarg_segment_ptr 1
		.amdhsa_user_sgpr_dispatch_id 0
		.amdhsa_user_sgpr_kernarg_preload_length 0
		.amdhsa_user_sgpr_kernarg_preload_offset 0
		.amdhsa_user_sgpr_private_segment_size 0
		.amdhsa_wavefront_size32 1
		.amdhsa_uses_dynamic_stack 0
		.amdhsa_enable_private_segment 0
		.amdhsa_system_sgpr_workgroup_id_x 1
		.amdhsa_system_sgpr_workgroup_id_y 0
		.amdhsa_system_sgpr_workgroup_id_z 0
		.amdhsa_system_sgpr_workgroup_info 0
		.amdhsa_system_vgpr_workitem_id 0
		.amdhsa_next_free_vgpr 1
		.amdhsa_next_free_sgpr 1
		.amdhsa_named_barrier_count 0
		.amdhsa_reserve_vcc 0
		.amdhsa_float_round_mode_32 0
		.amdhsa_float_round_mode_16_64 0
		.amdhsa_float_denorm_mode_32 3
		.amdhsa_float_denorm_mode_16_64 3
		.amdhsa_fp16_overflow 0
		.amdhsa_memory_ordered 1
		.amdhsa_forward_progress 1
		.amdhsa_inst_pref_size 0
		.amdhsa_round_robin_scheduling 0
		.amdhsa_exception_fp_ieee_invalid_op 0
		.amdhsa_exception_fp_denorm_src 0
		.amdhsa_exception_fp_ieee_div_zero 0
		.amdhsa_exception_fp_ieee_overflow 0
		.amdhsa_exception_fp_ieee_underflow 0
		.amdhsa_exception_fp_ieee_inexact 0
		.amdhsa_exception_int_div_zero 0
	.end_amdhsa_kernel
	.section	.text._ZN7rocprim17ROCPRIM_400000_NS6detail17trampoline_kernelINS0_14default_configENS1_33run_length_encode_config_selectorIdjNS0_4plusIjEEEEZZNS1_33reduce_by_key_impl_wrapped_configILNS1_25lookback_scan_determinismE0ES3_S7_PKdNS0_17constant_iteratorIjlEEPdPlSF_S6_NS0_8equal_toIdEEEE10hipError_tPvRmT2_T3_mT4_T5_T6_T7_T8_P12ihipStream_tbENKUlT_T0_E_clISt17integral_constantIbLb0EESZ_EEDaSU_SV_EUlSU_E_NS1_11comp_targetILNS1_3genE9ELNS1_11target_archE1100ELNS1_3gpuE3ELNS1_3repE0EEENS1_30default_config_static_selectorELNS0_4arch9wavefront6targetE0EEEvT1_,"axG",@progbits,_ZN7rocprim17ROCPRIM_400000_NS6detail17trampoline_kernelINS0_14default_configENS1_33run_length_encode_config_selectorIdjNS0_4plusIjEEEEZZNS1_33reduce_by_key_impl_wrapped_configILNS1_25lookback_scan_determinismE0ES3_S7_PKdNS0_17constant_iteratorIjlEEPdPlSF_S6_NS0_8equal_toIdEEEE10hipError_tPvRmT2_T3_mT4_T5_T6_T7_T8_P12ihipStream_tbENKUlT_T0_E_clISt17integral_constantIbLb0EESZ_EEDaSU_SV_EUlSU_E_NS1_11comp_targetILNS1_3genE9ELNS1_11target_archE1100ELNS1_3gpuE3ELNS1_3repE0EEENS1_30default_config_static_selectorELNS0_4arch9wavefront6targetE0EEEvT1_,comdat
.Lfunc_end311:
	.size	_ZN7rocprim17ROCPRIM_400000_NS6detail17trampoline_kernelINS0_14default_configENS1_33run_length_encode_config_selectorIdjNS0_4plusIjEEEEZZNS1_33reduce_by_key_impl_wrapped_configILNS1_25lookback_scan_determinismE0ES3_S7_PKdNS0_17constant_iteratorIjlEEPdPlSF_S6_NS0_8equal_toIdEEEE10hipError_tPvRmT2_T3_mT4_T5_T6_T7_T8_P12ihipStream_tbENKUlT_T0_E_clISt17integral_constantIbLb0EESZ_EEDaSU_SV_EUlSU_E_NS1_11comp_targetILNS1_3genE9ELNS1_11target_archE1100ELNS1_3gpuE3ELNS1_3repE0EEENS1_30default_config_static_selectorELNS0_4arch9wavefront6targetE0EEEvT1_, .Lfunc_end311-_ZN7rocprim17ROCPRIM_400000_NS6detail17trampoline_kernelINS0_14default_configENS1_33run_length_encode_config_selectorIdjNS0_4plusIjEEEEZZNS1_33reduce_by_key_impl_wrapped_configILNS1_25lookback_scan_determinismE0ES3_S7_PKdNS0_17constant_iteratorIjlEEPdPlSF_S6_NS0_8equal_toIdEEEE10hipError_tPvRmT2_T3_mT4_T5_T6_T7_T8_P12ihipStream_tbENKUlT_T0_E_clISt17integral_constantIbLb0EESZ_EEDaSU_SV_EUlSU_E_NS1_11comp_targetILNS1_3genE9ELNS1_11target_archE1100ELNS1_3gpuE3ELNS1_3repE0EEENS1_30default_config_static_selectorELNS0_4arch9wavefront6targetE0EEEvT1_
                                        ; -- End function
	.set _ZN7rocprim17ROCPRIM_400000_NS6detail17trampoline_kernelINS0_14default_configENS1_33run_length_encode_config_selectorIdjNS0_4plusIjEEEEZZNS1_33reduce_by_key_impl_wrapped_configILNS1_25lookback_scan_determinismE0ES3_S7_PKdNS0_17constant_iteratorIjlEEPdPlSF_S6_NS0_8equal_toIdEEEE10hipError_tPvRmT2_T3_mT4_T5_T6_T7_T8_P12ihipStream_tbENKUlT_T0_E_clISt17integral_constantIbLb0EESZ_EEDaSU_SV_EUlSU_E_NS1_11comp_targetILNS1_3genE9ELNS1_11target_archE1100ELNS1_3gpuE3ELNS1_3repE0EEENS1_30default_config_static_selectorELNS0_4arch9wavefront6targetE0EEEvT1_.num_vgpr, 0
	.set _ZN7rocprim17ROCPRIM_400000_NS6detail17trampoline_kernelINS0_14default_configENS1_33run_length_encode_config_selectorIdjNS0_4plusIjEEEEZZNS1_33reduce_by_key_impl_wrapped_configILNS1_25lookback_scan_determinismE0ES3_S7_PKdNS0_17constant_iteratorIjlEEPdPlSF_S6_NS0_8equal_toIdEEEE10hipError_tPvRmT2_T3_mT4_T5_T6_T7_T8_P12ihipStream_tbENKUlT_T0_E_clISt17integral_constantIbLb0EESZ_EEDaSU_SV_EUlSU_E_NS1_11comp_targetILNS1_3genE9ELNS1_11target_archE1100ELNS1_3gpuE3ELNS1_3repE0EEENS1_30default_config_static_selectorELNS0_4arch9wavefront6targetE0EEEvT1_.num_agpr, 0
	.set _ZN7rocprim17ROCPRIM_400000_NS6detail17trampoline_kernelINS0_14default_configENS1_33run_length_encode_config_selectorIdjNS0_4plusIjEEEEZZNS1_33reduce_by_key_impl_wrapped_configILNS1_25lookback_scan_determinismE0ES3_S7_PKdNS0_17constant_iteratorIjlEEPdPlSF_S6_NS0_8equal_toIdEEEE10hipError_tPvRmT2_T3_mT4_T5_T6_T7_T8_P12ihipStream_tbENKUlT_T0_E_clISt17integral_constantIbLb0EESZ_EEDaSU_SV_EUlSU_E_NS1_11comp_targetILNS1_3genE9ELNS1_11target_archE1100ELNS1_3gpuE3ELNS1_3repE0EEENS1_30default_config_static_selectorELNS0_4arch9wavefront6targetE0EEEvT1_.numbered_sgpr, 0
	.set _ZN7rocprim17ROCPRIM_400000_NS6detail17trampoline_kernelINS0_14default_configENS1_33run_length_encode_config_selectorIdjNS0_4plusIjEEEEZZNS1_33reduce_by_key_impl_wrapped_configILNS1_25lookback_scan_determinismE0ES3_S7_PKdNS0_17constant_iteratorIjlEEPdPlSF_S6_NS0_8equal_toIdEEEE10hipError_tPvRmT2_T3_mT4_T5_T6_T7_T8_P12ihipStream_tbENKUlT_T0_E_clISt17integral_constantIbLb0EESZ_EEDaSU_SV_EUlSU_E_NS1_11comp_targetILNS1_3genE9ELNS1_11target_archE1100ELNS1_3gpuE3ELNS1_3repE0EEENS1_30default_config_static_selectorELNS0_4arch9wavefront6targetE0EEEvT1_.num_named_barrier, 0
	.set _ZN7rocprim17ROCPRIM_400000_NS6detail17trampoline_kernelINS0_14default_configENS1_33run_length_encode_config_selectorIdjNS0_4plusIjEEEEZZNS1_33reduce_by_key_impl_wrapped_configILNS1_25lookback_scan_determinismE0ES3_S7_PKdNS0_17constant_iteratorIjlEEPdPlSF_S6_NS0_8equal_toIdEEEE10hipError_tPvRmT2_T3_mT4_T5_T6_T7_T8_P12ihipStream_tbENKUlT_T0_E_clISt17integral_constantIbLb0EESZ_EEDaSU_SV_EUlSU_E_NS1_11comp_targetILNS1_3genE9ELNS1_11target_archE1100ELNS1_3gpuE3ELNS1_3repE0EEENS1_30default_config_static_selectorELNS0_4arch9wavefront6targetE0EEEvT1_.private_seg_size, 0
	.set _ZN7rocprim17ROCPRIM_400000_NS6detail17trampoline_kernelINS0_14default_configENS1_33run_length_encode_config_selectorIdjNS0_4plusIjEEEEZZNS1_33reduce_by_key_impl_wrapped_configILNS1_25lookback_scan_determinismE0ES3_S7_PKdNS0_17constant_iteratorIjlEEPdPlSF_S6_NS0_8equal_toIdEEEE10hipError_tPvRmT2_T3_mT4_T5_T6_T7_T8_P12ihipStream_tbENKUlT_T0_E_clISt17integral_constantIbLb0EESZ_EEDaSU_SV_EUlSU_E_NS1_11comp_targetILNS1_3genE9ELNS1_11target_archE1100ELNS1_3gpuE3ELNS1_3repE0EEENS1_30default_config_static_selectorELNS0_4arch9wavefront6targetE0EEEvT1_.uses_vcc, 0
	.set _ZN7rocprim17ROCPRIM_400000_NS6detail17trampoline_kernelINS0_14default_configENS1_33run_length_encode_config_selectorIdjNS0_4plusIjEEEEZZNS1_33reduce_by_key_impl_wrapped_configILNS1_25lookback_scan_determinismE0ES3_S7_PKdNS0_17constant_iteratorIjlEEPdPlSF_S6_NS0_8equal_toIdEEEE10hipError_tPvRmT2_T3_mT4_T5_T6_T7_T8_P12ihipStream_tbENKUlT_T0_E_clISt17integral_constantIbLb0EESZ_EEDaSU_SV_EUlSU_E_NS1_11comp_targetILNS1_3genE9ELNS1_11target_archE1100ELNS1_3gpuE3ELNS1_3repE0EEENS1_30default_config_static_selectorELNS0_4arch9wavefront6targetE0EEEvT1_.uses_flat_scratch, 0
	.set _ZN7rocprim17ROCPRIM_400000_NS6detail17trampoline_kernelINS0_14default_configENS1_33run_length_encode_config_selectorIdjNS0_4plusIjEEEEZZNS1_33reduce_by_key_impl_wrapped_configILNS1_25lookback_scan_determinismE0ES3_S7_PKdNS0_17constant_iteratorIjlEEPdPlSF_S6_NS0_8equal_toIdEEEE10hipError_tPvRmT2_T3_mT4_T5_T6_T7_T8_P12ihipStream_tbENKUlT_T0_E_clISt17integral_constantIbLb0EESZ_EEDaSU_SV_EUlSU_E_NS1_11comp_targetILNS1_3genE9ELNS1_11target_archE1100ELNS1_3gpuE3ELNS1_3repE0EEENS1_30default_config_static_selectorELNS0_4arch9wavefront6targetE0EEEvT1_.has_dyn_sized_stack, 0
	.set _ZN7rocprim17ROCPRIM_400000_NS6detail17trampoline_kernelINS0_14default_configENS1_33run_length_encode_config_selectorIdjNS0_4plusIjEEEEZZNS1_33reduce_by_key_impl_wrapped_configILNS1_25lookback_scan_determinismE0ES3_S7_PKdNS0_17constant_iteratorIjlEEPdPlSF_S6_NS0_8equal_toIdEEEE10hipError_tPvRmT2_T3_mT4_T5_T6_T7_T8_P12ihipStream_tbENKUlT_T0_E_clISt17integral_constantIbLb0EESZ_EEDaSU_SV_EUlSU_E_NS1_11comp_targetILNS1_3genE9ELNS1_11target_archE1100ELNS1_3gpuE3ELNS1_3repE0EEENS1_30default_config_static_selectorELNS0_4arch9wavefront6targetE0EEEvT1_.has_recursion, 0
	.set _ZN7rocprim17ROCPRIM_400000_NS6detail17trampoline_kernelINS0_14default_configENS1_33run_length_encode_config_selectorIdjNS0_4plusIjEEEEZZNS1_33reduce_by_key_impl_wrapped_configILNS1_25lookback_scan_determinismE0ES3_S7_PKdNS0_17constant_iteratorIjlEEPdPlSF_S6_NS0_8equal_toIdEEEE10hipError_tPvRmT2_T3_mT4_T5_T6_T7_T8_P12ihipStream_tbENKUlT_T0_E_clISt17integral_constantIbLb0EESZ_EEDaSU_SV_EUlSU_E_NS1_11comp_targetILNS1_3genE9ELNS1_11target_archE1100ELNS1_3gpuE3ELNS1_3repE0EEENS1_30default_config_static_selectorELNS0_4arch9wavefront6targetE0EEEvT1_.has_indirect_call, 0
	.section	.AMDGPU.csdata,"",@progbits
; Kernel info:
; codeLenInByte = 0
; TotalNumSgprs: 0
; NumVgprs: 0
; ScratchSize: 0
; MemoryBound: 0
; FloatMode: 240
; IeeeMode: 1
; LDSByteSize: 0 bytes/workgroup (compile time only)
; SGPRBlocks: 0
; VGPRBlocks: 0
; NumSGPRsForWavesPerEU: 1
; NumVGPRsForWavesPerEU: 1
; NamedBarCnt: 0
; Occupancy: 16
; WaveLimiterHint : 0
; COMPUTE_PGM_RSRC2:SCRATCH_EN: 0
; COMPUTE_PGM_RSRC2:USER_SGPR: 2
; COMPUTE_PGM_RSRC2:TRAP_HANDLER: 0
; COMPUTE_PGM_RSRC2:TGID_X_EN: 1
; COMPUTE_PGM_RSRC2:TGID_Y_EN: 0
; COMPUTE_PGM_RSRC2:TGID_Z_EN: 0
; COMPUTE_PGM_RSRC2:TIDIG_COMP_CNT: 0
	.section	.text._ZN7rocprim17ROCPRIM_400000_NS6detail17trampoline_kernelINS0_14default_configENS1_33run_length_encode_config_selectorIdjNS0_4plusIjEEEEZZNS1_33reduce_by_key_impl_wrapped_configILNS1_25lookback_scan_determinismE0ES3_S7_PKdNS0_17constant_iteratorIjlEEPdPlSF_S6_NS0_8equal_toIdEEEE10hipError_tPvRmT2_T3_mT4_T5_T6_T7_T8_P12ihipStream_tbENKUlT_T0_E_clISt17integral_constantIbLb0EESZ_EEDaSU_SV_EUlSU_E_NS1_11comp_targetILNS1_3genE8ELNS1_11target_archE1030ELNS1_3gpuE2ELNS1_3repE0EEENS1_30default_config_static_selectorELNS0_4arch9wavefront6targetE0EEEvT1_,"axG",@progbits,_ZN7rocprim17ROCPRIM_400000_NS6detail17trampoline_kernelINS0_14default_configENS1_33run_length_encode_config_selectorIdjNS0_4plusIjEEEEZZNS1_33reduce_by_key_impl_wrapped_configILNS1_25lookback_scan_determinismE0ES3_S7_PKdNS0_17constant_iteratorIjlEEPdPlSF_S6_NS0_8equal_toIdEEEE10hipError_tPvRmT2_T3_mT4_T5_T6_T7_T8_P12ihipStream_tbENKUlT_T0_E_clISt17integral_constantIbLb0EESZ_EEDaSU_SV_EUlSU_E_NS1_11comp_targetILNS1_3genE8ELNS1_11target_archE1030ELNS1_3gpuE2ELNS1_3repE0EEENS1_30default_config_static_selectorELNS0_4arch9wavefront6targetE0EEEvT1_,comdat
	.protected	_ZN7rocprim17ROCPRIM_400000_NS6detail17trampoline_kernelINS0_14default_configENS1_33run_length_encode_config_selectorIdjNS0_4plusIjEEEEZZNS1_33reduce_by_key_impl_wrapped_configILNS1_25lookback_scan_determinismE0ES3_S7_PKdNS0_17constant_iteratorIjlEEPdPlSF_S6_NS0_8equal_toIdEEEE10hipError_tPvRmT2_T3_mT4_T5_T6_T7_T8_P12ihipStream_tbENKUlT_T0_E_clISt17integral_constantIbLb0EESZ_EEDaSU_SV_EUlSU_E_NS1_11comp_targetILNS1_3genE8ELNS1_11target_archE1030ELNS1_3gpuE2ELNS1_3repE0EEENS1_30default_config_static_selectorELNS0_4arch9wavefront6targetE0EEEvT1_ ; -- Begin function _ZN7rocprim17ROCPRIM_400000_NS6detail17trampoline_kernelINS0_14default_configENS1_33run_length_encode_config_selectorIdjNS0_4plusIjEEEEZZNS1_33reduce_by_key_impl_wrapped_configILNS1_25lookback_scan_determinismE0ES3_S7_PKdNS0_17constant_iteratorIjlEEPdPlSF_S6_NS0_8equal_toIdEEEE10hipError_tPvRmT2_T3_mT4_T5_T6_T7_T8_P12ihipStream_tbENKUlT_T0_E_clISt17integral_constantIbLb0EESZ_EEDaSU_SV_EUlSU_E_NS1_11comp_targetILNS1_3genE8ELNS1_11target_archE1030ELNS1_3gpuE2ELNS1_3repE0EEENS1_30default_config_static_selectorELNS0_4arch9wavefront6targetE0EEEvT1_
	.globl	_ZN7rocprim17ROCPRIM_400000_NS6detail17trampoline_kernelINS0_14default_configENS1_33run_length_encode_config_selectorIdjNS0_4plusIjEEEEZZNS1_33reduce_by_key_impl_wrapped_configILNS1_25lookback_scan_determinismE0ES3_S7_PKdNS0_17constant_iteratorIjlEEPdPlSF_S6_NS0_8equal_toIdEEEE10hipError_tPvRmT2_T3_mT4_T5_T6_T7_T8_P12ihipStream_tbENKUlT_T0_E_clISt17integral_constantIbLb0EESZ_EEDaSU_SV_EUlSU_E_NS1_11comp_targetILNS1_3genE8ELNS1_11target_archE1030ELNS1_3gpuE2ELNS1_3repE0EEENS1_30default_config_static_selectorELNS0_4arch9wavefront6targetE0EEEvT1_
	.p2align	8
	.type	_ZN7rocprim17ROCPRIM_400000_NS6detail17trampoline_kernelINS0_14default_configENS1_33run_length_encode_config_selectorIdjNS0_4plusIjEEEEZZNS1_33reduce_by_key_impl_wrapped_configILNS1_25lookback_scan_determinismE0ES3_S7_PKdNS0_17constant_iteratorIjlEEPdPlSF_S6_NS0_8equal_toIdEEEE10hipError_tPvRmT2_T3_mT4_T5_T6_T7_T8_P12ihipStream_tbENKUlT_T0_E_clISt17integral_constantIbLb0EESZ_EEDaSU_SV_EUlSU_E_NS1_11comp_targetILNS1_3genE8ELNS1_11target_archE1030ELNS1_3gpuE2ELNS1_3repE0EEENS1_30default_config_static_selectorELNS0_4arch9wavefront6targetE0EEEvT1_,@function
_ZN7rocprim17ROCPRIM_400000_NS6detail17trampoline_kernelINS0_14default_configENS1_33run_length_encode_config_selectorIdjNS0_4plusIjEEEEZZNS1_33reduce_by_key_impl_wrapped_configILNS1_25lookback_scan_determinismE0ES3_S7_PKdNS0_17constant_iteratorIjlEEPdPlSF_S6_NS0_8equal_toIdEEEE10hipError_tPvRmT2_T3_mT4_T5_T6_T7_T8_P12ihipStream_tbENKUlT_T0_E_clISt17integral_constantIbLb0EESZ_EEDaSU_SV_EUlSU_E_NS1_11comp_targetILNS1_3genE8ELNS1_11target_archE1030ELNS1_3gpuE2ELNS1_3repE0EEENS1_30default_config_static_selectorELNS0_4arch9wavefront6targetE0EEEvT1_: ; @_ZN7rocprim17ROCPRIM_400000_NS6detail17trampoline_kernelINS0_14default_configENS1_33run_length_encode_config_selectorIdjNS0_4plusIjEEEEZZNS1_33reduce_by_key_impl_wrapped_configILNS1_25lookback_scan_determinismE0ES3_S7_PKdNS0_17constant_iteratorIjlEEPdPlSF_S6_NS0_8equal_toIdEEEE10hipError_tPvRmT2_T3_mT4_T5_T6_T7_T8_P12ihipStream_tbENKUlT_T0_E_clISt17integral_constantIbLb0EESZ_EEDaSU_SV_EUlSU_E_NS1_11comp_targetILNS1_3genE8ELNS1_11target_archE1030ELNS1_3gpuE2ELNS1_3repE0EEENS1_30default_config_static_selectorELNS0_4arch9wavefront6targetE0EEEvT1_
; %bb.0:
	.section	.rodata,"a",@progbits
	.p2align	6, 0x0
	.amdhsa_kernel _ZN7rocprim17ROCPRIM_400000_NS6detail17trampoline_kernelINS0_14default_configENS1_33run_length_encode_config_selectorIdjNS0_4plusIjEEEEZZNS1_33reduce_by_key_impl_wrapped_configILNS1_25lookback_scan_determinismE0ES3_S7_PKdNS0_17constant_iteratorIjlEEPdPlSF_S6_NS0_8equal_toIdEEEE10hipError_tPvRmT2_T3_mT4_T5_T6_T7_T8_P12ihipStream_tbENKUlT_T0_E_clISt17integral_constantIbLb0EESZ_EEDaSU_SV_EUlSU_E_NS1_11comp_targetILNS1_3genE8ELNS1_11target_archE1030ELNS1_3gpuE2ELNS1_3repE0EEENS1_30default_config_static_selectorELNS0_4arch9wavefront6targetE0EEEvT1_
		.amdhsa_group_segment_fixed_size 0
		.amdhsa_private_segment_fixed_size 0
		.amdhsa_kernarg_size 128
		.amdhsa_user_sgpr_count 2
		.amdhsa_user_sgpr_dispatch_ptr 0
		.amdhsa_user_sgpr_queue_ptr 0
		.amdhsa_user_sgpr_kernarg_segment_ptr 1
		.amdhsa_user_sgpr_dispatch_id 0
		.amdhsa_user_sgpr_kernarg_preload_length 0
		.amdhsa_user_sgpr_kernarg_preload_offset 0
		.amdhsa_user_sgpr_private_segment_size 0
		.amdhsa_wavefront_size32 1
		.amdhsa_uses_dynamic_stack 0
		.amdhsa_enable_private_segment 0
		.amdhsa_system_sgpr_workgroup_id_x 1
		.amdhsa_system_sgpr_workgroup_id_y 0
		.amdhsa_system_sgpr_workgroup_id_z 0
		.amdhsa_system_sgpr_workgroup_info 0
		.amdhsa_system_vgpr_workitem_id 0
		.amdhsa_next_free_vgpr 1
		.amdhsa_next_free_sgpr 1
		.amdhsa_named_barrier_count 0
		.amdhsa_reserve_vcc 0
		.amdhsa_float_round_mode_32 0
		.amdhsa_float_round_mode_16_64 0
		.amdhsa_float_denorm_mode_32 3
		.amdhsa_float_denorm_mode_16_64 3
		.amdhsa_fp16_overflow 0
		.amdhsa_memory_ordered 1
		.amdhsa_forward_progress 1
		.amdhsa_inst_pref_size 0
		.amdhsa_round_robin_scheduling 0
		.amdhsa_exception_fp_ieee_invalid_op 0
		.amdhsa_exception_fp_denorm_src 0
		.amdhsa_exception_fp_ieee_div_zero 0
		.amdhsa_exception_fp_ieee_overflow 0
		.amdhsa_exception_fp_ieee_underflow 0
		.amdhsa_exception_fp_ieee_inexact 0
		.amdhsa_exception_int_div_zero 0
	.end_amdhsa_kernel
	.section	.text._ZN7rocprim17ROCPRIM_400000_NS6detail17trampoline_kernelINS0_14default_configENS1_33run_length_encode_config_selectorIdjNS0_4plusIjEEEEZZNS1_33reduce_by_key_impl_wrapped_configILNS1_25lookback_scan_determinismE0ES3_S7_PKdNS0_17constant_iteratorIjlEEPdPlSF_S6_NS0_8equal_toIdEEEE10hipError_tPvRmT2_T3_mT4_T5_T6_T7_T8_P12ihipStream_tbENKUlT_T0_E_clISt17integral_constantIbLb0EESZ_EEDaSU_SV_EUlSU_E_NS1_11comp_targetILNS1_3genE8ELNS1_11target_archE1030ELNS1_3gpuE2ELNS1_3repE0EEENS1_30default_config_static_selectorELNS0_4arch9wavefront6targetE0EEEvT1_,"axG",@progbits,_ZN7rocprim17ROCPRIM_400000_NS6detail17trampoline_kernelINS0_14default_configENS1_33run_length_encode_config_selectorIdjNS0_4plusIjEEEEZZNS1_33reduce_by_key_impl_wrapped_configILNS1_25lookback_scan_determinismE0ES3_S7_PKdNS0_17constant_iteratorIjlEEPdPlSF_S6_NS0_8equal_toIdEEEE10hipError_tPvRmT2_T3_mT4_T5_T6_T7_T8_P12ihipStream_tbENKUlT_T0_E_clISt17integral_constantIbLb0EESZ_EEDaSU_SV_EUlSU_E_NS1_11comp_targetILNS1_3genE8ELNS1_11target_archE1030ELNS1_3gpuE2ELNS1_3repE0EEENS1_30default_config_static_selectorELNS0_4arch9wavefront6targetE0EEEvT1_,comdat
.Lfunc_end312:
	.size	_ZN7rocprim17ROCPRIM_400000_NS6detail17trampoline_kernelINS0_14default_configENS1_33run_length_encode_config_selectorIdjNS0_4plusIjEEEEZZNS1_33reduce_by_key_impl_wrapped_configILNS1_25lookback_scan_determinismE0ES3_S7_PKdNS0_17constant_iteratorIjlEEPdPlSF_S6_NS0_8equal_toIdEEEE10hipError_tPvRmT2_T3_mT4_T5_T6_T7_T8_P12ihipStream_tbENKUlT_T0_E_clISt17integral_constantIbLb0EESZ_EEDaSU_SV_EUlSU_E_NS1_11comp_targetILNS1_3genE8ELNS1_11target_archE1030ELNS1_3gpuE2ELNS1_3repE0EEENS1_30default_config_static_selectorELNS0_4arch9wavefront6targetE0EEEvT1_, .Lfunc_end312-_ZN7rocprim17ROCPRIM_400000_NS6detail17trampoline_kernelINS0_14default_configENS1_33run_length_encode_config_selectorIdjNS0_4plusIjEEEEZZNS1_33reduce_by_key_impl_wrapped_configILNS1_25lookback_scan_determinismE0ES3_S7_PKdNS0_17constant_iteratorIjlEEPdPlSF_S6_NS0_8equal_toIdEEEE10hipError_tPvRmT2_T3_mT4_T5_T6_T7_T8_P12ihipStream_tbENKUlT_T0_E_clISt17integral_constantIbLb0EESZ_EEDaSU_SV_EUlSU_E_NS1_11comp_targetILNS1_3genE8ELNS1_11target_archE1030ELNS1_3gpuE2ELNS1_3repE0EEENS1_30default_config_static_selectorELNS0_4arch9wavefront6targetE0EEEvT1_
                                        ; -- End function
	.set _ZN7rocprim17ROCPRIM_400000_NS6detail17trampoline_kernelINS0_14default_configENS1_33run_length_encode_config_selectorIdjNS0_4plusIjEEEEZZNS1_33reduce_by_key_impl_wrapped_configILNS1_25lookback_scan_determinismE0ES3_S7_PKdNS0_17constant_iteratorIjlEEPdPlSF_S6_NS0_8equal_toIdEEEE10hipError_tPvRmT2_T3_mT4_T5_T6_T7_T8_P12ihipStream_tbENKUlT_T0_E_clISt17integral_constantIbLb0EESZ_EEDaSU_SV_EUlSU_E_NS1_11comp_targetILNS1_3genE8ELNS1_11target_archE1030ELNS1_3gpuE2ELNS1_3repE0EEENS1_30default_config_static_selectorELNS0_4arch9wavefront6targetE0EEEvT1_.num_vgpr, 0
	.set _ZN7rocprim17ROCPRIM_400000_NS6detail17trampoline_kernelINS0_14default_configENS1_33run_length_encode_config_selectorIdjNS0_4plusIjEEEEZZNS1_33reduce_by_key_impl_wrapped_configILNS1_25lookback_scan_determinismE0ES3_S7_PKdNS0_17constant_iteratorIjlEEPdPlSF_S6_NS0_8equal_toIdEEEE10hipError_tPvRmT2_T3_mT4_T5_T6_T7_T8_P12ihipStream_tbENKUlT_T0_E_clISt17integral_constantIbLb0EESZ_EEDaSU_SV_EUlSU_E_NS1_11comp_targetILNS1_3genE8ELNS1_11target_archE1030ELNS1_3gpuE2ELNS1_3repE0EEENS1_30default_config_static_selectorELNS0_4arch9wavefront6targetE0EEEvT1_.num_agpr, 0
	.set _ZN7rocprim17ROCPRIM_400000_NS6detail17trampoline_kernelINS0_14default_configENS1_33run_length_encode_config_selectorIdjNS0_4plusIjEEEEZZNS1_33reduce_by_key_impl_wrapped_configILNS1_25lookback_scan_determinismE0ES3_S7_PKdNS0_17constant_iteratorIjlEEPdPlSF_S6_NS0_8equal_toIdEEEE10hipError_tPvRmT2_T3_mT4_T5_T6_T7_T8_P12ihipStream_tbENKUlT_T0_E_clISt17integral_constantIbLb0EESZ_EEDaSU_SV_EUlSU_E_NS1_11comp_targetILNS1_3genE8ELNS1_11target_archE1030ELNS1_3gpuE2ELNS1_3repE0EEENS1_30default_config_static_selectorELNS0_4arch9wavefront6targetE0EEEvT1_.numbered_sgpr, 0
	.set _ZN7rocprim17ROCPRIM_400000_NS6detail17trampoline_kernelINS0_14default_configENS1_33run_length_encode_config_selectorIdjNS0_4plusIjEEEEZZNS1_33reduce_by_key_impl_wrapped_configILNS1_25lookback_scan_determinismE0ES3_S7_PKdNS0_17constant_iteratorIjlEEPdPlSF_S6_NS0_8equal_toIdEEEE10hipError_tPvRmT2_T3_mT4_T5_T6_T7_T8_P12ihipStream_tbENKUlT_T0_E_clISt17integral_constantIbLb0EESZ_EEDaSU_SV_EUlSU_E_NS1_11comp_targetILNS1_3genE8ELNS1_11target_archE1030ELNS1_3gpuE2ELNS1_3repE0EEENS1_30default_config_static_selectorELNS0_4arch9wavefront6targetE0EEEvT1_.num_named_barrier, 0
	.set _ZN7rocprim17ROCPRIM_400000_NS6detail17trampoline_kernelINS0_14default_configENS1_33run_length_encode_config_selectorIdjNS0_4plusIjEEEEZZNS1_33reduce_by_key_impl_wrapped_configILNS1_25lookback_scan_determinismE0ES3_S7_PKdNS0_17constant_iteratorIjlEEPdPlSF_S6_NS0_8equal_toIdEEEE10hipError_tPvRmT2_T3_mT4_T5_T6_T7_T8_P12ihipStream_tbENKUlT_T0_E_clISt17integral_constantIbLb0EESZ_EEDaSU_SV_EUlSU_E_NS1_11comp_targetILNS1_3genE8ELNS1_11target_archE1030ELNS1_3gpuE2ELNS1_3repE0EEENS1_30default_config_static_selectorELNS0_4arch9wavefront6targetE0EEEvT1_.private_seg_size, 0
	.set _ZN7rocprim17ROCPRIM_400000_NS6detail17trampoline_kernelINS0_14default_configENS1_33run_length_encode_config_selectorIdjNS0_4plusIjEEEEZZNS1_33reduce_by_key_impl_wrapped_configILNS1_25lookback_scan_determinismE0ES3_S7_PKdNS0_17constant_iteratorIjlEEPdPlSF_S6_NS0_8equal_toIdEEEE10hipError_tPvRmT2_T3_mT4_T5_T6_T7_T8_P12ihipStream_tbENKUlT_T0_E_clISt17integral_constantIbLb0EESZ_EEDaSU_SV_EUlSU_E_NS1_11comp_targetILNS1_3genE8ELNS1_11target_archE1030ELNS1_3gpuE2ELNS1_3repE0EEENS1_30default_config_static_selectorELNS0_4arch9wavefront6targetE0EEEvT1_.uses_vcc, 0
	.set _ZN7rocprim17ROCPRIM_400000_NS6detail17trampoline_kernelINS0_14default_configENS1_33run_length_encode_config_selectorIdjNS0_4plusIjEEEEZZNS1_33reduce_by_key_impl_wrapped_configILNS1_25lookback_scan_determinismE0ES3_S7_PKdNS0_17constant_iteratorIjlEEPdPlSF_S6_NS0_8equal_toIdEEEE10hipError_tPvRmT2_T3_mT4_T5_T6_T7_T8_P12ihipStream_tbENKUlT_T0_E_clISt17integral_constantIbLb0EESZ_EEDaSU_SV_EUlSU_E_NS1_11comp_targetILNS1_3genE8ELNS1_11target_archE1030ELNS1_3gpuE2ELNS1_3repE0EEENS1_30default_config_static_selectorELNS0_4arch9wavefront6targetE0EEEvT1_.uses_flat_scratch, 0
	.set _ZN7rocprim17ROCPRIM_400000_NS6detail17trampoline_kernelINS0_14default_configENS1_33run_length_encode_config_selectorIdjNS0_4plusIjEEEEZZNS1_33reduce_by_key_impl_wrapped_configILNS1_25lookback_scan_determinismE0ES3_S7_PKdNS0_17constant_iteratorIjlEEPdPlSF_S6_NS0_8equal_toIdEEEE10hipError_tPvRmT2_T3_mT4_T5_T6_T7_T8_P12ihipStream_tbENKUlT_T0_E_clISt17integral_constantIbLb0EESZ_EEDaSU_SV_EUlSU_E_NS1_11comp_targetILNS1_3genE8ELNS1_11target_archE1030ELNS1_3gpuE2ELNS1_3repE0EEENS1_30default_config_static_selectorELNS0_4arch9wavefront6targetE0EEEvT1_.has_dyn_sized_stack, 0
	.set _ZN7rocprim17ROCPRIM_400000_NS6detail17trampoline_kernelINS0_14default_configENS1_33run_length_encode_config_selectorIdjNS0_4plusIjEEEEZZNS1_33reduce_by_key_impl_wrapped_configILNS1_25lookback_scan_determinismE0ES3_S7_PKdNS0_17constant_iteratorIjlEEPdPlSF_S6_NS0_8equal_toIdEEEE10hipError_tPvRmT2_T3_mT4_T5_T6_T7_T8_P12ihipStream_tbENKUlT_T0_E_clISt17integral_constantIbLb0EESZ_EEDaSU_SV_EUlSU_E_NS1_11comp_targetILNS1_3genE8ELNS1_11target_archE1030ELNS1_3gpuE2ELNS1_3repE0EEENS1_30default_config_static_selectorELNS0_4arch9wavefront6targetE0EEEvT1_.has_recursion, 0
	.set _ZN7rocprim17ROCPRIM_400000_NS6detail17trampoline_kernelINS0_14default_configENS1_33run_length_encode_config_selectorIdjNS0_4plusIjEEEEZZNS1_33reduce_by_key_impl_wrapped_configILNS1_25lookback_scan_determinismE0ES3_S7_PKdNS0_17constant_iteratorIjlEEPdPlSF_S6_NS0_8equal_toIdEEEE10hipError_tPvRmT2_T3_mT4_T5_T6_T7_T8_P12ihipStream_tbENKUlT_T0_E_clISt17integral_constantIbLb0EESZ_EEDaSU_SV_EUlSU_E_NS1_11comp_targetILNS1_3genE8ELNS1_11target_archE1030ELNS1_3gpuE2ELNS1_3repE0EEENS1_30default_config_static_selectorELNS0_4arch9wavefront6targetE0EEEvT1_.has_indirect_call, 0
	.section	.AMDGPU.csdata,"",@progbits
; Kernel info:
; codeLenInByte = 0
; TotalNumSgprs: 0
; NumVgprs: 0
; ScratchSize: 0
; MemoryBound: 0
; FloatMode: 240
; IeeeMode: 1
; LDSByteSize: 0 bytes/workgroup (compile time only)
; SGPRBlocks: 0
; VGPRBlocks: 0
; NumSGPRsForWavesPerEU: 1
; NumVGPRsForWavesPerEU: 1
; NamedBarCnt: 0
; Occupancy: 16
; WaveLimiterHint : 0
; COMPUTE_PGM_RSRC2:SCRATCH_EN: 0
; COMPUTE_PGM_RSRC2:USER_SGPR: 2
; COMPUTE_PGM_RSRC2:TRAP_HANDLER: 0
; COMPUTE_PGM_RSRC2:TGID_X_EN: 1
; COMPUTE_PGM_RSRC2:TGID_Y_EN: 0
; COMPUTE_PGM_RSRC2:TGID_Z_EN: 0
; COMPUTE_PGM_RSRC2:TIDIG_COMP_CNT: 0
	.section	.text._ZN7rocprim17ROCPRIM_400000_NS6detail17trampoline_kernelINS0_14default_configENS1_33run_length_encode_config_selectorIdjNS0_4plusIjEEEEZZNS1_33reduce_by_key_impl_wrapped_configILNS1_25lookback_scan_determinismE0ES3_S7_PKdNS0_17constant_iteratorIjlEEPdPlSF_S6_NS0_8equal_toIdEEEE10hipError_tPvRmT2_T3_mT4_T5_T6_T7_T8_P12ihipStream_tbENKUlT_T0_E_clISt17integral_constantIbLb1EESZ_EEDaSU_SV_EUlSU_E_NS1_11comp_targetILNS1_3genE0ELNS1_11target_archE4294967295ELNS1_3gpuE0ELNS1_3repE0EEENS1_30default_config_static_selectorELNS0_4arch9wavefront6targetE0EEEvT1_,"axG",@progbits,_ZN7rocprim17ROCPRIM_400000_NS6detail17trampoline_kernelINS0_14default_configENS1_33run_length_encode_config_selectorIdjNS0_4plusIjEEEEZZNS1_33reduce_by_key_impl_wrapped_configILNS1_25lookback_scan_determinismE0ES3_S7_PKdNS0_17constant_iteratorIjlEEPdPlSF_S6_NS0_8equal_toIdEEEE10hipError_tPvRmT2_T3_mT4_T5_T6_T7_T8_P12ihipStream_tbENKUlT_T0_E_clISt17integral_constantIbLb1EESZ_EEDaSU_SV_EUlSU_E_NS1_11comp_targetILNS1_3genE0ELNS1_11target_archE4294967295ELNS1_3gpuE0ELNS1_3repE0EEENS1_30default_config_static_selectorELNS0_4arch9wavefront6targetE0EEEvT1_,comdat
	.protected	_ZN7rocprim17ROCPRIM_400000_NS6detail17trampoline_kernelINS0_14default_configENS1_33run_length_encode_config_selectorIdjNS0_4plusIjEEEEZZNS1_33reduce_by_key_impl_wrapped_configILNS1_25lookback_scan_determinismE0ES3_S7_PKdNS0_17constant_iteratorIjlEEPdPlSF_S6_NS0_8equal_toIdEEEE10hipError_tPvRmT2_T3_mT4_T5_T6_T7_T8_P12ihipStream_tbENKUlT_T0_E_clISt17integral_constantIbLb1EESZ_EEDaSU_SV_EUlSU_E_NS1_11comp_targetILNS1_3genE0ELNS1_11target_archE4294967295ELNS1_3gpuE0ELNS1_3repE0EEENS1_30default_config_static_selectorELNS0_4arch9wavefront6targetE0EEEvT1_ ; -- Begin function _ZN7rocprim17ROCPRIM_400000_NS6detail17trampoline_kernelINS0_14default_configENS1_33run_length_encode_config_selectorIdjNS0_4plusIjEEEEZZNS1_33reduce_by_key_impl_wrapped_configILNS1_25lookback_scan_determinismE0ES3_S7_PKdNS0_17constant_iteratorIjlEEPdPlSF_S6_NS0_8equal_toIdEEEE10hipError_tPvRmT2_T3_mT4_T5_T6_T7_T8_P12ihipStream_tbENKUlT_T0_E_clISt17integral_constantIbLb1EESZ_EEDaSU_SV_EUlSU_E_NS1_11comp_targetILNS1_3genE0ELNS1_11target_archE4294967295ELNS1_3gpuE0ELNS1_3repE0EEENS1_30default_config_static_selectorELNS0_4arch9wavefront6targetE0EEEvT1_
	.globl	_ZN7rocprim17ROCPRIM_400000_NS6detail17trampoline_kernelINS0_14default_configENS1_33run_length_encode_config_selectorIdjNS0_4plusIjEEEEZZNS1_33reduce_by_key_impl_wrapped_configILNS1_25lookback_scan_determinismE0ES3_S7_PKdNS0_17constant_iteratorIjlEEPdPlSF_S6_NS0_8equal_toIdEEEE10hipError_tPvRmT2_T3_mT4_T5_T6_T7_T8_P12ihipStream_tbENKUlT_T0_E_clISt17integral_constantIbLb1EESZ_EEDaSU_SV_EUlSU_E_NS1_11comp_targetILNS1_3genE0ELNS1_11target_archE4294967295ELNS1_3gpuE0ELNS1_3repE0EEENS1_30default_config_static_selectorELNS0_4arch9wavefront6targetE0EEEvT1_
	.p2align	8
	.type	_ZN7rocprim17ROCPRIM_400000_NS6detail17trampoline_kernelINS0_14default_configENS1_33run_length_encode_config_selectorIdjNS0_4plusIjEEEEZZNS1_33reduce_by_key_impl_wrapped_configILNS1_25lookback_scan_determinismE0ES3_S7_PKdNS0_17constant_iteratorIjlEEPdPlSF_S6_NS0_8equal_toIdEEEE10hipError_tPvRmT2_T3_mT4_T5_T6_T7_T8_P12ihipStream_tbENKUlT_T0_E_clISt17integral_constantIbLb1EESZ_EEDaSU_SV_EUlSU_E_NS1_11comp_targetILNS1_3genE0ELNS1_11target_archE4294967295ELNS1_3gpuE0ELNS1_3repE0EEENS1_30default_config_static_selectorELNS0_4arch9wavefront6targetE0EEEvT1_,@function
_ZN7rocprim17ROCPRIM_400000_NS6detail17trampoline_kernelINS0_14default_configENS1_33run_length_encode_config_selectorIdjNS0_4plusIjEEEEZZNS1_33reduce_by_key_impl_wrapped_configILNS1_25lookback_scan_determinismE0ES3_S7_PKdNS0_17constant_iteratorIjlEEPdPlSF_S6_NS0_8equal_toIdEEEE10hipError_tPvRmT2_T3_mT4_T5_T6_T7_T8_P12ihipStream_tbENKUlT_T0_E_clISt17integral_constantIbLb1EESZ_EEDaSU_SV_EUlSU_E_NS1_11comp_targetILNS1_3genE0ELNS1_11target_archE4294967295ELNS1_3gpuE0ELNS1_3repE0EEENS1_30default_config_static_selectorELNS0_4arch9wavefront6targetE0EEEvT1_: ; @_ZN7rocprim17ROCPRIM_400000_NS6detail17trampoline_kernelINS0_14default_configENS1_33run_length_encode_config_selectorIdjNS0_4plusIjEEEEZZNS1_33reduce_by_key_impl_wrapped_configILNS1_25lookback_scan_determinismE0ES3_S7_PKdNS0_17constant_iteratorIjlEEPdPlSF_S6_NS0_8equal_toIdEEEE10hipError_tPvRmT2_T3_mT4_T5_T6_T7_T8_P12ihipStream_tbENKUlT_T0_E_clISt17integral_constantIbLb1EESZ_EEDaSU_SV_EUlSU_E_NS1_11comp_targetILNS1_3genE0ELNS1_11target_archE4294967295ELNS1_3gpuE0ELNS1_3repE0EEENS1_30default_config_static_selectorELNS0_4arch9wavefront6targetE0EEEvT1_
; %bb.0:
	s_endpgm
	.section	.rodata,"a",@progbits
	.p2align	6, 0x0
	.amdhsa_kernel _ZN7rocprim17ROCPRIM_400000_NS6detail17trampoline_kernelINS0_14default_configENS1_33run_length_encode_config_selectorIdjNS0_4plusIjEEEEZZNS1_33reduce_by_key_impl_wrapped_configILNS1_25lookback_scan_determinismE0ES3_S7_PKdNS0_17constant_iteratorIjlEEPdPlSF_S6_NS0_8equal_toIdEEEE10hipError_tPvRmT2_T3_mT4_T5_T6_T7_T8_P12ihipStream_tbENKUlT_T0_E_clISt17integral_constantIbLb1EESZ_EEDaSU_SV_EUlSU_E_NS1_11comp_targetILNS1_3genE0ELNS1_11target_archE4294967295ELNS1_3gpuE0ELNS1_3repE0EEENS1_30default_config_static_selectorELNS0_4arch9wavefront6targetE0EEEvT1_
		.amdhsa_group_segment_fixed_size 0
		.amdhsa_private_segment_fixed_size 0
		.amdhsa_kernarg_size 128
		.amdhsa_user_sgpr_count 2
		.amdhsa_user_sgpr_dispatch_ptr 0
		.amdhsa_user_sgpr_queue_ptr 0
		.amdhsa_user_sgpr_kernarg_segment_ptr 1
		.amdhsa_user_sgpr_dispatch_id 0
		.amdhsa_user_sgpr_kernarg_preload_length 0
		.amdhsa_user_sgpr_kernarg_preload_offset 0
		.amdhsa_user_sgpr_private_segment_size 0
		.amdhsa_wavefront_size32 1
		.amdhsa_uses_dynamic_stack 0
		.amdhsa_enable_private_segment 0
		.amdhsa_system_sgpr_workgroup_id_x 1
		.amdhsa_system_sgpr_workgroup_id_y 0
		.amdhsa_system_sgpr_workgroup_id_z 0
		.amdhsa_system_sgpr_workgroup_info 0
		.amdhsa_system_vgpr_workitem_id 0
		.amdhsa_next_free_vgpr 1
		.amdhsa_next_free_sgpr 1
		.amdhsa_named_barrier_count 0
		.amdhsa_reserve_vcc 0
		.amdhsa_float_round_mode_32 0
		.amdhsa_float_round_mode_16_64 0
		.amdhsa_float_denorm_mode_32 3
		.amdhsa_float_denorm_mode_16_64 3
		.amdhsa_fp16_overflow 0
		.amdhsa_memory_ordered 1
		.amdhsa_forward_progress 1
		.amdhsa_inst_pref_size 1
		.amdhsa_round_robin_scheduling 0
		.amdhsa_exception_fp_ieee_invalid_op 0
		.amdhsa_exception_fp_denorm_src 0
		.amdhsa_exception_fp_ieee_div_zero 0
		.amdhsa_exception_fp_ieee_overflow 0
		.amdhsa_exception_fp_ieee_underflow 0
		.amdhsa_exception_fp_ieee_inexact 0
		.amdhsa_exception_int_div_zero 0
	.end_amdhsa_kernel
	.section	.text._ZN7rocprim17ROCPRIM_400000_NS6detail17trampoline_kernelINS0_14default_configENS1_33run_length_encode_config_selectorIdjNS0_4plusIjEEEEZZNS1_33reduce_by_key_impl_wrapped_configILNS1_25lookback_scan_determinismE0ES3_S7_PKdNS0_17constant_iteratorIjlEEPdPlSF_S6_NS0_8equal_toIdEEEE10hipError_tPvRmT2_T3_mT4_T5_T6_T7_T8_P12ihipStream_tbENKUlT_T0_E_clISt17integral_constantIbLb1EESZ_EEDaSU_SV_EUlSU_E_NS1_11comp_targetILNS1_3genE0ELNS1_11target_archE4294967295ELNS1_3gpuE0ELNS1_3repE0EEENS1_30default_config_static_selectorELNS0_4arch9wavefront6targetE0EEEvT1_,"axG",@progbits,_ZN7rocprim17ROCPRIM_400000_NS6detail17trampoline_kernelINS0_14default_configENS1_33run_length_encode_config_selectorIdjNS0_4plusIjEEEEZZNS1_33reduce_by_key_impl_wrapped_configILNS1_25lookback_scan_determinismE0ES3_S7_PKdNS0_17constant_iteratorIjlEEPdPlSF_S6_NS0_8equal_toIdEEEE10hipError_tPvRmT2_T3_mT4_T5_T6_T7_T8_P12ihipStream_tbENKUlT_T0_E_clISt17integral_constantIbLb1EESZ_EEDaSU_SV_EUlSU_E_NS1_11comp_targetILNS1_3genE0ELNS1_11target_archE4294967295ELNS1_3gpuE0ELNS1_3repE0EEENS1_30default_config_static_selectorELNS0_4arch9wavefront6targetE0EEEvT1_,comdat
.Lfunc_end313:
	.size	_ZN7rocprim17ROCPRIM_400000_NS6detail17trampoline_kernelINS0_14default_configENS1_33run_length_encode_config_selectorIdjNS0_4plusIjEEEEZZNS1_33reduce_by_key_impl_wrapped_configILNS1_25lookback_scan_determinismE0ES3_S7_PKdNS0_17constant_iteratorIjlEEPdPlSF_S6_NS0_8equal_toIdEEEE10hipError_tPvRmT2_T3_mT4_T5_T6_T7_T8_P12ihipStream_tbENKUlT_T0_E_clISt17integral_constantIbLb1EESZ_EEDaSU_SV_EUlSU_E_NS1_11comp_targetILNS1_3genE0ELNS1_11target_archE4294967295ELNS1_3gpuE0ELNS1_3repE0EEENS1_30default_config_static_selectorELNS0_4arch9wavefront6targetE0EEEvT1_, .Lfunc_end313-_ZN7rocprim17ROCPRIM_400000_NS6detail17trampoline_kernelINS0_14default_configENS1_33run_length_encode_config_selectorIdjNS0_4plusIjEEEEZZNS1_33reduce_by_key_impl_wrapped_configILNS1_25lookback_scan_determinismE0ES3_S7_PKdNS0_17constant_iteratorIjlEEPdPlSF_S6_NS0_8equal_toIdEEEE10hipError_tPvRmT2_T3_mT4_T5_T6_T7_T8_P12ihipStream_tbENKUlT_T0_E_clISt17integral_constantIbLb1EESZ_EEDaSU_SV_EUlSU_E_NS1_11comp_targetILNS1_3genE0ELNS1_11target_archE4294967295ELNS1_3gpuE0ELNS1_3repE0EEENS1_30default_config_static_selectorELNS0_4arch9wavefront6targetE0EEEvT1_
                                        ; -- End function
	.set _ZN7rocprim17ROCPRIM_400000_NS6detail17trampoline_kernelINS0_14default_configENS1_33run_length_encode_config_selectorIdjNS0_4plusIjEEEEZZNS1_33reduce_by_key_impl_wrapped_configILNS1_25lookback_scan_determinismE0ES3_S7_PKdNS0_17constant_iteratorIjlEEPdPlSF_S6_NS0_8equal_toIdEEEE10hipError_tPvRmT2_T3_mT4_T5_T6_T7_T8_P12ihipStream_tbENKUlT_T0_E_clISt17integral_constantIbLb1EESZ_EEDaSU_SV_EUlSU_E_NS1_11comp_targetILNS1_3genE0ELNS1_11target_archE4294967295ELNS1_3gpuE0ELNS1_3repE0EEENS1_30default_config_static_selectorELNS0_4arch9wavefront6targetE0EEEvT1_.num_vgpr, 0
	.set _ZN7rocprim17ROCPRIM_400000_NS6detail17trampoline_kernelINS0_14default_configENS1_33run_length_encode_config_selectorIdjNS0_4plusIjEEEEZZNS1_33reduce_by_key_impl_wrapped_configILNS1_25lookback_scan_determinismE0ES3_S7_PKdNS0_17constant_iteratorIjlEEPdPlSF_S6_NS0_8equal_toIdEEEE10hipError_tPvRmT2_T3_mT4_T5_T6_T7_T8_P12ihipStream_tbENKUlT_T0_E_clISt17integral_constantIbLb1EESZ_EEDaSU_SV_EUlSU_E_NS1_11comp_targetILNS1_3genE0ELNS1_11target_archE4294967295ELNS1_3gpuE0ELNS1_3repE0EEENS1_30default_config_static_selectorELNS0_4arch9wavefront6targetE0EEEvT1_.num_agpr, 0
	.set _ZN7rocprim17ROCPRIM_400000_NS6detail17trampoline_kernelINS0_14default_configENS1_33run_length_encode_config_selectorIdjNS0_4plusIjEEEEZZNS1_33reduce_by_key_impl_wrapped_configILNS1_25lookback_scan_determinismE0ES3_S7_PKdNS0_17constant_iteratorIjlEEPdPlSF_S6_NS0_8equal_toIdEEEE10hipError_tPvRmT2_T3_mT4_T5_T6_T7_T8_P12ihipStream_tbENKUlT_T0_E_clISt17integral_constantIbLb1EESZ_EEDaSU_SV_EUlSU_E_NS1_11comp_targetILNS1_3genE0ELNS1_11target_archE4294967295ELNS1_3gpuE0ELNS1_3repE0EEENS1_30default_config_static_selectorELNS0_4arch9wavefront6targetE0EEEvT1_.numbered_sgpr, 0
	.set _ZN7rocprim17ROCPRIM_400000_NS6detail17trampoline_kernelINS0_14default_configENS1_33run_length_encode_config_selectorIdjNS0_4plusIjEEEEZZNS1_33reduce_by_key_impl_wrapped_configILNS1_25lookback_scan_determinismE0ES3_S7_PKdNS0_17constant_iteratorIjlEEPdPlSF_S6_NS0_8equal_toIdEEEE10hipError_tPvRmT2_T3_mT4_T5_T6_T7_T8_P12ihipStream_tbENKUlT_T0_E_clISt17integral_constantIbLb1EESZ_EEDaSU_SV_EUlSU_E_NS1_11comp_targetILNS1_3genE0ELNS1_11target_archE4294967295ELNS1_3gpuE0ELNS1_3repE0EEENS1_30default_config_static_selectorELNS0_4arch9wavefront6targetE0EEEvT1_.num_named_barrier, 0
	.set _ZN7rocprim17ROCPRIM_400000_NS6detail17trampoline_kernelINS0_14default_configENS1_33run_length_encode_config_selectorIdjNS0_4plusIjEEEEZZNS1_33reduce_by_key_impl_wrapped_configILNS1_25lookback_scan_determinismE0ES3_S7_PKdNS0_17constant_iteratorIjlEEPdPlSF_S6_NS0_8equal_toIdEEEE10hipError_tPvRmT2_T3_mT4_T5_T6_T7_T8_P12ihipStream_tbENKUlT_T0_E_clISt17integral_constantIbLb1EESZ_EEDaSU_SV_EUlSU_E_NS1_11comp_targetILNS1_3genE0ELNS1_11target_archE4294967295ELNS1_3gpuE0ELNS1_3repE0EEENS1_30default_config_static_selectorELNS0_4arch9wavefront6targetE0EEEvT1_.private_seg_size, 0
	.set _ZN7rocprim17ROCPRIM_400000_NS6detail17trampoline_kernelINS0_14default_configENS1_33run_length_encode_config_selectorIdjNS0_4plusIjEEEEZZNS1_33reduce_by_key_impl_wrapped_configILNS1_25lookback_scan_determinismE0ES3_S7_PKdNS0_17constant_iteratorIjlEEPdPlSF_S6_NS0_8equal_toIdEEEE10hipError_tPvRmT2_T3_mT4_T5_T6_T7_T8_P12ihipStream_tbENKUlT_T0_E_clISt17integral_constantIbLb1EESZ_EEDaSU_SV_EUlSU_E_NS1_11comp_targetILNS1_3genE0ELNS1_11target_archE4294967295ELNS1_3gpuE0ELNS1_3repE0EEENS1_30default_config_static_selectorELNS0_4arch9wavefront6targetE0EEEvT1_.uses_vcc, 0
	.set _ZN7rocprim17ROCPRIM_400000_NS6detail17trampoline_kernelINS0_14default_configENS1_33run_length_encode_config_selectorIdjNS0_4plusIjEEEEZZNS1_33reduce_by_key_impl_wrapped_configILNS1_25lookback_scan_determinismE0ES3_S7_PKdNS0_17constant_iteratorIjlEEPdPlSF_S6_NS0_8equal_toIdEEEE10hipError_tPvRmT2_T3_mT4_T5_T6_T7_T8_P12ihipStream_tbENKUlT_T0_E_clISt17integral_constantIbLb1EESZ_EEDaSU_SV_EUlSU_E_NS1_11comp_targetILNS1_3genE0ELNS1_11target_archE4294967295ELNS1_3gpuE0ELNS1_3repE0EEENS1_30default_config_static_selectorELNS0_4arch9wavefront6targetE0EEEvT1_.uses_flat_scratch, 0
	.set _ZN7rocprim17ROCPRIM_400000_NS6detail17trampoline_kernelINS0_14default_configENS1_33run_length_encode_config_selectorIdjNS0_4plusIjEEEEZZNS1_33reduce_by_key_impl_wrapped_configILNS1_25lookback_scan_determinismE0ES3_S7_PKdNS0_17constant_iteratorIjlEEPdPlSF_S6_NS0_8equal_toIdEEEE10hipError_tPvRmT2_T3_mT4_T5_T6_T7_T8_P12ihipStream_tbENKUlT_T0_E_clISt17integral_constantIbLb1EESZ_EEDaSU_SV_EUlSU_E_NS1_11comp_targetILNS1_3genE0ELNS1_11target_archE4294967295ELNS1_3gpuE0ELNS1_3repE0EEENS1_30default_config_static_selectorELNS0_4arch9wavefront6targetE0EEEvT1_.has_dyn_sized_stack, 0
	.set _ZN7rocprim17ROCPRIM_400000_NS6detail17trampoline_kernelINS0_14default_configENS1_33run_length_encode_config_selectorIdjNS0_4plusIjEEEEZZNS1_33reduce_by_key_impl_wrapped_configILNS1_25lookback_scan_determinismE0ES3_S7_PKdNS0_17constant_iteratorIjlEEPdPlSF_S6_NS0_8equal_toIdEEEE10hipError_tPvRmT2_T3_mT4_T5_T6_T7_T8_P12ihipStream_tbENKUlT_T0_E_clISt17integral_constantIbLb1EESZ_EEDaSU_SV_EUlSU_E_NS1_11comp_targetILNS1_3genE0ELNS1_11target_archE4294967295ELNS1_3gpuE0ELNS1_3repE0EEENS1_30default_config_static_selectorELNS0_4arch9wavefront6targetE0EEEvT1_.has_recursion, 0
	.set _ZN7rocprim17ROCPRIM_400000_NS6detail17trampoline_kernelINS0_14default_configENS1_33run_length_encode_config_selectorIdjNS0_4plusIjEEEEZZNS1_33reduce_by_key_impl_wrapped_configILNS1_25lookback_scan_determinismE0ES3_S7_PKdNS0_17constant_iteratorIjlEEPdPlSF_S6_NS0_8equal_toIdEEEE10hipError_tPvRmT2_T3_mT4_T5_T6_T7_T8_P12ihipStream_tbENKUlT_T0_E_clISt17integral_constantIbLb1EESZ_EEDaSU_SV_EUlSU_E_NS1_11comp_targetILNS1_3genE0ELNS1_11target_archE4294967295ELNS1_3gpuE0ELNS1_3repE0EEENS1_30default_config_static_selectorELNS0_4arch9wavefront6targetE0EEEvT1_.has_indirect_call, 0
	.section	.AMDGPU.csdata,"",@progbits
; Kernel info:
; codeLenInByte = 4
; TotalNumSgprs: 0
; NumVgprs: 0
; ScratchSize: 0
; MemoryBound: 0
; FloatMode: 240
; IeeeMode: 1
; LDSByteSize: 0 bytes/workgroup (compile time only)
; SGPRBlocks: 0
; VGPRBlocks: 0
; NumSGPRsForWavesPerEU: 1
; NumVGPRsForWavesPerEU: 1
; NamedBarCnt: 0
; Occupancy: 16
; WaveLimiterHint : 0
; COMPUTE_PGM_RSRC2:SCRATCH_EN: 0
; COMPUTE_PGM_RSRC2:USER_SGPR: 2
; COMPUTE_PGM_RSRC2:TRAP_HANDLER: 0
; COMPUTE_PGM_RSRC2:TGID_X_EN: 1
; COMPUTE_PGM_RSRC2:TGID_Y_EN: 0
; COMPUTE_PGM_RSRC2:TGID_Z_EN: 0
; COMPUTE_PGM_RSRC2:TIDIG_COMP_CNT: 0
	.section	.text._ZN7rocprim17ROCPRIM_400000_NS6detail17trampoline_kernelINS0_14default_configENS1_33run_length_encode_config_selectorIdjNS0_4plusIjEEEEZZNS1_33reduce_by_key_impl_wrapped_configILNS1_25lookback_scan_determinismE0ES3_S7_PKdNS0_17constant_iteratorIjlEEPdPlSF_S6_NS0_8equal_toIdEEEE10hipError_tPvRmT2_T3_mT4_T5_T6_T7_T8_P12ihipStream_tbENKUlT_T0_E_clISt17integral_constantIbLb1EESZ_EEDaSU_SV_EUlSU_E_NS1_11comp_targetILNS1_3genE5ELNS1_11target_archE942ELNS1_3gpuE9ELNS1_3repE0EEENS1_30default_config_static_selectorELNS0_4arch9wavefront6targetE0EEEvT1_,"axG",@progbits,_ZN7rocprim17ROCPRIM_400000_NS6detail17trampoline_kernelINS0_14default_configENS1_33run_length_encode_config_selectorIdjNS0_4plusIjEEEEZZNS1_33reduce_by_key_impl_wrapped_configILNS1_25lookback_scan_determinismE0ES3_S7_PKdNS0_17constant_iteratorIjlEEPdPlSF_S6_NS0_8equal_toIdEEEE10hipError_tPvRmT2_T3_mT4_T5_T6_T7_T8_P12ihipStream_tbENKUlT_T0_E_clISt17integral_constantIbLb1EESZ_EEDaSU_SV_EUlSU_E_NS1_11comp_targetILNS1_3genE5ELNS1_11target_archE942ELNS1_3gpuE9ELNS1_3repE0EEENS1_30default_config_static_selectorELNS0_4arch9wavefront6targetE0EEEvT1_,comdat
	.protected	_ZN7rocprim17ROCPRIM_400000_NS6detail17trampoline_kernelINS0_14default_configENS1_33run_length_encode_config_selectorIdjNS0_4plusIjEEEEZZNS1_33reduce_by_key_impl_wrapped_configILNS1_25lookback_scan_determinismE0ES3_S7_PKdNS0_17constant_iteratorIjlEEPdPlSF_S6_NS0_8equal_toIdEEEE10hipError_tPvRmT2_T3_mT4_T5_T6_T7_T8_P12ihipStream_tbENKUlT_T0_E_clISt17integral_constantIbLb1EESZ_EEDaSU_SV_EUlSU_E_NS1_11comp_targetILNS1_3genE5ELNS1_11target_archE942ELNS1_3gpuE9ELNS1_3repE0EEENS1_30default_config_static_selectorELNS0_4arch9wavefront6targetE0EEEvT1_ ; -- Begin function _ZN7rocprim17ROCPRIM_400000_NS6detail17trampoline_kernelINS0_14default_configENS1_33run_length_encode_config_selectorIdjNS0_4plusIjEEEEZZNS1_33reduce_by_key_impl_wrapped_configILNS1_25lookback_scan_determinismE0ES3_S7_PKdNS0_17constant_iteratorIjlEEPdPlSF_S6_NS0_8equal_toIdEEEE10hipError_tPvRmT2_T3_mT4_T5_T6_T7_T8_P12ihipStream_tbENKUlT_T0_E_clISt17integral_constantIbLb1EESZ_EEDaSU_SV_EUlSU_E_NS1_11comp_targetILNS1_3genE5ELNS1_11target_archE942ELNS1_3gpuE9ELNS1_3repE0EEENS1_30default_config_static_selectorELNS0_4arch9wavefront6targetE0EEEvT1_
	.globl	_ZN7rocprim17ROCPRIM_400000_NS6detail17trampoline_kernelINS0_14default_configENS1_33run_length_encode_config_selectorIdjNS0_4plusIjEEEEZZNS1_33reduce_by_key_impl_wrapped_configILNS1_25lookback_scan_determinismE0ES3_S7_PKdNS0_17constant_iteratorIjlEEPdPlSF_S6_NS0_8equal_toIdEEEE10hipError_tPvRmT2_T3_mT4_T5_T6_T7_T8_P12ihipStream_tbENKUlT_T0_E_clISt17integral_constantIbLb1EESZ_EEDaSU_SV_EUlSU_E_NS1_11comp_targetILNS1_3genE5ELNS1_11target_archE942ELNS1_3gpuE9ELNS1_3repE0EEENS1_30default_config_static_selectorELNS0_4arch9wavefront6targetE0EEEvT1_
	.p2align	8
	.type	_ZN7rocprim17ROCPRIM_400000_NS6detail17trampoline_kernelINS0_14default_configENS1_33run_length_encode_config_selectorIdjNS0_4plusIjEEEEZZNS1_33reduce_by_key_impl_wrapped_configILNS1_25lookback_scan_determinismE0ES3_S7_PKdNS0_17constant_iteratorIjlEEPdPlSF_S6_NS0_8equal_toIdEEEE10hipError_tPvRmT2_T3_mT4_T5_T6_T7_T8_P12ihipStream_tbENKUlT_T0_E_clISt17integral_constantIbLb1EESZ_EEDaSU_SV_EUlSU_E_NS1_11comp_targetILNS1_3genE5ELNS1_11target_archE942ELNS1_3gpuE9ELNS1_3repE0EEENS1_30default_config_static_selectorELNS0_4arch9wavefront6targetE0EEEvT1_,@function
_ZN7rocprim17ROCPRIM_400000_NS6detail17trampoline_kernelINS0_14default_configENS1_33run_length_encode_config_selectorIdjNS0_4plusIjEEEEZZNS1_33reduce_by_key_impl_wrapped_configILNS1_25lookback_scan_determinismE0ES3_S7_PKdNS0_17constant_iteratorIjlEEPdPlSF_S6_NS0_8equal_toIdEEEE10hipError_tPvRmT2_T3_mT4_T5_T6_T7_T8_P12ihipStream_tbENKUlT_T0_E_clISt17integral_constantIbLb1EESZ_EEDaSU_SV_EUlSU_E_NS1_11comp_targetILNS1_3genE5ELNS1_11target_archE942ELNS1_3gpuE9ELNS1_3repE0EEENS1_30default_config_static_selectorELNS0_4arch9wavefront6targetE0EEEvT1_: ; @_ZN7rocprim17ROCPRIM_400000_NS6detail17trampoline_kernelINS0_14default_configENS1_33run_length_encode_config_selectorIdjNS0_4plusIjEEEEZZNS1_33reduce_by_key_impl_wrapped_configILNS1_25lookback_scan_determinismE0ES3_S7_PKdNS0_17constant_iteratorIjlEEPdPlSF_S6_NS0_8equal_toIdEEEE10hipError_tPvRmT2_T3_mT4_T5_T6_T7_T8_P12ihipStream_tbENKUlT_T0_E_clISt17integral_constantIbLb1EESZ_EEDaSU_SV_EUlSU_E_NS1_11comp_targetILNS1_3genE5ELNS1_11target_archE942ELNS1_3gpuE9ELNS1_3repE0EEENS1_30default_config_static_selectorELNS0_4arch9wavefront6targetE0EEEvT1_
; %bb.0:
	.section	.rodata,"a",@progbits
	.p2align	6, 0x0
	.amdhsa_kernel _ZN7rocprim17ROCPRIM_400000_NS6detail17trampoline_kernelINS0_14default_configENS1_33run_length_encode_config_selectorIdjNS0_4plusIjEEEEZZNS1_33reduce_by_key_impl_wrapped_configILNS1_25lookback_scan_determinismE0ES3_S7_PKdNS0_17constant_iteratorIjlEEPdPlSF_S6_NS0_8equal_toIdEEEE10hipError_tPvRmT2_T3_mT4_T5_T6_T7_T8_P12ihipStream_tbENKUlT_T0_E_clISt17integral_constantIbLb1EESZ_EEDaSU_SV_EUlSU_E_NS1_11comp_targetILNS1_3genE5ELNS1_11target_archE942ELNS1_3gpuE9ELNS1_3repE0EEENS1_30default_config_static_selectorELNS0_4arch9wavefront6targetE0EEEvT1_
		.amdhsa_group_segment_fixed_size 0
		.amdhsa_private_segment_fixed_size 0
		.amdhsa_kernarg_size 128
		.amdhsa_user_sgpr_count 2
		.amdhsa_user_sgpr_dispatch_ptr 0
		.amdhsa_user_sgpr_queue_ptr 0
		.amdhsa_user_sgpr_kernarg_segment_ptr 1
		.amdhsa_user_sgpr_dispatch_id 0
		.amdhsa_user_sgpr_kernarg_preload_length 0
		.amdhsa_user_sgpr_kernarg_preload_offset 0
		.amdhsa_user_sgpr_private_segment_size 0
		.amdhsa_wavefront_size32 1
		.amdhsa_uses_dynamic_stack 0
		.amdhsa_enable_private_segment 0
		.amdhsa_system_sgpr_workgroup_id_x 1
		.amdhsa_system_sgpr_workgroup_id_y 0
		.amdhsa_system_sgpr_workgroup_id_z 0
		.amdhsa_system_sgpr_workgroup_info 0
		.amdhsa_system_vgpr_workitem_id 0
		.amdhsa_next_free_vgpr 1
		.amdhsa_next_free_sgpr 1
		.amdhsa_named_barrier_count 0
		.amdhsa_reserve_vcc 0
		.amdhsa_float_round_mode_32 0
		.amdhsa_float_round_mode_16_64 0
		.amdhsa_float_denorm_mode_32 3
		.amdhsa_float_denorm_mode_16_64 3
		.amdhsa_fp16_overflow 0
		.amdhsa_memory_ordered 1
		.amdhsa_forward_progress 1
		.amdhsa_inst_pref_size 0
		.amdhsa_round_robin_scheduling 0
		.amdhsa_exception_fp_ieee_invalid_op 0
		.amdhsa_exception_fp_denorm_src 0
		.amdhsa_exception_fp_ieee_div_zero 0
		.amdhsa_exception_fp_ieee_overflow 0
		.amdhsa_exception_fp_ieee_underflow 0
		.amdhsa_exception_fp_ieee_inexact 0
		.amdhsa_exception_int_div_zero 0
	.end_amdhsa_kernel
	.section	.text._ZN7rocprim17ROCPRIM_400000_NS6detail17trampoline_kernelINS0_14default_configENS1_33run_length_encode_config_selectorIdjNS0_4plusIjEEEEZZNS1_33reduce_by_key_impl_wrapped_configILNS1_25lookback_scan_determinismE0ES3_S7_PKdNS0_17constant_iteratorIjlEEPdPlSF_S6_NS0_8equal_toIdEEEE10hipError_tPvRmT2_T3_mT4_T5_T6_T7_T8_P12ihipStream_tbENKUlT_T0_E_clISt17integral_constantIbLb1EESZ_EEDaSU_SV_EUlSU_E_NS1_11comp_targetILNS1_3genE5ELNS1_11target_archE942ELNS1_3gpuE9ELNS1_3repE0EEENS1_30default_config_static_selectorELNS0_4arch9wavefront6targetE0EEEvT1_,"axG",@progbits,_ZN7rocprim17ROCPRIM_400000_NS6detail17trampoline_kernelINS0_14default_configENS1_33run_length_encode_config_selectorIdjNS0_4plusIjEEEEZZNS1_33reduce_by_key_impl_wrapped_configILNS1_25lookback_scan_determinismE0ES3_S7_PKdNS0_17constant_iteratorIjlEEPdPlSF_S6_NS0_8equal_toIdEEEE10hipError_tPvRmT2_T3_mT4_T5_T6_T7_T8_P12ihipStream_tbENKUlT_T0_E_clISt17integral_constantIbLb1EESZ_EEDaSU_SV_EUlSU_E_NS1_11comp_targetILNS1_3genE5ELNS1_11target_archE942ELNS1_3gpuE9ELNS1_3repE0EEENS1_30default_config_static_selectorELNS0_4arch9wavefront6targetE0EEEvT1_,comdat
.Lfunc_end314:
	.size	_ZN7rocprim17ROCPRIM_400000_NS6detail17trampoline_kernelINS0_14default_configENS1_33run_length_encode_config_selectorIdjNS0_4plusIjEEEEZZNS1_33reduce_by_key_impl_wrapped_configILNS1_25lookback_scan_determinismE0ES3_S7_PKdNS0_17constant_iteratorIjlEEPdPlSF_S6_NS0_8equal_toIdEEEE10hipError_tPvRmT2_T3_mT4_T5_T6_T7_T8_P12ihipStream_tbENKUlT_T0_E_clISt17integral_constantIbLb1EESZ_EEDaSU_SV_EUlSU_E_NS1_11comp_targetILNS1_3genE5ELNS1_11target_archE942ELNS1_3gpuE9ELNS1_3repE0EEENS1_30default_config_static_selectorELNS0_4arch9wavefront6targetE0EEEvT1_, .Lfunc_end314-_ZN7rocprim17ROCPRIM_400000_NS6detail17trampoline_kernelINS0_14default_configENS1_33run_length_encode_config_selectorIdjNS0_4plusIjEEEEZZNS1_33reduce_by_key_impl_wrapped_configILNS1_25lookback_scan_determinismE0ES3_S7_PKdNS0_17constant_iteratorIjlEEPdPlSF_S6_NS0_8equal_toIdEEEE10hipError_tPvRmT2_T3_mT4_T5_T6_T7_T8_P12ihipStream_tbENKUlT_T0_E_clISt17integral_constantIbLb1EESZ_EEDaSU_SV_EUlSU_E_NS1_11comp_targetILNS1_3genE5ELNS1_11target_archE942ELNS1_3gpuE9ELNS1_3repE0EEENS1_30default_config_static_selectorELNS0_4arch9wavefront6targetE0EEEvT1_
                                        ; -- End function
	.set _ZN7rocprim17ROCPRIM_400000_NS6detail17trampoline_kernelINS0_14default_configENS1_33run_length_encode_config_selectorIdjNS0_4plusIjEEEEZZNS1_33reduce_by_key_impl_wrapped_configILNS1_25lookback_scan_determinismE0ES3_S7_PKdNS0_17constant_iteratorIjlEEPdPlSF_S6_NS0_8equal_toIdEEEE10hipError_tPvRmT2_T3_mT4_T5_T6_T7_T8_P12ihipStream_tbENKUlT_T0_E_clISt17integral_constantIbLb1EESZ_EEDaSU_SV_EUlSU_E_NS1_11comp_targetILNS1_3genE5ELNS1_11target_archE942ELNS1_3gpuE9ELNS1_3repE0EEENS1_30default_config_static_selectorELNS0_4arch9wavefront6targetE0EEEvT1_.num_vgpr, 0
	.set _ZN7rocprim17ROCPRIM_400000_NS6detail17trampoline_kernelINS0_14default_configENS1_33run_length_encode_config_selectorIdjNS0_4plusIjEEEEZZNS1_33reduce_by_key_impl_wrapped_configILNS1_25lookback_scan_determinismE0ES3_S7_PKdNS0_17constant_iteratorIjlEEPdPlSF_S6_NS0_8equal_toIdEEEE10hipError_tPvRmT2_T3_mT4_T5_T6_T7_T8_P12ihipStream_tbENKUlT_T0_E_clISt17integral_constantIbLb1EESZ_EEDaSU_SV_EUlSU_E_NS1_11comp_targetILNS1_3genE5ELNS1_11target_archE942ELNS1_3gpuE9ELNS1_3repE0EEENS1_30default_config_static_selectorELNS0_4arch9wavefront6targetE0EEEvT1_.num_agpr, 0
	.set _ZN7rocprim17ROCPRIM_400000_NS6detail17trampoline_kernelINS0_14default_configENS1_33run_length_encode_config_selectorIdjNS0_4plusIjEEEEZZNS1_33reduce_by_key_impl_wrapped_configILNS1_25lookback_scan_determinismE0ES3_S7_PKdNS0_17constant_iteratorIjlEEPdPlSF_S6_NS0_8equal_toIdEEEE10hipError_tPvRmT2_T3_mT4_T5_T6_T7_T8_P12ihipStream_tbENKUlT_T0_E_clISt17integral_constantIbLb1EESZ_EEDaSU_SV_EUlSU_E_NS1_11comp_targetILNS1_3genE5ELNS1_11target_archE942ELNS1_3gpuE9ELNS1_3repE0EEENS1_30default_config_static_selectorELNS0_4arch9wavefront6targetE0EEEvT1_.numbered_sgpr, 0
	.set _ZN7rocprim17ROCPRIM_400000_NS6detail17trampoline_kernelINS0_14default_configENS1_33run_length_encode_config_selectorIdjNS0_4plusIjEEEEZZNS1_33reduce_by_key_impl_wrapped_configILNS1_25lookback_scan_determinismE0ES3_S7_PKdNS0_17constant_iteratorIjlEEPdPlSF_S6_NS0_8equal_toIdEEEE10hipError_tPvRmT2_T3_mT4_T5_T6_T7_T8_P12ihipStream_tbENKUlT_T0_E_clISt17integral_constantIbLb1EESZ_EEDaSU_SV_EUlSU_E_NS1_11comp_targetILNS1_3genE5ELNS1_11target_archE942ELNS1_3gpuE9ELNS1_3repE0EEENS1_30default_config_static_selectorELNS0_4arch9wavefront6targetE0EEEvT1_.num_named_barrier, 0
	.set _ZN7rocprim17ROCPRIM_400000_NS6detail17trampoline_kernelINS0_14default_configENS1_33run_length_encode_config_selectorIdjNS0_4plusIjEEEEZZNS1_33reduce_by_key_impl_wrapped_configILNS1_25lookback_scan_determinismE0ES3_S7_PKdNS0_17constant_iteratorIjlEEPdPlSF_S6_NS0_8equal_toIdEEEE10hipError_tPvRmT2_T3_mT4_T5_T6_T7_T8_P12ihipStream_tbENKUlT_T0_E_clISt17integral_constantIbLb1EESZ_EEDaSU_SV_EUlSU_E_NS1_11comp_targetILNS1_3genE5ELNS1_11target_archE942ELNS1_3gpuE9ELNS1_3repE0EEENS1_30default_config_static_selectorELNS0_4arch9wavefront6targetE0EEEvT1_.private_seg_size, 0
	.set _ZN7rocprim17ROCPRIM_400000_NS6detail17trampoline_kernelINS0_14default_configENS1_33run_length_encode_config_selectorIdjNS0_4plusIjEEEEZZNS1_33reduce_by_key_impl_wrapped_configILNS1_25lookback_scan_determinismE0ES3_S7_PKdNS0_17constant_iteratorIjlEEPdPlSF_S6_NS0_8equal_toIdEEEE10hipError_tPvRmT2_T3_mT4_T5_T6_T7_T8_P12ihipStream_tbENKUlT_T0_E_clISt17integral_constantIbLb1EESZ_EEDaSU_SV_EUlSU_E_NS1_11comp_targetILNS1_3genE5ELNS1_11target_archE942ELNS1_3gpuE9ELNS1_3repE0EEENS1_30default_config_static_selectorELNS0_4arch9wavefront6targetE0EEEvT1_.uses_vcc, 0
	.set _ZN7rocprim17ROCPRIM_400000_NS6detail17trampoline_kernelINS0_14default_configENS1_33run_length_encode_config_selectorIdjNS0_4plusIjEEEEZZNS1_33reduce_by_key_impl_wrapped_configILNS1_25lookback_scan_determinismE0ES3_S7_PKdNS0_17constant_iteratorIjlEEPdPlSF_S6_NS0_8equal_toIdEEEE10hipError_tPvRmT2_T3_mT4_T5_T6_T7_T8_P12ihipStream_tbENKUlT_T0_E_clISt17integral_constantIbLb1EESZ_EEDaSU_SV_EUlSU_E_NS1_11comp_targetILNS1_3genE5ELNS1_11target_archE942ELNS1_3gpuE9ELNS1_3repE0EEENS1_30default_config_static_selectorELNS0_4arch9wavefront6targetE0EEEvT1_.uses_flat_scratch, 0
	.set _ZN7rocprim17ROCPRIM_400000_NS6detail17trampoline_kernelINS0_14default_configENS1_33run_length_encode_config_selectorIdjNS0_4plusIjEEEEZZNS1_33reduce_by_key_impl_wrapped_configILNS1_25lookback_scan_determinismE0ES3_S7_PKdNS0_17constant_iteratorIjlEEPdPlSF_S6_NS0_8equal_toIdEEEE10hipError_tPvRmT2_T3_mT4_T5_T6_T7_T8_P12ihipStream_tbENKUlT_T0_E_clISt17integral_constantIbLb1EESZ_EEDaSU_SV_EUlSU_E_NS1_11comp_targetILNS1_3genE5ELNS1_11target_archE942ELNS1_3gpuE9ELNS1_3repE0EEENS1_30default_config_static_selectorELNS0_4arch9wavefront6targetE0EEEvT1_.has_dyn_sized_stack, 0
	.set _ZN7rocprim17ROCPRIM_400000_NS6detail17trampoline_kernelINS0_14default_configENS1_33run_length_encode_config_selectorIdjNS0_4plusIjEEEEZZNS1_33reduce_by_key_impl_wrapped_configILNS1_25lookback_scan_determinismE0ES3_S7_PKdNS0_17constant_iteratorIjlEEPdPlSF_S6_NS0_8equal_toIdEEEE10hipError_tPvRmT2_T3_mT4_T5_T6_T7_T8_P12ihipStream_tbENKUlT_T0_E_clISt17integral_constantIbLb1EESZ_EEDaSU_SV_EUlSU_E_NS1_11comp_targetILNS1_3genE5ELNS1_11target_archE942ELNS1_3gpuE9ELNS1_3repE0EEENS1_30default_config_static_selectorELNS0_4arch9wavefront6targetE0EEEvT1_.has_recursion, 0
	.set _ZN7rocprim17ROCPRIM_400000_NS6detail17trampoline_kernelINS0_14default_configENS1_33run_length_encode_config_selectorIdjNS0_4plusIjEEEEZZNS1_33reduce_by_key_impl_wrapped_configILNS1_25lookback_scan_determinismE0ES3_S7_PKdNS0_17constant_iteratorIjlEEPdPlSF_S6_NS0_8equal_toIdEEEE10hipError_tPvRmT2_T3_mT4_T5_T6_T7_T8_P12ihipStream_tbENKUlT_T0_E_clISt17integral_constantIbLb1EESZ_EEDaSU_SV_EUlSU_E_NS1_11comp_targetILNS1_3genE5ELNS1_11target_archE942ELNS1_3gpuE9ELNS1_3repE0EEENS1_30default_config_static_selectorELNS0_4arch9wavefront6targetE0EEEvT1_.has_indirect_call, 0
	.section	.AMDGPU.csdata,"",@progbits
; Kernel info:
; codeLenInByte = 0
; TotalNumSgprs: 0
; NumVgprs: 0
; ScratchSize: 0
; MemoryBound: 0
; FloatMode: 240
; IeeeMode: 1
; LDSByteSize: 0 bytes/workgroup (compile time only)
; SGPRBlocks: 0
; VGPRBlocks: 0
; NumSGPRsForWavesPerEU: 1
; NumVGPRsForWavesPerEU: 1
; NamedBarCnt: 0
; Occupancy: 16
; WaveLimiterHint : 0
; COMPUTE_PGM_RSRC2:SCRATCH_EN: 0
; COMPUTE_PGM_RSRC2:USER_SGPR: 2
; COMPUTE_PGM_RSRC2:TRAP_HANDLER: 0
; COMPUTE_PGM_RSRC2:TGID_X_EN: 1
; COMPUTE_PGM_RSRC2:TGID_Y_EN: 0
; COMPUTE_PGM_RSRC2:TGID_Z_EN: 0
; COMPUTE_PGM_RSRC2:TIDIG_COMP_CNT: 0
	.section	.text._ZN7rocprim17ROCPRIM_400000_NS6detail17trampoline_kernelINS0_14default_configENS1_33run_length_encode_config_selectorIdjNS0_4plusIjEEEEZZNS1_33reduce_by_key_impl_wrapped_configILNS1_25lookback_scan_determinismE0ES3_S7_PKdNS0_17constant_iteratorIjlEEPdPlSF_S6_NS0_8equal_toIdEEEE10hipError_tPvRmT2_T3_mT4_T5_T6_T7_T8_P12ihipStream_tbENKUlT_T0_E_clISt17integral_constantIbLb1EESZ_EEDaSU_SV_EUlSU_E_NS1_11comp_targetILNS1_3genE4ELNS1_11target_archE910ELNS1_3gpuE8ELNS1_3repE0EEENS1_30default_config_static_selectorELNS0_4arch9wavefront6targetE0EEEvT1_,"axG",@progbits,_ZN7rocprim17ROCPRIM_400000_NS6detail17trampoline_kernelINS0_14default_configENS1_33run_length_encode_config_selectorIdjNS0_4plusIjEEEEZZNS1_33reduce_by_key_impl_wrapped_configILNS1_25lookback_scan_determinismE0ES3_S7_PKdNS0_17constant_iteratorIjlEEPdPlSF_S6_NS0_8equal_toIdEEEE10hipError_tPvRmT2_T3_mT4_T5_T6_T7_T8_P12ihipStream_tbENKUlT_T0_E_clISt17integral_constantIbLb1EESZ_EEDaSU_SV_EUlSU_E_NS1_11comp_targetILNS1_3genE4ELNS1_11target_archE910ELNS1_3gpuE8ELNS1_3repE0EEENS1_30default_config_static_selectorELNS0_4arch9wavefront6targetE0EEEvT1_,comdat
	.protected	_ZN7rocprim17ROCPRIM_400000_NS6detail17trampoline_kernelINS0_14default_configENS1_33run_length_encode_config_selectorIdjNS0_4plusIjEEEEZZNS1_33reduce_by_key_impl_wrapped_configILNS1_25lookback_scan_determinismE0ES3_S7_PKdNS0_17constant_iteratorIjlEEPdPlSF_S6_NS0_8equal_toIdEEEE10hipError_tPvRmT2_T3_mT4_T5_T6_T7_T8_P12ihipStream_tbENKUlT_T0_E_clISt17integral_constantIbLb1EESZ_EEDaSU_SV_EUlSU_E_NS1_11comp_targetILNS1_3genE4ELNS1_11target_archE910ELNS1_3gpuE8ELNS1_3repE0EEENS1_30default_config_static_selectorELNS0_4arch9wavefront6targetE0EEEvT1_ ; -- Begin function _ZN7rocprim17ROCPRIM_400000_NS6detail17trampoline_kernelINS0_14default_configENS1_33run_length_encode_config_selectorIdjNS0_4plusIjEEEEZZNS1_33reduce_by_key_impl_wrapped_configILNS1_25lookback_scan_determinismE0ES3_S7_PKdNS0_17constant_iteratorIjlEEPdPlSF_S6_NS0_8equal_toIdEEEE10hipError_tPvRmT2_T3_mT4_T5_T6_T7_T8_P12ihipStream_tbENKUlT_T0_E_clISt17integral_constantIbLb1EESZ_EEDaSU_SV_EUlSU_E_NS1_11comp_targetILNS1_3genE4ELNS1_11target_archE910ELNS1_3gpuE8ELNS1_3repE0EEENS1_30default_config_static_selectorELNS0_4arch9wavefront6targetE0EEEvT1_
	.globl	_ZN7rocprim17ROCPRIM_400000_NS6detail17trampoline_kernelINS0_14default_configENS1_33run_length_encode_config_selectorIdjNS0_4plusIjEEEEZZNS1_33reduce_by_key_impl_wrapped_configILNS1_25lookback_scan_determinismE0ES3_S7_PKdNS0_17constant_iteratorIjlEEPdPlSF_S6_NS0_8equal_toIdEEEE10hipError_tPvRmT2_T3_mT4_T5_T6_T7_T8_P12ihipStream_tbENKUlT_T0_E_clISt17integral_constantIbLb1EESZ_EEDaSU_SV_EUlSU_E_NS1_11comp_targetILNS1_3genE4ELNS1_11target_archE910ELNS1_3gpuE8ELNS1_3repE0EEENS1_30default_config_static_selectorELNS0_4arch9wavefront6targetE0EEEvT1_
	.p2align	8
	.type	_ZN7rocprim17ROCPRIM_400000_NS6detail17trampoline_kernelINS0_14default_configENS1_33run_length_encode_config_selectorIdjNS0_4plusIjEEEEZZNS1_33reduce_by_key_impl_wrapped_configILNS1_25lookback_scan_determinismE0ES3_S7_PKdNS0_17constant_iteratorIjlEEPdPlSF_S6_NS0_8equal_toIdEEEE10hipError_tPvRmT2_T3_mT4_T5_T6_T7_T8_P12ihipStream_tbENKUlT_T0_E_clISt17integral_constantIbLb1EESZ_EEDaSU_SV_EUlSU_E_NS1_11comp_targetILNS1_3genE4ELNS1_11target_archE910ELNS1_3gpuE8ELNS1_3repE0EEENS1_30default_config_static_selectorELNS0_4arch9wavefront6targetE0EEEvT1_,@function
_ZN7rocprim17ROCPRIM_400000_NS6detail17trampoline_kernelINS0_14default_configENS1_33run_length_encode_config_selectorIdjNS0_4plusIjEEEEZZNS1_33reduce_by_key_impl_wrapped_configILNS1_25lookback_scan_determinismE0ES3_S7_PKdNS0_17constant_iteratorIjlEEPdPlSF_S6_NS0_8equal_toIdEEEE10hipError_tPvRmT2_T3_mT4_T5_T6_T7_T8_P12ihipStream_tbENKUlT_T0_E_clISt17integral_constantIbLb1EESZ_EEDaSU_SV_EUlSU_E_NS1_11comp_targetILNS1_3genE4ELNS1_11target_archE910ELNS1_3gpuE8ELNS1_3repE0EEENS1_30default_config_static_selectorELNS0_4arch9wavefront6targetE0EEEvT1_: ; @_ZN7rocprim17ROCPRIM_400000_NS6detail17trampoline_kernelINS0_14default_configENS1_33run_length_encode_config_selectorIdjNS0_4plusIjEEEEZZNS1_33reduce_by_key_impl_wrapped_configILNS1_25lookback_scan_determinismE0ES3_S7_PKdNS0_17constant_iteratorIjlEEPdPlSF_S6_NS0_8equal_toIdEEEE10hipError_tPvRmT2_T3_mT4_T5_T6_T7_T8_P12ihipStream_tbENKUlT_T0_E_clISt17integral_constantIbLb1EESZ_EEDaSU_SV_EUlSU_E_NS1_11comp_targetILNS1_3genE4ELNS1_11target_archE910ELNS1_3gpuE8ELNS1_3repE0EEENS1_30default_config_static_selectorELNS0_4arch9wavefront6targetE0EEEvT1_
; %bb.0:
	.section	.rodata,"a",@progbits
	.p2align	6, 0x0
	.amdhsa_kernel _ZN7rocprim17ROCPRIM_400000_NS6detail17trampoline_kernelINS0_14default_configENS1_33run_length_encode_config_selectorIdjNS0_4plusIjEEEEZZNS1_33reduce_by_key_impl_wrapped_configILNS1_25lookback_scan_determinismE0ES3_S7_PKdNS0_17constant_iteratorIjlEEPdPlSF_S6_NS0_8equal_toIdEEEE10hipError_tPvRmT2_T3_mT4_T5_T6_T7_T8_P12ihipStream_tbENKUlT_T0_E_clISt17integral_constantIbLb1EESZ_EEDaSU_SV_EUlSU_E_NS1_11comp_targetILNS1_3genE4ELNS1_11target_archE910ELNS1_3gpuE8ELNS1_3repE0EEENS1_30default_config_static_selectorELNS0_4arch9wavefront6targetE0EEEvT1_
		.amdhsa_group_segment_fixed_size 0
		.amdhsa_private_segment_fixed_size 0
		.amdhsa_kernarg_size 128
		.amdhsa_user_sgpr_count 2
		.amdhsa_user_sgpr_dispatch_ptr 0
		.amdhsa_user_sgpr_queue_ptr 0
		.amdhsa_user_sgpr_kernarg_segment_ptr 1
		.amdhsa_user_sgpr_dispatch_id 0
		.amdhsa_user_sgpr_kernarg_preload_length 0
		.amdhsa_user_sgpr_kernarg_preload_offset 0
		.amdhsa_user_sgpr_private_segment_size 0
		.amdhsa_wavefront_size32 1
		.amdhsa_uses_dynamic_stack 0
		.amdhsa_enable_private_segment 0
		.amdhsa_system_sgpr_workgroup_id_x 1
		.amdhsa_system_sgpr_workgroup_id_y 0
		.amdhsa_system_sgpr_workgroup_id_z 0
		.amdhsa_system_sgpr_workgroup_info 0
		.amdhsa_system_vgpr_workitem_id 0
		.amdhsa_next_free_vgpr 1
		.amdhsa_next_free_sgpr 1
		.amdhsa_named_barrier_count 0
		.amdhsa_reserve_vcc 0
		.amdhsa_float_round_mode_32 0
		.amdhsa_float_round_mode_16_64 0
		.amdhsa_float_denorm_mode_32 3
		.amdhsa_float_denorm_mode_16_64 3
		.amdhsa_fp16_overflow 0
		.amdhsa_memory_ordered 1
		.amdhsa_forward_progress 1
		.amdhsa_inst_pref_size 0
		.amdhsa_round_robin_scheduling 0
		.amdhsa_exception_fp_ieee_invalid_op 0
		.amdhsa_exception_fp_denorm_src 0
		.amdhsa_exception_fp_ieee_div_zero 0
		.amdhsa_exception_fp_ieee_overflow 0
		.amdhsa_exception_fp_ieee_underflow 0
		.amdhsa_exception_fp_ieee_inexact 0
		.amdhsa_exception_int_div_zero 0
	.end_amdhsa_kernel
	.section	.text._ZN7rocprim17ROCPRIM_400000_NS6detail17trampoline_kernelINS0_14default_configENS1_33run_length_encode_config_selectorIdjNS0_4plusIjEEEEZZNS1_33reduce_by_key_impl_wrapped_configILNS1_25lookback_scan_determinismE0ES3_S7_PKdNS0_17constant_iteratorIjlEEPdPlSF_S6_NS0_8equal_toIdEEEE10hipError_tPvRmT2_T3_mT4_T5_T6_T7_T8_P12ihipStream_tbENKUlT_T0_E_clISt17integral_constantIbLb1EESZ_EEDaSU_SV_EUlSU_E_NS1_11comp_targetILNS1_3genE4ELNS1_11target_archE910ELNS1_3gpuE8ELNS1_3repE0EEENS1_30default_config_static_selectorELNS0_4arch9wavefront6targetE0EEEvT1_,"axG",@progbits,_ZN7rocprim17ROCPRIM_400000_NS6detail17trampoline_kernelINS0_14default_configENS1_33run_length_encode_config_selectorIdjNS0_4plusIjEEEEZZNS1_33reduce_by_key_impl_wrapped_configILNS1_25lookback_scan_determinismE0ES3_S7_PKdNS0_17constant_iteratorIjlEEPdPlSF_S6_NS0_8equal_toIdEEEE10hipError_tPvRmT2_T3_mT4_T5_T6_T7_T8_P12ihipStream_tbENKUlT_T0_E_clISt17integral_constantIbLb1EESZ_EEDaSU_SV_EUlSU_E_NS1_11comp_targetILNS1_3genE4ELNS1_11target_archE910ELNS1_3gpuE8ELNS1_3repE0EEENS1_30default_config_static_selectorELNS0_4arch9wavefront6targetE0EEEvT1_,comdat
.Lfunc_end315:
	.size	_ZN7rocprim17ROCPRIM_400000_NS6detail17trampoline_kernelINS0_14default_configENS1_33run_length_encode_config_selectorIdjNS0_4plusIjEEEEZZNS1_33reduce_by_key_impl_wrapped_configILNS1_25lookback_scan_determinismE0ES3_S7_PKdNS0_17constant_iteratorIjlEEPdPlSF_S6_NS0_8equal_toIdEEEE10hipError_tPvRmT2_T3_mT4_T5_T6_T7_T8_P12ihipStream_tbENKUlT_T0_E_clISt17integral_constantIbLb1EESZ_EEDaSU_SV_EUlSU_E_NS1_11comp_targetILNS1_3genE4ELNS1_11target_archE910ELNS1_3gpuE8ELNS1_3repE0EEENS1_30default_config_static_selectorELNS0_4arch9wavefront6targetE0EEEvT1_, .Lfunc_end315-_ZN7rocprim17ROCPRIM_400000_NS6detail17trampoline_kernelINS0_14default_configENS1_33run_length_encode_config_selectorIdjNS0_4plusIjEEEEZZNS1_33reduce_by_key_impl_wrapped_configILNS1_25lookback_scan_determinismE0ES3_S7_PKdNS0_17constant_iteratorIjlEEPdPlSF_S6_NS0_8equal_toIdEEEE10hipError_tPvRmT2_T3_mT4_T5_T6_T7_T8_P12ihipStream_tbENKUlT_T0_E_clISt17integral_constantIbLb1EESZ_EEDaSU_SV_EUlSU_E_NS1_11comp_targetILNS1_3genE4ELNS1_11target_archE910ELNS1_3gpuE8ELNS1_3repE0EEENS1_30default_config_static_selectorELNS0_4arch9wavefront6targetE0EEEvT1_
                                        ; -- End function
	.set _ZN7rocprim17ROCPRIM_400000_NS6detail17trampoline_kernelINS0_14default_configENS1_33run_length_encode_config_selectorIdjNS0_4plusIjEEEEZZNS1_33reduce_by_key_impl_wrapped_configILNS1_25lookback_scan_determinismE0ES3_S7_PKdNS0_17constant_iteratorIjlEEPdPlSF_S6_NS0_8equal_toIdEEEE10hipError_tPvRmT2_T3_mT4_T5_T6_T7_T8_P12ihipStream_tbENKUlT_T0_E_clISt17integral_constantIbLb1EESZ_EEDaSU_SV_EUlSU_E_NS1_11comp_targetILNS1_3genE4ELNS1_11target_archE910ELNS1_3gpuE8ELNS1_3repE0EEENS1_30default_config_static_selectorELNS0_4arch9wavefront6targetE0EEEvT1_.num_vgpr, 0
	.set _ZN7rocprim17ROCPRIM_400000_NS6detail17trampoline_kernelINS0_14default_configENS1_33run_length_encode_config_selectorIdjNS0_4plusIjEEEEZZNS1_33reduce_by_key_impl_wrapped_configILNS1_25lookback_scan_determinismE0ES3_S7_PKdNS0_17constant_iteratorIjlEEPdPlSF_S6_NS0_8equal_toIdEEEE10hipError_tPvRmT2_T3_mT4_T5_T6_T7_T8_P12ihipStream_tbENKUlT_T0_E_clISt17integral_constantIbLb1EESZ_EEDaSU_SV_EUlSU_E_NS1_11comp_targetILNS1_3genE4ELNS1_11target_archE910ELNS1_3gpuE8ELNS1_3repE0EEENS1_30default_config_static_selectorELNS0_4arch9wavefront6targetE0EEEvT1_.num_agpr, 0
	.set _ZN7rocprim17ROCPRIM_400000_NS6detail17trampoline_kernelINS0_14default_configENS1_33run_length_encode_config_selectorIdjNS0_4plusIjEEEEZZNS1_33reduce_by_key_impl_wrapped_configILNS1_25lookback_scan_determinismE0ES3_S7_PKdNS0_17constant_iteratorIjlEEPdPlSF_S6_NS0_8equal_toIdEEEE10hipError_tPvRmT2_T3_mT4_T5_T6_T7_T8_P12ihipStream_tbENKUlT_T0_E_clISt17integral_constantIbLb1EESZ_EEDaSU_SV_EUlSU_E_NS1_11comp_targetILNS1_3genE4ELNS1_11target_archE910ELNS1_3gpuE8ELNS1_3repE0EEENS1_30default_config_static_selectorELNS0_4arch9wavefront6targetE0EEEvT1_.numbered_sgpr, 0
	.set _ZN7rocprim17ROCPRIM_400000_NS6detail17trampoline_kernelINS0_14default_configENS1_33run_length_encode_config_selectorIdjNS0_4plusIjEEEEZZNS1_33reduce_by_key_impl_wrapped_configILNS1_25lookback_scan_determinismE0ES3_S7_PKdNS0_17constant_iteratorIjlEEPdPlSF_S6_NS0_8equal_toIdEEEE10hipError_tPvRmT2_T3_mT4_T5_T6_T7_T8_P12ihipStream_tbENKUlT_T0_E_clISt17integral_constantIbLb1EESZ_EEDaSU_SV_EUlSU_E_NS1_11comp_targetILNS1_3genE4ELNS1_11target_archE910ELNS1_3gpuE8ELNS1_3repE0EEENS1_30default_config_static_selectorELNS0_4arch9wavefront6targetE0EEEvT1_.num_named_barrier, 0
	.set _ZN7rocprim17ROCPRIM_400000_NS6detail17trampoline_kernelINS0_14default_configENS1_33run_length_encode_config_selectorIdjNS0_4plusIjEEEEZZNS1_33reduce_by_key_impl_wrapped_configILNS1_25lookback_scan_determinismE0ES3_S7_PKdNS0_17constant_iteratorIjlEEPdPlSF_S6_NS0_8equal_toIdEEEE10hipError_tPvRmT2_T3_mT4_T5_T6_T7_T8_P12ihipStream_tbENKUlT_T0_E_clISt17integral_constantIbLb1EESZ_EEDaSU_SV_EUlSU_E_NS1_11comp_targetILNS1_3genE4ELNS1_11target_archE910ELNS1_3gpuE8ELNS1_3repE0EEENS1_30default_config_static_selectorELNS0_4arch9wavefront6targetE0EEEvT1_.private_seg_size, 0
	.set _ZN7rocprim17ROCPRIM_400000_NS6detail17trampoline_kernelINS0_14default_configENS1_33run_length_encode_config_selectorIdjNS0_4plusIjEEEEZZNS1_33reduce_by_key_impl_wrapped_configILNS1_25lookback_scan_determinismE0ES3_S7_PKdNS0_17constant_iteratorIjlEEPdPlSF_S6_NS0_8equal_toIdEEEE10hipError_tPvRmT2_T3_mT4_T5_T6_T7_T8_P12ihipStream_tbENKUlT_T0_E_clISt17integral_constantIbLb1EESZ_EEDaSU_SV_EUlSU_E_NS1_11comp_targetILNS1_3genE4ELNS1_11target_archE910ELNS1_3gpuE8ELNS1_3repE0EEENS1_30default_config_static_selectorELNS0_4arch9wavefront6targetE0EEEvT1_.uses_vcc, 0
	.set _ZN7rocprim17ROCPRIM_400000_NS6detail17trampoline_kernelINS0_14default_configENS1_33run_length_encode_config_selectorIdjNS0_4plusIjEEEEZZNS1_33reduce_by_key_impl_wrapped_configILNS1_25lookback_scan_determinismE0ES3_S7_PKdNS0_17constant_iteratorIjlEEPdPlSF_S6_NS0_8equal_toIdEEEE10hipError_tPvRmT2_T3_mT4_T5_T6_T7_T8_P12ihipStream_tbENKUlT_T0_E_clISt17integral_constantIbLb1EESZ_EEDaSU_SV_EUlSU_E_NS1_11comp_targetILNS1_3genE4ELNS1_11target_archE910ELNS1_3gpuE8ELNS1_3repE0EEENS1_30default_config_static_selectorELNS0_4arch9wavefront6targetE0EEEvT1_.uses_flat_scratch, 0
	.set _ZN7rocprim17ROCPRIM_400000_NS6detail17trampoline_kernelINS0_14default_configENS1_33run_length_encode_config_selectorIdjNS0_4plusIjEEEEZZNS1_33reduce_by_key_impl_wrapped_configILNS1_25lookback_scan_determinismE0ES3_S7_PKdNS0_17constant_iteratorIjlEEPdPlSF_S6_NS0_8equal_toIdEEEE10hipError_tPvRmT2_T3_mT4_T5_T6_T7_T8_P12ihipStream_tbENKUlT_T0_E_clISt17integral_constantIbLb1EESZ_EEDaSU_SV_EUlSU_E_NS1_11comp_targetILNS1_3genE4ELNS1_11target_archE910ELNS1_3gpuE8ELNS1_3repE0EEENS1_30default_config_static_selectorELNS0_4arch9wavefront6targetE0EEEvT1_.has_dyn_sized_stack, 0
	.set _ZN7rocprim17ROCPRIM_400000_NS6detail17trampoline_kernelINS0_14default_configENS1_33run_length_encode_config_selectorIdjNS0_4plusIjEEEEZZNS1_33reduce_by_key_impl_wrapped_configILNS1_25lookback_scan_determinismE0ES3_S7_PKdNS0_17constant_iteratorIjlEEPdPlSF_S6_NS0_8equal_toIdEEEE10hipError_tPvRmT2_T3_mT4_T5_T6_T7_T8_P12ihipStream_tbENKUlT_T0_E_clISt17integral_constantIbLb1EESZ_EEDaSU_SV_EUlSU_E_NS1_11comp_targetILNS1_3genE4ELNS1_11target_archE910ELNS1_3gpuE8ELNS1_3repE0EEENS1_30default_config_static_selectorELNS0_4arch9wavefront6targetE0EEEvT1_.has_recursion, 0
	.set _ZN7rocprim17ROCPRIM_400000_NS6detail17trampoline_kernelINS0_14default_configENS1_33run_length_encode_config_selectorIdjNS0_4plusIjEEEEZZNS1_33reduce_by_key_impl_wrapped_configILNS1_25lookback_scan_determinismE0ES3_S7_PKdNS0_17constant_iteratorIjlEEPdPlSF_S6_NS0_8equal_toIdEEEE10hipError_tPvRmT2_T3_mT4_T5_T6_T7_T8_P12ihipStream_tbENKUlT_T0_E_clISt17integral_constantIbLb1EESZ_EEDaSU_SV_EUlSU_E_NS1_11comp_targetILNS1_3genE4ELNS1_11target_archE910ELNS1_3gpuE8ELNS1_3repE0EEENS1_30default_config_static_selectorELNS0_4arch9wavefront6targetE0EEEvT1_.has_indirect_call, 0
	.section	.AMDGPU.csdata,"",@progbits
; Kernel info:
; codeLenInByte = 0
; TotalNumSgprs: 0
; NumVgprs: 0
; ScratchSize: 0
; MemoryBound: 0
; FloatMode: 240
; IeeeMode: 1
; LDSByteSize: 0 bytes/workgroup (compile time only)
; SGPRBlocks: 0
; VGPRBlocks: 0
; NumSGPRsForWavesPerEU: 1
; NumVGPRsForWavesPerEU: 1
; NamedBarCnt: 0
; Occupancy: 16
; WaveLimiterHint : 0
; COMPUTE_PGM_RSRC2:SCRATCH_EN: 0
; COMPUTE_PGM_RSRC2:USER_SGPR: 2
; COMPUTE_PGM_RSRC2:TRAP_HANDLER: 0
; COMPUTE_PGM_RSRC2:TGID_X_EN: 1
; COMPUTE_PGM_RSRC2:TGID_Y_EN: 0
; COMPUTE_PGM_RSRC2:TGID_Z_EN: 0
; COMPUTE_PGM_RSRC2:TIDIG_COMP_CNT: 0
	.section	.text._ZN7rocprim17ROCPRIM_400000_NS6detail17trampoline_kernelINS0_14default_configENS1_33run_length_encode_config_selectorIdjNS0_4plusIjEEEEZZNS1_33reduce_by_key_impl_wrapped_configILNS1_25lookback_scan_determinismE0ES3_S7_PKdNS0_17constant_iteratorIjlEEPdPlSF_S6_NS0_8equal_toIdEEEE10hipError_tPvRmT2_T3_mT4_T5_T6_T7_T8_P12ihipStream_tbENKUlT_T0_E_clISt17integral_constantIbLb1EESZ_EEDaSU_SV_EUlSU_E_NS1_11comp_targetILNS1_3genE3ELNS1_11target_archE908ELNS1_3gpuE7ELNS1_3repE0EEENS1_30default_config_static_selectorELNS0_4arch9wavefront6targetE0EEEvT1_,"axG",@progbits,_ZN7rocprim17ROCPRIM_400000_NS6detail17trampoline_kernelINS0_14default_configENS1_33run_length_encode_config_selectorIdjNS0_4plusIjEEEEZZNS1_33reduce_by_key_impl_wrapped_configILNS1_25lookback_scan_determinismE0ES3_S7_PKdNS0_17constant_iteratorIjlEEPdPlSF_S6_NS0_8equal_toIdEEEE10hipError_tPvRmT2_T3_mT4_T5_T6_T7_T8_P12ihipStream_tbENKUlT_T0_E_clISt17integral_constantIbLb1EESZ_EEDaSU_SV_EUlSU_E_NS1_11comp_targetILNS1_3genE3ELNS1_11target_archE908ELNS1_3gpuE7ELNS1_3repE0EEENS1_30default_config_static_selectorELNS0_4arch9wavefront6targetE0EEEvT1_,comdat
	.protected	_ZN7rocprim17ROCPRIM_400000_NS6detail17trampoline_kernelINS0_14default_configENS1_33run_length_encode_config_selectorIdjNS0_4plusIjEEEEZZNS1_33reduce_by_key_impl_wrapped_configILNS1_25lookback_scan_determinismE0ES3_S7_PKdNS0_17constant_iteratorIjlEEPdPlSF_S6_NS0_8equal_toIdEEEE10hipError_tPvRmT2_T3_mT4_T5_T6_T7_T8_P12ihipStream_tbENKUlT_T0_E_clISt17integral_constantIbLb1EESZ_EEDaSU_SV_EUlSU_E_NS1_11comp_targetILNS1_3genE3ELNS1_11target_archE908ELNS1_3gpuE7ELNS1_3repE0EEENS1_30default_config_static_selectorELNS0_4arch9wavefront6targetE0EEEvT1_ ; -- Begin function _ZN7rocprim17ROCPRIM_400000_NS6detail17trampoline_kernelINS0_14default_configENS1_33run_length_encode_config_selectorIdjNS0_4plusIjEEEEZZNS1_33reduce_by_key_impl_wrapped_configILNS1_25lookback_scan_determinismE0ES3_S7_PKdNS0_17constant_iteratorIjlEEPdPlSF_S6_NS0_8equal_toIdEEEE10hipError_tPvRmT2_T3_mT4_T5_T6_T7_T8_P12ihipStream_tbENKUlT_T0_E_clISt17integral_constantIbLb1EESZ_EEDaSU_SV_EUlSU_E_NS1_11comp_targetILNS1_3genE3ELNS1_11target_archE908ELNS1_3gpuE7ELNS1_3repE0EEENS1_30default_config_static_selectorELNS0_4arch9wavefront6targetE0EEEvT1_
	.globl	_ZN7rocprim17ROCPRIM_400000_NS6detail17trampoline_kernelINS0_14default_configENS1_33run_length_encode_config_selectorIdjNS0_4plusIjEEEEZZNS1_33reduce_by_key_impl_wrapped_configILNS1_25lookback_scan_determinismE0ES3_S7_PKdNS0_17constant_iteratorIjlEEPdPlSF_S6_NS0_8equal_toIdEEEE10hipError_tPvRmT2_T3_mT4_T5_T6_T7_T8_P12ihipStream_tbENKUlT_T0_E_clISt17integral_constantIbLb1EESZ_EEDaSU_SV_EUlSU_E_NS1_11comp_targetILNS1_3genE3ELNS1_11target_archE908ELNS1_3gpuE7ELNS1_3repE0EEENS1_30default_config_static_selectorELNS0_4arch9wavefront6targetE0EEEvT1_
	.p2align	8
	.type	_ZN7rocprim17ROCPRIM_400000_NS6detail17trampoline_kernelINS0_14default_configENS1_33run_length_encode_config_selectorIdjNS0_4plusIjEEEEZZNS1_33reduce_by_key_impl_wrapped_configILNS1_25lookback_scan_determinismE0ES3_S7_PKdNS0_17constant_iteratorIjlEEPdPlSF_S6_NS0_8equal_toIdEEEE10hipError_tPvRmT2_T3_mT4_T5_T6_T7_T8_P12ihipStream_tbENKUlT_T0_E_clISt17integral_constantIbLb1EESZ_EEDaSU_SV_EUlSU_E_NS1_11comp_targetILNS1_3genE3ELNS1_11target_archE908ELNS1_3gpuE7ELNS1_3repE0EEENS1_30default_config_static_selectorELNS0_4arch9wavefront6targetE0EEEvT1_,@function
_ZN7rocprim17ROCPRIM_400000_NS6detail17trampoline_kernelINS0_14default_configENS1_33run_length_encode_config_selectorIdjNS0_4plusIjEEEEZZNS1_33reduce_by_key_impl_wrapped_configILNS1_25lookback_scan_determinismE0ES3_S7_PKdNS0_17constant_iteratorIjlEEPdPlSF_S6_NS0_8equal_toIdEEEE10hipError_tPvRmT2_T3_mT4_T5_T6_T7_T8_P12ihipStream_tbENKUlT_T0_E_clISt17integral_constantIbLb1EESZ_EEDaSU_SV_EUlSU_E_NS1_11comp_targetILNS1_3genE3ELNS1_11target_archE908ELNS1_3gpuE7ELNS1_3repE0EEENS1_30default_config_static_selectorELNS0_4arch9wavefront6targetE0EEEvT1_: ; @_ZN7rocprim17ROCPRIM_400000_NS6detail17trampoline_kernelINS0_14default_configENS1_33run_length_encode_config_selectorIdjNS0_4plusIjEEEEZZNS1_33reduce_by_key_impl_wrapped_configILNS1_25lookback_scan_determinismE0ES3_S7_PKdNS0_17constant_iteratorIjlEEPdPlSF_S6_NS0_8equal_toIdEEEE10hipError_tPvRmT2_T3_mT4_T5_T6_T7_T8_P12ihipStream_tbENKUlT_T0_E_clISt17integral_constantIbLb1EESZ_EEDaSU_SV_EUlSU_E_NS1_11comp_targetILNS1_3genE3ELNS1_11target_archE908ELNS1_3gpuE7ELNS1_3repE0EEENS1_30default_config_static_selectorELNS0_4arch9wavefront6targetE0EEEvT1_
; %bb.0:
	.section	.rodata,"a",@progbits
	.p2align	6, 0x0
	.amdhsa_kernel _ZN7rocprim17ROCPRIM_400000_NS6detail17trampoline_kernelINS0_14default_configENS1_33run_length_encode_config_selectorIdjNS0_4plusIjEEEEZZNS1_33reduce_by_key_impl_wrapped_configILNS1_25lookback_scan_determinismE0ES3_S7_PKdNS0_17constant_iteratorIjlEEPdPlSF_S6_NS0_8equal_toIdEEEE10hipError_tPvRmT2_T3_mT4_T5_T6_T7_T8_P12ihipStream_tbENKUlT_T0_E_clISt17integral_constantIbLb1EESZ_EEDaSU_SV_EUlSU_E_NS1_11comp_targetILNS1_3genE3ELNS1_11target_archE908ELNS1_3gpuE7ELNS1_3repE0EEENS1_30default_config_static_selectorELNS0_4arch9wavefront6targetE0EEEvT1_
		.amdhsa_group_segment_fixed_size 0
		.amdhsa_private_segment_fixed_size 0
		.amdhsa_kernarg_size 128
		.amdhsa_user_sgpr_count 2
		.amdhsa_user_sgpr_dispatch_ptr 0
		.amdhsa_user_sgpr_queue_ptr 0
		.amdhsa_user_sgpr_kernarg_segment_ptr 1
		.amdhsa_user_sgpr_dispatch_id 0
		.amdhsa_user_sgpr_kernarg_preload_length 0
		.amdhsa_user_sgpr_kernarg_preload_offset 0
		.amdhsa_user_sgpr_private_segment_size 0
		.amdhsa_wavefront_size32 1
		.amdhsa_uses_dynamic_stack 0
		.amdhsa_enable_private_segment 0
		.amdhsa_system_sgpr_workgroup_id_x 1
		.amdhsa_system_sgpr_workgroup_id_y 0
		.amdhsa_system_sgpr_workgroup_id_z 0
		.amdhsa_system_sgpr_workgroup_info 0
		.amdhsa_system_vgpr_workitem_id 0
		.amdhsa_next_free_vgpr 1
		.amdhsa_next_free_sgpr 1
		.amdhsa_named_barrier_count 0
		.amdhsa_reserve_vcc 0
		.amdhsa_float_round_mode_32 0
		.amdhsa_float_round_mode_16_64 0
		.amdhsa_float_denorm_mode_32 3
		.amdhsa_float_denorm_mode_16_64 3
		.amdhsa_fp16_overflow 0
		.amdhsa_memory_ordered 1
		.amdhsa_forward_progress 1
		.amdhsa_inst_pref_size 0
		.amdhsa_round_robin_scheduling 0
		.amdhsa_exception_fp_ieee_invalid_op 0
		.amdhsa_exception_fp_denorm_src 0
		.amdhsa_exception_fp_ieee_div_zero 0
		.amdhsa_exception_fp_ieee_overflow 0
		.amdhsa_exception_fp_ieee_underflow 0
		.amdhsa_exception_fp_ieee_inexact 0
		.amdhsa_exception_int_div_zero 0
	.end_amdhsa_kernel
	.section	.text._ZN7rocprim17ROCPRIM_400000_NS6detail17trampoline_kernelINS0_14default_configENS1_33run_length_encode_config_selectorIdjNS0_4plusIjEEEEZZNS1_33reduce_by_key_impl_wrapped_configILNS1_25lookback_scan_determinismE0ES3_S7_PKdNS0_17constant_iteratorIjlEEPdPlSF_S6_NS0_8equal_toIdEEEE10hipError_tPvRmT2_T3_mT4_T5_T6_T7_T8_P12ihipStream_tbENKUlT_T0_E_clISt17integral_constantIbLb1EESZ_EEDaSU_SV_EUlSU_E_NS1_11comp_targetILNS1_3genE3ELNS1_11target_archE908ELNS1_3gpuE7ELNS1_3repE0EEENS1_30default_config_static_selectorELNS0_4arch9wavefront6targetE0EEEvT1_,"axG",@progbits,_ZN7rocprim17ROCPRIM_400000_NS6detail17trampoline_kernelINS0_14default_configENS1_33run_length_encode_config_selectorIdjNS0_4plusIjEEEEZZNS1_33reduce_by_key_impl_wrapped_configILNS1_25lookback_scan_determinismE0ES3_S7_PKdNS0_17constant_iteratorIjlEEPdPlSF_S6_NS0_8equal_toIdEEEE10hipError_tPvRmT2_T3_mT4_T5_T6_T7_T8_P12ihipStream_tbENKUlT_T0_E_clISt17integral_constantIbLb1EESZ_EEDaSU_SV_EUlSU_E_NS1_11comp_targetILNS1_3genE3ELNS1_11target_archE908ELNS1_3gpuE7ELNS1_3repE0EEENS1_30default_config_static_selectorELNS0_4arch9wavefront6targetE0EEEvT1_,comdat
.Lfunc_end316:
	.size	_ZN7rocprim17ROCPRIM_400000_NS6detail17trampoline_kernelINS0_14default_configENS1_33run_length_encode_config_selectorIdjNS0_4plusIjEEEEZZNS1_33reduce_by_key_impl_wrapped_configILNS1_25lookback_scan_determinismE0ES3_S7_PKdNS0_17constant_iteratorIjlEEPdPlSF_S6_NS0_8equal_toIdEEEE10hipError_tPvRmT2_T3_mT4_T5_T6_T7_T8_P12ihipStream_tbENKUlT_T0_E_clISt17integral_constantIbLb1EESZ_EEDaSU_SV_EUlSU_E_NS1_11comp_targetILNS1_3genE3ELNS1_11target_archE908ELNS1_3gpuE7ELNS1_3repE0EEENS1_30default_config_static_selectorELNS0_4arch9wavefront6targetE0EEEvT1_, .Lfunc_end316-_ZN7rocprim17ROCPRIM_400000_NS6detail17trampoline_kernelINS0_14default_configENS1_33run_length_encode_config_selectorIdjNS0_4plusIjEEEEZZNS1_33reduce_by_key_impl_wrapped_configILNS1_25lookback_scan_determinismE0ES3_S7_PKdNS0_17constant_iteratorIjlEEPdPlSF_S6_NS0_8equal_toIdEEEE10hipError_tPvRmT2_T3_mT4_T5_T6_T7_T8_P12ihipStream_tbENKUlT_T0_E_clISt17integral_constantIbLb1EESZ_EEDaSU_SV_EUlSU_E_NS1_11comp_targetILNS1_3genE3ELNS1_11target_archE908ELNS1_3gpuE7ELNS1_3repE0EEENS1_30default_config_static_selectorELNS0_4arch9wavefront6targetE0EEEvT1_
                                        ; -- End function
	.set _ZN7rocprim17ROCPRIM_400000_NS6detail17trampoline_kernelINS0_14default_configENS1_33run_length_encode_config_selectorIdjNS0_4plusIjEEEEZZNS1_33reduce_by_key_impl_wrapped_configILNS1_25lookback_scan_determinismE0ES3_S7_PKdNS0_17constant_iteratorIjlEEPdPlSF_S6_NS0_8equal_toIdEEEE10hipError_tPvRmT2_T3_mT4_T5_T6_T7_T8_P12ihipStream_tbENKUlT_T0_E_clISt17integral_constantIbLb1EESZ_EEDaSU_SV_EUlSU_E_NS1_11comp_targetILNS1_3genE3ELNS1_11target_archE908ELNS1_3gpuE7ELNS1_3repE0EEENS1_30default_config_static_selectorELNS0_4arch9wavefront6targetE0EEEvT1_.num_vgpr, 0
	.set _ZN7rocprim17ROCPRIM_400000_NS6detail17trampoline_kernelINS0_14default_configENS1_33run_length_encode_config_selectorIdjNS0_4plusIjEEEEZZNS1_33reduce_by_key_impl_wrapped_configILNS1_25lookback_scan_determinismE0ES3_S7_PKdNS0_17constant_iteratorIjlEEPdPlSF_S6_NS0_8equal_toIdEEEE10hipError_tPvRmT2_T3_mT4_T5_T6_T7_T8_P12ihipStream_tbENKUlT_T0_E_clISt17integral_constantIbLb1EESZ_EEDaSU_SV_EUlSU_E_NS1_11comp_targetILNS1_3genE3ELNS1_11target_archE908ELNS1_3gpuE7ELNS1_3repE0EEENS1_30default_config_static_selectorELNS0_4arch9wavefront6targetE0EEEvT1_.num_agpr, 0
	.set _ZN7rocprim17ROCPRIM_400000_NS6detail17trampoline_kernelINS0_14default_configENS1_33run_length_encode_config_selectorIdjNS0_4plusIjEEEEZZNS1_33reduce_by_key_impl_wrapped_configILNS1_25lookback_scan_determinismE0ES3_S7_PKdNS0_17constant_iteratorIjlEEPdPlSF_S6_NS0_8equal_toIdEEEE10hipError_tPvRmT2_T3_mT4_T5_T6_T7_T8_P12ihipStream_tbENKUlT_T0_E_clISt17integral_constantIbLb1EESZ_EEDaSU_SV_EUlSU_E_NS1_11comp_targetILNS1_3genE3ELNS1_11target_archE908ELNS1_3gpuE7ELNS1_3repE0EEENS1_30default_config_static_selectorELNS0_4arch9wavefront6targetE0EEEvT1_.numbered_sgpr, 0
	.set _ZN7rocprim17ROCPRIM_400000_NS6detail17trampoline_kernelINS0_14default_configENS1_33run_length_encode_config_selectorIdjNS0_4plusIjEEEEZZNS1_33reduce_by_key_impl_wrapped_configILNS1_25lookback_scan_determinismE0ES3_S7_PKdNS0_17constant_iteratorIjlEEPdPlSF_S6_NS0_8equal_toIdEEEE10hipError_tPvRmT2_T3_mT4_T5_T6_T7_T8_P12ihipStream_tbENKUlT_T0_E_clISt17integral_constantIbLb1EESZ_EEDaSU_SV_EUlSU_E_NS1_11comp_targetILNS1_3genE3ELNS1_11target_archE908ELNS1_3gpuE7ELNS1_3repE0EEENS1_30default_config_static_selectorELNS0_4arch9wavefront6targetE0EEEvT1_.num_named_barrier, 0
	.set _ZN7rocprim17ROCPRIM_400000_NS6detail17trampoline_kernelINS0_14default_configENS1_33run_length_encode_config_selectorIdjNS0_4plusIjEEEEZZNS1_33reduce_by_key_impl_wrapped_configILNS1_25lookback_scan_determinismE0ES3_S7_PKdNS0_17constant_iteratorIjlEEPdPlSF_S6_NS0_8equal_toIdEEEE10hipError_tPvRmT2_T3_mT4_T5_T6_T7_T8_P12ihipStream_tbENKUlT_T0_E_clISt17integral_constantIbLb1EESZ_EEDaSU_SV_EUlSU_E_NS1_11comp_targetILNS1_3genE3ELNS1_11target_archE908ELNS1_3gpuE7ELNS1_3repE0EEENS1_30default_config_static_selectorELNS0_4arch9wavefront6targetE0EEEvT1_.private_seg_size, 0
	.set _ZN7rocprim17ROCPRIM_400000_NS6detail17trampoline_kernelINS0_14default_configENS1_33run_length_encode_config_selectorIdjNS0_4plusIjEEEEZZNS1_33reduce_by_key_impl_wrapped_configILNS1_25lookback_scan_determinismE0ES3_S7_PKdNS0_17constant_iteratorIjlEEPdPlSF_S6_NS0_8equal_toIdEEEE10hipError_tPvRmT2_T3_mT4_T5_T6_T7_T8_P12ihipStream_tbENKUlT_T0_E_clISt17integral_constantIbLb1EESZ_EEDaSU_SV_EUlSU_E_NS1_11comp_targetILNS1_3genE3ELNS1_11target_archE908ELNS1_3gpuE7ELNS1_3repE0EEENS1_30default_config_static_selectorELNS0_4arch9wavefront6targetE0EEEvT1_.uses_vcc, 0
	.set _ZN7rocprim17ROCPRIM_400000_NS6detail17trampoline_kernelINS0_14default_configENS1_33run_length_encode_config_selectorIdjNS0_4plusIjEEEEZZNS1_33reduce_by_key_impl_wrapped_configILNS1_25lookback_scan_determinismE0ES3_S7_PKdNS0_17constant_iteratorIjlEEPdPlSF_S6_NS0_8equal_toIdEEEE10hipError_tPvRmT2_T3_mT4_T5_T6_T7_T8_P12ihipStream_tbENKUlT_T0_E_clISt17integral_constantIbLb1EESZ_EEDaSU_SV_EUlSU_E_NS1_11comp_targetILNS1_3genE3ELNS1_11target_archE908ELNS1_3gpuE7ELNS1_3repE0EEENS1_30default_config_static_selectorELNS0_4arch9wavefront6targetE0EEEvT1_.uses_flat_scratch, 0
	.set _ZN7rocprim17ROCPRIM_400000_NS6detail17trampoline_kernelINS0_14default_configENS1_33run_length_encode_config_selectorIdjNS0_4plusIjEEEEZZNS1_33reduce_by_key_impl_wrapped_configILNS1_25lookback_scan_determinismE0ES3_S7_PKdNS0_17constant_iteratorIjlEEPdPlSF_S6_NS0_8equal_toIdEEEE10hipError_tPvRmT2_T3_mT4_T5_T6_T7_T8_P12ihipStream_tbENKUlT_T0_E_clISt17integral_constantIbLb1EESZ_EEDaSU_SV_EUlSU_E_NS1_11comp_targetILNS1_3genE3ELNS1_11target_archE908ELNS1_3gpuE7ELNS1_3repE0EEENS1_30default_config_static_selectorELNS0_4arch9wavefront6targetE0EEEvT1_.has_dyn_sized_stack, 0
	.set _ZN7rocprim17ROCPRIM_400000_NS6detail17trampoline_kernelINS0_14default_configENS1_33run_length_encode_config_selectorIdjNS0_4plusIjEEEEZZNS1_33reduce_by_key_impl_wrapped_configILNS1_25lookback_scan_determinismE0ES3_S7_PKdNS0_17constant_iteratorIjlEEPdPlSF_S6_NS0_8equal_toIdEEEE10hipError_tPvRmT2_T3_mT4_T5_T6_T7_T8_P12ihipStream_tbENKUlT_T0_E_clISt17integral_constantIbLb1EESZ_EEDaSU_SV_EUlSU_E_NS1_11comp_targetILNS1_3genE3ELNS1_11target_archE908ELNS1_3gpuE7ELNS1_3repE0EEENS1_30default_config_static_selectorELNS0_4arch9wavefront6targetE0EEEvT1_.has_recursion, 0
	.set _ZN7rocprim17ROCPRIM_400000_NS6detail17trampoline_kernelINS0_14default_configENS1_33run_length_encode_config_selectorIdjNS0_4plusIjEEEEZZNS1_33reduce_by_key_impl_wrapped_configILNS1_25lookback_scan_determinismE0ES3_S7_PKdNS0_17constant_iteratorIjlEEPdPlSF_S6_NS0_8equal_toIdEEEE10hipError_tPvRmT2_T3_mT4_T5_T6_T7_T8_P12ihipStream_tbENKUlT_T0_E_clISt17integral_constantIbLb1EESZ_EEDaSU_SV_EUlSU_E_NS1_11comp_targetILNS1_3genE3ELNS1_11target_archE908ELNS1_3gpuE7ELNS1_3repE0EEENS1_30default_config_static_selectorELNS0_4arch9wavefront6targetE0EEEvT1_.has_indirect_call, 0
	.section	.AMDGPU.csdata,"",@progbits
; Kernel info:
; codeLenInByte = 0
; TotalNumSgprs: 0
; NumVgprs: 0
; ScratchSize: 0
; MemoryBound: 0
; FloatMode: 240
; IeeeMode: 1
; LDSByteSize: 0 bytes/workgroup (compile time only)
; SGPRBlocks: 0
; VGPRBlocks: 0
; NumSGPRsForWavesPerEU: 1
; NumVGPRsForWavesPerEU: 1
; NamedBarCnt: 0
; Occupancy: 16
; WaveLimiterHint : 0
; COMPUTE_PGM_RSRC2:SCRATCH_EN: 0
; COMPUTE_PGM_RSRC2:USER_SGPR: 2
; COMPUTE_PGM_RSRC2:TRAP_HANDLER: 0
; COMPUTE_PGM_RSRC2:TGID_X_EN: 1
; COMPUTE_PGM_RSRC2:TGID_Y_EN: 0
; COMPUTE_PGM_RSRC2:TGID_Z_EN: 0
; COMPUTE_PGM_RSRC2:TIDIG_COMP_CNT: 0
	.section	.text._ZN7rocprim17ROCPRIM_400000_NS6detail17trampoline_kernelINS0_14default_configENS1_33run_length_encode_config_selectorIdjNS0_4plusIjEEEEZZNS1_33reduce_by_key_impl_wrapped_configILNS1_25lookback_scan_determinismE0ES3_S7_PKdNS0_17constant_iteratorIjlEEPdPlSF_S6_NS0_8equal_toIdEEEE10hipError_tPvRmT2_T3_mT4_T5_T6_T7_T8_P12ihipStream_tbENKUlT_T0_E_clISt17integral_constantIbLb1EESZ_EEDaSU_SV_EUlSU_E_NS1_11comp_targetILNS1_3genE2ELNS1_11target_archE906ELNS1_3gpuE6ELNS1_3repE0EEENS1_30default_config_static_selectorELNS0_4arch9wavefront6targetE0EEEvT1_,"axG",@progbits,_ZN7rocprim17ROCPRIM_400000_NS6detail17trampoline_kernelINS0_14default_configENS1_33run_length_encode_config_selectorIdjNS0_4plusIjEEEEZZNS1_33reduce_by_key_impl_wrapped_configILNS1_25lookback_scan_determinismE0ES3_S7_PKdNS0_17constant_iteratorIjlEEPdPlSF_S6_NS0_8equal_toIdEEEE10hipError_tPvRmT2_T3_mT4_T5_T6_T7_T8_P12ihipStream_tbENKUlT_T0_E_clISt17integral_constantIbLb1EESZ_EEDaSU_SV_EUlSU_E_NS1_11comp_targetILNS1_3genE2ELNS1_11target_archE906ELNS1_3gpuE6ELNS1_3repE0EEENS1_30default_config_static_selectorELNS0_4arch9wavefront6targetE0EEEvT1_,comdat
	.protected	_ZN7rocprim17ROCPRIM_400000_NS6detail17trampoline_kernelINS0_14default_configENS1_33run_length_encode_config_selectorIdjNS0_4plusIjEEEEZZNS1_33reduce_by_key_impl_wrapped_configILNS1_25lookback_scan_determinismE0ES3_S7_PKdNS0_17constant_iteratorIjlEEPdPlSF_S6_NS0_8equal_toIdEEEE10hipError_tPvRmT2_T3_mT4_T5_T6_T7_T8_P12ihipStream_tbENKUlT_T0_E_clISt17integral_constantIbLb1EESZ_EEDaSU_SV_EUlSU_E_NS1_11comp_targetILNS1_3genE2ELNS1_11target_archE906ELNS1_3gpuE6ELNS1_3repE0EEENS1_30default_config_static_selectorELNS0_4arch9wavefront6targetE0EEEvT1_ ; -- Begin function _ZN7rocprim17ROCPRIM_400000_NS6detail17trampoline_kernelINS0_14default_configENS1_33run_length_encode_config_selectorIdjNS0_4plusIjEEEEZZNS1_33reduce_by_key_impl_wrapped_configILNS1_25lookback_scan_determinismE0ES3_S7_PKdNS0_17constant_iteratorIjlEEPdPlSF_S6_NS0_8equal_toIdEEEE10hipError_tPvRmT2_T3_mT4_T5_T6_T7_T8_P12ihipStream_tbENKUlT_T0_E_clISt17integral_constantIbLb1EESZ_EEDaSU_SV_EUlSU_E_NS1_11comp_targetILNS1_3genE2ELNS1_11target_archE906ELNS1_3gpuE6ELNS1_3repE0EEENS1_30default_config_static_selectorELNS0_4arch9wavefront6targetE0EEEvT1_
	.globl	_ZN7rocprim17ROCPRIM_400000_NS6detail17trampoline_kernelINS0_14default_configENS1_33run_length_encode_config_selectorIdjNS0_4plusIjEEEEZZNS1_33reduce_by_key_impl_wrapped_configILNS1_25lookback_scan_determinismE0ES3_S7_PKdNS0_17constant_iteratorIjlEEPdPlSF_S6_NS0_8equal_toIdEEEE10hipError_tPvRmT2_T3_mT4_T5_T6_T7_T8_P12ihipStream_tbENKUlT_T0_E_clISt17integral_constantIbLb1EESZ_EEDaSU_SV_EUlSU_E_NS1_11comp_targetILNS1_3genE2ELNS1_11target_archE906ELNS1_3gpuE6ELNS1_3repE0EEENS1_30default_config_static_selectorELNS0_4arch9wavefront6targetE0EEEvT1_
	.p2align	8
	.type	_ZN7rocprim17ROCPRIM_400000_NS6detail17trampoline_kernelINS0_14default_configENS1_33run_length_encode_config_selectorIdjNS0_4plusIjEEEEZZNS1_33reduce_by_key_impl_wrapped_configILNS1_25lookback_scan_determinismE0ES3_S7_PKdNS0_17constant_iteratorIjlEEPdPlSF_S6_NS0_8equal_toIdEEEE10hipError_tPvRmT2_T3_mT4_T5_T6_T7_T8_P12ihipStream_tbENKUlT_T0_E_clISt17integral_constantIbLb1EESZ_EEDaSU_SV_EUlSU_E_NS1_11comp_targetILNS1_3genE2ELNS1_11target_archE906ELNS1_3gpuE6ELNS1_3repE0EEENS1_30default_config_static_selectorELNS0_4arch9wavefront6targetE0EEEvT1_,@function
_ZN7rocprim17ROCPRIM_400000_NS6detail17trampoline_kernelINS0_14default_configENS1_33run_length_encode_config_selectorIdjNS0_4plusIjEEEEZZNS1_33reduce_by_key_impl_wrapped_configILNS1_25lookback_scan_determinismE0ES3_S7_PKdNS0_17constant_iteratorIjlEEPdPlSF_S6_NS0_8equal_toIdEEEE10hipError_tPvRmT2_T3_mT4_T5_T6_T7_T8_P12ihipStream_tbENKUlT_T0_E_clISt17integral_constantIbLb1EESZ_EEDaSU_SV_EUlSU_E_NS1_11comp_targetILNS1_3genE2ELNS1_11target_archE906ELNS1_3gpuE6ELNS1_3repE0EEENS1_30default_config_static_selectorELNS0_4arch9wavefront6targetE0EEEvT1_: ; @_ZN7rocprim17ROCPRIM_400000_NS6detail17trampoline_kernelINS0_14default_configENS1_33run_length_encode_config_selectorIdjNS0_4plusIjEEEEZZNS1_33reduce_by_key_impl_wrapped_configILNS1_25lookback_scan_determinismE0ES3_S7_PKdNS0_17constant_iteratorIjlEEPdPlSF_S6_NS0_8equal_toIdEEEE10hipError_tPvRmT2_T3_mT4_T5_T6_T7_T8_P12ihipStream_tbENKUlT_T0_E_clISt17integral_constantIbLb1EESZ_EEDaSU_SV_EUlSU_E_NS1_11comp_targetILNS1_3genE2ELNS1_11target_archE906ELNS1_3gpuE6ELNS1_3repE0EEENS1_30default_config_static_selectorELNS0_4arch9wavefront6targetE0EEEvT1_
; %bb.0:
	.section	.rodata,"a",@progbits
	.p2align	6, 0x0
	.amdhsa_kernel _ZN7rocprim17ROCPRIM_400000_NS6detail17trampoline_kernelINS0_14default_configENS1_33run_length_encode_config_selectorIdjNS0_4plusIjEEEEZZNS1_33reduce_by_key_impl_wrapped_configILNS1_25lookback_scan_determinismE0ES3_S7_PKdNS0_17constant_iteratorIjlEEPdPlSF_S6_NS0_8equal_toIdEEEE10hipError_tPvRmT2_T3_mT4_T5_T6_T7_T8_P12ihipStream_tbENKUlT_T0_E_clISt17integral_constantIbLb1EESZ_EEDaSU_SV_EUlSU_E_NS1_11comp_targetILNS1_3genE2ELNS1_11target_archE906ELNS1_3gpuE6ELNS1_3repE0EEENS1_30default_config_static_selectorELNS0_4arch9wavefront6targetE0EEEvT1_
		.amdhsa_group_segment_fixed_size 0
		.amdhsa_private_segment_fixed_size 0
		.amdhsa_kernarg_size 128
		.amdhsa_user_sgpr_count 2
		.amdhsa_user_sgpr_dispatch_ptr 0
		.amdhsa_user_sgpr_queue_ptr 0
		.amdhsa_user_sgpr_kernarg_segment_ptr 1
		.amdhsa_user_sgpr_dispatch_id 0
		.amdhsa_user_sgpr_kernarg_preload_length 0
		.amdhsa_user_sgpr_kernarg_preload_offset 0
		.amdhsa_user_sgpr_private_segment_size 0
		.amdhsa_wavefront_size32 1
		.amdhsa_uses_dynamic_stack 0
		.amdhsa_enable_private_segment 0
		.amdhsa_system_sgpr_workgroup_id_x 1
		.amdhsa_system_sgpr_workgroup_id_y 0
		.amdhsa_system_sgpr_workgroup_id_z 0
		.amdhsa_system_sgpr_workgroup_info 0
		.amdhsa_system_vgpr_workitem_id 0
		.amdhsa_next_free_vgpr 1
		.amdhsa_next_free_sgpr 1
		.amdhsa_named_barrier_count 0
		.amdhsa_reserve_vcc 0
		.amdhsa_float_round_mode_32 0
		.amdhsa_float_round_mode_16_64 0
		.amdhsa_float_denorm_mode_32 3
		.amdhsa_float_denorm_mode_16_64 3
		.amdhsa_fp16_overflow 0
		.amdhsa_memory_ordered 1
		.amdhsa_forward_progress 1
		.amdhsa_inst_pref_size 0
		.amdhsa_round_robin_scheduling 0
		.amdhsa_exception_fp_ieee_invalid_op 0
		.amdhsa_exception_fp_denorm_src 0
		.amdhsa_exception_fp_ieee_div_zero 0
		.amdhsa_exception_fp_ieee_overflow 0
		.amdhsa_exception_fp_ieee_underflow 0
		.amdhsa_exception_fp_ieee_inexact 0
		.amdhsa_exception_int_div_zero 0
	.end_amdhsa_kernel
	.section	.text._ZN7rocprim17ROCPRIM_400000_NS6detail17trampoline_kernelINS0_14default_configENS1_33run_length_encode_config_selectorIdjNS0_4plusIjEEEEZZNS1_33reduce_by_key_impl_wrapped_configILNS1_25lookback_scan_determinismE0ES3_S7_PKdNS0_17constant_iteratorIjlEEPdPlSF_S6_NS0_8equal_toIdEEEE10hipError_tPvRmT2_T3_mT4_T5_T6_T7_T8_P12ihipStream_tbENKUlT_T0_E_clISt17integral_constantIbLb1EESZ_EEDaSU_SV_EUlSU_E_NS1_11comp_targetILNS1_3genE2ELNS1_11target_archE906ELNS1_3gpuE6ELNS1_3repE0EEENS1_30default_config_static_selectorELNS0_4arch9wavefront6targetE0EEEvT1_,"axG",@progbits,_ZN7rocprim17ROCPRIM_400000_NS6detail17trampoline_kernelINS0_14default_configENS1_33run_length_encode_config_selectorIdjNS0_4plusIjEEEEZZNS1_33reduce_by_key_impl_wrapped_configILNS1_25lookback_scan_determinismE0ES3_S7_PKdNS0_17constant_iteratorIjlEEPdPlSF_S6_NS0_8equal_toIdEEEE10hipError_tPvRmT2_T3_mT4_T5_T6_T7_T8_P12ihipStream_tbENKUlT_T0_E_clISt17integral_constantIbLb1EESZ_EEDaSU_SV_EUlSU_E_NS1_11comp_targetILNS1_3genE2ELNS1_11target_archE906ELNS1_3gpuE6ELNS1_3repE0EEENS1_30default_config_static_selectorELNS0_4arch9wavefront6targetE0EEEvT1_,comdat
.Lfunc_end317:
	.size	_ZN7rocprim17ROCPRIM_400000_NS6detail17trampoline_kernelINS0_14default_configENS1_33run_length_encode_config_selectorIdjNS0_4plusIjEEEEZZNS1_33reduce_by_key_impl_wrapped_configILNS1_25lookback_scan_determinismE0ES3_S7_PKdNS0_17constant_iteratorIjlEEPdPlSF_S6_NS0_8equal_toIdEEEE10hipError_tPvRmT2_T3_mT4_T5_T6_T7_T8_P12ihipStream_tbENKUlT_T0_E_clISt17integral_constantIbLb1EESZ_EEDaSU_SV_EUlSU_E_NS1_11comp_targetILNS1_3genE2ELNS1_11target_archE906ELNS1_3gpuE6ELNS1_3repE0EEENS1_30default_config_static_selectorELNS0_4arch9wavefront6targetE0EEEvT1_, .Lfunc_end317-_ZN7rocprim17ROCPRIM_400000_NS6detail17trampoline_kernelINS0_14default_configENS1_33run_length_encode_config_selectorIdjNS0_4plusIjEEEEZZNS1_33reduce_by_key_impl_wrapped_configILNS1_25lookback_scan_determinismE0ES3_S7_PKdNS0_17constant_iteratorIjlEEPdPlSF_S6_NS0_8equal_toIdEEEE10hipError_tPvRmT2_T3_mT4_T5_T6_T7_T8_P12ihipStream_tbENKUlT_T0_E_clISt17integral_constantIbLb1EESZ_EEDaSU_SV_EUlSU_E_NS1_11comp_targetILNS1_3genE2ELNS1_11target_archE906ELNS1_3gpuE6ELNS1_3repE0EEENS1_30default_config_static_selectorELNS0_4arch9wavefront6targetE0EEEvT1_
                                        ; -- End function
	.set _ZN7rocprim17ROCPRIM_400000_NS6detail17trampoline_kernelINS0_14default_configENS1_33run_length_encode_config_selectorIdjNS0_4plusIjEEEEZZNS1_33reduce_by_key_impl_wrapped_configILNS1_25lookback_scan_determinismE0ES3_S7_PKdNS0_17constant_iteratorIjlEEPdPlSF_S6_NS0_8equal_toIdEEEE10hipError_tPvRmT2_T3_mT4_T5_T6_T7_T8_P12ihipStream_tbENKUlT_T0_E_clISt17integral_constantIbLb1EESZ_EEDaSU_SV_EUlSU_E_NS1_11comp_targetILNS1_3genE2ELNS1_11target_archE906ELNS1_3gpuE6ELNS1_3repE0EEENS1_30default_config_static_selectorELNS0_4arch9wavefront6targetE0EEEvT1_.num_vgpr, 0
	.set _ZN7rocprim17ROCPRIM_400000_NS6detail17trampoline_kernelINS0_14default_configENS1_33run_length_encode_config_selectorIdjNS0_4plusIjEEEEZZNS1_33reduce_by_key_impl_wrapped_configILNS1_25lookback_scan_determinismE0ES3_S7_PKdNS0_17constant_iteratorIjlEEPdPlSF_S6_NS0_8equal_toIdEEEE10hipError_tPvRmT2_T3_mT4_T5_T6_T7_T8_P12ihipStream_tbENKUlT_T0_E_clISt17integral_constantIbLb1EESZ_EEDaSU_SV_EUlSU_E_NS1_11comp_targetILNS1_3genE2ELNS1_11target_archE906ELNS1_3gpuE6ELNS1_3repE0EEENS1_30default_config_static_selectorELNS0_4arch9wavefront6targetE0EEEvT1_.num_agpr, 0
	.set _ZN7rocprim17ROCPRIM_400000_NS6detail17trampoline_kernelINS0_14default_configENS1_33run_length_encode_config_selectorIdjNS0_4plusIjEEEEZZNS1_33reduce_by_key_impl_wrapped_configILNS1_25lookback_scan_determinismE0ES3_S7_PKdNS0_17constant_iteratorIjlEEPdPlSF_S6_NS0_8equal_toIdEEEE10hipError_tPvRmT2_T3_mT4_T5_T6_T7_T8_P12ihipStream_tbENKUlT_T0_E_clISt17integral_constantIbLb1EESZ_EEDaSU_SV_EUlSU_E_NS1_11comp_targetILNS1_3genE2ELNS1_11target_archE906ELNS1_3gpuE6ELNS1_3repE0EEENS1_30default_config_static_selectorELNS0_4arch9wavefront6targetE0EEEvT1_.numbered_sgpr, 0
	.set _ZN7rocprim17ROCPRIM_400000_NS6detail17trampoline_kernelINS0_14default_configENS1_33run_length_encode_config_selectorIdjNS0_4plusIjEEEEZZNS1_33reduce_by_key_impl_wrapped_configILNS1_25lookback_scan_determinismE0ES3_S7_PKdNS0_17constant_iteratorIjlEEPdPlSF_S6_NS0_8equal_toIdEEEE10hipError_tPvRmT2_T3_mT4_T5_T6_T7_T8_P12ihipStream_tbENKUlT_T0_E_clISt17integral_constantIbLb1EESZ_EEDaSU_SV_EUlSU_E_NS1_11comp_targetILNS1_3genE2ELNS1_11target_archE906ELNS1_3gpuE6ELNS1_3repE0EEENS1_30default_config_static_selectorELNS0_4arch9wavefront6targetE0EEEvT1_.num_named_barrier, 0
	.set _ZN7rocprim17ROCPRIM_400000_NS6detail17trampoline_kernelINS0_14default_configENS1_33run_length_encode_config_selectorIdjNS0_4plusIjEEEEZZNS1_33reduce_by_key_impl_wrapped_configILNS1_25lookback_scan_determinismE0ES3_S7_PKdNS0_17constant_iteratorIjlEEPdPlSF_S6_NS0_8equal_toIdEEEE10hipError_tPvRmT2_T3_mT4_T5_T6_T7_T8_P12ihipStream_tbENKUlT_T0_E_clISt17integral_constantIbLb1EESZ_EEDaSU_SV_EUlSU_E_NS1_11comp_targetILNS1_3genE2ELNS1_11target_archE906ELNS1_3gpuE6ELNS1_3repE0EEENS1_30default_config_static_selectorELNS0_4arch9wavefront6targetE0EEEvT1_.private_seg_size, 0
	.set _ZN7rocprim17ROCPRIM_400000_NS6detail17trampoline_kernelINS0_14default_configENS1_33run_length_encode_config_selectorIdjNS0_4plusIjEEEEZZNS1_33reduce_by_key_impl_wrapped_configILNS1_25lookback_scan_determinismE0ES3_S7_PKdNS0_17constant_iteratorIjlEEPdPlSF_S6_NS0_8equal_toIdEEEE10hipError_tPvRmT2_T3_mT4_T5_T6_T7_T8_P12ihipStream_tbENKUlT_T0_E_clISt17integral_constantIbLb1EESZ_EEDaSU_SV_EUlSU_E_NS1_11comp_targetILNS1_3genE2ELNS1_11target_archE906ELNS1_3gpuE6ELNS1_3repE0EEENS1_30default_config_static_selectorELNS0_4arch9wavefront6targetE0EEEvT1_.uses_vcc, 0
	.set _ZN7rocprim17ROCPRIM_400000_NS6detail17trampoline_kernelINS0_14default_configENS1_33run_length_encode_config_selectorIdjNS0_4plusIjEEEEZZNS1_33reduce_by_key_impl_wrapped_configILNS1_25lookback_scan_determinismE0ES3_S7_PKdNS0_17constant_iteratorIjlEEPdPlSF_S6_NS0_8equal_toIdEEEE10hipError_tPvRmT2_T3_mT4_T5_T6_T7_T8_P12ihipStream_tbENKUlT_T0_E_clISt17integral_constantIbLb1EESZ_EEDaSU_SV_EUlSU_E_NS1_11comp_targetILNS1_3genE2ELNS1_11target_archE906ELNS1_3gpuE6ELNS1_3repE0EEENS1_30default_config_static_selectorELNS0_4arch9wavefront6targetE0EEEvT1_.uses_flat_scratch, 0
	.set _ZN7rocprim17ROCPRIM_400000_NS6detail17trampoline_kernelINS0_14default_configENS1_33run_length_encode_config_selectorIdjNS0_4plusIjEEEEZZNS1_33reduce_by_key_impl_wrapped_configILNS1_25lookback_scan_determinismE0ES3_S7_PKdNS0_17constant_iteratorIjlEEPdPlSF_S6_NS0_8equal_toIdEEEE10hipError_tPvRmT2_T3_mT4_T5_T6_T7_T8_P12ihipStream_tbENKUlT_T0_E_clISt17integral_constantIbLb1EESZ_EEDaSU_SV_EUlSU_E_NS1_11comp_targetILNS1_3genE2ELNS1_11target_archE906ELNS1_3gpuE6ELNS1_3repE0EEENS1_30default_config_static_selectorELNS0_4arch9wavefront6targetE0EEEvT1_.has_dyn_sized_stack, 0
	.set _ZN7rocprim17ROCPRIM_400000_NS6detail17trampoline_kernelINS0_14default_configENS1_33run_length_encode_config_selectorIdjNS0_4plusIjEEEEZZNS1_33reduce_by_key_impl_wrapped_configILNS1_25lookback_scan_determinismE0ES3_S7_PKdNS0_17constant_iteratorIjlEEPdPlSF_S6_NS0_8equal_toIdEEEE10hipError_tPvRmT2_T3_mT4_T5_T6_T7_T8_P12ihipStream_tbENKUlT_T0_E_clISt17integral_constantIbLb1EESZ_EEDaSU_SV_EUlSU_E_NS1_11comp_targetILNS1_3genE2ELNS1_11target_archE906ELNS1_3gpuE6ELNS1_3repE0EEENS1_30default_config_static_selectorELNS0_4arch9wavefront6targetE0EEEvT1_.has_recursion, 0
	.set _ZN7rocprim17ROCPRIM_400000_NS6detail17trampoline_kernelINS0_14default_configENS1_33run_length_encode_config_selectorIdjNS0_4plusIjEEEEZZNS1_33reduce_by_key_impl_wrapped_configILNS1_25lookback_scan_determinismE0ES3_S7_PKdNS0_17constant_iteratorIjlEEPdPlSF_S6_NS0_8equal_toIdEEEE10hipError_tPvRmT2_T3_mT4_T5_T6_T7_T8_P12ihipStream_tbENKUlT_T0_E_clISt17integral_constantIbLb1EESZ_EEDaSU_SV_EUlSU_E_NS1_11comp_targetILNS1_3genE2ELNS1_11target_archE906ELNS1_3gpuE6ELNS1_3repE0EEENS1_30default_config_static_selectorELNS0_4arch9wavefront6targetE0EEEvT1_.has_indirect_call, 0
	.section	.AMDGPU.csdata,"",@progbits
; Kernel info:
; codeLenInByte = 0
; TotalNumSgprs: 0
; NumVgprs: 0
; ScratchSize: 0
; MemoryBound: 0
; FloatMode: 240
; IeeeMode: 1
; LDSByteSize: 0 bytes/workgroup (compile time only)
; SGPRBlocks: 0
; VGPRBlocks: 0
; NumSGPRsForWavesPerEU: 1
; NumVGPRsForWavesPerEU: 1
; NamedBarCnt: 0
; Occupancy: 16
; WaveLimiterHint : 0
; COMPUTE_PGM_RSRC2:SCRATCH_EN: 0
; COMPUTE_PGM_RSRC2:USER_SGPR: 2
; COMPUTE_PGM_RSRC2:TRAP_HANDLER: 0
; COMPUTE_PGM_RSRC2:TGID_X_EN: 1
; COMPUTE_PGM_RSRC2:TGID_Y_EN: 0
; COMPUTE_PGM_RSRC2:TGID_Z_EN: 0
; COMPUTE_PGM_RSRC2:TIDIG_COMP_CNT: 0
	.section	.text._ZN7rocprim17ROCPRIM_400000_NS6detail17trampoline_kernelINS0_14default_configENS1_33run_length_encode_config_selectorIdjNS0_4plusIjEEEEZZNS1_33reduce_by_key_impl_wrapped_configILNS1_25lookback_scan_determinismE0ES3_S7_PKdNS0_17constant_iteratorIjlEEPdPlSF_S6_NS0_8equal_toIdEEEE10hipError_tPvRmT2_T3_mT4_T5_T6_T7_T8_P12ihipStream_tbENKUlT_T0_E_clISt17integral_constantIbLb1EESZ_EEDaSU_SV_EUlSU_E_NS1_11comp_targetILNS1_3genE10ELNS1_11target_archE1201ELNS1_3gpuE5ELNS1_3repE0EEENS1_30default_config_static_selectorELNS0_4arch9wavefront6targetE0EEEvT1_,"axG",@progbits,_ZN7rocprim17ROCPRIM_400000_NS6detail17trampoline_kernelINS0_14default_configENS1_33run_length_encode_config_selectorIdjNS0_4plusIjEEEEZZNS1_33reduce_by_key_impl_wrapped_configILNS1_25lookback_scan_determinismE0ES3_S7_PKdNS0_17constant_iteratorIjlEEPdPlSF_S6_NS0_8equal_toIdEEEE10hipError_tPvRmT2_T3_mT4_T5_T6_T7_T8_P12ihipStream_tbENKUlT_T0_E_clISt17integral_constantIbLb1EESZ_EEDaSU_SV_EUlSU_E_NS1_11comp_targetILNS1_3genE10ELNS1_11target_archE1201ELNS1_3gpuE5ELNS1_3repE0EEENS1_30default_config_static_selectorELNS0_4arch9wavefront6targetE0EEEvT1_,comdat
	.protected	_ZN7rocprim17ROCPRIM_400000_NS6detail17trampoline_kernelINS0_14default_configENS1_33run_length_encode_config_selectorIdjNS0_4plusIjEEEEZZNS1_33reduce_by_key_impl_wrapped_configILNS1_25lookback_scan_determinismE0ES3_S7_PKdNS0_17constant_iteratorIjlEEPdPlSF_S6_NS0_8equal_toIdEEEE10hipError_tPvRmT2_T3_mT4_T5_T6_T7_T8_P12ihipStream_tbENKUlT_T0_E_clISt17integral_constantIbLb1EESZ_EEDaSU_SV_EUlSU_E_NS1_11comp_targetILNS1_3genE10ELNS1_11target_archE1201ELNS1_3gpuE5ELNS1_3repE0EEENS1_30default_config_static_selectorELNS0_4arch9wavefront6targetE0EEEvT1_ ; -- Begin function _ZN7rocprim17ROCPRIM_400000_NS6detail17trampoline_kernelINS0_14default_configENS1_33run_length_encode_config_selectorIdjNS0_4plusIjEEEEZZNS1_33reduce_by_key_impl_wrapped_configILNS1_25lookback_scan_determinismE0ES3_S7_PKdNS0_17constant_iteratorIjlEEPdPlSF_S6_NS0_8equal_toIdEEEE10hipError_tPvRmT2_T3_mT4_T5_T6_T7_T8_P12ihipStream_tbENKUlT_T0_E_clISt17integral_constantIbLb1EESZ_EEDaSU_SV_EUlSU_E_NS1_11comp_targetILNS1_3genE10ELNS1_11target_archE1201ELNS1_3gpuE5ELNS1_3repE0EEENS1_30default_config_static_selectorELNS0_4arch9wavefront6targetE0EEEvT1_
	.globl	_ZN7rocprim17ROCPRIM_400000_NS6detail17trampoline_kernelINS0_14default_configENS1_33run_length_encode_config_selectorIdjNS0_4plusIjEEEEZZNS1_33reduce_by_key_impl_wrapped_configILNS1_25lookback_scan_determinismE0ES3_S7_PKdNS0_17constant_iteratorIjlEEPdPlSF_S6_NS0_8equal_toIdEEEE10hipError_tPvRmT2_T3_mT4_T5_T6_T7_T8_P12ihipStream_tbENKUlT_T0_E_clISt17integral_constantIbLb1EESZ_EEDaSU_SV_EUlSU_E_NS1_11comp_targetILNS1_3genE10ELNS1_11target_archE1201ELNS1_3gpuE5ELNS1_3repE0EEENS1_30default_config_static_selectorELNS0_4arch9wavefront6targetE0EEEvT1_
	.p2align	8
	.type	_ZN7rocprim17ROCPRIM_400000_NS6detail17trampoline_kernelINS0_14default_configENS1_33run_length_encode_config_selectorIdjNS0_4plusIjEEEEZZNS1_33reduce_by_key_impl_wrapped_configILNS1_25lookback_scan_determinismE0ES3_S7_PKdNS0_17constant_iteratorIjlEEPdPlSF_S6_NS0_8equal_toIdEEEE10hipError_tPvRmT2_T3_mT4_T5_T6_T7_T8_P12ihipStream_tbENKUlT_T0_E_clISt17integral_constantIbLb1EESZ_EEDaSU_SV_EUlSU_E_NS1_11comp_targetILNS1_3genE10ELNS1_11target_archE1201ELNS1_3gpuE5ELNS1_3repE0EEENS1_30default_config_static_selectorELNS0_4arch9wavefront6targetE0EEEvT1_,@function
_ZN7rocprim17ROCPRIM_400000_NS6detail17trampoline_kernelINS0_14default_configENS1_33run_length_encode_config_selectorIdjNS0_4plusIjEEEEZZNS1_33reduce_by_key_impl_wrapped_configILNS1_25lookback_scan_determinismE0ES3_S7_PKdNS0_17constant_iteratorIjlEEPdPlSF_S6_NS0_8equal_toIdEEEE10hipError_tPvRmT2_T3_mT4_T5_T6_T7_T8_P12ihipStream_tbENKUlT_T0_E_clISt17integral_constantIbLb1EESZ_EEDaSU_SV_EUlSU_E_NS1_11comp_targetILNS1_3genE10ELNS1_11target_archE1201ELNS1_3gpuE5ELNS1_3repE0EEENS1_30default_config_static_selectorELNS0_4arch9wavefront6targetE0EEEvT1_: ; @_ZN7rocprim17ROCPRIM_400000_NS6detail17trampoline_kernelINS0_14default_configENS1_33run_length_encode_config_selectorIdjNS0_4plusIjEEEEZZNS1_33reduce_by_key_impl_wrapped_configILNS1_25lookback_scan_determinismE0ES3_S7_PKdNS0_17constant_iteratorIjlEEPdPlSF_S6_NS0_8equal_toIdEEEE10hipError_tPvRmT2_T3_mT4_T5_T6_T7_T8_P12ihipStream_tbENKUlT_T0_E_clISt17integral_constantIbLb1EESZ_EEDaSU_SV_EUlSU_E_NS1_11comp_targetILNS1_3genE10ELNS1_11target_archE1201ELNS1_3gpuE5ELNS1_3repE0EEENS1_30default_config_static_selectorELNS0_4arch9wavefront6targetE0EEEvT1_
; %bb.0:
	.section	.rodata,"a",@progbits
	.p2align	6, 0x0
	.amdhsa_kernel _ZN7rocprim17ROCPRIM_400000_NS6detail17trampoline_kernelINS0_14default_configENS1_33run_length_encode_config_selectorIdjNS0_4plusIjEEEEZZNS1_33reduce_by_key_impl_wrapped_configILNS1_25lookback_scan_determinismE0ES3_S7_PKdNS0_17constant_iteratorIjlEEPdPlSF_S6_NS0_8equal_toIdEEEE10hipError_tPvRmT2_T3_mT4_T5_T6_T7_T8_P12ihipStream_tbENKUlT_T0_E_clISt17integral_constantIbLb1EESZ_EEDaSU_SV_EUlSU_E_NS1_11comp_targetILNS1_3genE10ELNS1_11target_archE1201ELNS1_3gpuE5ELNS1_3repE0EEENS1_30default_config_static_selectorELNS0_4arch9wavefront6targetE0EEEvT1_
		.amdhsa_group_segment_fixed_size 0
		.amdhsa_private_segment_fixed_size 0
		.amdhsa_kernarg_size 128
		.amdhsa_user_sgpr_count 2
		.amdhsa_user_sgpr_dispatch_ptr 0
		.amdhsa_user_sgpr_queue_ptr 0
		.amdhsa_user_sgpr_kernarg_segment_ptr 1
		.amdhsa_user_sgpr_dispatch_id 0
		.amdhsa_user_sgpr_kernarg_preload_length 0
		.amdhsa_user_sgpr_kernarg_preload_offset 0
		.amdhsa_user_sgpr_private_segment_size 0
		.amdhsa_wavefront_size32 1
		.amdhsa_uses_dynamic_stack 0
		.amdhsa_enable_private_segment 0
		.amdhsa_system_sgpr_workgroup_id_x 1
		.amdhsa_system_sgpr_workgroup_id_y 0
		.amdhsa_system_sgpr_workgroup_id_z 0
		.amdhsa_system_sgpr_workgroup_info 0
		.amdhsa_system_vgpr_workitem_id 0
		.amdhsa_next_free_vgpr 1
		.amdhsa_next_free_sgpr 1
		.amdhsa_named_barrier_count 0
		.amdhsa_reserve_vcc 0
		.amdhsa_float_round_mode_32 0
		.amdhsa_float_round_mode_16_64 0
		.amdhsa_float_denorm_mode_32 3
		.amdhsa_float_denorm_mode_16_64 3
		.amdhsa_fp16_overflow 0
		.amdhsa_memory_ordered 1
		.amdhsa_forward_progress 1
		.amdhsa_inst_pref_size 0
		.amdhsa_round_robin_scheduling 0
		.amdhsa_exception_fp_ieee_invalid_op 0
		.amdhsa_exception_fp_denorm_src 0
		.amdhsa_exception_fp_ieee_div_zero 0
		.amdhsa_exception_fp_ieee_overflow 0
		.amdhsa_exception_fp_ieee_underflow 0
		.amdhsa_exception_fp_ieee_inexact 0
		.amdhsa_exception_int_div_zero 0
	.end_amdhsa_kernel
	.section	.text._ZN7rocprim17ROCPRIM_400000_NS6detail17trampoline_kernelINS0_14default_configENS1_33run_length_encode_config_selectorIdjNS0_4plusIjEEEEZZNS1_33reduce_by_key_impl_wrapped_configILNS1_25lookback_scan_determinismE0ES3_S7_PKdNS0_17constant_iteratorIjlEEPdPlSF_S6_NS0_8equal_toIdEEEE10hipError_tPvRmT2_T3_mT4_T5_T6_T7_T8_P12ihipStream_tbENKUlT_T0_E_clISt17integral_constantIbLb1EESZ_EEDaSU_SV_EUlSU_E_NS1_11comp_targetILNS1_3genE10ELNS1_11target_archE1201ELNS1_3gpuE5ELNS1_3repE0EEENS1_30default_config_static_selectorELNS0_4arch9wavefront6targetE0EEEvT1_,"axG",@progbits,_ZN7rocprim17ROCPRIM_400000_NS6detail17trampoline_kernelINS0_14default_configENS1_33run_length_encode_config_selectorIdjNS0_4plusIjEEEEZZNS1_33reduce_by_key_impl_wrapped_configILNS1_25lookback_scan_determinismE0ES3_S7_PKdNS0_17constant_iteratorIjlEEPdPlSF_S6_NS0_8equal_toIdEEEE10hipError_tPvRmT2_T3_mT4_T5_T6_T7_T8_P12ihipStream_tbENKUlT_T0_E_clISt17integral_constantIbLb1EESZ_EEDaSU_SV_EUlSU_E_NS1_11comp_targetILNS1_3genE10ELNS1_11target_archE1201ELNS1_3gpuE5ELNS1_3repE0EEENS1_30default_config_static_selectorELNS0_4arch9wavefront6targetE0EEEvT1_,comdat
.Lfunc_end318:
	.size	_ZN7rocprim17ROCPRIM_400000_NS6detail17trampoline_kernelINS0_14default_configENS1_33run_length_encode_config_selectorIdjNS0_4plusIjEEEEZZNS1_33reduce_by_key_impl_wrapped_configILNS1_25lookback_scan_determinismE0ES3_S7_PKdNS0_17constant_iteratorIjlEEPdPlSF_S6_NS0_8equal_toIdEEEE10hipError_tPvRmT2_T3_mT4_T5_T6_T7_T8_P12ihipStream_tbENKUlT_T0_E_clISt17integral_constantIbLb1EESZ_EEDaSU_SV_EUlSU_E_NS1_11comp_targetILNS1_3genE10ELNS1_11target_archE1201ELNS1_3gpuE5ELNS1_3repE0EEENS1_30default_config_static_selectorELNS0_4arch9wavefront6targetE0EEEvT1_, .Lfunc_end318-_ZN7rocprim17ROCPRIM_400000_NS6detail17trampoline_kernelINS0_14default_configENS1_33run_length_encode_config_selectorIdjNS0_4plusIjEEEEZZNS1_33reduce_by_key_impl_wrapped_configILNS1_25lookback_scan_determinismE0ES3_S7_PKdNS0_17constant_iteratorIjlEEPdPlSF_S6_NS0_8equal_toIdEEEE10hipError_tPvRmT2_T3_mT4_T5_T6_T7_T8_P12ihipStream_tbENKUlT_T0_E_clISt17integral_constantIbLb1EESZ_EEDaSU_SV_EUlSU_E_NS1_11comp_targetILNS1_3genE10ELNS1_11target_archE1201ELNS1_3gpuE5ELNS1_3repE0EEENS1_30default_config_static_selectorELNS0_4arch9wavefront6targetE0EEEvT1_
                                        ; -- End function
	.set _ZN7rocprim17ROCPRIM_400000_NS6detail17trampoline_kernelINS0_14default_configENS1_33run_length_encode_config_selectorIdjNS0_4plusIjEEEEZZNS1_33reduce_by_key_impl_wrapped_configILNS1_25lookback_scan_determinismE0ES3_S7_PKdNS0_17constant_iteratorIjlEEPdPlSF_S6_NS0_8equal_toIdEEEE10hipError_tPvRmT2_T3_mT4_T5_T6_T7_T8_P12ihipStream_tbENKUlT_T0_E_clISt17integral_constantIbLb1EESZ_EEDaSU_SV_EUlSU_E_NS1_11comp_targetILNS1_3genE10ELNS1_11target_archE1201ELNS1_3gpuE5ELNS1_3repE0EEENS1_30default_config_static_selectorELNS0_4arch9wavefront6targetE0EEEvT1_.num_vgpr, 0
	.set _ZN7rocprim17ROCPRIM_400000_NS6detail17trampoline_kernelINS0_14default_configENS1_33run_length_encode_config_selectorIdjNS0_4plusIjEEEEZZNS1_33reduce_by_key_impl_wrapped_configILNS1_25lookback_scan_determinismE0ES3_S7_PKdNS0_17constant_iteratorIjlEEPdPlSF_S6_NS0_8equal_toIdEEEE10hipError_tPvRmT2_T3_mT4_T5_T6_T7_T8_P12ihipStream_tbENKUlT_T0_E_clISt17integral_constantIbLb1EESZ_EEDaSU_SV_EUlSU_E_NS1_11comp_targetILNS1_3genE10ELNS1_11target_archE1201ELNS1_3gpuE5ELNS1_3repE0EEENS1_30default_config_static_selectorELNS0_4arch9wavefront6targetE0EEEvT1_.num_agpr, 0
	.set _ZN7rocprim17ROCPRIM_400000_NS6detail17trampoline_kernelINS0_14default_configENS1_33run_length_encode_config_selectorIdjNS0_4plusIjEEEEZZNS1_33reduce_by_key_impl_wrapped_configILNS1_25lookback_scan_determinismE0ES3_S7_PKdNS0_17constant_iteratorIjlEEPdPlSF_S6_NS0_8equal_toIdEEEE10hipError_tPvRmT2_T3_mT4_T5_T6_T7_T8_P12ihipStream_tbENKUlT_T0_E_clISt17integral_constantIbLb1EESZ_EEDaSU_SV_EUlSU_E_NS1_11comp_targetILNS1_3genE10ELNS1_11target_archE1201ELNS1_3gpuE5ELNS1_3repE0EEENS1_30default_config_static_selectorELNS0_4arch9wavefront6targetE0EEEvT1_.numbered_sgpr, 0
	.set _ZN7rocprim17ROCPRIM_400000_NS6detail17trampoline_kernelINS0_14default_configENS1_33run_length_encode_config_selectorIdjNS0_4plusIjEEEEZZNS1_33reduce_by_key_impl_wrapped_configILNS1_25lookback_scan_determinismE0ES3_S7_PKdNS0_17constant_iteratorIjlEEPdPlSF_S6_NS0_8equal_toIdEEEE10hipError_tPvRmT2_T3_mT4_T5_T6_T7_T8_P12ihipStream_tbENKUlT_T0_E_clISt17integral_constantIbLb1EESZ_EEDaSU_SV_EUlSU_E_NS1_11comp_targetILNS1_3genE10ELNS1_11target_archE1201ELNS1_3gpuE5ELNS1_3repE0EEENS1_30default_config_static_selectorELNS0_4arch9wavefront6targetE0EEEvT1_.num_named_barrier, 0
	.set _ZN7rocprim17ROCPRIM_400000_NS6detail17trampoline_kernelINS0_14default_configENS1_33run_length_encode_config_selectorIdjNS0_4plusIjEEEEZZNS1_33reduce_by_key_impl_wrapped_configILNS1_25lookback_scan_determinismE0ES3_S7_PKdNS0_17constant_iteratorIjlEEPdPlSF_S6_NS0_8equal_toIdEEEE10hipError_tPvRmT2_T3_mT4_T5_T6_T7_T8_P12ihipStream_tbENKUlT_T0_E_clISt17integral_constantIbLb1EESZ_EEDaSU_SV_EUlSU_E_NS1_11comp_targetILNS1_3genE10ELNS1_11target_archE1201ELNS1_3gpuE5ELNS1_3repE0EEENS1_30default_config_static_selectorELNS0_4arch9wavefront6targetE0EEEvT1_.private_seg_size, 0
	.set _ZN7rocprim17ROCPRIM_400000_NS6detail17trampoline_kernelINS0_14default_configENS1_33run_length_encode_config_selectorIdjNS0_4plusIjEEEEZZNS1_33reduce_by_key_impl_wrapped_configILNS1_25lookback_scan_determinismE0ES3_S7_PKdNS0_17constant_iteratorIjlEEPdPlSF_S6_NS0_8equal_toIdEEEE10hipError_tPvRmT2_T3_mT4_T5_T6_T7_T8_P12ihipStream_tbENKUlT_T0_E_clISt17integral_constantIbLb1EESZ_EEDaSU_SV_EUlSU_E_NS1_11comp_targetILNS1_3genE10ELNS1_11target_archE1201ELNS1_3gpuE5ELNS1_3repE0EEENS1_30default_config_static_selectorELNS0_4arch9wavefront6targetE0EEEvT1_.uses_vcc, 0
	.set _ZN7rocprim17ROCPRIM_400000_NS6detail17trampoline_kernelINS0_14default_configENS1_33run_length_encode_config_selectorIdjNS0_4plusIjEEEEZZNS1_33reduce_by_key_impl_wrapped_configILNS1_25lookback_scan_determinismE0ES3_S7_PKdNS0_17constant_iteratorIjlEEPdPlSF_S6_NS0_8equal_toIdEEEE10hipError_tPvRmT2_T3_mT4_T5_T6_T7_T8_P12ihipStream_tbENKUlT_T0_E_clISt17integral_constantIbLb1EESZ_EEDaSU_SV_EUlSU_E_NS1_11comp_targetILNS1_3genE10ELNS1_11target_archE1201ELNS1_3gpuE5ELNS1_3repE0EEENS1_30default_config_static_selectorELNS0_4arch9wavefront6targetE0EEEvT1_.uses_flat_scratch, 0
	.set _ZN7rocprim17ROCPRIM_400000_NS6detail17trampoline_kernelINS0_14default_configENS1_33run_length_encode_config_selectorIdjNS0_4plusIjEEEEZZNS1_33reduce_by_key_impl_wrapped_configILNS1_25lookback_scan_determinismE0ES3_S7_PKdNS0_17constant_iteratorIjlEEPdPlSF_S6_NS0_8equal_toIdEEEE10hipError_tPvRmT2_T3_mT4_T5_T6_T7_T8_P12ihipStream_tbENKUlT_T0_E_clISt17integral_constantIbLb1EESZ_EEDaSU_SV_EUlSU_E_NS1_11comp_targetILNS1_3genE10ELNS1_11target_archE1201ELNS1_3gpuE5ELNS1_3repE0EEENS1_30default_config_static_selectorELNS0_4arch9wavefront6targetE0EEEvT1_.has_dyn_sized_stack, 0
	.set _ZN7rocprim17ROCPRIM_400000_NS6detail17trampoline_kernelINS0_14default_configENS1_33run_length_encode_config_selectorIdjNS0_4plusIjEEEEZZNS1_33reduce_by_key_impl_wrapped_configILNS1_25lookback_scan_determinismE0ES3_S7_PKdNS0_17constant_iteratorIjlEEPdPlSF_S6_NS0_8equal_toIdEEEE10hipError_tPvRmT2_T3_mT4_T5_T6_T7_T8_P12ihipStream_tbENKUlT_T0_E_clISt17integral_constantIbLb1EESZ_EEDaSU_SV_EUlSU_E_NS1_11comp_targetILNS1_3genE10ELNS1_11target_archE1201ELNS1_3gpuE5ELNS1_3repE0EEENS1_30default_config_static_selectorELNS0_4arch9wavefront6targetE0EEEvT1_.has_recursion, 0
	.set _ZN7rocprim17ROCPRIM_400000_NS6detail17trampoline_kernelINS0_14default_configENS1_33run_length_encode_config_selectorIdjNS0_4plusIjEEEEZZNS1_33reduce_by_key_impl_wrapped_configILNS1_25lookback_scan_determinismE0ES3_S7_PKdNS0_17constant_iteratorIjlEEPdPlSF_S6_NS0_8equal_toIdEEEE10hipError_tPvRmT2_T3_mT4_T5_T6_T7_T8_P12ihipStream_tbENKUlT_T0_E_clISt17integral_constantIbLb1EESZ_EEDaSU_SV_EUlSU_E_NS1_11comp_targetILNS1_3genE10ELNS1_11target_archE1201ELNS1_3gpuE5ELNS1_3repE0EEENS1_30default_config_static_selectorELNS0_4arch9wavefront6targetE0EEEvT1_.has_indirect_call, 0
	.section	.AMDGPU.csdata,"",@progbits
; Kernel info:
; codeLenInByte = 0
; TotalNumSgprs: 0
; NumVgprs: 0
; ScratchSize: 0
; MemoryBound: 0
; FloatMode: 240
; IeeeMode: 1
; LDSByteSize: 0 bytes/workgroup (compile time only)
; SGPRBlocks: 0
; VGPRBlocks: 0
; NumSGPRsForWavesPerEU: 1
; NumVGPRsForWavesPerEU: 1
; NamedBarCnt: 0
; Occupancy: 16
; WaveLimiterHint : 0
; COMPUTE_PGM_RSRC2:SCRATCH_EN: 0
; COMPUTE_PGM_RSRC2:USER_SGPR: 2
; COMPUTE_PGM_RSRC2:TRAP_HANDLER: 0
; COMPUTE_PGM_RSRC2:TGID_X_EN: 1
; COMPUTE_PGM_RSRC2:TGID_Y_EN: 0
; COMPUTE_PGM_RSRC2:TGID_Z_EN: 0
; COMPUTE_PGM_RSRC2:TIDIG_COMP_CNT: 0
	.section	.text._ZN7rocprim17ROCPRIM_400000_NS6detail17trampoline_kernelINS0_14default_configENS1_33run_length_encode_config_selectorIdjNS0_4plusIjEEEEZZNS1_33reduce_by_key_impl_wrapped_configILNS1_25lookback_scan_determinismE0ES3_S7_PKdNS0_17constant_iteratorIjlEEPdPlSF_S6_NS0_8equal_toIdEEEE10hipError_tPvRmT2_T3_mT4_T5_T6_T7_T8_P12ihipStream_tbENKUlT_T0_E_clISt17integral_constantIbLb1EESZ_EEDaSU_SV_EUlSU_E_NS1_11comp_targetILNS1_3genE10ELNS1_11target_archE1200ELNS1_3gpuE4ELNS1_3repE0EEENS1_30default_config_static_selectorELNS0_4arch9wavefront6targetE0EEEvT1_,"axG",@progbits,_ZN7rocprim17ROCPRIM_400000_NS6detail17trampoline_kernelINS0_14default_configENS1_33run_length_encode_config_selectorIdjNS0_4plusIjEEEEZZNS1_33reduce_by_key_impl_wrapped_configILNS1_25lookback_scan_determinismE0ES3_S7_PKdNS0_17constant_iteratorIjlEEPdPlSF_S6_NS0_8equal_toIdEEEE10hipError_tPvRmT2_T3_mT4_T5_T6_T7_T8_P12ihipStream_tbENKUlT_T0_E_clISt17integral_constantIbLb1EESZ_EEDaSU_SV_EUlSU_E_NS1_11comp_targetILNS1_3genE10ELNS1_11target_archE1200ELNS1_3gpuE4ELNS1_3repE0EEENS1_30default_config_static_selectorELNS0_4arch9wavefront6targetE0EEEvT1_,comdat
	.protected	_ZN7rocprim17ROCPRIM_400000_NS6detail17trampoline_kernelINS0_14default_configENS1_33run_length_encode_config_selectorIdjNS0_4plusIjEEEEZZNS1_33reduce_by_key_impl_wrapped_configILNS1_25lookback_scan_determinismE0ES3_S7_PKdNS0_17constant_iteratorIjlEEPdPlSF_S6_NS0_8equal_toIdEEEE10hipError_tPvRmT2_T3_mT4_T5_T6_T7_T8_P12ihipStream_tbENKUlT_T0_E_clISt17integral_constantIbLb1EESZ_EEDaSU_SV_EUlSU_E_NS1_11comp_targetILNS1_3genE10ELNS1_11target_archE1200ELNS1_3gpuE4ELNS1_3repE0EEENS1_30default_config_static_selectorELNS0_4arch9wavefront6targetE0EEEvT1_ ; -- Begin function _ZN7rocprim17ROCPRIM_400000_NS6detail17trampoline_kernelINS0_14default_configENS1_33run_length_encode_config_selectorIdjNS0_4plusIjEEEEZZNS1_33reduce_by_key_impl_wrapped_configILNS1_25lookback_scan_determinismE0ES3_S7_PKdNS0_17constant_iteratorIjlEEPdPlSF_S6_NS0_8equal_toIdEEEE10hipError_tPvRmT2_T3_mT4_T5_T6_T7_T8_P12ihipStream_tbENKUlT_T0_E_clISt17integral_constantIbLb1EESZ_EEDaSU_SV_EUlSU_E_NS1_11comp_targetILNS1_3genE10ELNS1_11target_archE1200ELNS1_3gpuE4ELNS1_3repE0EEENS1_30default_config_static_selectorELNS0_4arch9wavefront6targetE0EEEvT1_
	.globl	_ZN7rocprim17ROCPRIM_400000_NS6detail17trampoline_kernelINS0_14default_configENS1_33run_length_encode_config_selectorIdjNS0_4plusIjEEEEZZNS1_33reduce_by_key_impl_wrapped_configILNS1_25lookback_scan_determinismE0ES3_S7_PKdNS0_17constant_iteratorIjlEEPdPlSF_S6_NS0_8equal_toIdEEEE10hipError_tPvRmT2_T3_mT4_T5_T6_T7_T8_P12ihipStream_tbENKUlT_T0_E_clISt17integral_constantIbLb1EESZ_EEDaSU_SV_EUlSU_E_NS1_11comp_targetILNS1_3genE10ELNS1_11target_archE1200ELNS1_3gpuE4ELNS1_3repE0EEENS1_30default_config_static_selectorELNS0_4arch9wavefront6targetE0EEEvT1_
	.p2align	8
	.type	_ZN7rocprim17ROCPRIM_400000_NS6detail17trampoline_kernelINS0_14default_configENS1_33run_length_encode_config_selectorIdjNS0_4plusIjEEEEZZNS1_33reduce_by_key_impl_wrapped_configILNS1_25lookback_scan_determinismE0ES3_S7_PKdNS0_17constant_iteratorIjlEEPdPlSF_S6_NS0_8equal_toIdEEEE10hipError_tPvRmT2_T3_mT4_T5_T6_T7_T8_P12ihipStream_tbENKUlT_T0_E_clISt17integral_constantIbLb1EESZ_EEDaSU_SV_EUlSU_E_NS1_11comp_targetILNS1_3genE10ELNS1_11target_archE1200ELNS1_3gpuE4ELNS1_3repE0EEENS1_30default_config_static_selectorELNS0_4arch9wavefront6targetE0EEEvT1_,@function
_ZN7rocprim17ROCPRIM_400000_NS6detail17trampoline_kernelINS0_14default_configENS1_33run_length_encode_config_selectorIdjNS0_4plusIjEEEEZZNS1_33reduce_by_key_impl_wrapped_configILNS1_25lookback_scan_determinismE0ES3_S7_PKdNS0_17constant_iteratorIjlEEPdPlSF_S6_NS0_8equal_toIdEEEE10hipError_tPvRmT2_T3_mT4_T5_T6_T7_T8_P12ihipStream_tbENKUlT_T0_E_clISt17integral_constantIbLb1EESZ_EEDaSU_SV_EUlSU_E_NS1_11comp_targetILNS1_3genE10ELNS1_11target_archE1200ELNS1_3gpuE4ELNS1_3repE0EEENS1_30default_config_static_selectorELNS0_4arch9wavefront6targetE0EEEvT1_: ; @_ZN7rocprim17ROCPRIM_400000_NS6detail17trampoline_kernelINS0_14default_configENS1_33run_length_encode_config_selectorIdjNS0_4plusIjEEEEZZNS1_33reduce_by_key_impl_wrapped_configILNS1_25lookback_scan_determinismE0ES3_S7_PKdNS0_17constant_iteratorIjlEEPdPlSF_S6_NS0_8equal_toIdEEEE10hipError_tPvRmT2_T3_mT4_T5_T6_T7_T8_P12ihipStream_tbENKUlT_T0_E_clISt17integral_constantIbLb1EESZ_EEDaSU_SV_EUlSU_E_NS1_11comp_targetILNS1_3genE10ELNS1_11target_archE1200ELNS1_3gpuE4ELNS1_3repE0EEENS1_30default_config_static_selectorELNS0_4arch9wavefront6targetE0EEEvT1_
; %bb.0:
	.section	.rodata,"a",@progbits
	.p2align	6, 0x0
	.amdhsa_kernel _ZN7rocprim17ROCPRIM_400000_NS6detail17trampoline_kernelINS0_14default_configENS1_33run_length_encode_config_selectorIdjNS0_4plusIjEEEEZZNS1_33reduce_by_key_impl_wrapped_configILNS1_25lookback_scan_determinismE0ES3_S7_PKdNS0_17constant_iteratorIjlEEPdPlSF_S6_NS0_8equal_toIdEEEE10hipError_tPvRmT2_T3_mT4_T5_T6_T7_T8_P12ihipStream_tbENKUlT_T0_E_clISt17integral_constantIbLb1EESZ_EEDaSU_SV_EUlSU_E_NS1_11comp_targetILNS1_3genE10ELNS1_11target_archE1200ELNS1_3gpuE4ELNS1_3repE0EEENS1_30default_config_static_selectorELNS0_4arch9wavefront6targetE0EEEvT1_
		.amdhsa_group_segment_fixed_size 0
		.amdhsa_private_segment_fixed_size 0
		.amdhsa_kernarg_size 128
		.amdhsa_user_sgpr_count 2
		.amdhsa_user_sgpr_dispatch_ptr 0
		.amdhsa_user_sgpr_queue_ptr 0
		.amdhsa_user_sgpr_kernarg_segment_ptr 1
		.amdhsa_user_sgpr_dispatch_id 0
		.amdhsa_user_sgpr_kernarg_preload_length 0
		.amdhsa_user_sgpr_kernarg_preload_offset 0
		.amdhsa_user_sgpr_private_segment_size 0
		.amdhsa_wavefront_size32 1
		.amdhsa_uses_dynamic_stack 0
		.amdhsa_enable_private_segment 0
		.amdhsa_system_sgpr_workgroup_id_x 1
		.amdhsa_system_sgpr_workgroup_id_y 0
		.amdhsa_system_sgpr_workgroup_id_z 0
		.amdhsa_system_sgpr_workgroup_info 0
		.amdhsa_system_vgpr_workitem_id 0
		.amdhsa_next_free_vgpr 1
		.amdhsa_next_free_sgpr 1
		.amdhsa_named_barrier_count 0
		.amdhsa_reserve_vcc 0
		.amdhsa_float_round_mode_32 0
		.amdhsa_float_round_mode_16_64 0
		.amdhsa_float_denorm_mode_32 3
		.amdhsa_float_denorm_mode_16_64 3
		.amdhsa_fp16_overflow 0
		.amdhsa_memory_ordered 1
		.amdhsa_forward_progress 1
		.amdhsa_inst_pref_size 0
		.amdhsa_round_robin_scheduling 0
		.amdhsa_exception_fp_ieee_invalid_op 0
		.amdhsa_exception_fp_denorm_src 0
		.amdhsa_exception_fp_ieee_div_zero 0
		.amdhsa_exception_fp_ieee_overflow 0
		.amdhsa_exception_fp_ieee_underflow 0
		.amdhsa_exception_fp_ieee_inexact 0
		.amdhsa_exception_int_div_zero 0
	.end_amdhsa_kernel
	.section	.text._ZN7rocprim17ROCPRIM_400000_NS6detail17trampoline_kernelINS0_14default_configENS1_33run_length_encode_config_selectorIdjNS0_4plusIjEEEEZZNS1_33reduce_by_key_impl_wrapped_configILNS1_25lookback_scan_determinismE0ES3_S7_PKdNS0_17constant_iteratorIjlEEPdPlSF_S6_NS0_8equal_toIdEEEE10hipError_tPvRmT2_T3_mT4_T5_T6_T7_T8_P12ihipStream_tbENKUlT_T0_E_clISt17integral_constantIbLb1EESZ_EEDaSU_SV_EUlSU_E_NS1_11comp_targetILNS1_3genE10ELNS1_11target_archE1200ELNS1_3gpuE4ELNS1_3repE0EEENS1_30default_config_static_selectorELNS0_4arch9wavefront6targetE0EEEvT1_,"axG",@progbits,_ZN7rocprim17ROCPRIM_400000_NS6detail17trampoline_kernelINS0_14default_configENS1_33run_length_encode_config_selectorIdjNS0_4plusIjEEEEZZNS1_33reduce_by_key_impl_wrapped_configILNS1_25lookback_scan_determinismE0ES3_S7_PKdNS0_17constant_iteratorIjlEEPdPlSF_S6_NS0_8equal_toIdEEEE10hipError_tPvRmT2_T3_mT4_T5_T6_T7_T8_P12ihipStream_tbENKUlT_T0_E_clISt17integral_constantIbLb1EESZ_EEDaSU_SV_EUlSU_E_NS1_11comp_targetILNS1_3genE10ELNS1_11target_archE1200ELNS1_3gpuE4ELNS1_3repE0EEENS1_30default_config_static_selectorELNS0_4arch9wavefront6targetE0EEEvT1_,comdat
.Lfunc_end319:
	.size	_ZN7rocprim17ROCPRIM_400000_NS6detail17trampoline_kernelINS0_14default_configENS1_33run_length_encode_config_selectorIdjNS0_4plusIjEEEEZZNS1_33reduce_by_key_impl_wrapped_configILNS1_25lookback_scan_determinismE0ES3_S7_PKdNS0_17constant_iteratorIjlEEPdPlSF_S6_NS0_8equal_toIdEEEE10hipError_tPvRmT2_T3_mT4_T5_T6_T7_T8_P12ihipStream_tbENKUlT_T0_E_clISt17integral_constantIbLb1EESZ_EEDaSU_SV_EUlSU_E_NS1_11comp_targetILNS1_3genE10ELNS1_11target_archE1200ELNS1_3gpuE4ELNS1_3repE0EEENS1_30default_config_static_selectorELNS0_4arch9wavefront6targetE0EEEvT1_, .Lfunc_end319-_ZN7rocprim17ROCPRIM_400000_NS6detail17trampoline_kernelINS0_14default_configENS1_33run_length_encode_config_selectorIdjNS0_4plusIjEEEEZZNS1_33reduce_by_key_impl_wrapped_configILNS1_25lookback_scan_determinismE0ES3_S7_PKdNS0_17constant_iteratorIjlEEPdPlSF_S6_NS0_8equal_toIdEEEE10hipError_tPvRmT2_T3_mT4_T5_T6_T7_T8_P12ihipStream_tbENKUlT_T0_E_clISt17integral_constantIbLb1EESZ_EEDaSU_SV_EUlSU_E_NS1_11comp_targetILNS1_3genE10ELNS1_11target_archE1200ELNS1_3gpuE4ELNS1_3repE0EEENS1_30default_config_static_selectorELNS0_4arch9wavefront6targetE0EEEvT1_
                                        ; -- End function
	.set _ZN7rocprim17ROCPRIM_400000_NS6detail17trampoline_kernelINS0_14default_configENS1_33run_length_encode_config_selectorIdjNS0_4plusIjEEEEZZNS1_33reduce_by_key_impl_wrapped_configILNS1_25lookback_scan_determinismE0ES3_S7_PKdNS0_17constant_iteratorIjlEEPdPlSF_S6_NS0_8equal_toIdEEEE10hipError_tPvRmT2_T3_mT4_T5_T6_T7_T8_P12ihipStream_tbENKUlT_T0_E_clISt17integral_constantIbLb1EESZ_EEDaSU_SV_EUlSU_E_NS1_11comp_targetILNS1_3genE10ELNS1_11target_archE1200ELNS1_3gpuE4ELNS1_3repE0EEENS1_30default_config_static_selectorELNS0_4arch9wavefront6targetE0EEEvT1_.num_vgpr, 0
	.set _ZN7rocprim17ROCPRIM_400000_NS6detail17trampoline_kernelINS0_14default_configENS1_33run_length_encode_config_selectorIdjNS0_4plusIjEEEEZZNS1_33reduce_by_key_impl_wrapped_configILNS1_25lookback_scan_determinismE0ES3_S7_PKdNS0_17constant_iteratorIjlEEPdPlSF_S6_NS0_8equal_toIdEEEE10hipError_tPvRmT2_T3_mT4_T5_T6_T7_T8_P12ihipStream_tbENKUlT_T0_E_clISt17integral_constantIbLb1EESZ_EEDaSU_SV_EUlSU_E_NS1_11comp_targetILNS1_3genE10ELNS1_11target_archE1200ELNS1_3gpuE4ELNS1_3repE0EEENS1_30default_config_static_selectorELNS0_4arch9wavefront6targetE0EEEvT1_.num_agpr, 0
	.set _ZN7rocprim17ROCPRIM_400000_NS6detail17trampoline_kernelINS0_14default_configENS1_33run_length_encode_config_selectorIdjNS0_4plusIjEEEEZZNS1_33reduce_by_key_impl_wrapped_configILNS1_25lookback_scan_determinismE0ES3_S7_PKdNS0_17constant_iteratorIjlEEPdPlSF_S6_NS0_8equal_toIdEEEE10hipError_tPvRmT2_T3_mT4_T5_T6_T7_T8_P12ihipStream_tbENKUlT_T0_E_clISt17integral_constantIbLb1EESZ_EEDaSU_SV_EUlSU_E_NS1_11comp_targetILNS1_3genE10ELNS1_11target_archE1200ELNS1_3gpuE4ELNS1_3repE0EEENS1_30default_config_static_selectorELNS0_4arch9wavefront6targetE0EEEvT1_.numbered_sgpr, 0
	.set _ZN7rocprim17ROCPRIM_400000_NS6detail17trampoline_kernelINS0_14default_configENS1_33run_length_encode_config_selectorIdjNS0_4plusIjEEEEZZNS1_33reduce_by_key_impl_wrapped_configILNS1_25lookback_scan_determinismE0ES3_S7_PKdNS0_17constant_iteratorIjlEEPdPlSF_S6_NS0_8equal_toIdEEEE10hipError_tPvRmT2_T3_mT4_T5_T6_T7_T8_P12ihipStream_tbENKUlT_T0_E_clISt17integral_constantIbLb1EESZ_EEDaSU_SV_EUlSU_E_NS1_11comp_targetILNS1_3genE10ELNS1_11target_archE1200ELNS1_3gpuE4ELNS1_3repE0EEENS1_30default_config_static_selectorELNS0_4arch9wavefront6targetE0EEEvT1_.num_named_barrier, 0
	.set _ZN7rocprim17ROCPRIM_400000_NS6detail17trampoline_kernelINS0_14default_configENS1_33run_length_encode_config_selectorIdjNS0_4plusIjEEEEZZNS1_33reduce_by_key_impl_wrapped_configILNS1_25lookback_scan_determinismE0ES3_S7_PKdNS0_17constant_iteratorIjlEEPdPlSF_S6_NS0_8equal_toIdEEEE10hipError_tPvRmT2_T3_mT4_T5_T6_T7_T8_P12ihipStream_tbENKUlT_T0_E_clISt17integral_constantIbLb1EESZ_EEDaSU_SV_EUlSU_E_NS1_11comp_targetILNS1_3genE10ELNS1_11target_archE1200ELNS1_3gpuE4ELNS1_3repE0EEENS1_30default_config_static_selectorELNS0_4arch9wavefront6targetE0EEEvT1_.private_seg_size, 0
	.set _ZN7rocprim17ROCPRIM_400000_NS6detail17trampoline_kernelINS0_14default_configENS1_33run_length_encode_config_selectorIdjNS0_4plusIjEEEEZZNS1_33reduce_by_key_impl_wrapped_configILNS1_25lookback_scan_determinismE0ES3_S7_PKdNS0_17constant_iteratorIjlEEPdPlSF_S6_NS0_8equal_toIdEEEE10hipError_tPvRmT2_T3_mT4_T5_T6_T7_T8_P12ihipStream_tbENKUlT_T0_E_clISt17integral_constantIbLb1EESZ_EEDaSU_SV_EUlSU_E_NS1_11comp_targetILNS1_3genE10ELNS1_11target_archE1200ELNS1_3gpuE4ELNS1_3repE0EEENS1_30default_config_static_selectorELNS0_4arch9wavefront6targetE0EEEvT1_.uses_vcc, 0
	.set _ZN7rocprim17ROCPRIM_400000_NS6detail17trampoline_kernelINS0_14default_configENS1_33run_length_encode_config_selectorIdjNS0_4plusIjEEEEZZNS1_33reduce_by_key_impl_wrapped_configILNS1_25lookback_scan_determinismE0ES3_S7_PKdNS0_17constant_iteratorIjlEEPdPlSF_S6_NS0_8equal_toIdEEEE10hipError_tPvRmT2_T3_mT4_T5_T6_T7_T8_P12ihipStream_tbENKUlT_T0_E_clISt17integral_constantIbLb1EESZ_EEDaSU_SV_EUlSU_E_NS1_11comp_targetILNS1_3genE10ELNS1_11target_archE1200ELNS1_3gpuE4ELNS1_3repE0EEENS1_30default_config_static_selectorELNS0_4arch9wavefront6targetE0EEEvT1_.uses_flat_scratch, 0
	.set _ZN7rocprim17ROCPRIM_400000_NS6detail17trampoline_kernelINS0_14default_configENS1_33run_length_encode_config_selectorIdjNS0_4plusIjEEEEZZNS1_33reduce_by_key_impl_wrapped_configILNS1_25lookback_scan_determinismE0ES3_S7_PKdNS0_17constant_iteratorIjlEEPdPlSF_S6_NS0_8equal_toIdEEEE10hipError_tPvRmT2_T3_mT4_T5_T6_T7_T8_P12ihipStream_tbENKUlT_T0_E_clISt17integral_constantIbLb1EESZ_EEDaSU_SV_EUlSU_E_NS1_11comp_targetILNS1_3genE10ELNS1_11target_archE1200ELNS1_3gpuE4ELNS1_3repE0EEENS1_30default_config_static_selectorELNS0_4arch9wavefront6targetE0EEEvT1_.has_dyn_sized_stack, 0
	.set _ZN7rocprim17ROCPRIM_400000_NS6detail17trampoline_kernelINS0_14default_configENS1_33run_length_encode_config_selectorIdjNS0_4plusIjEEEEZZNS1_33reduce_by_key_impl_wrapped_configILNS1_25lookback_scan_determinismE0ES3_S7_PKdNS0_17constant_iteratorIjlEEPdPlSF_S6_NS0_8equal_toIdEEEE10hipError_tPvRmT2_T3_mT4_T5_T6_T7_T8_P12ihipStream_tbENKUlT_T0_E_clISt17integral_constantIbLb1EESZ_EEDaSU_SV_EUlSU_E_NS1_11comp_targetILNS1_3genE10ELNS1_11target_archE1200ELNS1_3gpuE4ELNS1_3repE0EEENS1_30default_config_static_selectorELNS0_4arch9wavefront6targetE0EEEvT1_.has_recursion, 0
	.set _ZN7rocprim17ROCPRIM_400000_NS6detail17trampoline_kernelINS0_14default_configENS1_33run_length_encode_config_selectorIdjNS0_4plusIjEEEEZZNS1_33reduce_by_key_impl_wrapped_configILNS1_25lookback_scan_determinismE0ES3_S7_PKdNS0_17constant_iteratorIjlEEPdPlSF_S6_NS0_8equal_toIdEEEE10hipError_tPvRmT2_T3_mT4_T5_T6_T7_T8_P12ihipStream_tbENKUlT_T0_E_clISt17integral_constantIbLb1EESZ_EEDaSU_SV_EUlSU_E_NS1_11comp_targetILNS1_3genE10ELNS1_11target_archE1200ELNS1_3gpuE4ELNS1_3repE0EEENS1_30default_config_static_selectorELNS0_4arch9wavefront6targetE0EEEvT1_.has_indirect_call, 0
	.section	.AMDGPU.csdata,"",@progbits
; Kernel info:
; codeLenInByte = 0
; TotalNumSgprs: 0
; NumVgprs: 0
; ScratchSize: 0
; MemoryBound: 0
; FloatMode: 240
; IeeeMode: 1
; LDSByteSize: 0 bytes/workgroup (compile time only)
; SGPRBlocks: 0
; VGPRBlocks: 0
; NumSGPRsForWavesPerEU: 1
; NumVGPRsForWavesPerEU: 1
; NamedBarCnt: 0
; Occupancy: 16
; WaveLimiterHint : 0
; COMPUTE_PGM_RSRC2:SCRATCH_EN: 0
; COMPUTE_PGM_RSRC2:USER_SGPR: 2
; COMPUTE_PGM_RSRC2:TRAP_HANDLER: 0
; COMPUTE_PGM_RSRC2:TGID_X_EN: 1
; COMPUTE_PGM_RSRC2:TGID_Y_EN: 0
; COMPUTE_PGM_RSRC2:TGID_Z_EN: 0
; COMPUTE_PGM_RSRC2:TIDIG_COMP_CNT: 0
	.section	.text._ZN7rocprim17ROCPRIM_400000_NS6detail17trampoline_kernelINS0_14default_configENS1_33run_length_encode_config_selectorIdjNS0_4plusIjEEEEZZNS1_33reduce_by_key_impl_wrapped_configILNS1_25lookback_scan_determinismE0ES3_S7_PKdNS0_17constant_iteratorIjlEEPdPlSF_S6_NS0_8equal_toIdEEEE10hipError_tPvRmT2_T3_mT4_T5_T6_T7_T8_P12ihipStream_tbENKUlT_T0_E_clISt17integral_constantIbLb1EESZ_EEDaSU_SV_EUlSU_E_NS1_11comp_targetILNS1_3genE9ELNS1_11target_archE1100ELNS1_3gpuE3ELNS1_3repE0EEENS1_30default_config_static_selectorELNS0_4arch9wavefront6targetE0EEEvT1_,"axG",@progbits,_ZN7rocprim17ROCPRIM_400000_NS6detail17trampoline_kernelINS0_14default_configENS1_33run_length_encode_config_selectorIdjNS0_4plusIjEEEEZZNS1_33reduce_by_key_impl_wrapped_configILNS1_25lookback_scan_determinismE0ES3_S7_PKdNS0_17constant_iteratorIjlEEPdPlSF_S6_NS0_8equal_toIdEEEE10hipError_tPvRmT2_T3_mT4_T5_T6_T7_T8_P12ihipStream_tbENKUlT_T0_E_clISt17integral_constantIbLb1EESZ_EEDaSU_SV_EUlSU_E_NS1_11comp_targetILNS1_3genE9ELNS1_11target_archE1100ELNS1_3gpuE3ELNS1_3repE0EEENS1_30default_config_static_selectorELNS0_4arch9wavefront6targetE0EEEvT1_,comdat
	.protected	_ZN7rocprim17ROCPRIM_400000_NS6detail17trampoline_kernelINS0_14default_configENS1_33run_length_encode_config_selectorIdjNS0_4plusIjEEEEZZNS1_33reduce_by_key_impl_wrapped_configILNS1_25lookback_scan_determinismE0ES3_S7_PKdNS0_17constant_iteratorIjlEEPdPlSF_S6_NS0_8equal_toIdEEEE10hipError_tPvRmT2_T3_mT4_T5_T6_T7_T8_P12ihipStream_tbENKUlT_T0_E_clISt17integral_constantIbLb1EESZ_EEDaSU_SV_EUlSU_E_NS1_11comp_targetILNS1_3genE9ELNS1_11target_archE1100ELNS1_3gpuE3ELNS1_3repE0EEENS1_30default_config_static_selectorELNS0_4arch9wavefront6targetE0EEEvT1_ ; -- Begin function _ZN7rocprim17ROCPRIM_400000_NS6detail17trampoline_kernelINS0_14default_configENS1_33run_length_encode_config_selectorIdjNS0_4plusIjEEEEZZNS1_33reduce_by_key_impl_wrapped_configILNS1_25lookback_scan_determinismE0ES3_S7_PKdNS0_17constant_iteratorIjlEEPdPlSF_S6_NS0_8equal_toIdEEEE10hipError_tPvRmT2_T3_mT4_T5_T6_T7_T8_P12ihipStream_tbENKUlT_T0_E_clISt17integral_constantIbLb1EESZ_EEDaSU_SV_EUlSU_E_NS1_11comp_targetILNS1_3genE9ELNS1_11target_archE1100ELNS1_3gpuE3ELNS1_3repE0EEENS1_30default_config_static_selectorELNS0_4arch9wavefront6targetE0EEEvT1_
	.globl	_ZN7rocprim17ROCPRIM_400000_NS6detail17trampoline_kernelINS0_14default_configENS1_33run_length_encode_config_selectorIdjNS0_4plusIjEEEEZZNS1_33reduce_by_key_impl_wrapped_configILNS1_25lookback_scan_determinismE0ES3_S7_PKdNS0_17constant_iteratorIjlEEPdPlSF_S6_NS0_8equal_toIdEEEE10hipError_tPvRmT2_T3_mT4_T5_T6_T7_T8_P12ihipStream_tbENKUlT_T0_E_clISt17integral_constantIbLb1EESZ_EEDaSU_SV_EUlSU_E_NS1_11comp_targetILNS1_3genE9ELNS1_11target_archE1100ELNS1_3gpuE3ELNS1_3repE0EEENS1_30default_config_static_selectorELNS0_4arch9wavefront6targetE0EEEvT1_
	.p2align	8
	.type	_ZN7rocprim17ROCPRIM_400000_NS6detail17trampoline_kernelINS0_14default_configENS1_33run_length_encode_config_selectorIdjNS0_4plusIjEEEEZZNS1_33reduce_by_key_impl_wrapped_configILNS1_25lookback_scan_determinismE0ES3_S7_PKdNS0_17constant_iteratorIjlEEPdPlSF_S6_NS0_8equal_toIdEEEE10hipError_tPvRmT2_T3_mT4_T5_T6_T7_T8_P12ihipStream_tbENKUlT_T0_E_clISt17integral_constantIbLb1EESZ_EEDaSU_SV_EUlSU_E_NS1_11comp_targetILNS1_3genE9ELNS1_11target_archE1100ELNS1_3gpuE3ELNS1_3repE0EEENS1_30default_config_static_selectorELNS0_4arch9wavefront6targetE0EEEvT1_,@function
_ZN7rocprim17ROCPRIM_400000_NS6detail17trampoline_kernelINS0_14default_configENS1_33run_length_encode_config_selectorIdjNS0_4plusIjEEEEZZNS1_33reduce_by_key_impl_wrapped_configILNS1_25lookback_scan_determinismE0ES3_S7_PKdNS0_17constant_iteratorIjlEEPdPlSF_S6_NS0_8equal_toIdEEEE10hipError_tPvRmT2_T3_mT4_T5_T6_T7_T8_P12ihipStream_tbENKUlT_T0_E_clISt17integral_constantIbLb1EESZ_EEDaSU_SV_EUlSU_E_NS1_11comp_targetILNS1_3genE9ELNS1_11target_archE1100ELNS1_3gpuE3ELNS1_3repE0EEENS1_30default_config_static_selectorELNS0_4arch9wavefront6targetE0EEEvT1_: ; @_ZN7rocprim17ROCPRIM_400000_NS6detail17trampoline_kernelINS0_14default_configENS1_33run_length_encode_config_selectorIdjNS0_4plusIjEEEEZZNS1_33reduce_by_key_impl_wrapped_configILNS1_25lookback_scan_determinismE0ES3_S7_PKdNS0_17constant_iteratorIjlEEPdPlSF_S6_NS0_8equal_toIdEEEE10hipError_tPvRmT2_T3_mT4_T5_T6_T7_T8_P12ihipStream_tbENKUlT_T0_E_clISt17integral_constantIbLb1EESZ_EEDaSU_SV_EUlSU_E_NS1_11comp_targetILNS1_3genE9ELNS1_11target_archE1100ELNS1_3gpuE3ELNS1_3repE0EEENS1_30default_config_static_selectorELNS0_4arch9wavefront6targetE0EEEvT1_
; %bb.0:
	.section	.rodata,"a",@progbits
	.p2align	6, 0x0
	.amdhsa_kernel _ZN7rocprim17ROCPRIM_400000_NS6detail17trampoline_kernelINS0_14default_configENS1_33run_length_encode_config_selectorIdjNS0_4plusIjEEEEZZNS1_33reduce_by_key_impl_wrapped_configILNS1_25lookback_scan_determinismE0ES3_S7_PKdNS0_17constant_iteratorIjlEEPdPlSF_S6_NS0_8equal_toIdEEEE10hipError_tPvRmT2_T3_mT4_T5_T6_T7_T8_P12ihipStream_tbENKUlT_T0_E_clISt17integral_constantIbLb1EESZ_EEDaSU_SV_EUlSU_E_NS1_11comp_targetILNS1_3genE9ELNS1_11target_archE1100ELNS1_3gpuE3ELNS1_3repE0EEENS1_30default_config_static_selectorELNS0_4arch9wavefront6targetE0EEEvT1_
		.amdhsa_group_segment_fixed_size 0
		.amdhsa_private_segment_fixed_size 0
		.amdhsa_kernarg_size 128
		.amdhsa_user_sgpr_count 2
		.amdhsa_user_sgpr_dispatch_ptr 0
		.amdhsa_user_sgpr_queue_ptr 0
		.amdhsa_user_sgpr_kernarg_segment_ptr 1
		.amdhsa_user_sgpr_dispatch_id 0
		.amdhsa_user_sgpr_kernarg_preload_length 0
		.amdhsa_user_sgpr_kernarg_preload_offset 0
		.amdhsa_user_sgpr_private_segment_size 0
		.amdhsa_wavefront_size32 1
		.amdhsa_uses_dynamic_stack 0
		.amdhsa_enable_private_segment 0
		.amdhsa_system_sgpr_workgroup_id_x 1
		.amdhsa_system_sgpr_workgroup_id_y 0
		.amdhsa_system_sgpr_workgroup_id_z 0
		.amdhsa_system_sgpr_workgroup_info 0
		.amdhsa_system_vgpr_workitem_id 0
		.amdhsa_next_free_vgpr 1
		.amdhsa_next_free_sgpr 1
		.amdhsa_named_barrier_count 0
		.amdhsa_reserve_vcc 0
		.amdhsa_float_round_mode_32 0
		.amdhsa_float_round_mode_16_64 0
		.amdhsa_float_denorm_mode_32 3
		.amdhsa_float_denorm_mode_16_64 3
		.amdhsa_fp16_overflow 0
		.amdhsa_memory_ordered 1
		.amdhsa_forward_progress 1
		.amdhsa_inst_pref_size 0
		.amdhsa_round_robin_scheduling 0
		.amdhsa_exception_fp_ieee_invalid_op 0
		.amdhsa_exception_fp_denorm_src 0
		.amdhsa_exception_fp_ieee_div_zero 0
		.amdhsa_exception_fp_ieee_overflow 0
		.amdhsa_exception_fp_ieee_underflow 0
		.amdhsa_exception_fp_ieee_inexact 0
		.amdhsa_exception_int_div_zero 0
	.end_amdhsa_kernel
	.section	.text._ZN7rocprim17ROCPRIM_400000_NS6detail17trampoline_kernelINS0_14default_configENS1_33run_length_encode_config_selectorIdjNS0_4plusIjEEEEZZNS1_33reduce_by_key_impl_wrapped_configILNS1_25lookback_scan_determinismE0ES3_S7_PKdNS0_17constant_iteratorIjlEEPdPlSF_S6_NS0_8equal_toIdEEEE10hipError_tPvRmT2_T3_mT4_T5_T6_T7_T8_P12ihipStream_tbENKUlT_T0_E_clISt17integral_constantIbLb1EESZ_EEDaSU_SV_EUlSU_E_NS1_11comp_targetILNS1_3genE9ELNS1_11target_archE1100ELNS1_3gpuE3ELNS1_3repE0EEENS1_30default_config_static_selectorELNS0_4arch9wavefront6targetE0EEEvT1_,"axG",@progbits,_ZN7rocprim17ROCPRIM_400000_NS6detail17trampoline_kernelINS0_14default_configENS1_33run_length_encode_config_selectorIdjNS0_4plusIjEEEEZZNS1_33reduce_by_key_impl_wrapped_configILNS1_25lookback_scan_determinismE0ES3_S7_PKdNS0_17constant_iteratorIjlEEPdPlSF_S6_NS0_8equal_toIdEEEE10hipError_tPvRmT2_T3_mT4_T5_T6_T7_T8_P12ihipStream_tbENKUlT_T0_E_clISt17integral_constantIbLb1EESZ_EEDaSU_SV_EUlSU_E_NS1_11comp_targetILNS1_3genE9ELNS1_11target_archE1100ELNS1_3gpuE3ELNS1_3repE0EEENS1_30default_config_static_selectorELNS0_4arch9wavefront6targetE0EEEvT1_,comdat
.Lfunc_end320:
	.size	_ZN7rocprim17ROCPRIM_400000_NS6detail17trampoline_kernelINS0_14default_configENS1_33run_length_encode_config_selectorIdjNS0_4plusIjEEEEZZNS1_33reduce_by_key_impl_wrapped_configILNS1_25lookback_scan_determinismE0ES3_S7_PKdNS0_17constant_iteratorIjlEEPdPlSF_S6_NS0_8equal_toIdEEEE10hipError_tPvRmT2_T3_mT4_T5_T6_T7_T8_P12ihipStream_tbENKUlT_T0_E_clISt17integral_constantIbLb1EESZ_EEDaSU_SV_EUlSU_E_NS1_11comp_targetILNS1_3genE9ELNS1_11target_archE1100ELNS1_3gpuE3ELNS1_3repE0EEENS1_30default_config_static_selectorELNS0_4arch9wavefront6targetE0EEEvT1_, .Lfunc_end320-_ZN7rocprim17ROCPRIM_400000_NS6detail17trampoline_kernelINS0_14default_configENS1_33run_length_encode_config_selectorIdjNS0_4plusIjEEEEZZNS1_33reduce_by_key_impl_wrapped_configILNS1_25lookback_scan_determinismE0ES3_S7_PKdNS0_17constant_iteratorIjlEEPdPlSF_S6_NS0_8equal_toIdEEEE10hipError_tPvRmT2_T3_mT4_T5_T6_T7_T8_P12ihipStream_tbENKUlT_T0_E_clISt17integral_constantIbLb1EESZ_EEDaSU_SV_EUlSU_E_NS1_11comp_targetILNS1_3genE9ELNS1_11target_archE1100ELNS1_3gpuE3ELNS1_3repE0EEENS1_30default_config_static_selectorELNS0_4arch9wavefront6targetE0EEEvT1_
                                        ; -- End function
	.set _ZN7rocprim17ROCPRIM_400000_NS6detail17trampoline_kernelINS0_14default_configENS1_33run_length_encode_config_selectorIdjNS0_4plusIjEEEEZZNS1_33reduce_by_key_impl_wrapped_configILNS1_25lookback_scan_determinismE0ES3_S7_PKdNS0_17constant_iteratorIjlEEPdPlSF_S6_NS0_8equal_toIdEEEE10hipError_tPvRmT2_T3_mT4_T5_T6_T7_T8_P12ihipStream_tbENKUlT_T0_E_clISt17integral_constantIbLb1EESZ_EEDaSU_SV_EUlSU_E_NS1_11comp_targetILNS1_3genE9ELNS1_11target_archE1100ELNS1_3gpuE3ELNS1_3repE0EEENS1_30default_config_static_selectorELNS0_4arch9wavefront6targetE0EEEvT1_.num_vgpr, 0
	.set _ZN7rocprim17ROCPRIM_400000_NS6detail17trampoline_kernelINS0_14default_configENS1_33run_length_encode_config_selectorIdjNS0_4plusIjEEEEZZNS1_33reduce_by_key_impl_wrapped_configILNS1_25lookback_scan_determinismE0ES3_S7_PKdNS0_17constant_iteratorIjlEEPdPlSF_S6_NS0_8equal_toIdEEEE10hipError_tPvRmT2_T3_mT4_T5_T6_T7_T8_P12ihipStream_tbENKUlT_T0_E_clISt17integral_constantIbLb1EESZ_EEDaSU_SV_EUlSU_E_NS1_11comp_targetILNS1_3genE9ELNS1_11target_archE1100ELNS1_3gpuE3ELNS1_3repE0EEENS1_30default_config_static_selectorELNS0_4arch9wavefront6targetE0EEEvT1_.num_agpr, 0
	.set _ZN7rocprim17ROCPRIM_400000_NS6detail17trampoline_kernelINS0_14default_configENS1_33run_length_encode_config_selectorIdjNS0_4plusIjEEEEZZNS1_33reduce_by_key_impl_wrapped_configILNS1_25lookback_scan_determinismE0ES3_S7_PKdNS0_17constant_iteratorIjlEEPdPlSF_S6_NS0_8equal_toIdEEEE10hipError_tPvRmT2_T3_mT4_T5_T6_T7_T8_P12ihipStream_tbENKUlT_T0_E_clISt17integral_constantIbLb1EESZ_EEDaSU_SV_EUlSU_E_NS1_11comp_targetILNS1_3genE9ELNS1_11target_archE1100ELNS1_3gpuE3ELNS1_3repE0EEENS1_30default_config_static_selectorELNS0_4arch9wavefront6targetE0EEEvT1_.numbered_sgpr, 0
	.set _ZN7rocprim17ROCPRIM_400000_NS6detail17trampoline_kernelINS0_14default_configENS1_33run_length_encode_config_selectorIdjNS0_4plusIjEEEEZZNS1_33reduce_by_key_impl_wrapped_configILNS1_25lookback_scan_determinismE0ES3_S7_PKdNS0_17constant_iteratorIjlEEPdPlSF_S6_NS0_8equal_toIdEEEE10hipError_tPvRmT2_T3_mT4_T5_T6_T7_T8_P12ihipStream_tbENKUlT_T0_E_clISt17integral_constantIbLb1EESZ_EEDaSU_SV_EUlSU_E_NS1_11comp_targetILNS1_3genE9ELNS1_11target_archE1100ELNS1_3gpuE3ELNS1_3repE0EEENS1_30default_config_static_selectorELNS0_4arch9wavefront6targetE0EEEvT1_.num_named_barrier, 0
	.set _ZN7rocprim17ROCPRIM_400000_NS6detail17trampoline_kernelINS0_14default_configENS1_33run_length_encode_config_selectorIdjNS0_4plusIjEEEEZZNS1_33reduce_by_key_impl_wrapped_configILNS1_25lookback_scan_determinismE0ES3_S7_PKdNS0_17constant_iteratorIjlEEPdPlSF_S6_NS0_8equal_toIdEEEE10hipError_tPvRmT2_T3_mT4_T5_T6_T7_T8_P12ihipStream_tbENKUlT_T0_E_clISt17integral_constantIbLb1EESZ_EEDaSU_SV_EUlSU_E_NS1_11comp_targetILNS1_3genE9ELNS1_11target_archE1100ELNS1_3gpuE3ELNS1_3repE0EEENS1_30default_config_static_selectorELNS0_4arch9wavefront6targetE0EEEvT1_.private_seg_size, 0
	.set _ZN7rocprim17ROCPRIM_400000_NS6detail17trampoline_kernelINS0_14default_configENS1_33run_length_encode_config_selectorIdjNS0_4plusIjEEEEZZNS1_33reduce_by_key_impl_wrapped_configILNS1_25lookback_scan_determinismE0ES3_S7_PKdNS0_17constant_iteratorIjlEEPdPlSF_S6_NS0_8equal_toIdEEEE10hipError_tPvRmT2_T3_mT4_T5_T6_T7_T8_P12ihipStream_tbENKUlT_T0_E_clISt17integral_constantIbLb1EESZ_EEDaSU_SV_EUlSU_E_NS1_11comp_targetILNS1_3genE9ELNS1_11target_archE1100ELNS1_3gpuE3ELNS1_3repE0EEENS1_30default_config_static_selectorELNS0_4arch9wavefront6targetE0EEEvT1_.uses_vcc, 0
	.set _ZN7rocprim17ROCPRIM_400000_NS6detail17trampoline_kernelINS0_14default_configENS1_33run_length_encode_config_selectorIdjNS0_4plusIjEEEEZZNS1_33reduce_by_key_impl_wrapped_configILNS1_25lookback_scan_determinismE0ES3_S7_PKdNS0_17constant_iteratorIjlEEPdPlSF_S6_NS0_8equal_toIdEEEE10hipError_tPvRmT2_T3_mT4_T5_T6_T7_T8_P12ihipStream_tbENKUlT_T0_E_clISt17integral_constantIbLb1EESZ_EEDaSU_SV_EUlSU_E_NS1_11comp_targetILNS1_3genE9ELNS1_11target_archE1100ELNS1_3gpuE3ELNS1_3repE0EEENS1_30default_config_static_selectorELNS0_4arch9wavefront6targetE0EEEvT1_.uses_flat_scratch, 0
	.set _ZN7rocprim17ROCPRIM_400000_NS6detail17trampoline_kernelINS0_14default_configENS1_33run_length_encode_config_selectorIdjNS0_4plusIjEEEEZZNS1_33reduce_by_key_impl_wrapped_configILNS1_25lookback_scan_determinismE0ES3_S7_PKdNS0_17constant_iteratorIjlEEPdPlSF_S6_NS0_8equal_toIdEEEE10hipError_tPvRmT2_T3_mT4_T5_T6_T7_T8_P12ihipStream_tbENKUlT_T0_E_clISt17integral_constantIbLb1EESZ_EEDaSU_SV_EUlSU_E_NS1_11comp_targetILNS1_3genE9ELNS1_11target_archE1100ELNS1_3gpuE3ELNS1_3repE0EEENS1_30default_config_static_selectorELNS0_4arch9wavefront6targetE0EEEvT1_.has_dyn_sized_stack, 0
	.set _ZN7rocprim17ROCPRIM_400000_NS6detail17trampoline_kernelINS0_14default_configENS1_33run_length_encode_config_selectorIdjNS0_4plusIjEEEEZZNS1_33reduce_by_key_impl_wrapped_configILNS1_25lookback_scan_determinismE0ES3_S7_PKdNS0_17constant_iteratorIjlEEPdPlSF_S6_NS0_8equal_toIdEEEE10hipError_tPvRmT2_T3_mT4_T5_T6_T7_T8_P12ihipStream_tbENKUlT_T0_E_clISt17integral_constantIbLb1EESZ_EEDaSU_SV_EUlSU_E_NS1_11comp_targetILNS1_3genE9ELNS1_11target_archE1100ELNS1_3gpuE3ELNS1_3repE0EEENS1_30default_config_static_selectorELNS0_4arch9wavefront6targetE0EEEvT1_.has_recursion, 0
	.set _ZN7rocprim17ROCPRIM_400000_NS6detail17trampoline_kernelINS0_14default_configENS1_33run_length_encode_config_selectorIdjNS0_4plusIjEEEEZZNS1_33reduce_by_key_impl_wrapped_configILNS1_25lookback_scan_determinismE0ES3_S7_PKdNS0_17constant_iteratorIjlEEPdPlSF_S6_NS0_8equal_toIdEEEE10hipError_tPvRmT2_T3_mT4_T5_T6_T7_T8_P12ihipStream_tbENKUlT_T0_E_clISt17integral_constantIbLb1EESZ_EEDaSU_SV_EUlSU_E_NS1_11comp_targetILNS1_3genE9ELNS1_11target_archE1100ELNS1_3gpuE3ELNS1_3repE0EEENS1_30default_config_static_selectorELNS0_4arch9wavefront6targetE0EEEvT1_.has_indirect_call, 0
	.section	.AMDGPU.csdata,"",@progbits
; Kernel info:
; codeLenInByte = 0
; TotalNumSgprs: 0
; NumVgprs: 0
; ScratchSize: 0
; MemoryBound: 0
; FloatMode: 240
; IeeeMode: 1
; LDSByteSize: 0 bytes/workgroup (compile time only)
; SGPRBlocks: 0
; VGPRBlocks: 0
; NumSGPRsForWavesPerEU: 1
; NumVGPRsForWavesPerEU: 1
; NamedBarCnt: 0
; Occupancy: 16
; WaveLimiterHint : 0
; COMPUTE_PGM_RSRC2:SCRATCH_EN: 0
; COMPUTE_PGM_RSRC2:USER_SGPR: 2
; COMPUTE_PGM_RSRC2:TRAP_HANDLER: 0
; COMPUTE_PGM_RSRC2:TGID_X_EN: 1
; COMPUTE_PGM_RSRC2:TGID_Y_EN: 0
; COMPUTE_PGM_RSRC2:TGID_Z_EN: 0
; COMPUTE_PGM_RSRC2:TIDIG_COMP_CNT: 0
	.section	.text._ZN7rocprim17ROCPRIM_400000_NS6detail17trampoline_kernelINS0_14default_configENS1_33run_length_encode_config_selectorIdjNS0_4plusIjEEEEZZNS1_33reduce_by_key_impl_wrapped_configILNS1_25lookback_scan_determinismE0ES3_S7_PKdNS0_17constant_iteratorIjlEEPdPlSF_S6_NS0_8equal_toIdEEEE10hipError_tPvRmT2_T3_mT4_T5_T6_T7_T8_P12ihipStream_tbENKUlT_T0_E_clISt17integral_constantIbLb1EESZ_EEDaSU_SV_EUlSU_E_NS1_11comp_targetILNS1_3genE8ELNS1_11target_archE1030ELNS1_3gpuE2ELNS1_3repE0EEENS1_30default_config_static_selectorELNS0_4arch9wavefront6targetE0EEEvT1_,"axG",@progbits,_ZN7rocprim17ROCPRIM_400000_NS6detail17trampoline_kernelINS0_14default_configENS1_33run_length_encode_config_selectorIdjNS0_4plusIjEEEEZZNS1_33reduce_by_key_impl_wrapped_configILNS1_25lookback_scan_determinismE0ES3_S7_PKdNS0_17constant_iteratorIjlEEPdPlSF_S6_NS0_8equal_toIdEEEE10hipError_tPvRmT2_T3_mT4_T5_T6_T7_T8_P12ihipStream_tbENKUlT_T0_E_clISt17integral_constantIbLb1EESZ_EEDaSU_SV_EUlSU_E_NS1_11comp_targetILNS1_3genE8ELNS1_11target_archE1030ELNS1_3gpuE2ELNS1_3repE0EEENS1_30default_config_static_selectorELNS0_4arch9wavefront6targetE0EEEvT1_,comdat
	.protected	_ZN7rocprim17ROCPRIM_400000_NS6detail17trampoline_kernelINS0_14default_configENS1_33run_length_encode_config_selectorIdjNS0_4plusIjEEEEZZNS1_33reduce_by_key_impl_wrapped_configILNS1_25lookback_scan_determinismE0ES3_S7_PKdNS0_17constant_iteratorIjlEEPdPlSF_S6_NS0_8equal_toIdEEEE10hipError_tPvRmT2_T3_mT4_T5_T6_T7_T8_P12ihipStream_tbENKUlT_T0_E_clISt17integral_constantIbLb1EESZ_EEDaSU_SV_EUlSU_E_NS1_11comp_targetILNS1_3genE8ELNS1_11target_archE1030ELNS1_3gpuE2ELNS1_3repE0EEENS1_30default_config_static_selectorELNS0_4arch9wavefront6targetE0EEEvT1_ ; -- Begin function _ZN7rocprim17ROCPRIM_400000_NS6detail17trampoline_kernelINS0_14default_configENS1_33run_length_encode_config_selectorIdjNS0_4plusIjEEEEZZNS1_33reduce_by_key_impl_wrapped_configILNS1_25lookback_scan_determinismE0ES3_S7_PKdNS0_17constant_iteratorIjlEEPdPlSF_S6_NS0_8equal_toIdEEEE10hipError_tPvRmT2_T3_mT4_T5_T6_T7_T8_P12ihipStream_tbENKUlT_T0_E_clISt17integral_constantIbLb1EESZ_EEDaSU_SV_EUlSU_E_NS1_11comp_targetILNS1_3genE8ELNS1_11target_archE1030ELNS1_3gpuE2ELNS1_3repE0EEENS1_30default_config_static_selectorELNS0_4arch9wavefront6targetE0EEEvT1_
	.globl	_ZN7rocprim17ROCPRIM_400000_NS6detail17trampoline_kernelINS0_14default_configENS1_33run_length_encode_config_selectorIdjNS0_4plusIjEEEEZZNS1_33reduce_by_key_impl_wrapped_configILNS1_25lookback_scan_determinismE0ES3_S7_PKdNS0_17constant_iteratorIjlEEPdPlSF_S6_NS0_8equal_toIdEEEE10hipError_tPvRmT2_T3_mT4_T5_T6_T7_T8_P12ihipStream_tbENKUlT_T0_E_clISt17integral_constantIbLb1EESZ_EEDaSU_SV_EUlSU_E_NS1_11comp_targetILNS1_3genE8ELNS1_11target_archE1030ELNS1_3gpuE2ELNS1_3repE0EEENS1_30default_config_static_selectorELNS0_4arch9wavefront6targetE0EEEvT1_
	.p2align	8
	.type	_ZN7rocprim17ROCPRIM_400000_NS6detail17trampoline_kernelINS0_14default_configENS1_33run_length_encode_config_selectorIdjNS0_4plusIjEEEEZZNS1_33reduce_by_key_impl_wrapped_configILNS1_25lookback_scan_determinismE0ES3_S7_PKdNS0_17constant_iteratorIjlEEPdPlSF_S6_NS0_8equal_toIdEEEE10hipError_tPvRmT2_T3_mT4_T5_T6_T7_T8_P12ihipStream_tbENKUlT_T0_E_clISt17integral_constantIbLb1EESZ_EEDaSU_SV_EUlSU_E_NS1_11comp_targetILNS1_3genE8ELNS1_11target_archE1030ELNS1_3gpuE2ELNS1_3repE0EEENS1_30default_config_static_selectorELNS0_4arch9wavefront6targetE0EEEvT1_,@function
_ZN7rocprim17ROCPRIM_400000_NS6detail17trampoline_kernelINS0_14default_configENS1_33run_length_encode_config_selectorIdjNS0_4plusIjEEEEZZNS1_33reduce_by_key_impl_wrapped_configILNS1_25lookback_scan_determinismE0ES3_S7_PKdNS0_17constant_iteratorIjlEEPdPlSF_S6_NS0_8equal_toIdEEEE10hipError_tPvRmT2_T3_mT4_T5_T6_T7_T8_P12ihipStream_tbENKUlT_T0_E_clISt17integral_constantIbLb1EESZ_EEDaSU_SV_EUlSU_E_NS1_11comp_targetILNS1_3genE8ELNS1_11target_archE1030ELNS1_3gpuE2ELNS1_3repE0EEENS1_30default_config_static_selectorELNS0_4arch9wavefront6targetE0EEEvT1_: ; @_ZN7rocprim17ROCPRIM_400000_NS6detail17trampoline_kernelINS0_14default_configENS1_33run_length_encode_config_selectorIdjNS0_4plusIjEEEEZZNS1_33reduce_by_key_impl_wrapped_configILNS1_25lookback_scan_determinismE0ES3_S7_PKdNS0_17constant_iteratorIjlEEPdPlSF_S6_NS0_8equal_toIdEEEE10hipError_tPvRmT2_T3_mT4_T5_T6_T7_T8_P12ihipStream_tbENKUlT_T0_E_clISt17integral_constantIbLb1EESZ_EEDaSU_SV_EUlSU_E_NS1_11comp_targetILNS1_3genE8ELNS1_11target_archE1030ELNS1_3gpuE2ELNS1_3repE0EEENS1_30default_config_static_selectorELNS0_4arch9wavefront6targetE0EEEvT1_
; %bb.0:
	.section	.rodata,"a",@progbits
	.p2align	6, 0x0
	.amdhsa_kernel _ZN7rocprim17ROCPRIM_400000_NS6detail17trampoline_kernelINS0_14default_configENS1_33run_length_encode_config_selectorIdjNS0_4plusIjEEEEZZNS1_33reduce_by_key_impl_wrapped_configILNS1_25lookback_scan_determinismE0ES3_S7_PKdNS0_17constant_iteratorIjlEEPdPlSF_S6_NS0_8equal_toIdEEEE10hipError_tPvRmT2_T3_mT4_T5_T6_T7_T8_P12ihipStream_tbENKUlT_T0_E_clISt17integral_constantIbLb1EESZ_EEDaSU_SV_EUlSU_E_NS1_11comp_targetILNS1_3genE8ELNS1_11target_archE1030ELNS1_3gpuE2ELNS1_3repE0EEENS1_30default_config_static_selectorELNS0_4arch9wavefront6targetE0EEEvT1_
		.amdhsa_group_segment_fixed_size 0
		.amdhsa_private_segment_fixed_size 0
		.amdhsa_kernarg_size 128
		.amdhsa_user_sgpr_count 2
		.amdhsa_user_sgpr_dispatch_ptr 0
		.amdhsa_user_sgpr_queue_ptr 0
		.amdhsa_user_sgpr_kernarg_segment_ptr 1
		.amdhsa_user_sgpr_dispatch_id 0
		.amdhsa_user_sgpr_kernarg_preload_length 0
		.amdhsa_user_sgpr_kernarg_preload_offset 0
		.amdhsa_user_sgpr_private_segment_size 0
		.amdhsa_wavefront_size32 1
		.amdhsa_uses_dynamic_stack 0
		.amdhsa_enable_private_segment 0
		.amdhsa_system_sgpr_workgroup_id_x 1
		.amdhsa_system_sgpr_workgroup_id_y 0
		.amdhsa_system_sgpr_workgroup_id_z 0
		.amdhsa_system_sgpr_workgroup_info 0
		.amdhsa_system_vgpr_workitem_id 0
		.amdhsa_next_free_vgpr 1
		.amdhsa_next_free_sgpr 1
		.amdhsa_named_barrier_count 0
		.amdhsa_reserve_vcc 0
		.amdhsa_float_round_mode_32 0
		.amdhsa_float_round_mode_16_64 0
		.amdhsa_float_denorm_mode_32 3
		.amdhsa_float_denorm_mode_16_64 3
		.amdhsa_fp16_overflow 0
		.amdhsa_memory_ordered 1
		.amdhsa_forward_progress 1
		.amdhsa_inst_pref_size 0
		.amdhsa_round_robin_scheduling 0
		.amdhsa_exception_fp_ieee_invalid_op 0
		.amdhsa_exception_fp_denorm_src 0
		.amdhsa_exception_fp_ieee_div_zero 0
		.amdhsa_exception_fp_ieee_overflow 0
		.amdhsa_exception_fp_ieee_underflow 0
		.amdhsa_exception_fp_ieee_inexact 0
		.amdhsa_exception_int_div_zero 0
	.end_amdhsa_kernel
	.section	.text._ZN7rocprim17ROCPRIM_400000_NS6detail17trampoline_kernelINS0_14default_configENS1_33run_length_encode_config_selectorIdjNS0_4plusIjEEEEZZNS1_33reduce_by_key_impl_wrapped_configILNS1_25lookback_scan_determinismE0ES3_S7_PKdNS0_17constant_iteratorIjlEEPdPlSF_S6_NS0_8equal_toIdEEEE10hipError_tPvRmT2_T3_mT4_T5_T6_T7_T8_P12ihipStream_tbENKUlT_T0_E_clISt17integral_constantIbLb1EESZ_EEDaSU_SV_EUlSU_E_NS1_11comp_targetILNS1_3genE8ELNS1_11target_archE1030ELNS1_3gpuE2ELNS1_3repE0EEENS1_30default_config_static_selectorELNS0_4arch9wavefront6targetE0EEEvT1_,"axG",@progbits,_ZN7rocprim17ROCPRIM_400000_NS6detail17trampoline_kernelINS0_14default_configENS1_33run_length_encode_config_selectorIdjNS0_4plusIjEEEEZZNS1_33reduce_by_key_impl_wrapped_configILNS1_25lookback_scan_determinismE0ES3_S7_PKdNS0_17constant_iteratorIjlEEPdPlSF_S6_NS0_8equal_toIdEEEE10hipError_tPvRmT2_T3_mT4_T5_T6_T7_T8_P12ihipStream_tbENKUlT_T0_E_clISt17integral_constantIbLb1EESZ_EEDaSU_SV_EUlSU_E_NS1_11comp_targetILNS1_3genE8ELNS1_11target_archE1030ELNS1_3gpuE2ELNS1_3repE0EEENS1_30default_config_static_selectorELNS0_4arch9wavefront6targetE0EEEvT1_,comdat
.Lfunc_end321:
	.size	_ZN7rocprim17ROCPRIM_400000_NS6detail17trampoline_kernelINS0_14default_configENS1_33run_length_encode_config_selectorIdjNS0_4plusIjEEEEZZNS1_33reduce_by_key_impl_wrapped_configILNS1_25lookback_scan_determinismE0ES3_S7_PKdNS0_17constant_iteratorIjlEEPdPlSF_S6_NS0_8equal_toIdEEEE10hipError_tPvRmT2_T3_mT4_T5_T6_T7_T8_P12ihipStream_tbENKUlT_T0_E_clISt17integral_constantIbLb1EESZ_EEDaSU_SV_EUlSU_E_NS1_11comp_targetILNS1_3genE8ELNS1_11target_archE1030ELNS1_3gpuE2ELNS1_3repE0EEENS1_30default_config_static_selectorELNS0_4arch9wavefront6targetE0EEEvT1_, .Lfunc_end321-_ZN7rocprim17ROCPRIM_400000_NS6detail17trampoline_kernelINS0_14default_configENS1_33run_length_encode_config_selectorIdjNS0_4plusIjEEEEZZNS1_33reduce_by_key_impl_wrapped_configILNS1_25lookback_scan_determinismE0ES3_S7_PKdNS0_17constant_iteratorIjlEEPdPlSF_S6_NS0_8equal_toIdEEEE10hipError_tPvRmT2_T3_mT4_T5_T6_T7_T8_P12ihipStream_tbENKUlT_T0_E_clISt17integral_constantIbLb1EESZ_EEDaSU_SV_EUlSU_E_NS1_11comp_targetILNS1_3genE8ELNS1_11target_archE1030ELNS1_3gpuE2ELNS1_3repE0EEENS1_30default_config_static_selectorELNS0_4arch9wavefront6targetE0EEEvT1_
                                        ; -- End function
	.set _ZN7rocprim17ROCPRIM_400000_NS6detail17trampoline_kernelINS0_14default_configENS1_33run_length_encode_config_selectorIdjNS0_4plusIjEEEEZZNS1_33reduce_by_key_impl_wrapped_configILNS1_25lookback_scan_determinismE0ES3_S7_PKdNS0_17constant_iteratorIjlEEPdPlSF_S6_NS0_8equal_toIdEEEE10hipError_tPvRmT2_T3_mT4_T5_T6_T7_T8_P12ihipStream_tbENKUlT_T0_E_clISt17integral_constantIbLb1EESZ_EEDaSU_SV_EUlSU_E_NS1_11comp_targetILNS1_3genE8ELNS1_11target_archE1030ELNS1_3gpuE2ELNS1_3repE0EEENS1_30default_config_static_selectorELNS0_4arch9wavefront6targetE0EEEvT1_.num_vgpr, 0
	.set _ZN7rocprim17ROCPRIM_400000_NS6detail17trampoline_kernelINS0_14default_configENS1_33run_length_encode_config_selectorIdjNS0_4plusIjEEEEZZNS1_33reduce_by_key_impl_wrapped_configILNS1_25lookback_scan_determinismE0ES3_S7_PKdNS0_17constant_iteratorIjlEEPdPlSF_S6_NS0_8equal_toIdEEEE10hipError_tPvRmT2_T3_mT4_T5_T6_T7_T8_P12ihipStream_tbENKUlT_T0_E_clISt17integral_constantIbLb1EESZ_EEDaSU_SV_EUlSU_E_NS1_11comp_targetILNS1_3genE8ELNS1_11target_archE1030ELNS1_3gpuE2ELNS1_3repE0EEENS1_30default_config_static_selectorELNS0_4arch9wavefront6targetE0EEEvT1_.num_agpr, 0
	.set _ZN7rocprim17ROCPRIM_400000_NS6detail17trampoline_kernelINS0_14default_configENS1_33run_length_encode_config_selectorIdjNS0_4plusIjEEEEZZNS1_33reduce_by_key_impl_wrapped_configILNS1_25lookback_scan_determinismE0ES3_S7_PKdNS0_17constant_iteratorIjlEEPdPlSF_S6_NS0_8equal_toIdEEEE10hipError_tPvRmT2_T3_mT4_T5_T6_T7_T8_P12ihipStream_tbENKUlT_T0_E_clISt17integral_constantIbLb1EESZ_EEDaSU_SV_EUlSU_E_NS1_11comp_targetILNS1_3genE8ELNS1_11target_archE1030ELNS1_3gpuE2ELNS1_3repE0EEENS1_30default_config_static_selectorELNS0_4arch9wavefront6targetE0EEEvT1_.numbered_sgpr, 0
	.set _ZN7rocprim17ROCPRIM_400000_NS6detail17trampoline_kernelINS0_14default_configENS1_33run_length_encode_config_selectorIdjNS0_4plusIjEEEEZZNS1_33reduce_by_key_impl_wrapped_configILNS1_25lookback_scan_determinismE0ES3_S7_PKdNS0_17constant_iteratorIjlEEPdPlSF_S6_NS0_8equal_toIdEEEE10hipError_tPvRmT2_T3_mT4_T5_T6_T7_T8_P12ihipStream_tbENKUlT_T0_E_clISt17integral_constantIbLb1EESZ_EEDaSU_SV_EUlSU_E_NS1_11comp_targetILNS1_3genE8ELNS1_11target_archE1030ELNS1_3gpuE2ELNS1_3repE0EEENS1_30default_config_static_selectorELNS0_4arch9wavefront6targetE0EEEvT1_.num_named_barrier, 0
	.set _ZN7rocprim17ROCPRIM_400000_NS6detail17trampoline_kernelINS0_14default_configENS1_33run_length_encode_config_selectorIdjNS0_4plusIjEEEEZZNS1_33reduce_by_key_impl_wrapped_configILNS1_25lookback_scan_determinismE0ES3_S7_PKdNS0_17constant_iteratorIjlEEPdPlSF_S6_NS0_8equal_toIdEEEE10hipError_tPvRmT2_T3_mT4_T5_T6_T7_T8_P12ihipStream_tbENKUlT_T0_E_clISt17integral_constantIbLb1EESZ_EEDaSU_SV_EUlSU_E_NS1_11comp_targetILNS1_3genE8ELNS1_11target_archE1030ELNS1_3gpuE2ELNS1_3repE0EEENS1_30default_config_static_selectorELNS0_4arch9wavefront6targetE0EEEvT1_.private_seg_size, 0
	.set _ZN7rocprim17ROCPRIM_400000_NS6detail17trampoline_kernelINS0_14default_configENS1_33run_length_encode_config_selectorIdjNS0_4plusIjEEEEZZNS1_33reduce_by_key_impl_wrapped_configILNS1_25lookback_scan_determinismE0ES3_S7_PKdNS0_17constant_iteratorIjlEEPdPlSF_S6_NS0_8equal_toIdEEEE10hipError_tPvRmT2_T3_mT4_T5_T6_T7_T8_P12ihipStream_tbENKUlT_T0_E_clISt17integral_constantIbLb1EESZ_EEDaSU_SV_EUlSU_E_NS1_11comp_targetILNS1_3genE8ELNS1_11target_archE1030ELNS1_3gpuE2ELNS1_3repE0EEENS1_30default_config_static_selectorELNS0_4arch9wavefront6targetE0EEEvT1_.uses_vcc, 0
	.set _ZN7rocprim17ROCPRIM_400000_NS6detail17trampoline_kernelINS0_14default_configENS1_33run_length_encode_config_selectorIdjNS0_4plusIjEEEEZZNS1_33reduce_by_key_impl_wrapped_configILNS1_25lookback_scan_determinismE0ES3_S7_PKdNS0_17constant_iteratorIjlEEPdPlSF_S6_NS0_8equal_toIdEEEE10hipError_tPvRmT2_T3_mT4_T5_T6_T7_T8_P12ihipStream_tbENKUlT_T0_E_clISt17integral_constantIbLb1EESZ_EEDaSU_SV_EUlSU_E_NS1_11comp_targetILNS1_3genE8ELNS1_11target_archE1030ELNS1_3gpuE2ELNS1_3repE0EEENS1_30default_config_static_selectorELNS0_4arch9wavefront6targetE0EEEvT1_.uses_flat_scratch, 0
	.set _ZN7rocprim17ROCPRIM_400000_NS6detail17trampoline_kernelINS0_14default_configENS1_33run_length_encode_config_selectorIdjNS0_4plusIjEEEEZZNS1_33reduce_by_key_impl_wrapped_configILNS1_25lookback_scan_determinismE0ES3_S7_PKdNS0_17constant_iteratorIjlEEPdPlSF_S6_NS0_8equal_toIdEEEE10hipError_tPvRmT2_T3_mT4_T5_T6_T7_T8_P12ihipStream_tbENKUlT_T0_E_clISt17integral_constantIbLb1EESZ_EEDaSU_SV_EUlSU_E_NS1_11comp_targetILNS1_3genE8ELNS1_11target_archE1030ELNS1_3gpuE2ELNS1_3repE0EEENS1_30default_config_static_selectorELNS0_4arch9wavefront6targetE0EEEvT1_.has_dyn_sized_stack, 0
	.set _ZN7rocprim17ROCPRIM_400000_NS6detail17trampoline_kernelINS0_14default_configENS1_33run_length_encode_config_selectorIdjNS0_4plusIjEEEEZZNS1_33reduce_by_key_impl_wrapped_configILNS1_25lookback_scan_determinismE0ES3_S7_PKdNS0_17constant_iteratorIjlEEPdPlSF_S6_NS0_8equal_toIdEEEE10hipError_tPvRmT2_T3_mT4_T5_T6_T7_T8_P12ihipStream_tbENKUlT_T0_E_clISt17integral_constantIbLb1EESZ_EEDaSU_SV_EUlSU_E_NS1_11comp_targetILNS1_3genE8ELNS1_11target_archE1030ELNS1_3gpuE2ELNS1_3repE0EEENS1_30default_config_static_selectorELNS0_4arch9wavefront6targetE0EEEvT1_.has_recursion, 0
	.set _ZN7rocprim17ROCPRIM_400000_NS6detail17trampoline_kernelINS0_14default_configENS1_33run_length_encode_config_selectorIdjNS0_4plusIjEEEEZZNS1_33reduce_by_key_impl_wrapped_configILNS1_25lookback_scan_determinismE0ES3_S7_PKdNS0_17constant_iteratorIjlEEPdPlSF_S6_NS0_8equal_toIdEEEE10hipError_tPvRmT2_T3_mT4_T5_T6_T7_T8_P12ihipStream_tbENKUlT_T0_E_clISt17integral_constantIbLb1EESZ_EEDaSU_SV_EUlSU_E_NS1_11comp_targetILNS1_3genE8ELNS1_11target_archE1030ELNS1_3gpuE2ELNS1_3repE0EEENS1_30default_config_static_selectorELNS0_4arch9wavefront6targetE0EEEvT1_.has_indirect_call, 0
	.section	.AMDGPU.csdata,"",@progbits
; Kernel info:
; codeLenInByte = 0
; TotalNumSgprs: 0
; NumVgprs: 0
; ScratchSize: 0
; MemoryBound: 0
; FloatMode: 240
; IeeeMode: 1
; LDSByteSize: 0 bytes/workgroup (compile time only)
; SGPRBlocks: 0
; VGPRBlocks: 0
; NumSGPRsForWavesPerEU: 1
; NumVGPRsForWavesPerEU: 1
; NamedBarCnt: 0
; Occupancy: 16
; WaveLimiterHint : 0
; COMPUTE_PGM_RSRC2:SCRATCH_EN: 0
; COMPUTE_PGM_RSRC2:USER_SGPR: 2
; COMPUTE_PGM_RSRC2:TRAP_HANDLER: 0
; COMPUTE_PGM_RSRC2:TGID_X_EN: 1
; COMPUTE_PGM_RSRC2:TGID_Y_EN: 0
; COMPUTE_PGM_RSRC2:TGID_Z_EN: 0
; COMPUTE_PGM_RSRC2:TIDIG_COMP_CNT: 0
	.section	.text._ZN7rocprim17ROCPRIM_400000_NS6detail17trampoline_kernelINS0_14default_configENS1_33run_length_encode_config_selectorIdjNS0_4plusIjEEEEZZNS1_33reduce_by_key_impl_wrapped_configILNS1_25lookback_scan_determinismE0ES3_S7_PKdNS0_17constant_iteratorIjlEEPdPlSF_S6_NS0_8equal_toIdEEEE10hipError_tPvRmT2_T3_mT4_T5_T6_T7_T8_P12ihipStream_tbENKUlT_T0_E_clISt17integral_constantIbLb1EESY_IbLb0EEEEDaSU_SV_EUlSU_E_NS1_11comp_targetILNS1_3genE0ELNS1_11target_archE4294967295ELNS1_3gpuE0ELNS1_3repE0EEENS1_30default_config_static_selectorELNS0_4arch9wavefront6targetE0EEEvT1_,"axG",@progbits,_ZN7rocprim17ROCPRIM_400000_NS6detail17trampoline_kernelINS0_14default_configENS1_33run_length_encode_config_selectorIdjNS0_4plusIjEEEEZZNS1_33reduce_by_key_impl_wrapped_configILNS1_25lookback_scan_determinismE0ES3_S7_PKdNS0_17constant_iteratorIjlEEPdPlSF_S6_NS0_8equal_toIdEEEE10hipError_tPvRmT2_T3_mT4_T5_T6_T7_T8_P12ihipStream_tbENKUlT_T0_E_clISt17integral_constantIbLb1EESY_IbLb0EEEEDaSU_SV_EUlSU_E_NS1_11comp_targetILNS1_3genE0ELNS1_11target_archE4294967295ELNS1_3gpuE0ELNS1_3repE0EEENS1_30default_config_static_selectorELNS0_4arch9wavefront6targetE0EEEvT1_,comdat
	.protected	_ZN7rocprim17ROCPRIM_400000_NS6detail17trampoline_kernelINS0_14default_configENS1_33run_length_encode_config_selectorIdjNS0_4plusIjEEEEZZNS1_33reduce_by_key_impl_wrapped_configILNS1_25lookback_scan_determinismE0ES3_S7_PKdNS0_17constant_iteratorIjlEEPdPlSF_S6_NS0_8equal_toIdEEEE10hipError_tPvRmT2_T3_mT4_T5_T6_T7_T8_P12ihipStream_tbENKUlT_T0_E_clISt17integral_constantIbLb1EESY_IbLb0EEEEDaSU_SV_EUlSU_E_NS1_11comp_targetILNS1_3genE0ELNS1_11target_archE4294967295ELNS1_3gpuE0ELNS1_3repE0EEENS1_30default_config_static_selectorELNS0_4arch9wavefront6targetE0EEEvT1_ ; -- Begin function _ZN7rocprim17ROCPRIM_400000_NS6detail17trampoline_kernelINS0_14default_configENS1_33run_length_encode_config_selectorIdjNS0_4plusIjEEEEZZNS1_33reduce_by_key_impl_wrapped_configILNS1_25lookback_scan_determinismE0ES3_S7_PKdNS0_17constant_iteratorIjlEEPdPlSF_S6_NS0_8equal_toIdEEEE10hipError_tPvRmT2_T3_mT4_T5_T6_T7_T8_P12ihipStream_tbENKUlT_T0_E_clISt17integral_constantIbLb1EESY_IbLb0EEEEDaSU_SV_EUlSU_E_NS1_11comp_targetILNS1_3genE0ELNS1_11target_archE4294967295ELNS1_3gpuE0ELNS1_3repE0EEENS1_30default_config_static_selectorELNS0_4arch9wavefront6targetE0EEEvT1_
	.globl	_ZN7rocprim17ROCPRIM_400000_NS6detail17trampoline_kernelINS0_14default_configENS1_33run_length_encode_config_selectorIdjNS0_4plusIjEEEEZZNS1_33reduce_by_key_impl_wrapped_configILNS1_25lookback_scan_determinismE0ES3_S7_PKdNS0_17constant_iteratorIjlEEPdPlSF_S6_NS0_8equal_toIdEEEE10hipError_tPvRmT2_T3_mT4_T5_T6_T7_T8_P12ihipStream_tbENKUlT_T0_E_clISt17integral_constantIbLb1EESY_IbLb0EEEEDaSU_SV_EUlSU_E_NS1_11comp_targetILNS1_3genE0ELNS1_11target_archE4294967295ELNS1_3gpuE0ELNS1_3repE0EEENS1_30default_config_static_selectorELNS0_4arch9wavefront6targetE0EEEvT1_
	.p2align	8
	.type	_ZN7rocprim17ROCPRIM_400000_NS6detail17trampoline_kernelINS0_14default_configENS1_33run_length_encode_config_selectorIdjNS0_4plusIjEEEEZZNS1_33reduce_by_key_impl_wrapped_configILNS1_25lookback_scan_determinismE0ES3_S7_PKdNS0_17constant_iteratorIjlEEPdPlSF_S6_NS0_8equal_toIdEEEE10hipError_tPvRmT2_T3_mT4_T5_T6_T7_T8_P12ihipStream_tbENKUlT_T0_E_clISt17integral_constantIbLb1EESY_IbLb0EEEEDaSU_SV_EUlSU_E_NS1_11comp_targetILNS1_3genE0ELNS1_11target_archE4294967295ELNS1_3gpuE0ELNS1_3repE0EEENS1_30default_config_static_selectorELNS0_4arch9wavefront6targetE0EEEvT1_,@function
_ZN7rocprim17ROCPRIM_400000_NS6detail17trampoline_kernelINS0_14default_configENS1_33run_length_encode_config_selectorIdjNS0_4plusIjEEEEZZNS1_33reduce_by_key_impl_wrapped_configILNS1_25lookback_scan_determinismE0ES3_S7_PKdNS0_17constant_iteratorIjlEEPdPlSF_S6_NS0_8equal_toIdEEEE10hipError_tPvRmT2_T3_mT4_T5_T6_T7_T8_P12ihipStream_tbENKUlT_T0_E_clISt17integral_constantIbLb1EESY_IbLb0EEEEDaSU_SV_EUlSU_E_NS1_11comp_targetILNS1_3genE0ELNS1_11target_archE4294967295ELNS1_3gpuE0ELNS1_3repE0EEENS1_30default_config_static_selectorELNS0_4arch9wavefront6targetE0EEEvT1_: ; @_ZN7rocprim17ROCPRIM_400000_NS6detail17trampoline_kernelINS0_14default_configENS1_33run_length_encode_config_selectorIdjNS0_4plusIjEEEEZZNS1_33reduce_by_key_impl_wrapped_configILNS1_25lookback_scan_determinismE0ES3_S7_PKdNS0_17constant_iteratorIjlEEPdPlSF_S6_NS0_8equal_toIdEEEE10hipError_tPvRmT2_T3_mT4_T5_T6_T7_T8_P12ihipStream_tbENKUlT_T0_E_clISt17integral_constantIbLb1EESY_IbLb0EEEEDaSU_SV_EUlSU_E_NS1_11comp_targetILNS1_3genE0ELNS1_11target_archE4294967295ELNS1_3gpuE0ELNS1_3repE0EEENS1_30default_config_static_selectorELNS0_4arch9wavefront6targetE0EEEvT1_
; %bb.0:
	s_endpgm
	.section	.rodata,"a",@progbits
	.p2align	6, 0x0
	.amdhsa_kernel _ZN7rocprim17ROCPRIM_400000_NS6detail17trampoline_kernelINS0_14default_configENS1_33run_length_encode_config_selectorIdjNS0_4plusIjEEEEZZNS1_33reduce_by_key_impl_wrapped_configILNS1_25lookback_scan_determinismE0ES3_S7_PKdNS0_17constant_iteratorIjlEEPdPlSF_S6_NS0_8equal_toIdEEEE10hipError_tPvRmT2_T3_mT4_T5_T6_T7_T8_P12ihipStream_tbENKUlT_T0_E_clISt17integral_constantIbLb1EESY_IbLb0EEEEDaSU_SV_EUlSU_E_NS1_11comp_targetILNS1_3genE0ELNS1_11target_archE4294967295ELNS1_3gpuE0ELNS1_3repE0EEENS1_30default_config_static_selectorELNS0_4arch9wavefront6targetE0EEEvT1_
		.amdhsa_group_segment_fixed_size 0
		.amdhsa_private_segment_fixed_size 0
		.amdhsa_kernarg_size 128
		.amdhsa_user_sgpr_count 2
		.amdhsa_user_sgpr_dispatch_ptr 0
		.amdhsa_user_sgpr_queue_ptr 0
		.amdhsa_user_sgpr_kernarg_segment_ptr 1
		.amdhsa_user_sgpr_dispatch_id 0
		.amdhsa_user_sgpr_kernarg_preload_length 0
		.amdhsa_user_sgpr_kernarg_preload_offset 0
		.amdhsa_user_sgpr_private_segment_size 0
		.amdhsa_wavefront_size32 1
		.amdhsa_uses_dynamic_stack 0
		.amdhsa_enable_private_segment 0
		.amdhsa_system_sgpr_workgroup_id_x 1
		.amdhsa_system_sgpr_workgroup_id_y 0
		.amdhsa_system_sgpr_workgroup_id_z 0
		.amdhsa_system_sgpr_workgroup_info 0
		.amdhsa_system_vgpr_workitem_id 0
		.amdhsa_next_free_vgpr 1
		.amdhsa_next_free_sgpr 1
		.amdhsa_named_barrier_count 0
		.amdhsa_reserve_vcc 0
		.amdhsa_float_round_mode_32 0
		.amdhsa_float_round_mode_16_64 0
		.amdhsa_float_denorm_mode_32 3
		.amdhsa_float_denorm_mode_16_64 3
		.amdhsa_fp16_overflow 0
		.amdhsa_memory_ordered 1
		.amdhsa_forward_progress 1
		.amdhsa_inst_pref_size 1
		.amdhsa_round_robin_scheduling 0
		.amdhsa_exception_fp_ieee_invalid_op 0
		.amdhsa_exception_fp_denorm_src 0
		.amdhsa_exception_fp_ieee_div_zero 0
		.amdhsa_exception_fp_ieee_overflow 0
		.amdhsa_exception_fp_ieee_underflow 0
		.amdhsa_exception_fp_ieee_inexact 0
		.amdhsa_exception_int_div_zero 0
	.end_amdhsa_kernel
	.section	.text._ZN7rocprim17ROCPRIM_400000_NS6detail17trampoline_kernelINS0_14default_configENS1_33run_length_encode_config_selectorIdjNS0_4plusIjEEEEZZNS1_33reduce_by_key_impl_wrapped_configILNS1_25lookback_scan_determinismE0ES3_S7_PKdNS0_17constant_iteratorIjlEEPdPlSF_S6_NS0_8equal_toIdEEEE10hipError_tPvRmT2_T3_mT4_T5_T6_T7_T8_P12ihipStream_tbENKUlT_T0_E_clISt17integral_constantIbLb1EESY_IbLb0EEEEDaSU_SV_EUlSU_E_NS1_11comp_targetILNS1_3genE0ELNS1_11target_archE4294967295ELNS1_3gpuE0ELNS1_3repE0EEENS1_30default_config_static_selectorELNS0_4arch9wavefront6targetE0EEEvT1_,"axG",@progbits,_ZN7rocprim17ROCPRIM_400000_NS6detail17trampoline_kernelINS0_14default_configENS1_33run_length_encode_config_selectorIdjNS0_4plusIjEEEEZZNS1_33reduce_by_key_impl_wrapped_configILNS1_25lookback_scan_determinismE0ES3_S7_PKdNS0_17constant_iteratorIjlEEPdPlSF_S6_NS0_8equal_toIdEEEE10hipError_tPvRmT2_T3_mT4_T5_T6_T7_T8_P12ihipStream_tbENKUlT_T0_E_clISt17integral_constantIbLb1EESY_IbLb0EEEEDaSU_SV_EUlSU_E_NS1_11comp_targetILNS1_3genE0ELNS1_11target_archE4294967295ELNS1_3gpuE0ELNS1_3repE0EEENS1_30default_config_static_selectorELNS0_4arch9wavefront6targetE0EEEvT1_,comdat
.Lfunc_end322:
	.size	_ZN7rocprim17ROCPRIM_400000_NS6detail17trampoline_kernelINS0_14default_configENS1_33run_length_encode_config_selectorIdjNS0_4plusIjEEEEZZNS1_33reduce_by_key_impl_wrapped_configILNS1_25lookback_scan_determinismE0ES3_S7_PKdNS0_17constant_iteratorIjlEEPdPlSF_S6_NS0_8equal_toIdEEEE10hipError_tPvRmT2_T3_mT4_T5_T6_T7_T8_P12ihipStream_tbENKUlT_T0_E_clISt17integral_constantIbLb1EESY_IbLb0EEEEDaSU_SV_EUlSU_E_NS1_11comp_targetILNS1_3genE0ELNS1_11target_archE4294967295ELNS1_3gpuE0ELNS1_3repE0EEENS1_30default_config_static_selectorELNS0_4arch9wavefront6targetE0EEEvT1_, .Lfunc_end322-_ZN7rocprim17ROCPRIM_400000_NS6detail17trampoline_kernelINS0_14default_configENS1_33run_length_encode_config_selectorIdjNS0_4plusIjEEEEZZNS1_33reduce_by_key_impl_wrapped_configILNS1_25lookback_scan_determinismE0ES3_S7_PKdNS0_17constant_iteratorIjlEEPdPlSF_S6_NS0_8equal_toIdEEEE10hipError_tPvRmT2_T3_mT4_T5_T6_T7_T8_P12ihipStream_tbENKUlT_T0_E_clISt17integral_constantIbLb1EESY_IbLb0EEEEDaSU_SV_EUlSU_E_NS1_11comp_targetILNS1_3genE0ELNS1_11target_archE4294967295ELNS1_3gpuE0ELNS1_3repE0EEENS1_30default_config_static_selectorELNS0_4arch9wavefront6targetE0EEEvT1_
                                        ; -- End function
	.set _ZN7rocprim17ROCPRIM_400000_NS6detail17trampoline_kernelINS0_14default_configENS1_33run_length_encode_config_selectorIdjNS0_4plusIjEEEEZZNS1_33reduce_by_key_impl_wrapped_configILNS1_25lookback_scan_determinismE0ES3_S7_PKdNS0_17constant_iteratorIjlEEPdPlSF_S6_NS0_8equal_toIdEEEE10hipError_tPvRmT2_T3_mT4_T5_T6_T7_T8_P12ihipStream_tbENKUlT_T0_E_clISt17integral_constantIbLb1EESY_IbLb0EEEEDaSU_SV_EUlSU_E_NS1_11comp_targetILNS1_3genE0ELNS1_11target_archE4294967295ELNS1_3gpuE0ELNS1_3repE0EEENS1_30default_config_static_selectorELNS0_4arch9wavefront6targetE0EEEvT1_.num_vgpr, 0
	.set _ZN7rocprim17ROCPRIM_400000_NS6detail17trampoline_kernelINS0_14default_configENS1_33run_length_encode_config_selectorIdjNS0_4plusIjEEEEZZNS1_33reduce_by_key_impl_wrapped_configILNS1_25lookback_scan_determinismE0ES3_S7_PKdNS0_17constant_iteratorIjlEEPdPlSF_S6_NS0_8equal_toIdEEEE10hipError_tPvRmT2_T3_mT4_T5_T6_T7_T8_P12ihipStream_tbENKUlT_T0_E_clISt17integral_constantIbLb1EESY_IbLb0EEEEDaSU_SV_EUlSU_E_NS1_11comp_targetILNS1_3genE0ELNS1_11target_archE4294967295ELNS1_3gpuE0ELNS1_3repE0EEENS1_30default_config_static_selectorELNS0_4arch9wavefront6targetE0EEEvT1_.num_agpr, 0
	.set _ZN7rocprim17ROCPRIM_400000_NS6detail17trampoline_kernelINS0_14default_configENS1_33run_length_encode_config_selectorIdjNS0_4plusIjEEEEZZNS1_33reduce_by_key_impl_wrapped_configILNS1_25lookback_scan_determinismE0ES3_S7_PKdNS0_17constant_iteratorIjlEEPdPlSF_S6_NS0_8equal_toIdEEEE10hipError_tPvRmT2_T3_mT4_T5_T6_T7_T8_P12ihipStream_tbENKUlT_T0_E_clISt17integral_constantIbLb1EESY_IbLb0EEEEDaSU_SV_EUlSU_E_NS1_11comp_targetILNS1_3genE0ELNS1_11target_archE4294967295ELNS1_3gpuE0ELNS1_3repE0EEENS1_30default_config_static_selectorELNS0_4arch9wavefront6targetE0EEEvT1_.numbered_sgpr, 0
	.set _ZN7rocprim17ROCPRIM_400000_NS6detail17trampoline_kernelINS0_14default_configENS1_33run_length_encode_config_selectorIdjNS0_4plusIjEEEEZZNS1_33reduce_by_key_impl_wrapped_configILNS1_25lookback_scan_determinismE0ES3_S7_PKdNS0_17constant_iteratorIjlEEPdPlSF_S6_NS0_8equal_toIdEEEE10hipError_tPvRmT2_T3_mT4_T5_T6_T7_T8_P12ihipStream_tbENKUlT_T0_E_clISt17integral_constantIbLb1EESY_IbLb0EEEEDaSU_SV_EUlSU_E_NS1_11comp_targetILNS1_3genE0ELNS1_11target_archE4294967295ELNS1_3gpuE0ELNS1_3repE0EEENS1_30default_config_static_selectorELNS0_4arch9wavefront6targetE0EEEvT1_.num_named_barrier, 0
	.set _ZN7rocprim17ROCPRIM_400000_NS6detail17trampoline_kernelINS0_14default_configENS1_33run_length_encode_config_selectorIdjNS0_4plusIjEEEEZZNS1_33reduce_by_key_impl_wrapped_configILNS1_25lookback_scan_determinismE0ES3_S7_PKdNS0_17constant_iteratorIjlEEPdPlSF_S6_NS0_8equal_toIdEEEE10hipError_tPvRmT2_T3_mT4_T5_T6_T7_T8_P12ihipStream_tbENKUlT_T0_E_clISt17integral_constantIbLb1EESY_IbLb0EEEEDaSU_SV_EUlSU_E_NS1_11comp_targetILNS1_3genE0ELNS1_11target_archE4294967295ELNS1_3gpuE0ELNS1_3repE0EEENS1_30default_config_static_selectorELNS0_4arch9wavefront6targetE0EEEvT1_.private_seg_size, 0
	.set _ZN7rocprim17ROCPRIM_400000_NS6detail17trampoline_kernelINS0_14default_configENS1_33run_length_encode_config_selectorIdjNS0_4plusIjEEEEZZNS1_33reduce_by_key_impl_wrapped_configILNS1_25lookback_scan_determinismE0ES3_S7_PKdNS0_17constant_iteratorIjlEEPdPlSF_S6_NS0_8equal_toIdEEEE10hipError_tPvRmT2_T3_mT4_T5_T6_T7_T8_P12ihipStream_tbENKUlT_T0_E_clISt17integral_constantIbLb1EESY_IbLb0EEEEDaSU_SV_EUlSU_E_NS1_11comp_targetILNS1_3genE0ELNS1_11target_archE4294967295ELNS1_3gpuE0ELNS1_3repE0EEENS1_30default_config_static_selectorELNS0_4arch9wavefront6targetE0EEEvT1_.uses_vcc, 0
	.set _ZN7rocprim17ROCPRIM_400000_NS6detail17trampoline_kernelINS0_14default_configENS1_33run_length_encode_config_selectorIdjNS0_4plusIjEEEEZZNS1_33reduce_by_key_impl_wrapped_configILNS1_25lookback_scan_determinismE0ES3_S7_PKdNS0_17constant_iteratorIjlEEPdPlSF_S6_NS0_8equal_toIdEEEE10hipError_tPvRmT2_T3_mT4_T5_T6_T7_T8_P12ihipStream_tbENKUlT_T0_E_clISt17integral_constantIbLb1EESY_IbLb0EEEEDaSU_SV_EUlSU_E_NS1_11comp_targetILNS1_3genE0ELNS1_11target_archE4294967295ELNS1_3gpuE0ELNS1_3repE0EEENS1_30default_config_static_selectorELNS0_4arch9wavefront6targetE0EEEvT1_.uses_flat_scratch, 0
	.set _ZN7rocprim17ROCPRIM_400000_NS6detail17trampoline_kernelINS0_14default_configENS1_33run_length_encode_config_selectorIdjNS0_4plusIjEEEEZZNS1_33reduce_by_key_impl_wrapped_configILNS1_25lookback_scan_determinismE0ES3_S7_PKdNS0_17constant_iteratorIjlEEPdPlSF_S6_NS0_8equal_toIdEEEE10hipError_tPvRmT2_T3_mT4_T5_T6_T7_T8_P12ihipStream_tbENKUlT_T0_E_clISt17integral_constantIbLb1EESY_IbLb0EEEEDaSU_SV_EUlSU_E_NS1_11comp_targetILNS1_3genE0ELNS1_11target_archE4294967295ELNS1_3gpuE0ELNS1_3repE0EEENS1_30default_config_static_selectorELNS0_4arch9wavefront6targetE0EEEvT1_.has_dyn_sized_stack, 0
	.set _ZN7rocprim17ROCPRIM_400000_NS6detail17trampoline_kernelINS0_14default_configENS1_33run_length_encode_config_selectorIdjNS0_4plusIjEEEEZZNS1_33reduce_by_key_impl_wrapped_configILNS1_25lookback_scan_determinismE0ES3_S7_PKdNS0_17constant_iteratorIjlEEPdPlSF_S6_NS0_8equal_toIdEEEE10hipError_tPvRmT2_T3_mT4_T5_T6_T7_T8_P12ihipStream_tbENKUlT_T0_E_clISt17integral_constantIbLb1EESY_IbLb0EEEEDaSU_SV_EUlSU_E_NS1_11comp_targetILNS1_3genE0ELNS1_11target_archE4294967295ELNS1_3gpuE0ELNS1_3repE0EEENS1_30default_config_static_selectorELNS0_4arch9wavefront6targetE0EEEvT1_.has_recursion, 0
	.set _ZN7rocprim17ROCPRIM_400000_NS6detail17trampoline_kernelINS0_14default_configENS1_33run_length_encode_config_selectorIdjNS0_4plusIjEEEEZZNS1_33reduce_by_key_impl_wrapped_configILNS1_25lookback_scan_determinismE0ES3_S7_PKdNS0_17constant_iteratorIjlEEPdPlSF_S6_NS0_8equal_toIdEEEE10hipError_tPvRmT2_T3_mT4_T5_T6_T7_T8_P12ihipStream_tbENKUlT_T0_E_clISt17integral_constantIbLb1EESY_IbLb0EEEEDaSU_SV_EUlSU_E_NS1_11comp_targetILNS1_3genE0ELNS1_11target_archE4294967295ELNS1_3gpuE0ELNS1_3repE0EEENS1_30default_config_static_selectorELNS0_4arch9wavefront6targetE0EEEvT1_.has_indirect_call, 0
	.section	.AMDGPU.csdata,"",@progbits
; Kernel info:
; codeLenInByte = 4
; TotalNumSgprs: 0
; NumVgprs: 0
; ScratchSize: 0
; MemoryBound: 0
; FloatMode: 240
; IeeeMode: 1
; LDSByteSize: 0 bytes/workgroup (compile time only)
; SGPRBlocks: 0
; VGPRBlocks: 0
; NumSGPRsForWavesPerEU: 1
; NumVGPRsForWavesPerEU: 1
; NamedBarCnt: 0
; Occupancy: 16
; WaveLimiterHint : 0
; COMPUTE_PGM_RSRC2:SCRATCH_EN: 0
; COMPUTE_PGM_RSRC2:USER_SGPR: 2
; COMPUTE_PGM_RSRC2:TRAP_HANDLER: 0
; COMPUTE_PGM_RSRC2:TGID_X_EN: 1
; COMPUTE_PGM_RSRC2:TGID_Y_EN: 0
; COMPUTE_PGM_RSRC2:TGID_Z_EN: 0
; COMPUTE_PGM_RSRC2:TIDIG_COMP_CNT: 0
	.section	.text._ZN7rocprim17ROCPRIM_400000_NS6detail17trampoline_kernelINS0_14default_configENS1_33run_length_encode_config_selectorIdjNS0_4plusIjEEEEZZNS1_33reduce_by_key_impl_wrapped_configILNS1_25lookback_scan_determinismE0ES3_S7_PKdNS0_17constant_iteratorIjlEEPdPlSF_S6_NS0_8equal_toIdEEEE10hipError_tPvRmT2_T3_mT4_T5_T6_T7_T8_P12ihipStream_tbENKUlT_T0_E_clISt17integral_constantIbLb1EESY_IbLb0EEEEDaSU_SV_EUlSU_E_NS1_11comp_targetILNS1_3genE5ELNS1_11target_archE942ELNS1_3gpuE9ELNS1_3repE0EEENS1_30default_config_static_selectorELNS0_4arch9wavefront6targetE0EEEvT1_,"axG",@progbits,_ZN7rocprim17ROCPRIM_400000_NS6detail17trampoline_kernelINS0_14default_configENS1_33run_length_encode_config_selectorIdjNS0_4plusIjEEEEZZNS1_33reduce_by_key_impl_wrapped_configILNS1_25lookback_scan_determinismE0ES3_S7_PKdNS0_17constant_iteratorIjlEEPdPlSF_S6_NS0_8equal_toIdEEEE10hipError_tPvRmT2_T3_mT4_T5_T6_T7_T8_P12ihipStream_tbENKUlT_T0_E_clISt17integral_constantIbLb1EESY_IbLb0EEEEDaSU_SV_EUlSU_E_NS1_11comp_targetILNS1_3genE5ELNS1_11target_archE942ELNS1_3gpuE9ELNS1_3repE0EEENS1_30default_config_static_selectorELNS0_4arch9wavefront6targetE0EEEvT1_,comdat
	.protected	_ZN7rocprim17ROCPRIM_400000_NS6detail17trampoline_kernelINS0_14default_configENS1_33run_length_encode_config_selectorIdjNS0_4plusIjEEEEZZNS1_33reduce_by_key_impl_wrapped_configILNS1_25lookback_scan_determinismE0ES3_S7_PKdNS0_17constant_iteratorIjlEEPdPlSF_S6_NS0_8equal_toIdEEEE10hipError_tPvRmT2_T3_mT4_T5_T6_T7_T8_P12ihipStream_tbENKUlT_T0_E_clISt17integral_constantIbLb1EESY_IbLb0EEEEDaSU_SV_EUlSU_E_NS1_11comp_targetILNS1_3genE5ELNS1_11target_archE942ELNS1_3gpuE9ELNS1_3repE0EEENS1_30default_config_static_selectorELNS0_4arch9wavefront6targetE0EEEvT1_ ; -- Begin function _ZN7rocprim17ROCPRIM_400000_NS6detail17trampoline_kernelINS0_14default_configENS1_33run_length_encode_config_selectorIdjNS0_4plusIjEEEEZZNS1_33reduce_by_key_impl_wrapped_configILNS1_25lookback_scan_determinismE0ES3_S7_PKdNS0_17constant_iteratorIjlEEPdPlSF_S6_NS0_8equal_toIdEEEE10hipError_tPvRmT2_T3_mT4_T5_T6_T7_T8_P12ihipStream_tbENKUlT_T0_E_clISt17integral_constantIbLb1EESY_IbLb0EEEEDaSU_SV_EUlSU_E_NS1_11comp_targetILNS1_3genE5ELNS1_11target_archE942ELNS1_3gpuE9ELNS1_3repE0EEENS1_30default_config_static_selectorELNS0_4arch9wavefront6targetE0EEEvT1_
	.globl	_ZN7rocprim17ROCPRIM_400000_NS6detail17trampoline_kernelINS0_14default_configENS1_33run_length_encode_config_selectorIdjNS0_4plusIjEEEEZZNS1_33reduce_by_key_impl_wrapped_configILNS1_25lookback_scan_determinismE0ES3_S7_PKdNS0_17constant_iteratorIjlEEPdPlSF_S6_NS0_8equal_toIdEEEE10hipError_tPvRmT2_T3_mT4_T5_T6_T7_T8_P12ihipStream_tbENKUlT_T0_E_clISt17integral_constantIbLb1EESY_IbLb0EEEEDaSU_SV_EUlSU_E_NS1_11comp_targetILNS1_3genE5ELNS1_11target_archE942ELNS1_3gpuE9ELNS1_3repE0EEENS1_30default_config_static_selectorELNS0_4arch9wavefront6targetE0EEEvT1_
	.p2align	8
	.type	_ZN7rocprim17ROCPRIM_400000_NS6detail17trampoline_kernelINS0_14default_configENS1_33run_length_encode_config_selectorIdjNS0_4plusIjEEEEZZNS1_33reduce_by_key_impl_wrapped_configILNS1_25lookback_scan_determinismE0ES3_S7_PKdNS0_17constant_iteratorIjlEEPdPlSF_S6_NS0_8equal_toIdEEEE10hipError_tPvRmT2_T3_mT4_T5_T6_T7_T8_P12ihipStream_tbENKUlT_T0_E_clISt17integral_constantIbLb1EESY_IbLb0EEEEDaSU_SV_EUlSU_E_NS1_11comp_targetILNS1_3genE5ELNS1_11target_archE942ELNS1_3gpuE9ELNS1_3repE0EEENS1_30default_config_static_selectorELNS0_4arch9wavefront6targetE0EEEvT1_,@function
_ZN7rocprim17ROCPRIM_400000_NS6detail17trampoline_kernelINS0_14default_configENS1_33run_length_encode_config_selectorIdjNS0_4plusIjEEEEZZNS1_33reduce_by_key_impl_wrapped_configILNS1_25lookback_scan_determinismE0ES3_S7_PKdNS0_17constant_iteratorIjlEEPdPlSF_S6_NS0_8equal_toIdEEEE10hipError_tPvRmT2_T3_mT4_T5_T6_T7_T8_P12ihipStream_tbENKUlT_T0_E_clISt17integral_constantIbLb1EESY_IbLb0EEEEDaSU_SV_EUlSU_E_NS1_11comp_targetILNS1_3genE5ELNS1_11target_archE942ELNS1_3gpuE9ELNS1_3repE0EEENS1_30default_config_static_selectorELNS0_4arch9wavefront6targetE0EEEvT1_: ; @_ZN7rocprim17ROCPRIM_400000_NS6detail17trampoline_kernelINS0_14default_configENS1_33run_length_encode_config_selectorIdjNS0_4plusIjEEEEZZNS1_33reduce_by_key_impl_wrapped_configILNS1_25lookback_scan_determinismE0ES3_S7_PKdNS0_17constant_iteratorIjlEEPdPlSF_S6_NS0_8equal_toIdEEEE10hipError_tPvRmT2_T3_mT4_T5_T6_T7_T8_P12ihipStream_tbENKUlT_T0_E_clISt17integral_constantIbLb1EESY_IbLb0EEEEDaSU_SV_EUlSU_E_NS1_11comp_targetILNS1_3genE5ELNS1_11target_archE942ELNS1_3gpuE9ELNS1_3repE0EEENS1_30default_config_static_selectorELNS0_4arch9wavefront6targetE0EEEvT1_
; %bb.0:
	.section	.rodata,"a",@progbits
	.p2align	6, 0x0
	.amdhsa_kernel _ZN7rocprim17ROCPRIM_400000_NS6detail17trampoline_kernelINS0_14default_configENS1_33run_length_encode_config_selectorIdjNS0_4plusIjEEEEZZNS1_33reduce_by_key_impl_wrapped_configILNS1_25lookback_scan_determinismE0ES3_S7_PKdNS0_17constant_iteratorIjlEEPdPlSF_S6_NS0_8equal_toIdEEEE10hipError_tPvRmT2_T3_mT4_T5_T6_T7_T8_P12ihipStream_tbENKUlT_T0_E_clISt17integral_constantIbLb1EESY_IbLb0EEEEDaSU_SV_EUlSU_E_NS1_11comp_targetILNS1_3genE5ELNS1_11target_archE942ELNS1_3gpuE9ELNS1_3repE0EEENS1_30default_config_static_selectorELNS0_4arch9wavefront6targetE0EEEvT1_
		.amdhsa_group_segment_fixed_size 0
		.amdhsa_private_segment_fixed_size 0
		.amdhsa_kernarg_size 128
		.amdhsa_user_sgpr_count 2
		.amdhsa_user_sgpr_dispatch_ptr 0
		.amdhsa_user_sgpr_queue_ptr 0
		.amdhsa_user_sgpr_kernarg_segment_ptr 1
		.amdhsa_user_sgpr_dispatch_id 0
		.amdhsa_user_sgpr_kernarg_preload_length 0
		.amdhsa_user_sgpr_kernarg_preload_offset 0
		.amdhsa_user_sgpr_private_segment_size 0
		.amdhsa_wavefront_size32 1
		.amdhsa_uses_dynamic_stack 0
		.amdhsa_enable_private_segment 0
		.amdhsa_system_sgpr_workgroup_id_x 1
		.amdhsa_system_sgpr_workgroup_id_y 0
		.amdhsa_system_sgpr_workgroup_id_z 0
		.amdhsa_system_sgpr_workgroup_info 0
		.amdhsa_system_vgpr_workitem_id 0
		.amdhsa_next_free_vgpr 1
		.amdhsa_next_free_sgpr 1
		.amdhsa_named_barrier_count 0
		.amdhsa_reserve_vcc 0
		.amdhsa_float_round_mode_32 0
		.amdhsa_float_round_mode_16_64 0
		.amdhsa_float_denorm_mode_32 3
		.amdhsa_float_denorm_mode_16_64 3
		.amdhsa_fp16_overflow 0
		.amdhsa_memory_ordered 1
		.amdhsa_forward_progress 1
		.amdhsa_inst_pref_size 0
		.amdhsa_round_robin_scheduling 0
		.amdhsa_exception_fp_ieee_invalid_op 0
		.amdhsa_exception_fp_denorm_src 0
		.amdhsa_exception_fp_ieee_div_zero 0
		.amdhsa_exception_fp_ieee_overflow 0
		.amdhsa_exception_fp_ieee_underflow 0
		.amdhsa_exception_fp_ieee_inexact 0
		.amdhsa_exception_int_div_zero 0
	.end_amdhsa_kernel
	.section	.text._ZN7rocprim17ROCPRIM_400000_NS6detail17trampoline_kernelINS0_14default_configENS1_33run_length_encode_config_selectorIdjNS0_4plusIjEEEEZZNS1_33reduce_by_key_impl_wrapped_configILNS1_25lookback_scan_determinismE0ES3_S7_PKdNS0_17constant_iteratorIjlEEPdPlSF_S6_NS0_8equal_toIdEEEE10hipError_tPvRmT2_T3_mT4_T5_T6_T7_T8_P12ihipStream_tbENKUlT_T0_E_clISt17integral_constantIbLb1EESY_IbLb0EEEEDaSU_SV_EUlSU_E_NS1_11comp_targetILNS1_3genE5ELNS1_11target_archE942ELNS1_3gpuE9ELNS1_3repE0EEENS1_30default_config_static_selectorELNS0_4arch9wavefront6targetE0EEEvT1_,"axG",@progbits,_ZN7rocprim17ROCPRIM_400000_NS6detail17trampoline_kernelINS0_14default_configENS1_33run_length_encode_config_selectorIdjNS0_4plusIjEEEEZZNS1_33reduce_by_key_impl_wrapped_configILNS1_25lookback_scan_determinismE0ES3_S7_PKdNS0_17constant_iteratorIjlEEPdPlSF_S6_NS0_8equal_toIdEEEE10hipError_tPvRmT2_T3_mT4_T5_T6_T7_T8_P12ihipStream_tbENKUlT_T0_E_clISt17integral_constantIbLb1EESY_IbLb0EEEEDaSU_SV_EUlSU_E_NS1_11comp_targetILNS1_3genE5ELNS1_11target_archE942ELNS1_3gpuE9ELNS1_3repE0EEENS1_30default_config_static_selectorELNS0_4arch9wavefront6targetE0EEEvT1_,comdat
.Lfunc_end323:
	.size	_ZN7rocprim17ROCPRIM_400000_NS6detail17trampoline_kernelINS0_14default_configENS1_33run_length_encode_config_selectorIdjNS0_4plusIjEEEEZZNS1_33reduce_by_key_impl_wrapped_configILNS1_25lookback_scan_determinismE0ES3_S7_PKdNS0_17constant_iteratorIjlEEPdPlSF_S6_NS0_8equal_toIdEEEE10hipError_tPvRmT2_T3_mT4_T5_T6_T7_T8_P12ihipStream_tbENKUlT_T0_E_clISt17integral_constantIbLb1EESY_IbLb0EEEEDaSU_SV_EUlSU_E_NS1_11comp_targetILNS1_3genE5ELNS1_11target_archE942ELNS1_3gpuE9ELNS1_3repE0EEENS1_30default_config_static_selectorELNS0_4arch9wavefront6targetE0EEEvT1_, .Lfunc_end323-_ZN7rocprim17ROCPRIM_400000_NS6detail17trampoline_kernelINS0_14default_configENS1_33run_length_encode_config_selectorIdjNS0_4plusIjEEEEZZNS1_33reduce_by_key_impl_wrapped_configILNS1_25lookback_scan_determinismE0ES3_S7_PKdNS0_17constant_iteratorIjlEEPdPlSF_S6_NS0_8equal_toIdEEEE10hipError_tPvRmT2_T3_mT4_T5_T6_T7_T8_P12ihipStream_tbENKUlT_T0_E_clISt17integral_constantIbLb1EESY_IbLb0EEEEDaSU_SV_EUlSU_E_NS1_11comp_targetILNS1_3genE5ELNS1_11target_archE942ELNS1_3gpuE9ELNS1_3repE0EEENS1_30default_config_static_selectorELNS0_4arch9wavefront6targetE0EEEvT1_
                                        ; -- End function
	.set _ZN7rocprim17ROCPRIM_400000_NS6detail17trampoline_kernelINS0_14default_configENS1_33run_length_encode_config_selectorIdjNS0_4plusIjEEEEZZNS1_33reduce_by_key_impl_wrapped_configILNS1_25lookback_scan_determinismE0ES3_S7_PKdNS0_17constant_iteratorIjlEEPdPlSF_S6_NS0_8equal_toIdEEEE10hipError_tPvRmT2_T3_mT4_T5_T6_T7_T8_P12ihipStream_tbENKUlT_T0_E_clISt17integral_constantIbLb1EESY_IbLb0EEEEDaSU_SV_EUlSU_E_NS1_11comp_targetILNS1_3genE5ELNS1_11target_archE942ELNS1_3gpuE9ELNS1_3repE0EEENS1_30default_config_static_selectorELNS0_4arch9wavefront6targetE0EEEvT1_.num_vgpr, 0
	.set _ZN7rocprim17ROCPRIM_400000_NS6detail17trampoline_kernelINS0_14default_configENS1_33run_length_encode_config_selectorIdjNS0_4plusIjEEEEZZNS1_33reduce_by_key_impl_wrapped_configILNS1_25lookback_scan_determinismE0ES3_S7_PKdNS0_17constant_iteratorIjlEEPdPlSF_S6_NS0_8equal_toIdEEEE10hipError_tPvRmT2_T3_mT4_T5_T6_T7_T8_P12ihipStream_tbENKUlT_T0_E_clISt17integral_constantIbLb1EESY_IbLb0EEEEDaSU_SV_EUlSU_E_NS1_11comp_targetILNS1_3genE5ELNS1_11target_archE942ELNS1_3gpuE9ELNS1_3repE0EEENS1_30default_config_static_selectorELNS0_4arch9wavefront6targetE0EEEvT1_.num_agpr, 0
	.set _ZN7rocprim17ROCPRIM_400000_NS6detail17trampoline_kernelINS0_14default_configENS1_33run_length_encode_config_selectorIdjNS0_4plusIjEEEEZZNS1_33reduce_by_key_impl_wrapped_configILNS1_25lookback_scan_determinismE0ES3_S7_PKdNS0_17constant_iteratorIjlEEPdPlSF_S6_NS0_8equal_toIdEEEE10hipError_tPvRmT2_T3_mT4_T5_T6_T7_T8_P12ihipStream_tbENKUlT_T0_E_clISt17integral_constantIbLb1EESY_IbLb0EEEEDaSU_SV_EUlSU_E_NS1_11comp_targetILNS1_3genE5ELNS1_11target_archE942ELNS1_3gpuE9ELNS1_3repE0EEENS1_30default_config_static_selectorELNS0_4arch9wavefront6targetE0EEEvT1_.numbered_sgpr, 0
	.set _ZN7rocprim17ROCPRIM_400000_NS6detail17trampoline_kernelINS0_14default_configENS1_33run_length_encode_config_selectorIdjNS0_4plusIjEEEEZZNS1_33reduce_by_key_impl_wrapped_configILNS1_25lookback_scan_determinismE0ES3_S7_PKdNS0_17constant_iteratorIjlEEPdPlSF_S6_NS0_8equal_toIdEEEE10hipError_tPvRmT2_T3_mT4_T5_T6_T7_T8_P12ihipStream_tbENKUlT_T0_E_clISt17integral_constantIbLb1EESY_IbLb0EEEEDaSU_SV_EUlSU_E_NS1_11comp_targetILNS1_3genE5ELNS1_11target_archE942ELNS1_3gpuE9ELNS1_3repE0EEENS1_30default_config_static_selectorELNS0_4arch9wavefront6targetE0EEEvT1_.num_named_barrier, 0
	.set _ZN7rocprim17ROCPRIM_400000_NS6detail17trampoline_kernelINS0_14default_configENS1_33run_length_encode_config_selectorIdjNS0_4plusIjEEEEZZNS1_33reduce_by_key_impl_wrapped_configILNS1_25lookback_scan_determinismE0ES3_S7_PKdNS0_17constant_iteratorIjlEEPdPlSF_S6_NS0_8equal_toIdEEEE10hipError_tPvRmT2_T3_mT4_T5_T6_T7_T8_P12ihipStream_tbENKUlT_T0_E_clISt17integral_constantIbLb1EESY_IbLb0EEEEDaSU_SV_EUlSU_E_NS1_11comp_targetILNS1_3genE5ELNS1_11target_archE942ELNS1_3gpuE9ELNS1_3repE0EEENS1_30default_config_static_selectorELNS0_4arch9wavefront6targetE0EEEvT1_.private_seg_size, 0
	.set _ZN7rocprim17ROCPRIM_400000_NS6detail17trampoline_kernelINS0_14default_configENS1_33run_length_encode_config_selectorIdjNS0_4plusIjEEEEZZNS1_33reduce_by_key_impl_wrapped_configILNS1_25lookback_scan_determinismE0ES3_S7_PKdNS0_17constant_iteratorIjlEEPdPlSF_S6_NS0_8equal_toIdEEEE10hipError_tPvRmT2_T3_mT4_T5_T6_T7_T8_P12ihipStream_tbENKUlT_T0_E_clISt17integral_constantIbLb1EESY_IbLb0EEEEDaSU_SV_EUlSU_E_NS1_11comp_targetILNS1_3genE5ELNS1_11target_archE942ELNS1_3gpuE9ELNS1_3repE0EEENS1_30default_config_static_selectorELNS0_4arch9wavefront6targetE0EEEvT1_.uses_vcc, 0
	.set _ZN7rocprim17ROCPRIM_400000_NS6detail17trampoline_kernelINS0_14default_configENS1_33run_length_encode_config_selectorIdjNS0_4plusIjEEEEZZNS1_33reduce_by_key_impl_wrapped_configILNS1_25lookback_scan_determinismE0ES3_S7_PKdNS0_17constant_iteratorIjlEEPdPlSF_S6_NS0_8equal_toIdEEEE10hipError_tPvRmT2_T3_mT4_T5_T6_T7_T8_P12ihipStream_tbENKUlT_T0_E_clISt17integral_constantIbLb1EESY_IbLb0EEEEDaSU_SV_EUlSU_E_NS1_11comp_targetILNS1_3genE5ELNS1_11target_archE942ELNS1_3gpuE9ELNS1_3repE0EEENS1_30default_config_static_selectorELNS0_4arch9wavefront6targetE0EEEvT1_.uses_flat_scratch, 0
	.set _ZN7rocprim17ROCPRIM_400000_NS6detail17trampoline_kernelINS0_14default_configENS1_33run_length_encode_config_selectorIdjNS0_4plusIjEEEEZZNS1_33reduce_by_key_impl_wrapped_configILNS1_25lookback_scan_determinismE0ES3_S7_PKdNS0_17constant_iteratorIjlEEPdPlSF_S6_NS0_8equal_toIdEEEE10hipError_tPvRmT2_T3_mT4_T5_T6_T7_T8_P12ihipStream_tbENKUlT_T0_E_clISt17integral_constantIbLb1EESY_IbLb0EEEEDaSU_SV_EUlSU_E_NS1_11comp_targetILNS1_3genE5ELNS1_11target_archE942ELNS1_3gpuE9ELNS1_3repE0EEENS1_30default_config_static_selectorELNS0_4arch9wavefront6targetE0EEEvT1_.has_dyn_sized_stack, 0
	.set _ZN7rocprim17ROCPRIM_400000_NS6detail17trampoline_kernelINS0_14default_configENS1_33run_length_encode_config_selectorIdjNS0_4plusIjEEEEZZNS1_33reduce_by_key_impl_wrapped_configILNS1_25lookback_scan_determinismE0ES3_S7_PKdNS0_17constant_iteratorIjlEEPdPlSF_S6_NS0_8equal_toIdEEEE10hipError_tPvRmT2_T3_mT4_T5_T6_T7_T8_P12ihipStream_tbENKUlT_T0_E_clISt17integral_constantIbLb1EESY_IbLb0EEEEDaSU_SV_EUlSU_E_NS1_11comp_targetILNS1_3genE5ELNS1_11target_archE942ELNS1_3gpuE9ELNS1_3repE0EEENS1_30default_config_static_selectorELNS0_4arch9wavefront6targetE0EEEvT1_.has_recursion, 0
	.set _ZN7rocprim17ROCPRIM_400000_NS6detail17trampoline_kernelINS0_14default_configENS1_33run_length_encode_config_selectorIdjNS0_4plusIjEEEEZZNS1_33reduce_by_key_impl_wrapped_configILNS1_25lookback_scan_determinismE0ES3_S7_PKdNS0_17constant_iteratorIjlEEPdPlSF_S6_NS0_8equal_toIdEEEE10hipError_tPvRmT2_T3_mT4_T5_T6_T7_T8_P12ihipStream_tbENKUlT_T0_E_clISt17integral_constantIbLb1EESY_IbLb0EEEEDaSU_SV_EUlSU_E_NS1_11comp_targetILNS1_3genE5ELNS1_11target_archE942ELNS1_3gpuE9ELNS1_3repE0EEENS1_30default_config_static_selectorELNS0_4arch9wavefront6targetE0EEEvT1_.has_indirect_call, 0
	.section	.AMDGPU.csdata,"",@progbits
; Kernel info:
; codeLenInByte = 0
; TotalNumSgprs: 0
; NumVgprs: 0
; ScratchSize: 0
; MemoryBound: 0
; FloatMode: 240
; IeeeMode: 1
; LDSByteSize: 0 bytes/workgroup (compile time only)
; SGPRBlocks: 0
; VGPRBlocks: 0
; NumSGPRsForWavesPerEU: 1
; NumVGPRsForWavesPerEU: 1
; NamedBarCnt: 0
; Occupancy: 16
; WaveLimiterHint : 0
; COMPUTE_PGM_RSRC2:SCRATCH_EN: 0
; COMPUTE_PGM_RSRC2:USER_SGPR: 2
; COMPUTE_PGM_RSRC2:TRAP_HANDLER: 0
; COMPUTE_PGM_RSRC2:TGID_X_EN: 1
; COMPUTE_PGM_RSRC2:TGID_Y_EN: 0
; COMPUTE_PGM_RSRC2:TGID_Z_EN: 0
; COMPUTE_PGM_RSRC2:TIDIG_COMP_CNT: 0
	.section	.text._ZN7rocprim17ROCPRIM_400000_NS6detail17trampoline_kernelINS0_14default_configENS1_33run_length_encode_config_selectorIdjNS0_4plusIjEEEEZZNS1_33reduce_by_key_impl_wrapped_configILNS1_25lookback_scan_determinismE0ES3_S7_PKdNS0_17constant_iteratorIjlEEPdPlSF_S6_NS0_8equal_toIdEEEE10hipError_tPvRmT2_T3_mT4_T5_T6_T7_T8_P12ihipStream_tbENKUlT_T0_E_clISt17integral_constantIbLb1EESY_IbLb0EEEEDaSU_SV_EUlSU_E_NS1_11comp_targetILNS1_3genE4ELNS1_11target_archE910ELNS1_3gpuE8ELNS1_3repE0EEENS1_30default_config_static_selectorELNS0_4arch9wavefront6targetE0EEEvT1_,"axG",@progbits,_ZN7rocprim17ROCPRIM_400000_NS6detail17trampoline_kernelINS0_14default_configENS1_33run_length_encode_config_selectorIdjNS0_4plusIjEEEEZZNS1_33reduce_by_key_impl_wrapped_configILNS1_25lookback_scan_determinismE0ES3_S7_PKdNS0_17constant_iteratorIjlEEPdPlSF_S6_NS0_8equal_toIdEEEE10hipError_tPvRmT2_T3_mT4_T5_T6_T7_T8_P12ihipStream_tbENKUlT_T0_E_clISt17integral_constantIbLb1EESY_IbLb0EEEEDaSU_SV_EUlSU_E_NS1_11comp_targetILNS1_3genE4ELNS1_11target_archE910ELNS1_3gpuE8ELNS1_3repE0EEENS1_30default_config_static_selectorELNS0_4arch9wavefront6targetE0EEEvT1_,comdat
	.protected	_ZN7rocprim17ROCPRIM_400000_NS6detail17trampoline_kernelINS0_14default_configENS1_33run_length_encode_config_selectorIdjNS0_4plusIjEEEEZZNS1_33reduce_by_key_impl_wrapped_configILNS1_25lookback_scan_determinismE0ES3_S7_PKdNS0_17constant_iteratorIjlEEPdPlSF_S6_NS0_8equal_toIdEEEE10hipError_tPvRmT2_T3_mT4_T5_T6_T7_T8_P12ihipStream_tbENKUlT_T0_E_clISt17integral_constantIbLb1EESY_IbLb0EEEEDaSU_SV_EUlSU_E_NS1_11comp_targetILNS1_3genE4ELNS1_11target_archE910ELNS1_3gpuE8ELNS1_3repE0EEENS1_30default_config_static_selectorELNS0_4arch9wavefront6targetE0EEEvT1_ ; -- Begin function _ZN7rocprim17ROCPRIM_400000_NS6detail17trampoline_kernelINS0_14default_configENS1_33run_length_encode_config_selectorIdjNS0_4plusIjEEEEZZNS1_33reduce_by_key_impl_wrapped_configILNS1_25lookback_scan_determinismE0ES3_S7_PKdNS0_17constant_iteratorIjlEEPdPlSF_S6_NS0_8equal_toIdEEEE10hipError_tPvRmT2_T3_mT4_T5_T6_T7_T8_P12ihipStream_tbENKUlT_T0_E_clISt17integral_constantIbLb1EESY_IbLb0EEEEDaSU_SV_EUlSU_E_NS1_11comp_targetILNS1_3genE4ELNS1_11target_archE910ELNS1_3gpuE8ELNS1_3repE0EEENS1_30default_config_static_selectorELNS0_4arch9wavefront6targetE0EEEvT1_
	.globl	_ZN7rocprim17ROCPRIM_400000_NS6detail17trampoline_kernelINS0_14default_configENS1_33run_length_encode_config_selectorIdjNS0_4plusIjEEEEZZNS1_33reduce_by_key_impl_wrapped_configILNS1_25lookback_scan_determinismE0ES3_S7_PKdNS0_17constant_iteratorIjlEEPdPlSF_S6_NS0_8equal_toIdEEEE10hipError_tPvRmT2_T3_mT4_T5_T6_T7_T8_P12ihipStream_tbENKUlT_T0_E_clISt17integral_constantIbLb1EESY_IbLb0EEEEDaSU_SV_EUlSU_E_NS1_11comp_targetILNS1_3genE4ELNS1_11target_archE910ELNS1_3gpuE8ELNS1_3repE0EEENS1_30default_config_static_selectorELNS0_4arch9wavefront6targetE0EEEvT1_
	.p2align	8
	.type	_ZN7rocprim17ROCPRIM_400000_NS6detail17trampoline_kernelINS0_14default_configENS1_33run_length_encode_config_selectorIdjNS0_4plusIjEEEEZZNS1_33reduce_by_key_impl_wrapped_configILNS1_25lookback_scan_determinismE0ES3_S7_PKdNS0_17constant_iteratorIjlEEPdPlSF_S6_NS0_8equal_toIdEEEE10hipError_tPvRmT2_T3_mT4_T5_T6_T7_T8_P12ihipStream_tbENKUlT_T0_E_clISt17integral_constantIbLb1EESY_IbLb0EEEEDaSU_SV_EUlSU_E_NS1_11comp_targetILNS1_3genE4ELNS1_11target_archE910ELNS1_3gpuE8ELNS1_3repE0EEENS1_30default_config_static_selectorELNS0_4arch9wavefront6targetE0EEEvT1_,@function
_ZN7rocprim17ROCPRIM_400000_NS6detail17trampoline_kernelINS0_14default_configENS1_33run_length_encode_config_selectorIdjNS0_4plusIjEEEEZZNS1_33reduce_by_key_impl_wrapped_configILNS1_25lookback_scan_determinismE0ES3_S7_PKdNS0_17constant_iteratorIjlEEPdPlSF_S6_NS0_8equal_toIdEEEE10hipError_tPvRmT2_T3_mT4_T5_T6_T7_T8_P12ihipStream_tbENKUlT_T0_E_clISt17integral_constantIbLb1EESY_IbLb0EEEEDaSU_SV_EUlSU_E_NS1_11comp_targetILNS1_3genE4ELNS1_11target_archE910ELNS1_3gpuE8ELNS1_3repE0EEENS1_30default_config_static_selectorELNS0_4arch9wavefront6targetE0EEEvT1_: ; @_ZN7rocprim17ROCPRIM_400000_NS6detail17trampoline_kernelINS0_14default_configENS1_33run_length_encode_config_selectorIdjNS0_4plusIjEEEEZZNS1_33reduce_by_key_impl_wrapped_configILNS1_25lookback_scan_determinismE0ES3_S7_PKdNS0_17constant_iteratorIjlEEPdPlSF_S6_NS0_8equal_toIdEEEE10hipError_tPvRmT2_T3_mT4_T5_T6_T7_T8_P12ihipStream_tbENKUlT_T0_E_clISt17integral_constantIbLb1EESY_IbLb0EEEEDaSU_SV_EUlSU_E_NS1_11comp_targetILNS1_3genE4ELNS1_11target_archE910ELNS1_3gpuE8ELNS1_3repE0EEENS1_30default_config_static_selectorELNS0_4arch9wavefront6targetE0EEEvT1_
; %bb.0:
	.section	.rodata,"a",@progbits
	.p2align	6, 0x0
	.amdhsa_kernel _ZN7rocprim17ROCPRIM_400000_NS6detail17trampoline_kernelINS0_14default_configENS1_33run_length_encode_config_selectorIdjNS0_4plusIjEEEEZZNS1_33reduce_by_key_impl_wrapped_configILNS1_25lookback_scan_determinismE0ES3_S7_PKdNS0_17constant_iteratorIjlEEPdPlSF_S6_NS0_8equal_toIdEEEE10hipError_tPvRmT2_T3_mT4_T5_T6_T7_T8_P12ihipStream_tbENKUlT_T0_E_clISt17integral_constantIbLb1EESY_IbLb0EEEEDaSU_SV_EUlSU_E_NS1_11comp_targetILNS1_3genE4ELNS1_11target_archE910ELNS1_3gpuE8ELNS1_3repE0EEENS1_30default_config_static_selectorELNS0_4arch9wavefront6targetE0EEEvT1_
		.amdhsa_group_segment_fixed_size 0
		.amdhsa_private_segment_fixed_size 0
		.amdhsa_kernarg_size 128
		.amdhsa_user_sgpr_count 2
		.amdhsa_user_sgpr_dispatch_ptr 0
		.amdhsa_user_sgpr_queue_ptr 0
		.amdhsa_user_sgpr_kernarg_segment_ptr 1
		.amdhsa_user_sgpr_dispatch_id 0
		.amdhsa_user_sgpr_kernarg_preload_length 0
		.amdhsa_user_sgpr_kernarg_preload_offset 0
		.amdhsa_user_sgpr_private_segment_size 0
		.amdhsa_wavefront_size32 1
		.amdhsa_uses_dynamic_stack 0
		.amdhsa_enable_private_segment 0
		.amdhsa_system_sgpr_workgroup_id_x 1
		.amdhsa_system_sgpr_workgroup_id_y 0
		.amdhsa_system_sgpr_workgroup_id_z 0
		.amdhsa_system_sgpr_workgroup_info 0
		.amdhsa_system_vgpr_workitem_id 0
		.amdhsa_next_free_vgpr 1
		.amdhsa_next_free_sgpr 1
		.amdhsa_named_barrier_count 0
		.amdhsa_reserve_vcc 0
		.amdhsa_float_round_mode_32 0
		.amdhsa_float_round_mode_16_64 0
		.amdhsa_float_denorm_mode_32 3
		.amdhsa_float_denorm_mode_16_64 3
		.amdhsa_fp16_overflow 0
		.amdhsa_memory_ordered 1
		.amdhsa_forward_progress 1
		.amdhsa_inst_pref_size 0
		.amdhsa_round_robin_scheduling 0
		.amdhsa_exception_fp_ieee_invalid_op 0
		.amdhsa_exception_fp_denorm_src 0
		.amdhsa_exception_fp_ieee_div_zero 0
		.amdhsa_exception_fp_ieee_overflow 0
		.amdhsa_exception_fp_ieee_underflow 0
		.amdhsa_exception_fp_ieee_inexact 0
		.amdhsa_exception_int_div_zero 0
	.end_amdhsa_kernel
	.section	.text._ZN7rocprim17ROCPRIM_400000_NS6detail17trampoline_kernelINS0_14default_configENS1_33run_length_encode_config_selectorIdjNS0_4plusIjEEEEZZNS1_33reduce_by_key_impl_wrapped_configILNS1_25lookback_scan_determinismE0ES3_S7_PKdNS0_17constant_iteratorIjlEEPdPlSF_S6_NS0_8equal_toIdEEEE10hipError_tPvRmT2_T3_mT4_T5_T6_T7_T8_P12ihipStream_tbENKUlT_T0_E_clISt17integral_constantIbLb1EESY_IbLb0EEEEDaSU_SV_EUlSU_E_NS1_11comp_targetILNS1_3genE4ELNS1_11target_archE910ELNS1_3gpuE8ELNS1_3repE0EEENS1_30default_config_static_selectorELNS0_4arch9wavefront6targetE0EEEvT1_,"axG",@progbits,_ZN7rocprim17ROCPRIM_400000_NS6detail17trampoline_kernelINS0_14default_configENS1_33run_length_encode_config_selectorIdjNS0_4plusIjEEEEZZNS1_33reduce_by_key_impl_wrapped_configILNS1_25lookback_scan_determinismE0ES3_S7_PKdNS0_17constant_iteratorIjlEEPdPlSF_S6_NS0_8equal_toIdEEEE10hipError_tPvRmT2_T3_mT4_T5_T6_T7_T8_P12ihipStream_tbENKUlT_T0_E_clISt17integral_constantIbLb1EESY_IbLb0EEEEDaSU_SV_EUlSU_E_NS1_11comp_targetILNS1_3genE4ELNS1_11target_archE910ELNS1_3gpuE8ELNS1_3repE0EEENS1_30default_config_static_selectorELNS0_4arch9wavefront6targetE0EEEvT1_,comdat
.Lfunc_end324:
	.size	_ZN7rocprim17ROCPRIM_400000_NS6detail17trampoline_kernelINS0_14default_configENS1_33run_length_encode_config_selectorIdjNS0_4plusIjEEEEZZNS1_33reduce_by_key_impl_wrapped_configILNS1_25lookback_scan_determinismE0ES3_S7_PKdNS0_17constant_iteratorIjlEEPdPlSF_S6_NS0_8equal_toIdEEEE10hipError_tPvRmT2_T3_mT4_T5_T6_T7_T8_P12ihipStream_tbENKUlT_T0_E_clISt17integral_constantIbLb1EESY_IbLb0EEEEDaSU_SV_EUlSU_E_NS1_11comp_targetILNS1_3genE4ELNS1_11target_archE910ELNS1_3gpuE8ELNS1_3repE0EEENS1_30default_config_static_selectorELNS0_4arch9wavefront6targetE0EEEvT1_, .Lfunc_end324-_ZN7rocprim17ROCPRIM_400000_NS6detail17trampoline_kernelINS0_14default_configENS1_33run_length_encode_config_selectorIdjNS0_4plusIjEEEEZZNS1_33reduce_by_key_impl_wrapped_configILNS1_25lookback_scan_determinismE0ES3_S7_PKdNS0_17constant_iteratorIjlEEPdPlSF_S6_NS0_8equal_toIdEEEE10hipError_tPvRmT2_T3_mT4_T5_T6_T7_T8_P12ihipStream_tbENKUlT_T0_E_clISt17integral_constantIbLb1EESY_IbLb0EEEEDaSU_SV_EUlSU_E_NS1_11comp_targetILNS1_3genE4ELNS1_11target_archE910ELNS1_3gpuE8ELNS1_3repE0EEENS1_30default_config_static_selectorELNS0_4arch9wavefront6targetE0EEEvT1_
                                        ; -- End function
	.set _ZN7rocprim17ROCPRIM_400000_NS6detail17trampoline_kernelINS0_14default_configENS1_33run_length_encode_config_selectorIdjNS0_4plusIjEEEEZZNS1_33reduce_by_key_impl_wrapped_configILNS1_25lookback_scan_determinismE0ES3_S7_PKdNS0_17constant_iteratorIjlEEPdPlSF_S6_NS0_8equal_toIdEEEE10hipError_tPvRmT2_T3_mT4_T5_T6_T7_T8_P12ihipStream_tbENKUlT_T0_E_clISt17integral_constantIbLb1EESY_IbLb0EEEEDaSU_SV_EUlSU_E_NS1_11comp_targetILNS1_3genE4ELNS1_11target_archE910ELNS1_3gpuE8ELNS1_3repE0EEENS1_30default_config_static_selectorELNS0_4arch9wavefront6targetE0EEEvT1_.num_vgpr, 0
	.set _ZN7rocprim17ROCPRIM_400000_NS6detail17trampoline_kernelINS0_14default_configENS1_33run_length_encode_config_selectorIdjNS0_4plusIjEEEEZZNS1_33reduce_by_key_impl_wrapped_configILNS1_25lookback_scan_determinismE0ES3_S7_PKdNS0_17constant_iteratorIjlEEPdPlSF_S6_NS0_8equal_toIdEEEE10hipError_tPvRmT2_T3_mT4_T5_T6_T7_T8_P12ihipStream_tbENKUlT_T0_E_clISt17integral_constantIbLb1EESY_IbLb0EEEEDaSU_SV_EUlSU_E_NS1_11comp_targetILNS1_3genE4ELNS1_11target_archE910ELNS1_3gpuE8ELNS1_3repE0EEENS1_30default_config_static_selectorELNS0_4arch9wavefront6targetE0EEEvT1_.num_agpr, 0
	.set _ZN7rocprim17ROCPRIM_400000_NS6detail17trampoline_kernelINS0_14default_configENS1_33run_length_encode_config_selectorIdjNS0_4plusIjEEEEZZNS1_33reduce_by_key_impl_wrapped_configILNS1_25lookback_scan_determinismE0ES3_S7_PKdNS0_17constant_iteratorIjlEEPdPlSF_S6_NS0_8equal_toIdEEEE10hipError_tPvRmT2_T3_mT4_T5_T6_T7_T8_P12ihipStream_tbENKUlT_T0_E_clISt17integral_constantIbLb1EESY_IbLb0EEEEDaSU_SV_EUlSU_E_NS1_11comp_targetILNS1_3genE4ELNS1_11target_archE910ELNS1_3gpuE8ELNS1_3repE0EEENS1_30default_config_static_selectorELNS0_4arch9wavefront6targetE0EEEvT1_.numbered_sgpr, 0
	.set _ZN7rocprim17ROCPRIM_400000_NS6detail17trampoline_kernelINS0_14default_configENS1_33run_length_encode_config_selectorIdjNS0_4plusIjEEEEZZNS1_33reduce_by_key_impl_wrapped_configILNS1_25lookback_scan_determinismE0ES3_S7_PKdNS0_17constant_iteratorIjlEEPdPlSF_S6_NS0_8equal_toIdEEEE10hipError_tPvRmT2_T3_mT4_T5_T6_T7_T8_P12ihipStream_tbENKUlT_T0_E_clISt17integral_constantIbLb1EESY_IbLb0EEEEDaSU_SV_EUlSU_E_NS1_11comp_targetILNS1_3genE4ELNS1_11target_archE910ELNS1_3gpuE8ELNS1_3repE0EEENS1_30default_config_static_selectorELNS0_4arch9wavefront6targetE0EEEvT1_.num_named_barrier, 0
	.set _ZN7rocprim17ROCPRIM_400000_NS6detail17trampoline_kernelINS0_14default_configENS1_33run_length_encode_config_selectorIdjNS0_4plusIjEEEEZZNS1_33reduce_by_key_impl_wrapped_configILNS1_25lookback_scan_determinismE0ES3_S7_PKdNS0_17constant_iteratorIjlEEPdPlSF_S6_NS0_8equal_toIdEEEE10hipError_tPvRmT2_T3_mT4_T5_T6_T7_T8_P12ihipStream_tbENKUlT_T0_E_clISt17integral_constantIbLb1EESY_IbLb0EEEEDaSU_SV_EUlSU_E_NS1_11comp_targetILNS1_3genE4ELNS1_11target_archE910ELNS1_3gpuE8ELNS1_3repE0EEENS1_30default_config_static_selectorELNS0_4arch9wavefront6targetE0EEEvT1_.private_seg_size, 0
	.set _ZN7rocprim17ROCPRIM_400000_NS6detail17trampoline_kernelINS0_14default_configENS1_33run_length_encode_config_selectorIdjNS0_4plusIjEEEEZZNS1_33reduce_by_key_impl_wrapped_configILNS1_25lookback_scan_determinismE0ES3_S7_PKdNS0_17constant_iteratorIjlEEPdPlSF_S6_NS0_8equal_toIdEEEE10hipError_tPvRmT2_T3_mT4_T5_T6_T7_T8_P12ihipStream_tbENKUlT_T0_E_clISt17integral_constantIbLb1EESY_IbLb0EEEEDaSU_SV_EUlSU_E_NS1_11comp_targetILNS1_3genE4ELNS1_11target_archE910ELNS1_3gpuE8ELNS1_3repE0EEENS1_30default_config_static_selectorELNS0_4arch9wavefront6targetE0EEEvT1_.uses_vcc, 0
	.set _ZN7rocprim17ROCPRIM_400000_NS6detail17trampoline_kernelINS0_14default_configENS1_33run_length_encode_config_selectorIdjNS0_4plusIjEEEEZZNS1_33reduce_by_key_impl_wrapped_configILNS1_25lookback_scan_determinismE0ES3_S7_PKdNS0_17constant_iteratorIjlEEPdPlSF_S6_NS0_8equal_toIdEEEE10hipError_tPvRmT2_T3_mT4_T5_T6_T7_T8_P12ihipStream_tbENKUlT_T0_E_clISt17integral_constantIbLb1EESY_IbLb0EEEEDaSU_SV_EUlSU_E_NS1_11comp_targetILNS1_3genE4ELNS1_11target_archE910ELNS1_3gpuE8ELNS1_3repE0EEENS1_30default_config_static_selectorELNS0_4arch9wavefront6targetE0EEEvT1_.uses_flat_scratch, 0
	.set _ZN7rocprim17ROCPRIM_400000_NS6detail17trampoline_kernelINS0_14default_configENS1_33run_length_encode_config_selectorIdjNS0_4plusIjEEEEZZNS1_33reduce_by_key_impl_wrapped_configILNS1_25lookback_scan_determinismE0ES3_S7_PKdNS0_17constant_iteratorIjlEEPdPlSF_S6_NS0_8equal_toIdEEEE10hipError_tPvRmT2_T3_mT4_T5_T6_T7_T8_P12ihipStream_tbENKUlT_T0_E_clISt17integral_constantIbLb1EESY_IbLb0EEEEDaSU_SV_EUlSU_E_NS1_11comp_targetILNS1_3genE4ELNS1_11target_archE910ELNS1_3gpuE8ELNS1_3repE0EEENS1_30default_config_static_selectorELNS0_4arch9wavefront6targetE0EEEvT1_.has_dyn_sized_stack, 0
	.set _ZN7rocprim17ROCPRIM_400000_NS6detail17trampoline_kernelINS0_14default_configENS1_33run_length_encode_config_selectorIdjNS0_4plusIjEEEEZZNS1_33reduce_by_key_impl_wrapped_configILNS1_25lookback_scan_determinismE0ES3_S7_PKdNS0_17constant_iteratorIjlEEPdPlSF_S6_NS0_8equal_toIdEEEE10hipError_tPvRmT2_T3_mT4_T5_T6_T7_T8_P12ihipStream_tbENKUlT_T0_E_clISt17integral_constantIbLb1EESY_IbLb0EEEEDaSU_SV_EUlSU_E_NS1_11comp_targetILNS1_3genE4ELNS1_11target_archE910ELNS1_3gpuE8ELNS1_3repE0EEENS1_30default_config_static_selectorELNS0_4arch9wavefront6targetE0EEEvT1_.has_recursion, 0
	.set _ZN7rocprim17ROCPRIM_400000_NS6detail17trampoline_kernelINS0_14default_configENS1_33run_length_encode_config_selectorIdjNS0_4plusIjEEEEZZNS1_33reduce_by_key_impl_wrapped_configILNS1_25lookback_scan_determinismE0ES3_S7_PKdNS0_17constant_iteratorIjlEEPdPlSF_S6_NS0_8equal_toIdEEEE10hipError_tPvRmT2_T3_mT4_T5_T6_T7_T8_P12ihipStream_tbENKUlT_T0_E_clISt17integral_constantIbLb1EESY_IbLb0EEEEDaSU_SV_EUlSU_E_NS1_11comp_targetILNS1_3genE4ELNS1_11target_archE910ELNS1_3gpuE8ELNS1_3repE0EEENS1_30default_config_static_selectorELNS0_4arch9wavefront6targetE0EEEvT1_.has_indirect_call, 0
	.section	.AMDGPU.csdata,"",@progbits
; Kernel info:
; codeLenInByte = 0
; TotalNumSgprs: 0
; NumVgprs: 0
; ScratchSize: 0
; MemoryBound: 0
; FloatMode: 240
; IeeeMode: 1
; LDSByteSize: 0 bytes/workgroup (compile time only)
; SGPRBlocks: 0
; VGPRBlocks: 0
; NumSGPRsForWavesPerEU: 1
; NumVGPRsForWavesPerEU: 1
; NamedBarCnt: 0
; Occupancy: 16
; WaveLimiterHint : 0
; COMPUTE_PGM_RSRC2:SCRATCH_EN: 0
; COMPUTE_PGM_RSRC2:USER_SGPR: 2
; COMPUTE_PGM_RSRC2:TRAP_HANDLER: 0
; COMPUTE_PGM_RSRC2:TGID_X_EN: 1
; COMPUTE_PGM_RSRC2:TGID_Y_EN: 0
; COMPUTE_PGM_RSRC2:TGID_Z_EN: 0
; COMPUTE_PGM_RSRC2:TIDIG_COMP_CNT: 0
	.section	.text._ZN7rocprim17ROCPRIM_400000_NS6detail17trampoline_kernelINS0_14default_configENS1_33run_length_encode_config_selectorIdjNS0_4plusIjEEEEZZNS1_33reduce_by_key_impl_wrapped_configILNS1_25lookback_scan_determinismE0ES3_S7_PKdNS0_17constant_iteratorIjlEEPdPlSF_S6_NS0_8equal_toIdEEEE10hipError_tPvRmT2_T3_mT4_T5_T6_T7_T8_P12ihipStream_tbENKUlT_T0_E_clISt17integral_constantIbLb1EESY_IbLb0EEEEDaSU_SV_EUlSU_E_NS1_11comp_targetILNS1_3genE3ELNS1_11target_archE908ELNS1_3gpuE7ELNS1_3repE0EEENS1_30default_config_static_selectorELNS0_4arch9wavefront6targetE0EEEvT1_,"axG",@progbits,_ZN7rocprim17ROCPRIM_400000_NS6detail17trampoline_kernelINS0_14default_configENS1_33run_length_encode_config_selectorIdjNS0_4plusIjEEEEZZNS1_33reduce_by_key_impl_wrapped_configILNS1_25lookback_scan_determinismE0ES3_S7_PKdNS0_17constant_iteratorIjlEEPdPlSF_S6_NS0_8equal_toIdEEEE10hipError_tPvRmT2_T3_mT4_T5_T6_T7_T8_P12ihipStream_tbENKUlT_T0_E_clISt17integral_constantIbLb1EESY_IbLb0EEEEDaSU_SV_EUlSU_E_NS1_11comp_targetILNS1_3genE3ELNS1_11target_archE908ELNS1_3gpuE7ELNS1_3repE0EEENS1_30default_config_static_selectorELNS0_4arch9wavefront6targetE0EEEvT1_,comdat
	.protected	_ZN7rocprim17ROCPRIM_400000_NS6detail17trampoline_kernelINS0_14default_configENS1_33run_length_encode_config_selectorIdjNS0_4plusIjEEEEZZNS1_33reduce_by_key_impl_wrapped_configILNS1_25lookback_scan_determinismE0ES3_S7_PKdNS0_17constant_iteratorIjlEEPdPlSF_S6_NS0_8equal_toIdEEEE10hipError_tPvRmT2_T3_mT4_T5_T6_T7_T8_P12ihipStream_tbENKUlT_T0_E_clISt17integral_constantIbLb1EESY_IbLb0EEEEDaSU_SV_EUlSU_E_NS1_11comp_targetILNS1_3genE3ELNS1_11target_archE908ELNS1_3gpuE7ELNS1_3repE0EEENS1_30default_config_static_selectorELNS0_4arch9wavefront6targetE0EEEvT1_ ; -- Begin function _ZN7rocprim17ROCPRIM_400000_NS6detail17trampoline_kernelINS0_14default_configENS1_33run_length_encode_config_selectorIdjNS0_4plusIjEEEEZZNS1_33reduce_by_key_impl_wrapped_configILNS1_25lookback_scan_determinismE0ES3_S7_PKdNS0_17constant_iteratorIjlEEPdPlSF_S6_NS0_8equal_toIdEEEE10hipError_tPvRmT2_T3_mT4_T5_T6_T7_T8_P12ihipStream_tbENKUlT_T0_E_clISt17integral_constantIbLb1EESY_IbLb0EEEEDaSU_SV_EUlSU_E_NS1_11comp_targetILNS1_3genE3ELNS1_11target_archE908ELNS1_3gpuE7ELNS1_3repE0EEENS1_30default_config_static_selectorELNS0_4arch9wavefront6targetE0EEEvT1_
	.globl	_ZN7rocprim17ROCPRIM_400000_NS6detail17trampoline_kernelINS0_14default_configENS1_33run_length_encode_config_selectorIdjNS0_4plusIjEEEEZZNS1_33reduce_by_key_impl_wrapped_configILNS1_25lookback_scan_determinismE0ES3_S7_PKdNS0_17constant_iteratorIjlEEPdPlSF_S6_NS0_8equal_toIdEEEE10hipError_tPvRmT2_T3_mT4_T5_T6_T7_T8_P12ihipStream_tbENKUlT_T0_E_clISt17integral_constantIbLb1EESY_IbLb0EEEEDaSU_SV_EUlSU_E_NS1_11comp_targetILNS1_3genE3ELNS1_11target_archE908ELNS1_3gpuE7ELNS1_3repE0EEENS1_30default_config_static_selectorELNS0_4arch9wavefront6targetE0EEEvT1_
	.p2align	8
	.type	_ZN7rocprim17ROCPRIM_400000_NS6detail17trampoline_kernelINS0_14default_configENS1_33run_length_encode_config_selectorIdjNS0_4plusIjEEEEZZNS1_33reduce_by_key_impl_wrapped_configILNS1_25lookback_scan_determinismE0ES3_S7_PKdNS0_17constant_iteratorIjlEEPdPlSF_S6_NS0_8equal_toIdEEEE10hipError_tPvRmT2_T3_mT4_T5_T6_T7_T8_P12ihipStream_tbENKUlT_T0_E_clISt17integral_constantIbLb1EESY_IbLb0EEEEDaSU_SV_EUlSU_E_NS1_11comp_targetILNS1_3genE3ELNS1_11target_archE908ELNS1_3gpuE7ELNS1_3repE0EEENS1_30default_config_static_selectorELNS0_4arch9wavefront6targetE0EEEvT1_,@function
_ZN7rocprim17ROCPRIM_400000_NS6detail17trampoline_kernelINS0_14default_configENS1_33run_length_encode_config_selectorIdjNS0_4plusIjEEEEZZNS1_33reduce_by_key_impl_wrapped_configILNS1_25lookback_scan_determinismE0ES3_S7_PKdNS0_17constant_iteratorIjlEEPdPlSF_S6_NS0_8equal_toIdEEEE10hipError_tPvRmT2_T3_mT4_T5_T6_T7_T8_P12ihipStream_tbENKUlT_T0_E_clISt17integral_constantIbLb1EESY_IbLb0EEEEDaSU_SV_EUlSU_E_NS1_11comp_targetILNS1_3genE3ELNS1_11target_archE908ELNS1_3gpuE7ELNS1_3repE0EEENS1_30default_config_static_selectorELNS0_4arch9wavefront6targetE0EEEvT1_: ; @_ZN7rocprim17ROCPRIM_400000_NS6detail17trampoline_kernelINS0_14default_configENS1_33run_length_encode_config_selectorIdjNS0_4plusIjEEEEZZNS1_33reduce_by_key_impl_wrapped_configILNS1_25lookback_scan_determinismE0ES3_S7_PKdNS0_17constant_iteratorIjlEEPdPlSF_S6_NS0_8equal_toIdEEEE10hipError_tPvRmT2_T3_mT4_T5_T6_T7_T8_P12ihipStream_tbENKUlT_T0_E_clISt17integral_constantIbLb1EESY_IbLb0EEEEDaSU_SV_EUlSU_E_NS1_11comp_targetILNS1_3genE3ELNS1_11target_archE908ELNS1_3gpuE7ELNS1_3repE0EEENS1_30default_config_static_selectorELNS0_4arch9wavefront6targetE0EEEvT1_
; %bb.0:
	.section	.rodata,"a",@progbits
	.p2align	6, 0x0
	.amdhsa_kernel _ZN7rocprim17ROCPRIM_400000_NS6detail17trampoline_kernelINS0_14default_configENS1_33run_length_encode_config_selectorIdjNS0_4plusIjEEEEZZNS1_33reduce_by_key_impl_wrapped_configILNS1_25lookback_scan_determinismE0ES3_S7_PKdNS0_17constant_iteratorIjlEEPdPlSF_S6_NS0_8equal_toIdEEEE10hipError_tPvRmT2_T3_mT4_T5_T6_T7_T8_P12ihipStream_tbENKUlT_T0_E_clISt17integral_constantIbLb1EESY_IbLb0EEEEDaSU_SV_EUlSU_E_NS1_11comp_targetILNS1_3genE3ELNS1_11target_archE908ELNS1_3gpuE7ELNS1_3repE0EEENS1_30default_config_static_selectorELNS0_4arch9wavefront6targetE0EEEvT1_
		.amdhsa_group_segment_fixed_size 0
		.amdhsa_private_segment_fixed_size 0
		.amdhsa_kernarg_size 128
		.amdhsa_user_sgpr_count 2
		.amdhsa_user_sgpr_dispatch_ptr 0
		.amdhsa_user_sgpr_queue_ptr 0
		.amdhsa_user_sgpr_kernarg_segment_ptr 1
		.amdhsa_user_sgpr_dispatch_id 0
		.amdhsa_user_sgpr_kernarg_preload_length 0
		.amdhsa_user_sgpr_kernarg_preload_offset 0
		.amdhsa_user_sgpr_private_segment_size 0
		.amdhsa_wavefront_size32 1
		.amdhsa_uses_dynamic_stack 0
		.amdhsa_enable_private_segment 0
		.amdhsa_system_sgpr_workgroup_id_x 1
		.amdhsa_system_sgpr_workgroup_id_y 0
		.amdhsa_system_sgpr_workgroup_id_z 0
		.amdhsa_system_sgpr_workgroup_info 0
		.amdhsa_system_vgpr_workitem_id 0
		.amdhsa_next_free_vgpr 1
		.amdhsa_next_free_sgpr 1
		.amdhsa_named_barrier_count 0
		.amdhsa_reserve_vcc 0
		.amdhsa_float_round_mode_32 0
		.amdhsa_float_round_mode_16_64 0
		.amdhsa_float_denorm_mode_32 3
		.amdhsa_float_denorm_mode_16_64 3
		.amdhsa_fp16_overflow 0
		.amdhsa_memory_ordered 1
		.amdhsa_forward_progress 1
		.amdhsa_inst_pref_size 0
		.amdhsa_round_robin_scheduling 0
		.amdhsa_exception_fp_ieee_invalid_op 0
		.amdhsa_exception_fp_denorm_src 0
		.amdhsa_exception_fp_ieee_div_zero 0
		.amdhsa_exception_fp_ieee_overflow 0
		.amdhsa_exception_fp_ieee_underflow 0
		.amdhsa_exception_fp_ieee_inexact 0
		.amdhsa_exception_int_div_zero 0
	.end_amdhsa_kernel
	.section	.text._ZN7rocprim17ROCPRIM_400000_NS6detail17trampoline_kernelINS0_14default_configENS1_33run_length_encode_config_selectorIdjNS0_4plusIjEEEEZZNS1_33reduce_by_key_impl_wrapped_configILNS1_25lookback_scan_determinismE0ES3_S7_PKdNS0_17constant_iteratorIjlEEPdPlSF_S6_NS0_8equal_toIdEEEE10hipError_tPvRmT2_T3_mT4_T5_T6_T7_T8_P12ihipStream_tbENKUlT_T0_E_clISt17integral_constantIbLb1EESY_IbLb0EEEEDaSU_SV_EUlSU_E_NS1_11comp_targetILNS1_3genE3ELNS1_11target_archE908ELNS1_3gpuE7ELNS1_3repE0EEENS1_30default_config_static_selectorELNS0_4arch9wavefront6targetE0EEEvT1_,"axG",@progbits,_ZN7rocprim17ROCPRIM_400000_NS6detail17trampoline_kernelINS0_14default_configENS1_33run_length_encode_config_selectorIdjNS0_4plusIjEEEEZZNS1_33reduce_by_key_impl_wrapped_configILNS1_25lookback_scan_determinismE0ES3_S7_PKdNS0_17constant_iteratorIjlEEPdPlSF_S6_NS0_8equal_toIdEEEE10hipError_tPvRmT2_T3_mT4_T5_T6_T7_T8_P12ihipStream_tbENKUlT_T0_E_clISt17integral_constantIbLb1EESY_IbLb0EEEEDaSU_SV_EUlSU_E_NS1_11comp_targetILNS1_3genE3ELNS1_11target_archE908ELNS1_3gpuE7ELNS1_3repE0EEENS1_30default_config_static_selectorELNS0_4arch9wavefront6targetE0EEEvT1_,comdat
.Lfunc_end325:
	.size	_ZN7rocprim17ROCPRIM_400000_NS6detail17trampoline_kernelINS0_14default_configENS1_33run_length_encode_config_selectorIdjNS0_4plusIjEEEEZZNS1_33reduce_by_key_impl_wrapped_configILNS1_25lookback_scan_determinismE0ES3_S7_PKdNS0_17constant_iteratorIjlEEPdPlSF_S6_NS0_8equal_toIdEEEE10hipError_tPvRmT2_T3_mT4_T5_T6_T7_T8_P12ihipStream_tbENKUlT_T0_E_clISt17integral_constantIbLb1EESY_IbLb0EEEEDaSU_SV_EUlSU_E_NS1_11comp_targetILNS1_3genE3ELNS1_11target_archE908ELNS1_3gpuE7ELNS1_3repE0EEENS1_30default_config_static_selectorELNS0_4arch9wavefront6targetE0EEEvT1_, .Lfunc_end325-_ZN7rocprim17ROCPRIM_400000_NS6detail17trampoline_kernelINS0_14default_configENS1_33run_length_encode_config_selectorIdjNS0_4plusIjEEEEZZNS1_33reduce_by_key_impl_wrapped_configILNS1_25lookback_scan_determinismE0ES3_S7_PKdNS0_17constant_iteratorIjlEEPdPlSF_S6_NS0_8equal_toIdEEEE10hipError_tPvRmT2_T3_mT4_T5_T6_T7_T8_P12ihipStream_tbENKUlT_T0_E_clISt17integral_constantIbLb1EESY_IbLb0EEEEDaSU_SV_EUlSU_E_NS1_11comp_targetILNS1_3genE3ELNS1_11target_archE908ELNS1_3gpuE7ELNS1_3repE0EEENS1_30default_config_static_selectorELNS0_4arch9wavefront6targetE0EEEvT1_
                                        ; -- End function
	.set _ZN7rocprim17ROCPRIM_400000_NS6detail17trampoline_kernelINS0_14default_configENS1_33run_length_encode_config_selectorIdjNS0_4plusIjEEEEZZNS1_33reduce_by_key_impl_wrapped_configILNS1_25lookback_scan_determinismE0ES3_S7_PKdNS0_17constant_iteratorIjlEEPdPlSF_S6_NS0_8equal_toIdEEEE10hipError_tPvRmT2_T3_mT4_T5_T6_T7_T8_P12ihipStream_tbENKUlT_T0_E_clISt17integral_constantIbLb1EESY_IbLb0EEEEDaSU_SV_EUlSU_E_NS1_11comp_targetILNS1_3genE3ELNS1_11target_archE908ELNS1_3gpuE7ELNS1_3repE0EEENS1_30default_config_static_selectorELNS0_4arch9wavefront6targetE0EEEvT1_.num_vgpr, 0
	.set _ZN7rocprim17ROCPRIM_400000_NS6detail17trampoline_kernelINS0_14default_configENS1_33run_length_encode_config_selectorIdjNS0_4plusIjEEEEZZNS1_33reduce_by_key_impl_wrapped_configILNS1_25lookback_scan_determinismE0ES3_S7_PKdNS0_17constant_iteratorIjlEEPdPlSF_S6_NS0_8equal_toIdEEEE10hipError_tPvRmT2_T3_mT4_T5_T6_T7_T8_P12ihipStream_tbENKUlT_T0_E_clISt17integral_constantIbLb1EESY_IbLb0EEEEDaSU_SV_EUlSU_E_NS1_11comp_targetILNS1_3genE3ELNS1_11target_archE908ELNS1_3gpuE7ELNS1_3repE0EEENS1_30default_config_static_selectorELNS0_4arch9wavefront6targetE0EEEvT1_.num_agpr, 0
	.set _ZN7rocprim17ROCPRIM_400000_NS6detail17trampoline_kernelINS0_14default_configENS1_33run_length_encode_config_selectorIdjNS0_4plusIjEEEEZZNS1_33reduce_by_key_impl_wrapped_configILNS1_25lookback_scan_determinismE0ES3_S7_PKdNS0_17constant_iteratorIjlEEPdPlSF_S6_NS0_8equal_toIdEEEE10hipError_tPvRmT2_T3_mT4_T5_T6_T7_T8_P12ihipStream_tbENKUlT_T0_E_clISt17integral_constantIbLb1EESY_IbLb0EEEEDaSU_SV_EUlSU_E_NS1_11comp_targetILNS1_3genE3ELNS1_11target_archE908ELNS1_3gpuE7ELNS1_3repE0EEENS1_30default_config_static_selectorELNS0_4arch9wavefront6targetE0EEEvT1_.numbered_sgpr, 0
	.set _ZN7rocprim17ROCPRIM_400000_NS6detail17trampoline_kernelINS0_14default_configENS1_33run_length_encode_config_selectorIdjNS0_4plusIjEEEEZZNS1_33reduce_by_key_impl_wrapped_configILNS1_25lookback_scan_determinismE0ES3_S7_PKdNS0_17constant_iteratorIjlEEPdPlSF_S6_NS0_8equal_toIdEEEE10hipError_tPvRmT2_T3_mT4_T5_T6_T7_T8_P12ihipStream_tbENKUlT_T0_E_clISt17integral_constantIbLb1EESY_IbLb0EEEEDaSU_SV_EUlSU_E_NS1_11comp_targetILNS1_3genE3ELNS1_11target_archE908ELNS1_3gpuE7ELNS1_3repE0EEENS1_30default_config_static_selectorELNS0_4arch9wavefront6targetE0EEEvT1_.num_named_barrier, 0
	.set _ZN7rocprim17ROCPRIM_400000_NS6detail17trampoline_kernelINS0_14default_configENS1_33run_length_encode_config_selectorIdjNS0_4plusIjEEEEZZNS1_33reduce_by_key_impl_wrapped_configILNS1_25lookback_scan_determinismE0ES3_S7_PKdNS0_17constant_iteratorIjlEEPdPlSF_S6_NS0_8equal_toIdEEEE10hipError_tPvRmT2_T3_mT4_T5_T6_T7_T8_P12ihipStream_tbENKUlT_T0_E_clISt17integral_constantIbLb1EESY_IbLb0EEEEDaSU_SV_EUlSU_E_NS1_11comp_targetILNS1_3genE3ELNS1_11target_archE908ELNS1_3gpuE7ELNS1_3repE0EEENS1_30default_config_static_selectorELNS0_4arch9wavefront6targetE0EEEvT1_.private_seg_size, 0
	.set _ZN7rocprim17ROCPRIM_400000_NS6detail17trampoline_kernelINS0_14default_configENS1_33run_length_encode_config_selectorIdjNS0_4plusIjEEEEZZNS1_33reduce_by_key_impl_wrapped_configILNS1_25lookback_scan_determinismE0ES3_S7_PKdNS0_17constant_iteratorIjlEEPdPlSF_S6_NS0_8equal_toIdEEEE10hipError_tPvRmT2_T3_mT4_T5_T6_T7_T8_P12ihipStream_tbENKUlT_T0_E_clISt17integral_constantIbLb1EESY_IbLb0EEEEDaSU_SV_EUlSU_E_NS1_11comp_targetILNS1_3genE3ELNS1_11target_archE908ELNS1_3gpuE7ELNS1_3repE0EEENS1_30default_config_static_selectorELNS0_4arch9wavefront6targetE0EEEvT1_.uses_vcc, 0
	.set _ZN7rocprim17ROCPRIM_400000_NS6detail17trampoline_kernelINS0_14default_configENS1_33run_length_encode_config_selectorIdjNS0_4plusIjEEEEZZNS1_33reduce_by_key_impl_wrapped_configILNS1_25lookback_scan_determinismE0ES3_S7_PKdNS0_17constant_iteratorIjlEEPdPlSF_S6_NS0_8equal_toIdEEEE10hipError_tPvRmT2_T3_mT4_T5_T6_T7_T8_P12ihipStream_tbENKUlT_T0_E_clISt17integral_constantIbLb1EESY_IbLb0EEEEDaSU_SV_EUlSU_E_NS1_11comp_targetILNS1_3genE3ELNS1_11target_archE908ELNS1_3gpuE7ELNS1_3repE0EEENS1_30default_config_static_selectorELNS0_4arch9wavefront6targetE0EEEvT1_.uses_flat_scratch, 0
	.set _ZN7rocprim17ROCPRIM_400000_NS6detail17trampoline_kernelINS0_14default_configENS1_33run_length_encode_config_selectorIdjNS0_4plusIjEEEEZZNS1_33reduce_by_key_impl_wrapped_configILNS1_25lookback_scan_determinismE0ES3_S7_PKdNS0_17constant_iteratorIjlEEPdPlSF_S6_NS0_8equal_toIdEEEE10hipError_tPvRmT2_T3_mT4_T5_T6_T7_T8_P12ihipStream_tbENKUlT_T0_E_clISt17integral_constantIbLb1EESY_IbLb0EEEEDaSU_SV_EUlSU_E_NS1_11comp_targetILNS1_3genE3ELNS1_11target_archE908ELNS1_3gpuE7ELNS1_3repE0EEENS1_30default_config_static_selectorELNS0_4arch9wavefront6targetE0EEEvT1_.has_dyn_sized_stack, 0
	.set _ZN7rocprim17ROCPRIM_400000_NS6detail17trampoline_kernelINS0_14default_configENS1_33run_length_encode_config_selectorIdjNS0_4plusIjEEEEZZNS1_33reduce_by_key_impl_wrapped_configILNS1_25lookback_scan_determinismE0ES3_S7_PKdNS0_17constant_iteratorIjlEEPdPlSF_S6_NS0_8equal_toIdEEEE10hipError_tPvRmT2_T3_mT4_T5_T6_T7_T8_P12ihipStream_tbENKUlT_T0_E_clISt17integral_constantIbLb1EESY_IbLb0EEEEDaSU_SV_EUlSU_E_NS1_11comp_targetILNS1_3genE3ELNS1_11target_archE908ELNS1_3gpuE7ELNS1_3repE0EEENS1_30default_config_static_selectorELNS0_4arch9wavefront6targetE0EEEvT1_.has_recursion, 0
	.set _ZN7rocprim17ROCPRIM_400000_NS6detail17trampoline_kernelINS0_14default_configENS1_33run_length_encode_config_selectorIdjNS0_4plusIjEEEEZZNS1_33reduce_by_key_impl_wrapped_configILNS1_25lookback_scan_determinismE0ES3_S7_PKdNS0_17constant_iteratorIjlEEPdPlSF_S6_NS0_8equal_toIdEEEE10hipError_tPvRmT2_T3_mT4_T5_T6_T7_T8_P12ihipStream_tbENKUlT_T0_E_clISt17integral_constantIbLb1EESY_IbLb0EEEEDaSU_SV_EUlSU_E_NS1_11comp_targetILNS1_3genE3ELNS1_11target_archE908ELNS1_3gpuE7ELNS1_3repE0EEENS1_30default_config_static_selectorELNS0_4arch9wavefront6targetE0EEEvT1_.has_indirect_call, 0
	.section	.AMDGPU.csdata,"",@progbits
; Kernel info:
; codeLenInByte = 0
; TotalNumSgprs: 0
; NumVgprs: 0
; ScratchSize: 0
; MemoryBound: 0
; FloatMode: 240
; IeeeMode: 1
; LDSByteSize: 0 bytes/workgroup (compile time only)
; SGPRBlocks: 0
; VGPRBlocks: 0
; NumSGPRsForWavesPerEU: 1
; NumVGPRsForWavesPerEU: 1
; NamedBarCnt: 0
; Occupancy: 16
; WaveLimiterHint : 0
; COMPUTE_PGM_RSRC2:SCRATCH_EN: 0
; COMPUTE_PGM_RSRC2:USER_SGPR: 2
; COMPUTE_PGM_RSRC2:TRAP_HANDLER: 0
; COMPUTE_PGM_RSRC2:TGID_X_EN: 1
; COMPUTE_PGM_RSRC2:TGID_Y_EN: 0
; COMPUTE_PGM_RSRC2:TGID_Z_EN: 0
; COMPUTE_PGM_RSRC2:TIDIG_COMP_CNT: 0
	.section	.text._ZN7rocprim17ROCPRIM_400000_NS6detail17trampoline_kernelINS0_14default_configENS1_33run_length_encode_config_selectorIdjNS0_4plusIjEEEEZZNS1_33reduce_by_key_impl_wrapped_configILNS1_25lookback_scan_determinismE0ES3_S7_PKdNS0_17constant_iteratorIjlEEPdPlSF_S6_NS0_8equal_toIdEEEE10hipError_tPvRmT2_T3_mT4_T5_T6_T7_T8_P12ihipStream_tbENKUlT_T0_E_clISt17integral_constantIbLb1EESY_IbLb0EEEEDaSU_SV_EUlSU_E_NS1_11comp_targetILNS1_3genE2ELNS1_11target_archE906ELNS1_3gpuE6ELNS1_3repE0EEENS1_30default_config_static_selectorELNS0_4arch9wavefront6targetE0EEEvT1_,"axG",@progbits,_ZN7rocprim17ROCPRIM_400000_NS6detail17trampoline_kernelINS0_14default_configENS1_33run_length_encode_config_selectorIdjNS0_4plusIjEEEEZZNS1_33reduce_by_key_impl_wrapped_configILNS1_25lookback_scan_determinismE0ES3_S7_PKdNS0_17constant_iteratorIjlEEPdPlSF_S6_NS0_8equal_toIdEEEE10hipError_tPvRmT2_T3_mT4_T5_T6_T7_T8_P12ihipStream_tbENKUlT_T0_E_clISt17integral_constantIbLb1EESY_IbLb0EEEEDaSU_SV_EUlSU_E_NS1_11comp_targetILNS1_3genE2ELNS1_11target_archE906ELNS1_3gpuE6ELNS1_3repE0EEENS1_30default_config_static_selectorELNS0_4arch9wavefront6targetE0EEEvT1_,comdat
	.protected	_ZN7rocprim17ROCPRIM_400000_NS6detail17trampoline_kernelINS0_14default_configENS1_33run_length_encode_config_selectorIdjNS0_4plusIjEEEEZZNS1_33reduce_by_key_impl_wrapped_configILNS1_25lookback_scan_determinismE0ES3_S7_PKdNS0_17constant_iteratorIjlEEPdPlSF_S6_NS0_8equal_toIdEEEE10hipError_tPvRmT2_T3_mT4_T5_T6_T7_T8_P12ihipStream_tbENKUlT_T0_E_clISt17integral_constantIbLb1EESY_IbLb0EEEEDaSU_SV_EUlSU_E_NS1_11comp_targetILNS1_3genE2ELNS1_11target_archE906ELNS1_3gpuE6ELNS1_3repE0EEENS1_30default_config_static_selectorELNS0_4arch9wavefront6targetE0EEEvT1_ ; -- Begin function _ZN7rocprim17ROCPRIM_400000_NS6detail17trampoline_kernelINS0_14default_configENS1_33run_length_encode_config_selectorIdjNS0_4plusIjEEEEZZNS1_33reduce_by_key_impl_wrapped_configILNS1_25lookback_scan_determinismE0ES3_S7_PKdNS0_17constant_iteratorIjlEEPdPlSF_S6_NS0_8equal_toIdEEEE10hipError_tPvRmT2_T3_mT4_T5_T6_T7_T8_P12ihipStream_tbENKUlT_T0_E_clISt17integral_constantIbLb1EESY_IbLb0EEEEDaSU_SV_EUlSU_E_NS1_11comp_targetILNS1_3genE2ELNS1_11target_archE906ELNS1_3gpuE6ELNS1_3repE0EEENS1_30default_config_static_selectorELNS0_4arch9wavefront6targetE0EEEvT1_
	.globl	_ZN7rocprim17ROCPRIM_400000_NS6detail17trampoline_kernelINS0_14default_configENS1_33run_length_encode_config_selectorIdjNS0_4plusIjEEEEZZNS1_33reduce_by_key_impl_wrapped_configILNS1_25lookback_scan_determinismE0ES3_S7_PKdNS0_17constant_iteratorIjlEEPdPlSF_S6_NS0_8equal_toIdEEEE10hipError_tPvRmT2_T3_mT4_T5_T6_T7_T8_P12ihipStream_tbENKUlT_T0_E_clISt17integral_constantIbLb1EESY_IbLb0EEEEDaSU_SV_EUlSU_E_NS1_11comp_targetILNS1_3genE2ELNS1_11target_archE906ELNS1_3gpuE6ELNS1_3repE0EEENS1_30default_config_static_selectorELNS0_4arch9wavefront6targetE0EEEvT1_
	.p2align	8
	.type	_ZN7rocprim17ROCPRIM_400000_NS6detail17trampoline_kernelINS0_14default_configENS1_33run_length_encode_config_selectorIdjNS0_4plusIjEEEEZZNS1_33reduce_by_key_impl_wrapped_configILNS1_25lookback_scan_determinismE0ES3_S7_PKdNS0_17constant_iteratorIjlEEPdPlSF_S6_NS0_8equal_toIdEEEE10hipError_tPvRmT2_T3_mT4_T5_T6_T7_T8_P12ihipStream_tbENKUlT_T0_E_clISt17integral_constantIbLb1EESY_IbLb0EEEEDaSU_SV_EUlSU_E_NS1_11comp_targetILNS1_3genE2ELNS1_11target_archE906ELNS1_3gpuE6ELNS1_3repE0EEENS1_30default_config_static_selectorELNS0_4arch9wavefront6targetE0EEEvT1_,@function
_ZN7rocprim17ROCPRIM_400000_NS6detail17trampoline_kernelINS0_14default_configENS1_33run_length_encode_config_selectorIdjNS0_4plusIjEEEEZZNS1_33reduce_by_key_impl_wrapped_configILNS1_25lookback_scan_determinismE0ES3_S7_PKdNS0_17constant_iteratorIjlEEPdPlSF_S6_NS0_8equal_toIdEEEE10hipError_tPvRmT2_T3_mT4_T5_T6_T7_T8_P12ihipStream_tbENKUlT_T0_E_clISt17integral_constantIbLb1EESY_IbLb0EEEEDaSU_SV_EUlSU_E_NS1_11comp_targetILNS1_3genE2ELNS1_11target_archE906ELNS1_3gpuE6ELNS1_3repE0EEENS1_30default_config_static_selectorELNS0_4arch9wavefront6targetE0EEEvT1_: ; @_ZN7rocprim17ROCPRIM_400000_NS6detail17trampoline_kernelINS0_14default_configENS1_33run_length_encode_config_selectorIdjNS0_4plusIjEEEEZZNS1_33reduce_by_key_impl_wrapped_configILNS1_25lookback_scan_determinismE0ES3_S7_PKdNS0_17constant_iteratorIjlEEPdPlSF_S6_NS0_8equal_toIdEEEE10hipError_tPvRmT2_T3_mT4_T5_T6_T7_T8_P12ihipStream_tbENKUlT_T0_E_clISt17integral_constantIbLb1EESY_IbLb0EEEEDaSU_SV_EUlSU_E_NS1_11comp_targetILNS1_3genE2ELNS1_11target_archE906ELNS1_3gpuE6ELNS1_3repE0EEENS1_30default_config_static_selectorELNS0_4arch9wavefront6targetE0EEEvT1_
; %bb.0:
	.section	.rodata,"a",@progbits
	.p2align	6, 0x0
	.amdhsa_kernel _ZN7rocprim17ROCPRIM_400000_NS6detail17trampoline_kernelINS0_14default_configENS1_33run_length_encode_config_selectorIdjNS0_4plusIjEEEEZZNS1_33reduce_by_key_impl_wrapped_configILNS1_25lookback_scan_determinismE0ES3_S7_PKdNS0_17constant_iteratorIjlEEPdPlSF_S6_NS0_8equal_toIdEEEE10hipError_tPvRmT2_T3_mT4_T5_T6_T7_T8_P12ihipStream_tbENKUlT_T0_E_clISt17integral_constantIbLb1EESY_IbLb0EEEEDaSU_SV_EUlSU_E_NS1_11comp_targetILNS1_3genE2ELNS1_11target_archE906ELNS1_3gpuE6ELNS1_3repE0EEENS1_30default_config_static_selectorELNS0_4arch9wavefront6targetE0EEEvT1_
		.amdhsa_group_segment_fixed_size 0
		.amdhsa_private_segment_fixed_size 0
		.amdhsa_kernarg_size 128
		.amdhsa_user_sgpr_count 2
		.amdhsa_user_sgpr_dispatch_ptr 0
		.amdhsa_user_sgpr_queue_ptr 0
		.amdhsa_user_sgpr_kernarg_segment_ptr 1
		.amdhsa_user_sgpr_dispatch_id 0
		.amdhsa_user_sgpr_kernarg_preload_length 0
		.amdhsa_user_sgpr_kernarg_preload_offset 0
		.amdhsa_user_sgpr_private_segment_size 0
		.amdhsa_wavefront_size32 1
		.amdhsa_uses_dynamic_stack 0
		.amdhsa_enable_private_segment 0
		.amdhsa_system_sgpr_workgroup_id_x 1
		.amdhsa_system_sgpr_workgroup_id_y 0
		.amdhsa_system_sgpr_workgroup_id_z 0
		.amdhsa_system_sgpr_workgroup_info 0
		.amdhsa_system_vgpr_workitem_id 0
		.amdhsa_next_free_vgpr 1
		.amdhsa_next_free_sgpr 1
		.amdhsa_named_barrier_count 0
		.amdhsa_reserve_vcc 0
		.amdhsa_float_round_mode_32 0
		.amdhsa_float_round_mode_16_64 0
		.amdhsa_float_denorm_mode_32 3
		.amdhsa_float_denorm_mode_16_64 3
		.amdhsa_fp16_overflow 0
		.amdhsa_memory_ordered 1
		.amdhsa_forward_progress 1
		.amdhsa_inst_pref_size 0
		.amdhsa_round_robin_scheduling 0
		.amdhsa_exception_fp_ieee_invalid_op 0
		.amdhsa_exception_fp_denorm_src 0
		.amdhsa_exception_fp_ieee_div_zero 0
		.amdhsa_exception_fp_ieee_overflow 0
		.amdhsa_exception_fp_ieee_underflow 0
		.amdhsa_exception_fp_ieee_inexact 0
		.amdhsa_exception_int_div_zero 0
	.end_amdhsa_kernel
	.section	.text._ZN7rocprim17ROCPRIM_400000_NS6detail17trampoline_kernelINS0_14default_configENS1_33run_length_encode_config_selectorIdjNS0_4plusIjEEEEZZNS1_33reduce_by_key_impl_wrapped_configILNS1_25lookback_scan_determinismE0ES3_S7_PKdNS0_17constant_iteratorIjlEEPdPlSF_S6_NS0_8equal_toIdEEEE10hipError_tPvRmT2_T3_mT4_T5_T6_T7_T8_P12ihipStream_tbENKUlT_T0_E_clISt17integral_constantIbLb1EESY_IbLb0EEEEDaSU_SV_EUlSU_E_NS1_11comp_targetILNS1_3genE2ELNS1_11target_archE906ELNS1_3gpuE6ELNS1_3repE0EEENS1_30default_config_static_selectorELNS0_4arch9wavefront6targetE0EEEvT1_,"axG",@progbits,_ZN7rocprim17ROCPRIM_400000_NS6detail17trampoline_kernelINS0_14default_configENS1_33run_length_encode_config_selectorIdjNS0_4plusIjEEEEZZNS1_33reduce_by_key_impl_wrapped_configILNS1_25lookback_scan_determinismE0ES3_S7_PKdNS0_17constant_iteratorIjlEEPdPlSF_S6_NS0_8equal_toIdEEEE10hipError_tPvRmT2_T3_mT4_T5_T6_T7_T8_P12ihipStream_tbENKUlT_T0_E_clISt17integral_constantIbLb1EESY_IbLb0EEEEDaSU_SV_EUlSU_E_NS1_11comp_targetILNS1_3genE2ELNS1_11target_archE906ELNS1_3gpuE6ELNS1_3repE0EEENS1_30default_config_static_selectorELNS0_4arch9wavefront6targetE0EEEvT1_,comdat
.Lfunc_end326:
	.size	_ZN7rocprim17ROCPRIM_400000_NS6detail17trampoline_kernelINS0_14default_configENS1_33run_length_encode_config_selectorIdjNS0_4plusIjEEEEZZNS1_33reduce_by_key_impl_wrapped_configILNS1_25lookback_scan_determinismE0ES3_S7_PKdNS0_17constant_iteratorIjlEEPdPlSF_S6_NS0_8equal_toIdEEEE10hipError_tPvRmT2_T3_mT4_T5_T6_T7_T8_P12ihipStream_tbENKUlT_T0_E_clISt17integral_constantIbLb1EESY_IbLb0EEEEDaSU_SV_EUlSU_E_NS1_11comp_targetILNS1_3genE2ELNS1_11target_archE906ELNS1_3gpuE6ELNS1_3repE0EEENS1_30default_config_static_selectorELNS0_4arch9wavefront6targetE0EEEvT1_, .Lfunc_end326-_ZN7rocprim17ROCPRIM_400000_NS6detail17trampoline_kernelINS0_14default_configENS1_33run_length_encode_config_selectorIdjNS0_4plusIjEEEEZZNS1_33reduce_by_key_impl_wrapped_configILNS1_25lookback_scan_determinismE0ES3_S7_PKdNS0_17constant_iteratorIjlEEPdPlSF_S6_NS0_8equal_toIdEEEE10hipError_tPvRmT2_T3_mT4_T5_T6_T7_T8_P12ihipStream_tbENKUlT_T0_E_clISt17integral_constantIbLb1EESY_IbLb0EEEEDaSU_SV_EUlSU_E_NS1_11comp_targetILNS1_3genE2ELNS1_11target_archE906ELNS1_3gpuE6ELNS1_3repE0EEENS1_30default_config_static_selectorELNS0_4arch9wavefront6targetE0EEEvT1_
                                        ; -- End function
	.set _ZN7rocprim17ROCPRIM_400000_NS6detail17trampoline_kernelINS0_14default_configENS1_33run_length_encode_config_selectorIdjNS0_4plusIjEEEEZZNS1_33reduce_by_key_impl_wrapped_configILNS1_25lookback_scan_determinismE0ES3_S7_PKdNS0_17constant_iteratorIjlEEPdPlSF_S6_NS0_8equal_toIdEEEE10hipError_tPvRmT2_T3_mT4_T5_T6_T7_T8_P12ihipStream_tbENKUlT_T0_E_clISt17integral_constantIbLb1EESY_IbLb0EEEEDaSU_SV_EUlSU_E_NS1_11comp_targetILNS1_3genE2ELNS1_11target_archE906ELNS1_3gpuE6ELNS1_3repE0EEENS1_30default_config_static_selectorELNS0_4arch9wavefront6targetE0EEEvT1_.num_vgpr, 0
	.set _ZN7rocprim17ROCPRIM_400000_NS6detail17trampoline_kernelINS0_14default_configENS1_33run_length_encode_config_selectorIdjNS0_4plusIjEEEEZZNS1_33reduce_by_key_impl_wrapped_configILNS1_25lookback_scan_determinismE0ES3_S7_PKdNS0_17constant_iteratorIjlEEPdPlSF_S6_NS0_8equal_toIdEEEE10hipError_tPvRmT2_T3_mT4_T5_T6_T7_T8_P12ihipStream_tbENKUlT_T0_E_clISt17integral_constantIbLb1EESY_IbLb0EEEEDaSU_SV_EUlSU_E_NS1_11comp_targetILNS1_3genE2ELNS1_11target_archE906ELNS1_3gpuE6ELNS1_3repE0EEENS1_30default_config_static_selectorELNS0_4arch9wavefront6targetE0EEEvT1_.num_agpr, 0
	.set _ZN7rocprim17ROCPRIM_400000_NS6detail17trampoline_kernelINS0_14default_configENS1_33run_length_encode_config_selectorIdjNS0_4plusIjEEEEZZNS1_33reduce_by_key_impl_wrapped_configILNS1_25lookback_scan_determinismE0ES3_S7_PKdNS0_17constant_iteratorIjlEEPdPlSF_S6_NS0_8equal_toIdEEEE10hipError_tPvRmT2_T3_mT4_T5_T6_T7_T8_P12ihipStream_tbENKUlT_T0_E_clISt17integral_constantIbLb1EESY_IbLb0EEEEDaSU_SV_EUlSU_E_NS1_11comp_targetILNS1_3genE2ELNS1_11target_archE906ELNS1_3gpuE6ELNS1_3repE0EEENS1_30default_config_static_selectorELNS0_4arch9wavefront6targetE0EEEvT1_.numbered_sgpr, 0
	.set _ZN7rocprim17ROCPRIM_400000_NS6detail17trampoline_kernelINS0_14default_configENS1_33run_length_encode_config_selectorIdjNS0_4plusIjEEEEZZNS1_33reduce_by_key_impl_wrapped_configILNS1_25lookback_scan_determinismE0ES3_S7_PKdNS0_17constant_iteratorIjlEEPdPlSF_S6_NS0_8equal_toIdEEEE10hipError_tPvRmT2_T3_mT4_T5_T6_T7_T8_P12ihipStream_tbENKUlT_T0_E_clISt17integral_constantIbLb1EESY_IbLb0EEEEDaSU_SV_EUlSU_E_NS1_11comp_targetILNS1_3genE2ELNS1_11target_archE906ELNS1_3gpuE6ELNS1_3repE0EEENS1_30default_config_static_selectorELNS0_4arch9wavefront6targetE0EEEvT1_.num_named_barrier, 0
	.set _ZN7rocprim17ROCPRIM_400000_NS6detail17trampoline_kernelINS0_14default_configENS1_33run_length_encode_config_selectorIdjNS0_4plusIjEEEEZZNS1_33reduce_by_key_impl_wrapped_configILNS1_25lookback_scan_determinismE0ES3_S7_PKdNS0_17constant_iteratorIjlEEPdPlSF_S6_NS0_8equal_toIdEEEE10hipError_tPvRmT2_T3_mT4_T5_T6_T7_T8_P12ihipStream_tbENKUlT_T0_E_clISt17integral_constantIbLb1EESY_IbLb0EEEEDaSU_SV_EUlSU_E_NS1_11comp_targetILNS1_3genE2ELNS1_11target_archE906ELNS1_3gpuE6ELNS1_3repE0EEENS1_30default_config_static_selectorELNS0_4arch9wavefront6targetE0EEEvT1_.private_seg_size, 0
	.set _ZN7rocprim17ROCPRIM_400000_NS6detail17trampoline_kernelINS0_14default_configENS1_33run_length_encode_config_selectorIdjNS0_4plusIjEEEEZZNS1_33reduce_by_key_impl_wrapped_configILNS1_25lookback_scan_determinismE0ES3_S7_PKdNS0_17constant_iteratorIjlEEPdPlSF_S6_NS0_8equal_toIdEEEE10hipError_tPvRmT2_T3_mT4_T5_T6_T7_T8_P12ihipStream_tbENKUlT_T0_E_clISt17integral_constantIbLb1EESY_IbLb0EEEEDaSU_SV_EUlSU_E_NS1_11comp_targetILNS1_3genE2ELNS1_11target_archE906ELNS1_3gpuE6ELNS1_3repE0EEENS1_30default_config_static_selectorELNS0_4arch9wavefront6targetE0EEEvT1_.uses_vcc, 0
	.set _ZN7rocprim17ROCPRIM_400000_NS6detail17trampoline_kernelINS0_14default_configENS1_33run_length_encode_config_selectorIdjNS0_4plusIjEEEEZZNS1_33reduce_by_key_impl_wrapped_configILNS1_25lookback_scan_determinismE0ES3_S7_PKdNS0_17constant_iteratorIjlEEPdPlSF_S6_NS0_8equal_toIdEEEE10hipError_tPvRmT2_T3_mT4_T5_T6_T7_T8_P12ihipStream_tbENKUlT_T0_E_clISt17integral_constantIbLb1EESY_IbLb0EEEEDaSU_SV_EUlSU_E_NS1_11comp_targetILNS1_3genE2ELNS1_11target_archE906ELNS1_3gpuE6ELNS1_3repE0EEENS1_30default_config_static_selectorELNS0_4arch9wavefront6targetE0EEEvT1_.uses_flat_scratch, 0
	.set _ZN7rocprim17ROCPRIM_400000_NS6detail17trampoline_kernelINS0_14default_configENS1_33run_length_encode_config_selectorIdjNS0_4plusIjEEEEZZNS1_33reduce_by_key_impl_wrapped_configILNS1_25lookback_scan_determinismE0ES3_S7_PKdNS0_17constant_iteratorIjlEEPdPlSF_S6_NS0_8equal_toIdEEEE10hipError_tPvRmT2_T3_mT4_T5_T6_T7_T8_P12ihipStream_tbENKUlT_T0_E_clISt17integral_constantIbLb1EESY_IbLb0EEEEDaSU_SV_EUlSU_E_NS1_11comp_targetILNS1_3genE2ELNS1_11target_archE906ELNS1_3gpuE6ELNS1_3repE0EEENS1_30default_config_static_selectorELNS0_4arch9wavefront6targetE0EEEvT1_.has_dyn_sized_stack, 0
	.set _ZN7rocprim17ROCPRIM_400000_NS6detail17trampoline_kernelINS0_14default_configENS1_33run_length_encode_config_selectorIdjNS0_4plusIjEEEEZZNS1_33reduce_by_key_impl_wrapped_configILNS1_25lookback_scan_determinismE0ES3_S7_PKdNS0_17constant_iteratorIjlEEPdPlSF_S6_NS0_8equal_toIdEEEE10hipError_tPvRmT2_T3_mT4_T5_T6_T7_T8_P12ihipStream_tbENKUlT_T0_E_clISt17integral_constantIbLb1EESY_IbLb0EEEEDaSU_SV_EUlSU_E_NS1_11comp_targetILNS1_3genE2ELNS1_11target_archE906ELNS1_3gpuE6ELNS1_3repE0EEENS1_30default_config_static_selectorELNS0_4arch9wavefront6targetE0EEEvT1_.has_recursion, 0
	.set _ZN7rocprim17ROCPRIM_400000_NS6detail17trampoline_kernelINS0_14default_configENS1_33run_length_encode_config_selectorIdjNS0_4plusIjEEEEZZNS1_33reduce_by_key_impl_wrapped_configILNS1_25lookback_scan_determinismE0ES3_S7_PKdNS0_17constant_iteratorIjlEEPdPlSF_S6_NS0_8equal_toIdEEEE10hipError_tPvRmT2_T3_mT4_T5_T6_T7_T8_P12ihipStream_tbENKUlT_T0_E_clISt17integral_constantIbLb1EESY_IbLb0EEEEDaSU_SV_EUlSU_E_NS1_11comp_targetILNS1_3genE2ELNS1_11target_archE906ELNS1_3gpuE6ELNS1_3repE0EEENS1_30default_config_static_selectorELNS0_4arch9wavefront6targetE0EEEvT1_.has_indirect_call, 0
	.section	.AMDGPU.csdata,"",@progbits
; Kernel info:
; codeLenInByte = 0
; TotalNumSgprs: 0
; NumVgprs: 0
; ScratchSize: 0
; MemoryBound: 0
; FloatMode: 240
; IeeeMode: 1
; LDSByteSize: 0 bytes/workgroup (compile time only)
; SGPRBlocks: 0
; VGPRBlocks: 0
; NumSGPRsForWavesPerEU: 1
; NumVGPRsForWavesPerEU: 1
; NamedBarCnt: 0
; Occupancy: 16
; WaveLimiterHint : 0
; COMPUTE_PGM_RSRC2:SCRATCH_EN: 0
; COMPUTE_PGM_RSRC2:USER_SGPR: 2
; COMPUTE_PGM_RSRC2:TRAP_HANDLER: 0
; COMPUTE_PGM_RSRC2:TGID_X_EN: 1
; COMPUTE_PGM_RSRC2:TGID_Y_EN: 0
; COMPUTE_PGM_RSRC2:TGID_Z_EN: 0
; COMPUTE_PGM_RSRC2:TIDIG_COMP_CNT: 0
	.section	.text._ZN7rocprim17ROCPRIM_400000_NS6detail17trampoline_kernelINS0_14default_configENS1_33run_length_encode_config_selectorIdjNS0_4plusIjEEEEZZNS1_33reduce_by_key_impl_wrapped_configILNS1_25lookback_scan_determinismE0ES3_S7_PKdNS0_17constant_iteratorIjlEEPdPlSF_S6_NS0_8equal_toIdEEEE10hipError_tPvRmT2_T3_mT4_T5_T6_T7_T8_P12ihipStream_tbENKUlT_T0_E_clISt17integral_constantIbLb1EESY_IbLb0EEEEDaSU_SV_EUlSU_E_NS1_11comp_targetILNS1_3genE10ELNS1_11target_archE1201ELNS1_3gpuE5ELNS1_3repE0EEENS1_30default_config_static_selectorELNS0_4arch9wavefront6targetE0EEEvT1_,"axG",@progbits,_ZN7rocprim17ROCPRIM_400000_NS6detail17trampoline_kernelINS0_14default_configENS1_33run_length_encode_config_selectorIdjNS0_4plusIjEEEEZZNS1_33reduce_by_key_impl_wrapped_configILNS1_25lookback_scan_determinismE0ES3_S7_PKdNS0_17constant_iteratorIjlEEPdPlSF_S6_NS0_8equal_toIdEEEE10hipError_tPvRmT2_T3_mT4_T5_T6_T7_T8_P12ihipStream_tbENKUlT_T0_E_clISt17integral_constantIbLb1EESY_IbLb0EEEEDaSU_SV_EUlSU_E_NS1_11comp_targetILNS1_3genE10ELNS1_11target_archE1201ELNS1_3gpuE5ELNS1_3repE0EEENS1_30default_config_static_selectorELNS0_4arch9wavefront6targetE0EEEvT1_,comdat
	.protected	_ZN7rocprim17ROCPRIM_400000_NS6detail17trampoline_kernelINS0_14default_configENS1_33run_length_encode_config_selectorIdjNS0_4plusIjEEEEZZNS1_33reduce_by_key_impl_wrapped_configILNS1_25lookback_scan_determinismE0ES3_S7_PKdNS0_17constant_iteratorIjlEEPdPlSF_S6_NS0_8equal_toIdEEEE10hipError_tPvRmT2_T3_mT4_T5_T6_T7_T8_P12ihipStream_tbENKUlT_T0_E_clISt17integral_constantIbLb1EESY_IbLb0EEEEDaSU_SV_EUlSU_E_NS1_11comp_targetILNS1_3genE10ELNS1_11target_archE1201ELNS1_3gpuE5ELNS1_3repE0EEENS1_30default_config_static_selectorELNS0_4arch9wavefront6targetE0EEEvT1_ ; -- Begin function _ZN7rocprim17ROCPRIM_400000_NS6detail17trampoline_kernelINS0_14default_configENS1_33run_length_encode_config_selectorIdjNS0_4plusIjEEEEZZNS1_33reduce_by_key_impl_wrapped_configILNS1_25lookback_scan_determinismE0ES3_S7_PKdNS0_17constant_iteratorIjlEEPdPlSF_S6_NS0_8equal_toIdEEEE10hipError_tPvRmT2_T3_mT4_T5_T6_T7_T8_P12ihipStream_tbENKUlT_T0_E_clISt17integral_constantIbLb1EESY_IbLb0EEEEDaSU_SV_EUlSU_E_NS1_11comp_targetILNS1_3genE10ELNS1_11target_archE1201ELNS1_3gpuE5ELNS1_3repE0EEENS1_30default_config_static_selectorELNS0_4arch9wavefront6targetE0EEEvT1_
	.globl	_ZN7rocprim17ROCPRIM_400000_NS6detail17trampoline_kernelINS0_14default_configENS1_33run_length_encode_config_selectorIdjNS0_4plusIjEEEEZZNS1_33reduce_by_key_impl_wrapped_configILNS1_25lookback_scan_determinismE0ES3_S7_PKdNS0_17constant_iteratorIjlEEPdPlSF_S6_NS0_8equal_toIdEEEE10hipError_tPvRmT2_T3_mT4_T5_T6_T7_T8_P12ihipStream_tbENKUlT_T0_E_clISt17integral_constantIbLb1EESY_IbLb0EEEEDaSU_SV_EUlSU_E_NS1_11comp_targetILNS1_3genE10ELNS1_11target_archE1201ELNS1_3gpuE5ELNS1_3repE0EEENS1_30default_config_static_selectorELNS0_4arch9wavefront6targetE0EEEvT1_
	.p2align	8
	.type	_ZN7rocprim17ROCPRIM_400000_NS6detail17trampoline_kernelINS0_14default_configENS1_33run_length_encode_config_selectorIdjNS0_4plusIjEEEEZZNS1_33reduce_by_key_impl_wrapped_configILNS1_25lookback_scan_determinismE0ES3_S7_PKdNS0_17constant_iteratorIjlEEPdPlSF_S6_NS0_8equal_toIdEEEE10hipError_tPvRmT2_T3_mT4_T5_T6_T7_T8_P12ihipStream_tbENKUlT_T0_E_clISt17integral_constantIbLb1EESY_IbLb0EEEEDaSU_SV_EUlSU_E_NS1_11comp_targetILNS1_3genE10ELNS1_11target_archE1201ELNS1_3gpuE5ELNS1_3repE0EEENS1_30default_config_static_selectorELNS0_4arch9wavefront6targetE0EEEvT1_,@function
_ZN7rocprim17ROCPRIM_400000_NS6detail17trampoline_kernelINS0_14default_configENS1_33run_length_encode_config_selectorIdjNS0_4plusIjEEEEZZNS1_33reduce_by_key_impl_wrapped_configILNS1_25lookback_scan_determinismE0ES3_S7_PKdNS0_17constant_iteratorIjlEEPdPlSF_S6_NS0_8equal_toIdEEEE10hipError_tPvRmT2_T3_mT4_T5_T6_T7_T8_P12ihipStream_tbENKUlT_T0_E_clISt17integral_constantIbLb1EESY_IbLb0EEEEDaSU_SV_EUlSU_E_NS1_11comp_targetILNS1_3genE10ELNS1_11target_archE1201ELNS1_3gpuE5ELNS1_3repE0EEENS1_30default_config_static_selectorELNS0_4arch9wavefront6targetE0EEEvT1_: ; @_ZN7rocprim17ROCPRIM_400000_NS6detail17trampoline_kernelINS0_14default_configENS1_33run_length_encode_config_selectorIdjNS0_4plusIjEEEEZZNS1_33reduce_by_key_impl_wrapped_configILNS1_25lookback_scan_determinismE0ES3_S7_PKdNS0_17constant_iteratorIjlEEPdPlSF_S6_NS0_8equal_toIdEEEE10hipError_tPvRmT2_T3_mT4_T5_T6_T7_T8_P12ihipStream_tbENKUlT_T0_E_clISt17integral_constantIbLb1EESY_IbLb0EEEEDaSU_SV_EUlSU_E_NS1_11comp_targetILNS1_3genE10ELNS1_11target_archE1201ELNS1_3gpuE5ELNS1_3repE0EEENS1_30default_config_static_selectorELNS0_4arch9wavefront6targetE0EEEvT1_
; %bb.0:
	.section	.rodata,"a",@progbits
	.p2align	6, 0x0
	.amdhsa_kernel _ZN7rocprim17ROCPRIM_400000_NS6detail17trampoline_kernelINS0_14default_configENS1_33run_length_encode_config_selectorIdjNS0_4plusIjEEEEZZNS1_33reduce_by_key_impl_wrapped_configILNS1_25lookback_scan_determinismE0ES3_S7_PKdNS0_17constant_iteratorIjlEEPdPlSF_S6_NS0_8equal_toIdEEEE10hipError_tPvRmT2_T3_mT4_T5_T6_T7_T8_P12ihipStream_tbENKUlT_T0_E_clISt17integral_constantIbLb1EESY_IbLb0EEEEDaSU_SV_EUlSU_E_NS1_11comp_targetILNS1_3genE10ELNS1_11target_archE1201ELNS1_3gpuE5ELNS1_3repE0EEENS1_30default_config_static_selectorELNS0_4arch9wavefront6targetE0EEEvT1_
		.amdhsa_group_segment_fixed_size 0
		.amdhsa_private_segment_fixed_size 0
		.amdhsa_kernarg_size 128
		.amdhsa_user_sgpr_count 2
		.amdhsa_user_sgpr_dispatch_ptr 0
		.amdhsa_user_sgpr_queue_ptr 0
		.amdhsa_user_sgpr_kernarg_segment_ptr 1
		.amdhsa_user_sgpr_dispatch_id 0
		.amdhsa_user_sgpr_kernarg_preload_length 0
		.amdhsa_user_sgpr_kernarg_preload_offset 0
		.amdhsa_user_sgpr_private_segment_size 0
		.amdhsa_wavefront_size32 1
		.amdhsa_uses_dynamic_stack 0
		.amdhsa_enable_private_segment 0
		.amdhsa_system_sgpr_workgroup_id_x 1
		.amdhsa_system_sgpr_workgroup_id_y 0
		.amdhsa_system_sgpr_workgroup_id_z 0
		.amdhsa_system_sgpr_workgroup_info 0
		.amdhsa_system_vgpr_workitem_id 0
		.amdhsa_next_free_vgpr 1
		.amdhsa_next_free_sgpr 1
		.amdhsa_named_barrier_count 0
		.amdhsa_reserve_vcc 0
		.amdhsa_float_round_mode_32 0
		.amdhsa_float_round_mode_16_64 0
		.amdhsa_float_denorm_mode_32 3
		.amdhsa_float_denorm_mode_16_64 3
		.amdhsa_fp16_overflow 0
		.amdhsa_memory_ordered 1
		.amdhsa_forward_progress 1
		.amdhsa_inst_pref_size 0
		.amdhsa_round_robin_scheduling 0
		.amdhsa_exception_fp_ieee_invalid_op 0
		.amdhsa_exception_fp_denorm_src 0
		.amdhsa_exception_fp_ieee_div_zero 0
		.amdhsa_exception_fp_ieee_overflow 0
		.amdhsa_exception_fp_ieee_underflow 0
		.amdhsa_exception_fp_ieee_inexact 0
		.amdhsa_exception_int_div_zero 0
	.end_amdhsa_kernel
	.section	.text._ZN7rocprim17ROCPRIM_400000_NS6detail17trampoline_kernelINS0_14default_configENS1_33run_length_encode_config_selectorIdjNS0_4plusIjEEEEZZNS1_33reduce_by_key_impl_wrapped_configILNS1_25lookback_scan_determinismE0ES3_S7_PKdNS0_17constant_iteratorIjlEEPdPlSF_S6_NS0_8equal_toIdEEEE10hipError_tPvRmT2_T3_mT4_T5_T6_T7_T8_P12ihipStream_tbENKUlT_T0_E_clISt17integral_constantIbLb1EESY_IbLb0EEEEDaSU_SV_EUlSU_E_NS1_11comp_targetILNS1_3genE10ELNS1_11target_archE1201ELNS1_3gpuE5ELNS1_3repE0EEENS1_30default_config_static_selectorELNS0_4arch9wavefront6targetE0EEEvT1_,"axG",@progbits,_ZN7rocprim17ROCPRIM_400000_NS6detail17trampoline_kernelINS0_14default_configENS1_33run_length_encode_config_selectorIdjNS0_4plusIjEEEEZZNS1_33reduce_by_key_impl_wrapped_configILNS1_25lookback_scan_determinismE0ES3_S7_PKdNS0_17constant_iteratorIjlEEPdPlSF_S6_NS0_8equal_toIdEEEE10hipError_tPvRmT2_T3_mT4_T5_T6_T7_T8_P12ihipStream_tbENKUlT_T0_E_clISt17integral_constantIbLb1EESY_IbLb0EEEEDaSU_SV_EUlSU_E_NS1_11comp_targetILNS1_3genE10ELNS1_11target_archE1201ELNS1_3gpuE5ELNS1_3repE0EEENS1_30default_config_static_selectorELNS0_4arch9wavefront6targetE0EEEvT1_,comdat
.Lfunc_end327:
	.size	_ZN7rocprim17ROCPRIM_400000_NS6detail17trampoline_kernelINS0_14default_configENS1_33run_length_encode_config_selectorIdjNS0_4plusIjEEEEZZNS1_33reduce_by_key_impl_wrapped_configILNS1_25lookback_scan_determinismE0ES3_S7_PKdNS0_17constant_iteratorIjlEEPdPlSF_S6_NS0_8equal_toIdEEEE10hipError_tPvRmT2_T3_mT4_T5_T6_T7_T8_P12ihipStream_tbENKUlT_T0_E_clISt17integral_constantIbLb1EESY_IbLb0EEEEDaSU_SV_EUlSU_E_NS1_11comp_targetILNS1_3genE10ELNS1_11target_archE1201ELNS1_3gpuE5ELNS1_3repE0EEENS1_30default_config_static_selectorELNS0_4arch9wavefront6targetE0EEEvT1_, .Lfunc_end327-_ZN7rocprim17ROCPRIM_400000_NS6detail17trampoline_kernelINS0_14default_configENS1_33run_length_encode_config_selectorIdjNS0_4plusIjEEEEZZNS1_33reduce_by_key_impl_wrapped_configILNS1_25lookback_scan_determinismE0ES3_S7_PKdNS0_17constant_iteratorIjlEEPdPlSF_S6_NS0_8equal_toIdEEEE10hipError_tPvRmT2_T3_mT4_T5_T6_T7_T8_P12ihipStream_tbENKUlT_T0_E_clISt17integral_constantIbLb1EESY_IbLb0EEEEDaSU_SV_EUlSU_E_NS1_11comp_targetILNS1_3genE10ELNS1_11target_archE1201ELNS1_3gpuE5ELNS1_3repE0EEENS1_30default_config_static_selectorELNS0_4arch9wavefront6targetE0EEEvT1_
                                        ; -- End function
	.set _ZN7rocprim17ROCPRIM_400000_NS6detail17trampoline_kernelINS0_14default_configENS1_33run_length_encode_config_selectorIdjNS0_4plusIjEEEEZZNS1_33reduce_by_key_impl_wrapped_configILNS1_25lookback_scan_determinismE0ES3_S7_PKdNS0_17constant_iteratorIjlEEPdPlSF_S6_NS0_8equal_toIdEEEE10hipError_tPvRmT2_T3_mT4_T5_T6_T7_T8_P12ihipStream_tbENKUlT_T0_E_clISt17integral_constantIbLb1EESY_IbLb0EEEEDaSU_SV_EUlSU_E_NS1_11comp_targetILNS1_3genE10ELNS1_11target_archE1201ELNS1_3gpuE5ELNS1_3repE0EEENS1_30default_config_static_selectorELNS0_4arch9wavefront6targetE0EEEvT1_.num_vgpr, 0
	.set _ZN7rocprim17ROCPRIM_400000_NS6detail17trampoline_kernelINS0_14default_configENS1_33run_length_encode_config_selectorIdjNS0_4plusIjEEEEZZNS1_33reduce_by_key_impl_wrapped_configILNS1_25lookback_scan_determinismE0ES3_S7_PKdNS0_17constant_iteratorIjlEEPdPlSF_S6_NS0_8equal_toIdEEEE10hipError_tPvRmT2_T3_mT4_T5_T6_T7_T8_P12ihipStream_tbENKUlT_T0_E_clISt17integral_constantIbLb1EESY_IbLb0EEEEDaSU_SV_EUlSU_E_NS1_11comp_targetILNS1_3genE10ELNS1_11target_archE1201ELNS1_3gpuE5ELNS1_3repE0EEENS1_30default_config_static_selectorELNS0_4arch9wavefront6targetE0EEEvT1_.num_agpr, 0
	.set _ZN7rocprim17ROCPRIM_400000_NS6detail17trampoline_kernelINS0_14default_configENS1_33run_length_encode_config_selectorIdjNS0_4plusIjEEEEZZNS1_33reduce_by_key_impl_wrapped_configILNS1_25lookback_scan_determinismE0ES3_S7_PKdNS0_17constant_iteratorIjlEEPdPlSF_S6_NS0_8equal_toIdEEEE10hipError_tPvRmT2_T3_mT4_T5_T6_T7_T8_P12ihipStream_tbENKUlT_T0_E_clISt17integral_constantIbLb1EESY_IbLb0EEEEDaSU_SV_EUlSU_E_NS1_11comp_targetILNS1_3genE10ELNS1_11target_archE1201ELNS1_3gpuE5ELNS1_3repE0EEENS1_30default_config_static_selectorELNS0_4arch9wavefront6targetE0EEEvT1_.numbered_sgpr, 0
	.set _ZN7rocprim17ROCPRIM_400000_NS6detail17trampoline_kernelINS0_14default_configENS1_33run_length_encode_config_selectorIdjNS0_4plusIjEEEEZZNS1_33reduce_by_key_impl_wrapped_configILNS1_25lookback_scan_determinismE0ES3_S7_PKdNS0_17constant_iteratorIjlEEPdPlSF_S6_NS0_8equal_toIdEEEE10hipError_tPvRmT2_T3_mT4_T5_T6_T7_T8_P12ihipStream_tbENKUlT_T0_E_clISt17integral_constantIbLb1EESY_IbLb0EEEEDaSU_SV_EUlSU_E_NS1_11comp_targetILNS1_3genE10ELNS1_11target_archE1201ELNS1_3gpuE5ELNS1_3repE0EEENS1_30default_config_static_selectorELNS0_4arch9wavefront6targetE0EEEvT1_.num_named_barrier, 0
	.set _ZN7rocprim17ROCPRIM_400000_NS6detail17trampoline_kernelINS0_14default_configENS1_33run_length_encode_config_selectorIdjNS0_4plusIjEEEEZZNS1_33reduce_by_key_impl_wrapped_configILNS1_25lookback_scan_determinismE0ES3_S7_PKdNS0_17constant_iteratorIjlEEPdPlSF_S6_NS0_8equal_toIdEEEE10hipError_tPvRmT2_T3_mT4_T5_T6_T7_T8_P12ihipStream_tbENKUlT_T0_E_clISt17integral_constantIbLb1EESY_IbLb0EEEEDaSU_SV_EUlSU_E_NS1_11comp_targetILNS1_3genE10ELNS1_11target_archE1201ELNS1_3gpuE5ELNS1_3repE0EEENS1_30default_config_static_selectorELNS0_4arch9wavefront6targetE0EEEvT1_.private_seg_size, 0
	.set _ZN7rocprim17ROCPRIM_400000_NS6detail17trampoline_kernelINS0_14default_configENS1_33run_length_encode_config_selectorIdjNS0_4plusIjEEEEZZNS1_33reduce_by_key_impl_wrapped_configILNS1_25lookback_scan_determinismE0ES3_S7_PKdNS0_17constant_iteratorIjlEEPdPlSF_S6_NS0_8equal_toIdEEEE10hipError_tPvRmT2_T3_mT4_T5_T6_T7_T8_P12ihipStream_tbENKUlT_T0_E_clISt17integral_constantIbLb1EESY_IbLb0EEEEDaSU_SV_EUlSU_E_NS1_11comp_targetILNS1_3genE10ELNS1_11target_archE1201ELNS1_3gpuE5ELNS1_3repE0EEENS1_30default_config_static_selectorELNS0_4arch9wavefront6targetE0EEEvT1_.uses_vcc, 0
	.set _ZN7rocprim17ROCPRIM_400000_NS6detail17trampoline_kernelINS0_14default_configENS1_33run_length_encode_config_selectorIdjNS0_4plusIjEEEEZZNS1_33reduce_by_key_impl_wrapped_configILNS1_25lookback_scan_determinismE0ES3_S7_PKdNS0_17constant_iteratorIjlEEPdPlSF_S6_NS0_8equal_toIdEEEE10hipError_tPvRmT2_T3_mT4_T5_T6_T7_T8_P12ihipStream_tbENKUlT_T0_E_clISt17integral_constantIbLb1EESY_IbLb0EEEEDaSU_SV_EUlSU_E_NS1_11comp_targetILNS1_3genE10ELNS1_11target_archE1201ELNS1_3gpuE5ELNS1_3repE0EEENS1_30default_config_static_selectorELNS0_4arch9wavefront6targetE0EEEvT1_.uses_flat_scratch, 0
	.set _ZN7rocprim17ROCPRIM_400000_NS6detail17trampoline_kernelINS0_14default_configENS1_33run_length_encode_config_selectorIdjNS0_4plusIjEEEEZZNS1_33reduce_by_key_impl_wrapped_configILNS1_25lookback_scan_determinismE0ES3_S7_PKdNS0_17constant_iteratorIjlEEPdPlSF_S6_NS0_8equal_toIdEEEE10hipError_tPvRmT2_T3_mT4_T5_T6_T7_T8_P12ihipStream_tbENKUlT_T0_E_clISt17integral_constantIbLb1EESY_IbLb0EEEEDaSU_SV_EUlSU_E_NS1_11comp_targetILNS1_3genE10ELNS1_11target_archE1201ELNS1_3gpuE5ELNS1_3repE0EEENS1_30default_config_static_selectorELNS0_4arch9wavefront6targetE0EEEvT1_.has_dyn_sized_stack, 0
	.set _ZN7rocprim17ROCPRIM_400000_NS6detail17trampoline_kernelINS0_14default_configENS1_33run_length_encode_config_selectorIdjNS0_4plusIjEEEEZZNS1_33reduce_by_key_impl_wrapped_configILNS1_25lookback_scan_determinismE0ES3_S7_PKdNS0_17constant_iteratorIjlEEPdPlSF_S6_NS0_8equal_toIdEEEE10hipError_tPvRmT2_T3_mT4_T5_T6_T7_T8_P12ihipStream_tbENKUlT_T0_E_clISt17integral_constantIbLb1EESY_IbLb0EEEEDaSU_SV_EUlSU_E_NS1_11comp_targetILNS1_3genE10ELNS1_11target_archE1201ELNS1_3gpuE5ELNS1_3repE0EEENS1_30default_config_static_selectorELNS0_4arch9wavefront6targetE0EEEvT1_.has_recursion, 0
	.set _ZN7rocprim17ROCPRIM_400000_NS6detail17trampoline_kernelINS0_14default_configENS1_33run_length_encode_config_selectorIdjNS0_4plusIjEEEEZZNS1_33reduce_by_key_impl_wrapped_configILNS1_25lookback_scan_determinismE0ES3_S7_PKdNS0_17constant_iteratorIjlEEPdPlSF_S6_NS0_8equal_toIdEEEE10hipError_tPvRmT2_T3_mT4_T5_T6_T7_T8_P12ihipStream_tbENKUlT_T0_E_clISt17integral_constantIbLb1EESY_IbLb0EEEEDaSU_SV_EUlSU_E_NS1_11comp_targetILNS1_3genE10ELNS1_11target_archE1201ELNS1_3gpuE5ELNS1_3repE0EEENS1_30default_config_static_selectorELNS0_4arch9wavefront6targetE0EEEvT1_.has_indirect_call, 0
	.section	.AMDGPU.csdata,"",@progbits
; Kernel info:
; codeLenInByte = 0
; TotalNumSgprs: 0
; NumVgprs: 0
; ScratchSize: 0
; MemoryBound: 0
; FloatMode: 240
; IeeeMode: 1
; LDSByteSize: 0 bytes/workgroup (compile time only)
; SGPRBlocks: 0
; VGPRBlocks: 0
; NumSGPRsForWavesPerEU: 1
; NumVGPRsForWavesPerEU: 1
; NamedBarCnt: 0
; Occupancy: 16
; WaveLimiterHint : 0
; COMPUTE_PGM_RSRC2:SCRATCH_EN: 0
; COMPUTE_PGM_RSRC2:USER_SGPR: 2
; COMPUTE_PGM_RSRC2:TRAP_HANDLER: 0
; COMPUTE_PGM_RSRC2:TGID_X_EN: 1
; COMPUTE_PGM_RSRC2:TGID_Y_EN: 0
; COMPUTE_PGM_RSRC2:TGID_Z_EN: 0
; COMPUTE_PGM_RSRC2:TIDIG_COMP_CNT: 0
	.section	.text._ZN7rocprim17ROCPRIM_400000_NS6detail17trampoline_kernelINS0_14default_configENS1_33run_length_encode_config_selectorIdjNS0_4plusIjEEEEZZNS1_33reduce_by_key_impl_wrapped_configILNS1_25lookback_scan_determinismE0ES3_S7_PKdNS0_17constant_iteratorIjlEEPdPlSF_S6_NS0_8equal_toIdEEEE10hipError_tPvRmT2_T3_mT4_T5_T6_T7_T8_P12ihipStream_tbENKUlT_T0_E_clISt17integral_constantIbLb1EESY_IbLb0EEEEDaSU_SV_EUlSU_E_NS1_11comp_targetILNS1_3genE10ELNS1_11target_archE1200ELNS1_3gpuE4ELNS1_3repE0EEENS1_30default_config_static_selectorELNS0_4arch9wavefront6targetE0EEEvT1_,"axG",@progbits,_ZN7rocprim17ROCPRIM_400000_NS6detail17trampoline_kernelINS0_14default_configENS1_33run_length_encode_config_selectorIdjNS0_4plusIjEEEEZZNS1_33reduce_by_key_impl_wrapped_configILNS1_25lookback_scan_determinismE0ES3_S7_PKdNS0_17constant_iteratorIjlEEPdPlSF_S6_NS0_8equal_toIdEEEE10hipError_tPvRmT2_T3_mT4_T5_T6_T7_T8_P12ihipStream_tbENKUlT_T0_E_clISt17integral_constantIbLb1EESY_IbLb0EEEEDaSU_SV_EUlSU_E_NS1_11comp_targetILNS1_3genE10ELNS1_11target_archE1200ELNS1_3gpuE4ELNS1_3repE0EEENS1_30default_config_static_selectorELNS0_4arch9wavefront6targetE0EEEvT1_,comdat
	.protected	_ZN7rocprim17ROCPRIM_400000_NS6detail17trampoline_kernelINS0_14default_configENS1_33run_length_encode_config_selectorIdjNS0_4plusIjEEEEZZNS1_33reduce_by_key_impl_wrapped_configILNS1_25lookback_scan_determinismE0ES3_S7_PKdNS0_17constant_iteratorIjlEEPdPlSF_S6_NS0_8equal_toIdEEEE10hipError_tPvRmT2_T3_mT4_T5_T6_T7_T8_P12ihipStream_tbENKUlT_T0_E_clISt17integral_constantIbLb1EESY_IbLb0EEEEDaSU_SV_EUlSU_E_NS1_11comp_targetILNS1_3genE10ELNS1_11target_archE1200ELNS1_3gpuE4ELNS1_3repE0EEENS1_30default_config_static_selectorELNS0_4arch9wavefront6targetE0EEEvT1_ ; -- Begin function _ZN7rocprim17ROCPRIM_400000_NS6detail17trampoline_kernelINS0_14default_configENS1_33run_length_encode_config_selectorIdjNS0_4plusIjEEEEZZNS1_33reduce_by_key_impl_wrapped_configILNS1_25lookback_scan_determinismE0ES3_S7_PKdNS0_17constant_iteratorIjlEEPdPlSF_S6_NS0_8equal_toIdEEEE10hipError_tPvRmT2_T3_mT4_T5_T6_T7_T8_P12ihipStream_tbENKUlT_T0_E_clISt17integral_constantIbLb1EESY_IbLb0EEEEDaSU_SV_EUlSU_E_NS1_11comp_targetILNS1_3genE10ELNS1_11target_archE1200ELNS1_3gpuE4ELNS1_3repE0EEENS1_30default_config_static_selectorELNS0_4arch9wavefront6targetE0EEEvT1_
	.globl	_ZN7rocprim17ROCPRIM_400000_NS6detail17trampoline_kernelINS0_14default_configENS1_33run_length_encode_config_selectorIdjNS0_4plusIjEEEEZZNS1_33reduce_by_key_impl_wrapped_configILNS1_25lookback_scan_determinismE0ES3_S7_PKdNS0_17constant_iteratorIjlEEPdPlSF_S6_NS0_8equal_toIdEEEE10hipError_tPvRmT2_T3_mT4_T5_T6_T7_T8_P12ihipStream_tbENKUlT_T0_E_clISt17integral_constantIbLb1EESY_IbLb0EEEEDaSU_SV_EUlSU_E_NS1_11comp_targetILNS1_3genE10ELNS1_11target_archE1200ELNS1_3gpuE4ELNS1_3repE0EEENS1_30default_config_static_selectorELNS0_4arch9wavefront6targetE0EEEvT1_
	.p2align	8
	.type	_ZN7rocprim17ROCPRIM_400000_NS6detail17trampoline_kernelINS0_14default_configENS1_33run_length_encode_config_selectorIdjNS0_4plusIjEEEEZZNS1_33reduce_by_key_impl_wrapped_configILNS1_25lookback_scan_determinismE0ES3_S7_PKdNS0_17constant_iteratorIjlEEPdPlSF_S6_NS0_8equal_toIdEEEE10hipError_tPvRmT2_T3_mT4_T5_T6_T7_T8_P12ihipStream_tbENKUlT_T0_E_clISt17integral_constantIbLb1EESY_IbLb0EEEEDaSU_SV_EUlSU_E_NS1_11comp_targetILNS1_3genE10ELNS1_11target_archE1200ELNS1_3gpuE4ELNS1_3repE0EEENS1_30default_config_static_selectorELNS0_4arch9wavefront6targetE0EEEvT1_,@function
_ZN7rocprim17ROCPRIM_400000_NS6detail17trampoline_kernelINS0_14default_configENS1_33run_length_encode_config_selectorIdjNS0_4plusIjEEEEZZNS1_33reduce_by_key_impl_wrapped_configILNS1_25lookback_scan_determinismE0ES3_S7_PKdNS0_17constant_iteratorIjlEEPdPlSF_S6_NS0_8equal_toIdEEEE10hipError_tPvRmT2_T3_mT4_T5_T6_T7_T8_P12ihipStream_tbENKUlT_T0_E_clISt17integral_constantIbLb1EESY_IbLb0EEEEDaSU_SV_EUlSU_E_NS1_11comp_targetILNS1_3genE10ELNS1_11target_archE1200ELNS1_3gpuE4ELNS1_3repE0EEENS1_30default_config_static_selectorELNS0_4arch9wavefront6targetE0EEEvT1_: ; @_ZN7rocprim17ROCPRIM_400000_NS6detail17trampoline_kernelINS0_14default_configENS1_33run_length_encode_config_selectorIdjNS0_4plusIjEEEEZZNS1_33reduce_by_key_impl_wrapped_configILNS1_25lookback_scan_determinismE0ES3_S7_PKdNS0_17constant_iteratorIjlEEPdPlSF_S6_NS0_8equal_toIdEEEE10hipError_tPvRmT2_T3_mT4_T5_T6_T7_T8_P12ihipStream_tbENKUlT_T0_E_clISt17integral_constantIbLb1EESY_IbLb0EEEEDaSU_SV_EUlSU_E_NS1_11comp_targetILNS1_3genE10ELNS1_11target_archE1200ELNS1_3gpuE4ELNS1_3repE0EEENS1_30default_config_static_selectorELNS0_4arch9wavefront6targetE0EEEvT1_
; %bb.0:
	.section	.rodata,"a",@progbits
	.p2align	6, 0x0
	.amdhsa_kernel _ZN7rocprim17ROCPRIM_400000_NS6detail17trampoline_kernelINS0_14default_configENS1_33run_length_encode_config_selectorIdjNS0_4plusIjEEEEZZNS1_33reduce_by_key_impl_wrapped_configILNS1_25lookback_scan_determinismE0ES3_S7_PKdNS0_17constant_iteratorIjlEEPdPlSF_S6_NS0_8equal_toIdEEEE10hipError_tPvRmT2_T3_mT4_T5_T6_T7_T8_P12ihipStream_tbENKUlT_T0_E_clISt17integral_constantIbLb1EESY_IbLb0EEEEDaSU_SV_EUlSU_E_NS1_11comp_targetILNS1_3genE10ELNS1_11target_archE1200ELNS1_3gpuE4ELNS1_3repE0EEENS1_30default_config_static_selectorELNS0_4arch9wavefront6targetE0EEEvT1_
		.amdhsa_group_segment_fixed_size 0
		.amdhsa_private_segment_fixed_size 0
		.amdhsa_kernarg_size 128
		.amdhsa_user_sgpr_count 2
		.amdhsa_user_sgpr_dispatch_ptr 0
		.amdhsa_user_sgpr_queue_ptr 0
		.amdhsa_user_sgpr_kernarg_segment_ptr 1
		.amdhsa_user_sgpr_dispatch_id 0
		.amdhsa_user_sgpr_kernarg_preload_length 0
		.amdhsa_user_sgpr_kernarg_preload_offset 0
		.amdhsa_user_sgpr_private_segment_size 0
		.amdhsa_wavefront_size32 1
		.amdhsa_uses_dynamic_stack 0
		.amdhsa_enable_private_segment 0
		.amdhsa_system_sgpr_workgroup_id_x 1
		.amdhsa_system_sgpr_workgroup_id_y 0
		.amdhsa_system_sgpr_workgroup_id_z 0
		.amdhsa_system_sgpr_workgroup_info 0
		.amdhsa_system_vgpr_workitem_id 0
		.amdhsa_next_free_vgpr 1
		.amdhsa_next_free_sgpr 1
		.amdhsa_named_barrier_count 0
		.amdhsa_reserve_vcc 0
		.amdhsa_float_round_mode_32 0
		.amdhsa_float_round_mode_16_64 0
		.amdhsa_float_denorm_mode_32 3
		.amdhsa_float_denorm_mode_16_64 3
		.amdhsa_fp16_overflow 0
		.amdhsa_memory_ordered 1
		.amdhsa_forward_progress 1
		.amdhsa_inst_pref_size 0
		.amdhsa_round_robin_scheduling 0
		.amdhsa_exception_fp_ieee_invalid_op 0
		.amdhsa_exception_fp_denorm_src 0
		.amdhsa_exception_fp_ieee_div_zero 0
		.amdhsa_exception_fp_ieee_overflow 0
		.amdhsa_exception_fp_ieee_underflow 0
		.amdhsa_exception_fp_ieee_inexact 0
		.amdhsa_exception_int_div_zero 0
	.end_amdhsa_kernel
	.section	.text._ZN7rocprim17ROCPRIM_400000_NS6detail17trampoline_kernelINS0_14default_configENS1_33run_length_encode_config_selectorIdjNS0_4plusIjEEEEZZNS1_33reduce_by_key_impl_wrapped_configILNS1_25lookback_scan_determinismE0ES3_S7_PKdNS0_17constant_iteratorIjlEEPdPlSF_S6_NS0_8equal_toIdEEEE10hipError_tPvRmT2_T3_mT4_T5_T6_T7_T8_P12ihipStream_tbENKUlT_T0_E_clISt17integral_constantIbLb1EESY_IbLb0EEEEDaSU_SV_EUlSU_E_NS1_11comp_targetILNS1_3genE10ELNS1_11target_archE1200ELNS1_3gpuE4ELNS1_3repE0EEENS1_30default_config_static_selectorELNS0_4arch9wavefront6targetE0EEEvT1_,"axG",@progbits,_ZN7rocprim17ROCPRIM_400000_NS6detail17trampoline_kernelINS0_14default_configENS1_33run_length_encode_config_selectorIdjNS0_4plusIjEEEEZZNS1_33reduce_by_key_impl_wrapped_configILNS1_25lookback_scan_determinismE0ES3_S7_PKdNS0_17constant_iteratorIjlEEPdPlSF_S6_NS0_8equal_toIdEEEE10hipError_tPvRmT2_T3_mT4_T5_T6_T7_T8_P12ihipStream_tbENKUlT_T0_E_clISt17integral_constantIbLb1EESY_IbLb0EEEEDaSU_SV_EUlSU_E_NS1_11comp_targetILNS1_3genE10ELNS1_11target_archE1200ELNS1_3gpuE4ELNS1_3repE0EEENS1_30default_config_static_selectorELNS0_4arch9wavefront6targetE0EEEvT1_,comdat
.Lfunc_end328:
	.size	_ZN7rocprim17ROCPRIM_400000_NS6detail17trampoline_kernelINS0_14default_configENS1_33run_length_encode_config_selectorIdjNS0_4plusIjEEEEZZNS1_33reduce_by_key_impl_wrapped_configILNS1_25lookback_scan_determinismE0ES3_S7_PKdNS0_17constant_iteratorIjlEEPdPlSF_S6_NS0_8equal_toIdEEEE10hipError_tPvRmT2_T3_mT4_T5_T6_T7_T8_P12ihipStream_tbENKUlT_T0_E_clISt17integral_constantIbLb1EESY_IbLb0EEEEDaSU_SV_EUlSU_E_NS1_11comp_targetILNS1_3genE10ELNS1_11target_archE1200ELNS1_3gpuE4ELNS1_3repE0EEENS1_30default_config_static_selectorELNS0_4arch9wavefront6targetE0EEEvT1_, .Lfunc_end328-_ZN7rocprim17ROCPRIM_400000_NS6detail17trampoline_kernelINS0_14default_configENS1_33run_length_encode_config_selectorIdjNS0_4plusIjEEEEZZNS1_33reduce_by_key_impl_wrapped_configILNS1_25lookback_scan_determinismE0ES3_S7_PKdNS0_17constant_iteratorIjlEEPdPlSF_S6_NS0_8equal_toIdEEEE10hipError_tPvRmT2_T3_mT4_T5_T6_T7_T8_P12ihipStream_tbENKUlT_T0_E_clISt17integral_constantIbLb1EESY_IbLb0EEEEDaSU_SV_EUlSU_E_NS1_11comp_targetILNS1_3genE10ELNS1_11target_archE1200ELNS1_3gpuE4ELNS1_3repE0EEENS1_30default_config_static_selectorELNS0_4arch9wavefront6targetE0EEEvT1_
                                        ; -- End function
	.set _ZN7rocprim17ROCPRIM_400000_NS6detail17trampoline_kernelINS0_14default_configENS1_33run_length_encode_config_selectorIdjNS0_4plusIjEEEEZZNS1_33reduce_by_key_impl_wrapped_configILNS1_25lookback_scan_determinismE0ES3_S7_PKdNS0_17constant_iteratorIjlEEPdPlSF_S6_NS0_8equal_toIdEEEE10hipError_tPvRmT2_T3_mT4_T5_T6_T7_T8_P12ihipStream_tbENKUlT_T0_E_clISt17integral_constantIbLb1EESY_IbLb0EEEEDaSU_SV_EUlSU_E_NS1_11comp_targetILNS1_3genE10ELNS1_11target_archE1200ELNS1_3gpuE4ELNS1_3repE0EEENS1_30default_config_static_selectorELNS0_4arch9wavefront6targetE0EEEvT1_.num_vgpr, 0
	.set _ZN7rocprim17ROCPRIM_400000_NS6detail17trampoline_kernelINS0_14default_configENS1_33run_length_encode_config_selectorIdjNS0_4plusIjEEEEZZNS1_33reduce_by_key_impl_wrapped_configILNS1_25lookback_scan_determinismE0ES3_S7_PKdNS0_17constant_iteratorIjlEEPdPlSF_S6_NS0_8equal_toIdEEEE10hipError_tPvRmT2_T3_mT4_T5_T6_T7_T8_P12ihipStream_tbENKUlT_T0_E_clISt17integral_constantIbLb1EESY_IbLb0EEEEDaSU_SV_EUlSU_E_NS1_11comp_targetILNS1_3genE10ELNS1_11target_archE1200ELNS1_3gpuE4ELNS1_3repE0EEENS1_30default_config_static_selectorELNS0_4arch9wavefront6targetE0EEEvT1_.num_agpr, 0
	.set _ZN7rocprim17ROCPRIM_400000_NS6detail17trampoline_kernelINS0_14default_configENS1_33run_length_encode_config_selectorIdjNS0_4plusIjEEEEZZNS1_33reduce_by_key_impl_wrapped_configILNS1_25lookback_scan_determinismE0ES3_S7_PKdNS0_17constant_iteratorIjlEEPdPlSF_S6_NS0_8equal_toIdEEEE10hipError_tPvRmT2_T3_mT4_T5_T6_T7_T8_P12ihipStream_tbENKUlT_T0_E_clISt17integral_constantIbLb1EESY_IbLb0EEEEDaSU_SV_EUlSU_E_NS1_11comp_targetILNS1_3genE10ELNS1_11target_archE1200ELNS1_3gpuE4ELNS1_3repE0EEENS1_30default_config_static_selectorELNS0_4arch9wavefront6targetE0EEEvT1_.numbered_sgpr, 0
	.set _ZN7rocprim17ROCPRIM_400000_NS6detail17trampoline_kernelINS0_14default_configENS1_33run_length_encode_config_selectorIdjNS0_4plusIjEEEEZZNS1_33reduce_by_key_impl_wrapped_configILNS1_25lookback_scan_determinismE0ES3_S7_PKdNS0_17constant_iteratorIjlEEPdPlSF_S6_NS0_8equal_toIdEEEE10hipError_tPvRmT2_T3_mT4_T5_T6_T7_T8_P12ihipStream_tbENKUlT_T0_E_clISt17integral_constantIbLb1EESY_IbLb0EEEEDaSU_SV_EUlSU_E_NS1_11comp_targetILNS1_3genE10ELNS1_11target_archE1200ELNS1_3gpuE4ELNS1_3repE0EEENS1_30default_config_static_selectorELNS0_4arch9wavefront6targetE0EEEvT1_.num_named_barrier, 0
	.set _ZN7rocprim17ROCPRIM_400000_NS6detail17trampoline_kernelINS0_14default_configENS1_33run_length_encode_config_selectorIdjNS0_4plusIjEEEEZZNS1_33reduce_by_key_impl_wrapped_configILNS1_25lookback_scan_determinismE0ES3_S7_PKdNS0_17constant_iteratorIjlEEPdPlSF_S6_NS0_8equal_toIdEEEE10hipError_tPvRmT2_T3_mT4_T5_T6_T7_T8_P12ihipStream_tbENKUlT_T0_E_clISt17integral_constantIbLb1EESY_IbLb0EEEEDaSU_SV_EUlSU_E_NS1_11comp_targetILNS1_3genE10ELNS1_11target_archE1200ELNS1_3gpuE4ELNS1_3repE0EEENS1_30default_config_static_selectorELNS0_4arch9wavefront6targetE0EEEvT1_.private_seg_size, 0
	.set _ZN7rocprim17ROCPRIM_400000_NS6detail17trampoline_kernelINS0_14default_configENS1_33run_length_encode_config_selectorIdjNS0_4plusIjEEEEZZNS1_33reduce_by_key_impl_wrapped_configILNS1_25lookback_scan_determinismE0ES3_S7_PKdNS0_17constant_iteratorIjlEEPdPlSF_S6_NS0_8equal_toIdEEEE10hipError_tPvRmT2_T3_mT4_T5_T6_T7_T8_P12ihipStream_tbENKUlT_T0_E_clISt17integral_constantIbLb1EESY_IbLb0EEEEDaSU_SV_EUlSU_E_NS1_11comp_targetILNS1_3genE10ELNS1_11target_archE1200ELNS1_3gpuE4ELNS1_3repE0EEENS1_30default_config_static_selectorELNS0_4arch9wavefront6targetE0EEEvT1_.uses_vcc, 0
	.set _ZN7rocprim17ROCPRIM_400000_NS6detail17trampoline_kernelINS0_14default_configENS1_33run_length_encode_config_selectorIdjNS0_4plusIjEEEEZZNS1_33reduce_by_key_impl_wrapped_configILNS1_25lookback_scan_determinismE0ES3_S7_PKdNS0_17constant_iteratorIjlEEPdPlSF_S6_NS0_8equal_toIdEEEE10hipError_tPvRmT2_T3_mT4_T5_T6_T7_T8_P12ihipStream_tbENKUlT_T0_E_clISt17integral_constantIbLb1EESY_IbLb0EEEEDaSU_SV_EUlSU_E_NS1_11comp_targetILNS1_3genE10ELNS1_11target_archE1200ELNS1_3gpuE4ELNS1_3repE0EEENS1_30default_config_static_selectorELNS0_4arch9wavefront6targetE0EEEvT1_.uses_flat_scratch, 0
	.set _ZN7rocprim17ROCPRIM_400000_NS6detail17trampoline_kernelINS0_14default_configENS1_33run_length_encode_config_selectorIdjNS0_4plusIjEEEEZZNS1_33reduce_by_key_impl_wrapped_configILNS1_25lookback_scan_determinismE0ES3_S7_PKdNS0_17constant_iteratorIjlEEPdPlSF_S6_NS0_8equal_toIdEEEE10hipError_tPvRmT2_T3_mT4_T5_T6_T7_T8_P12ihipStream_tbENKUlT_T0_E_clISt17integral_constantIbLb1EESY_IbLb0EEEEDaSU_SV_EUlSU_E_NS1_11comp_targetILNS1_3genE10ELNS1_11target_archE1200ELNS1_3gpuE4ELNS1_3repE0EEENS1_30default_config_static_selectorELNS0_4arch9wavefront6targetE0EEEvT1_.has_dyn_sized_stack, 0
	.set _ZN7rocprim17ROCPRIM_400000_NS6detail17trampoline_kernelINS0_14default_configENS1_33run_length_encode_config_selectorIdjNS0_4plusIjEEEEZZNS1_33reduce_by_key_impl_wrapped_configILNS1_25lookback_scan_determinismE0ES3_S7_PKdNS0_17constant_iteratorIjlEEPdPlSF_S6_NS0_8equal_toIdEEEE10hipError_tPvRmT2_T3_mT4_T5_T6_T7_T8_P12ihipStream_tbENKUlT_T0_E_clISt17integral_constantIbLb1EESY_IbLb0EEEEDaSU_SV_EUlSU_E_NS1_11comp_targetILNS1_3genE10ELNS1_11target_archE1200ELNS1_3gpuE4ELNS1_3repE0EEENS1_30default_config_static_selectorELNS0_4arch9wavefront6targetE0EEEvT1_.has_recursion, 0
	.set _ZN7rocprim17ROCPRIM_400000_NS6detail17trampoline_kernelINS0_14default_configENS1_33run_length_encode_config_selectorIdjNS0_4plusIjEEEEZZNS1_33reduce_by_key_impl_wrapped_configILNS1_25lookback_scan_determinismE0ES3_S7_PKdNS0_17constant_iteratorIjlEEPdPlSF_S6_NS0_8equal_toIdEEEE10hipError_tPvRmT2_T3_mT4_T5_T6_T7_T8_P12ihipStream_tbENKUlT_T0_E_clISt17integral_constantIbLb1EESY_IbLb0EEEEDaSU_SV_EUlSU_E_NS1_11comp_targetILNS1_3genE10ELNS1_11target_archE1200ELNS1_3gpuE4ELNS1_3repE0EEENS1_30default_config_static_selectorELNS0_4arch9wavefront6targetE0EEEvT1_.has_indirect_call, 0
	.section	.AMDGPU.csdata,"",@progbits
; Kernel info:
; codeLenInByte = 0
; TotalNumSgprs: 0
; NumVgprs: 0
; ScratchSize: 0
; MemoryBound: 0
; FloatMode: 240
; IeeeMode: 1
; LDSByteSize: 0 bytes/workgroup (compile time only)
; SGPRBlocks: 0
; VGPRBlocks: 0
; NumSGPRsForWavesPerEU: 1
; NumVGPRsForWavesPerEU: 1
; NamedBarCnt: 0
; Occupancy: 16
; WaveLimiterHint : 0
; COMPUTE_PGM_RSRC2:SCRATCH_EN: 0
; COMPUTE_PGM_RSRC2:USER_SGPR: 2
; COMPUTE_PGM_RSRC2:TRAP_HANDLER: 0
; COMPUTE_PGM_RSRC2:TGID_X_EN: 1
; COMPUTE_PGM_RSRC2:TGID_Y_EN: 0
; COMPUTE_PGM_RSRC2:TGID_Z_EN: 0
; COMPUTE_PGM_RSRC2:TIDIG_COMP_CNT: 0
	.section	.text._ZN7rocprim17ROCPRIM_400000_NS6detail17trampoline_kernelINS0_14default_configENS1_33run_length_encode_config_selectorIdjNS0_4plusIjEEEEZZNS1_33reduce_by_key_impl_wrapped_configILNS1_25lookback_scan_determinismE0ES3_S7_PKdNS0_17constant_iteratorIjlEEPdPlSF_S6_NS0_8equal_toIdEEEE10hipError_tPvRmT2_T3_mT4_T5_T6_T7_T8_P12ihipStream_tbENKUlT_T0_E_clISt17integral_constantIbLb1EESY_IbLb0EEEEDaSU_SV_EUlSU_E_NS1_11comp_targetILNS1_3genE9ELNS1_11target_archE1100ELNS1_3gpuE3ELNS1_3repE0EEENS1_30default_config_static_selectorELNS0_4arch9wavefront6targetE0EEEvT1_,"axG",@progbits,_ZN7rocprim17ROCPRIM_400000_NS6detail17trampoline_kernelINS0_14default_configENS1_33run_length_encode_config_selectorIdjNS0_4plusIjEEEEZZNS1_33reduce_by_key_impl_wrapped_configILNS1_25lookback_scan_determinismE0ES3_S7_PKdNS0_17constant_iteratorIjlEEPdPlSF_S6_NS0_8equal_toIdEEEE10hipError_tPvRmT2_T3_mT4_T5_T6_T7_T8_P12ihipStream_tbENKUlT_T0_E_clISt17integral_constantIbLb1EESY_IbLb0EEEEDaSU_SV_EUlSU_E_NS1_11comp_targetILNS1_3genE9ELNS1_11target_archE1100ELNS1_3gpuE3ELNS1_3repE0EEENS1_30default_config_static_selectorELNS0_4arch9wavefront6targetE0EEEvT1_,comdat
	.protected	_ZN7rocprim17ROCPRIM_400000_NS6detail17trampoline_kernelINS0_14default_configENS1_33run_length_encode_config_selectorIdjNS0_4plusIjEEEEZZNS1_33reduce_by_key_impl_wrapped_configILNS1_25lookback_scan_determinismE0ES3_S7_PKdNS0_17constant_iteratorIjlEEPdPlSF_S6_NS0_8equal_toIdEEEE10hipError_tPvRmT2_T3_mT4_T5_T6_T7_T8_P12ihipStream_tbENKUlT_T0_E_clISt17integral_constantIbLb1EESY_IbLb0EEEEDaSU_SV_EUlSU_E_NS1_11comp_targetILNS1_3genE9ELNS1_11target_archE1100ELNS1_3gpuE3ELNS1_3repE0EEENS1_30default_config_static_selectorELNS0_4arch9wavefront6targetE0EEEvT1_ ; -- Begin function _ZN7rocprim17ROCPRIM_400000_NS6detail17trampoline_kernelINS0_14default_configENS1_33run_length_encode_config_selectorIdjNS0_4plusIjEEEEZZNS1_33reduce_by_key_impl_wrapped_configILNS1_25lookback_scan_determinismE0ES3_S7_PKdNS0_17constant_iteratorIjlEEPdPlSF_S6_NS0_8equal_toIdEEEE10hipError_tPvRmT2_T3_mT4_T5_T6_T7_T8_P12ihipStream_tbENKUlT_T0_E_clISt17integral_constantIbLb1EESY_IbLb0EEEEDaSU_SV_EUlSU_E_NS1_11comp_targetILNS1_3genE9ELNS1_11target_archE1100ELNS1_3gpuE3ELNS1_3repE0EEENS1_30default_config_static_selectorELNS0_4arch9wavefront6targetE0EEEvT1_
	.globl	_ZN7rocprim17ROCPRIM_400000_NS6detail17trampoline_kernelINS0_14default_configENS1_33run_length_encode_config_selectorIdjNS0_4plusIjEEEEZZNS1_33reduce_by_key_impl_wrapped_configILNS1_25lookback_scan_determinismE0ES3_S7_PKdNS0_17constant_iteratorIjlEEPdPlSF_S6_NS0_8equal_toIdEEEE10hipError_tPvRmT2_T3_mT4_T5_T6_T7_T8_P12ihipStream_tbENKUlT_T0_E_clISt17integral_constantIbLb1EESY_IbLb0EEEEDaSU_SV_EUlSU_E_NS1_11comp_targetILNS1_3genE9ELNS1_11target_archE1100ELNS1_3gpuE3ELNS1_3repE0EEENS1_30default_config_static_selectorELNS0_4arch9wavefront6targetE0EEEvT1_
	.p2align	8
	.type	_ZN7rocprim17ROCPRIM_400000_NS6detail17trampoline_kernelINS0_14default_configENS1_33run_length_encode_config_selectorIdjNS0_4plusIjEEEEZZNS1_33reduce_by_key_impl_wrapped_configILNS1_25lookback_scan_determinismE0ES3_S7_PKdNS0_17constant_iteratorIjlEEPdPlSF_S6_NS0_8equal_toIdEEEE10hipError_tPvRmT2_T3_mT4_T5_T6_T7_T8_P12ihipStream_tbENKUlT_T0_E_clISt17integral_constantIbLb1EESY_IbLb0EEEEDaSU_SV_EUlSU_E_NS1_11comp_targetILNS1_3genE9ELNS1_11target_archE1100ELNS1_3gpuE3ELNS1_3repE0EEENS1_30default_config_static_selectorELNS0_4arch9wavefront6targetE0EEEvT1_,@function
_ZN7rocprim17ROCPRIM_400000_NS6detail17trampoline_kernelINS0_14default_configENS1_33run_length_encode_config_selectorIdjNS0_4plusIjEEEEZZNS1_33reduce_by_key_impl_wrapped_configILNS1_25lookback_scan_determinismE0ES3_S7_PKdNS0_17constant_iteratorIjlEEPdPlSF_S6_NS0_8equal_toIdEEEE10hipError_tPvRmT2_T3_mT4_T5_T6_T7_T8_P12ihipStream_tbENKUlT_T0_E_clISt17integral_constantIbLb1EESY_IbLb0EEEEDaSU_SV_EUlSU_E_NS1_11comp_targetILNS1_3genE9ELNS1_11target_archE1100ELNS1_3gpuE3ELNS1_3repE0EEENS1_30default_config_static_selectorELNS0_4arch9wavefront6targetE0EEEvT1_: ; @_ZN7rocprim17ROCPRIM_400000_NS6detail17trampoline_kernelINS0_14default_configENS1_33run_length_encode_config_selectorIdjNS0_4plusIjEEEEZZNS1_33reduce_by_key_impl_wrapped_configILNS1_25lookback_scan_determinismE0ES3_S7_PKdNS0_17constant_iteratorIjlEEPdPlSF_S6_NS0_8equal_toIdEEEE10hipError_tPvRmT2_T3_mT4_T5_T6_T7_T8_P12ihipStream_tbENKUlT_T0_E_clISt17integral_constantIbLb1EESY_IbLb0EEEEDaSU_SV_EUlSU_E_NS1_11comp_targetILNS1_3genE9ELNS1_11target_archE1100ELNS1_3gpuE3ELNS1_3repE0EEENS1_30default_config_static_selectorELNS0_4arch9wavefront6targetE0EEEvT1_
; %bb.0:
	.section	.rodata,"a",@progbits
	.p2align	6, 0x0
	.amdhsa_kernel _ZN7rocprim17ROCPRIM_400000_NS6detail17trampoline_kernelINS0_14default_configENS1_33run_length_encode_config_selectorIdjNS0_4plusIjEEEEZZNS1_33reduce_by_key_impl_wrapped_configILNS1_25lookback_scan_determinismE0ES3_S7_PKdNS0_17constant_iteratorIjlEEPdPlSF_S6_NS0_8equal_toIdEEEE10hipError_tPvRmT2_T3_mT4_T5_T6_T7_T8_P12ihipStream_tbENKUlT_T0_E_clISt17integral_constantIbLb1EESY_IbLb0EEEEDaSU_SV_EUlSU_E_NS1_11comp_targetILNS1_3genE9ELNS1_11target_archE1100ELNS1_3gpuE3ELNS1_3repE0EEENS1_30default_config_static_selectorELNS0_4arch9wavefront6targetE0EEEvT1_
		.amdhsa_group_segment_fixed_size 0
		.amdhsa_private_segment_fixed_size 0
		.amdhsa_kernarg_size 128
		.amdhsa_user_sgpr_count 2
		.amdhsa_user_sgpr_dispatch_ptr 0
		.amdhsa_user_sgpr_queue_ptr 0
		.amdhsa_user_sgpr_kernarg_segment_ptr 1
		.amdhsa_user_sgpr_dispatch_id 0
		.amdhsa_user_sgpr_kernarg_preload_length 0
		.amdhsa_user_sgpr_kernarg_preload_offset 0
		.amdhsa_user_sgpr_private_segment_size 0
		.amdhsa_wavefront_size32 1
		.amdhsa_uses_dynamic_stack 0
		.amdhsa_enable_private_segment 0
		.amdhsa_system_sgpr_workgroup_id_x 1
		.amdhsa_system_sgpr_workgroup_id_y 0
		.amdhsa_system_sgpr_workgroup_id_z 0
		.amdhsa_system_sgpr_workgroup_info 0
		.amdhsa_system_vgpr_workitem_id 0
		.amdhsa_next_free_vgpr 1
		.amdhsa_next_free_sgpr 1
		.amdhsa_named_barrier_count 0
		.amdhsa_reserve_vcc 0
		.amdhsa_float_round_mode_32 0
		.amdhsa_float_round_mode_16_64 0
		.amdhsa_float_denorm_mode_32 3
		.amdhsa_float_denorm_mode_16_64 3
		.amdhsa_fp16_overflow 0
		.amdhsa_memory_ordered 1
		.amdhsa_forward_progress 1
		.amdhsa_inst_pref_size 0
		.amdhsa_round_robin_scheduling 0
		.amdhsa_exception_fp_ieee_invalid_op 0
		.amdhsa_exception_fp_denorm_src 0
		.amdhsa_exception_fp_ieee_div_zero 0
		.amdhsa_exception_fp_ieee_overflow 0
		.amdhsa_exception_fp_ieee_underflow 0
		.amdhsa_exception_fp_ieee_inexact 0
		.amdhsa_exception_int_div_zero 0
	.end_amdhsa_kernel
	.section	.text._ZN7rocprim17ROCPRIM_400000_NS6detail17trampoline_kernelINS0_14default_configENS1_33run_length_encode_config_selectorIdjNS0_4plusIjEEEEZZNS1_33reduce_by_key_impl_wrapped_configILNS1_25lookback_scan_determinismE0ES3_S7_PKdNS0_17constant_iteratorIjlEEPdPlSF_S6_NS0_8equal_toIdEEEE10hipError_tPvRmT2_T3_mT4_T5_T6_T7_T8_P12ihipStream_tbENKUlT_T0_E_clISt17integral_constantIbLb1EESY_IbLb0EEEEDaSU_SV_EUlSU_E_NS1_11comp_targetILNS1_3genE9ELNS1_11target_archE1100ELNS1_3gpuE3ELNS1_3repE0EEENS1_30default_config_static_selectorELNS0_4arch9wavefront6targetE0EEEvT1_,"axG",@progbits,_ZN7rocprim17ROCPRIM_400000_NS6detail17trampoline_kernelINS0_14default_configENS1_33run_length_encode_config_selectorIdjNS0_4plusIjEEEEZZNS1_33reduce_by_key_impl_wrapped_configILNS1_25lookback_scan_determinismE0ES3_S7_PKdNS0_17constant_iteratorIjlEEPdPlSF_S6_NS0_8equal_toIdEEEE10hipError_tPvRmT2_T3_mT4_T5_T6_T7_T8_P12ihipStream_tbENKUlT_T0_E_clISt17integral_constantIbLb1EESY_IbLb0EEEEDaSU_SV_EUlSU_E_NS1_11comp_targetILNS1_3genE9ELNS1_11target_archE1100ELNS1_3gpuE3ELNS1_3repE0EEENS1_30default_config_static_selectorELNS0_4arch9wavefront6targetE0EEEvT1_,comdat
.Lfunc_end329:
	.size	_ZN7rocprim17ROCPRIM_400000_NS6detail17trampoline_kernelINS0_14default_configENS1_33run_length_encode_config_selectorIdjNS0_4plusIjEEEEZZNS1_33reduce_by_key_impl_wrapped_configILNS1_25lookback_scan_determinismE0ES3_S7_PKdNS0_17constant_iteratorIjlEEPdPlSF_S6_NS0_8equal_toIdEEEE10hipError_tPvRmT2_T3_mT4_T5_T6_T7_T8_P12ihipStream_tbENKUlT_T0_E_clISt17integral_constantIbLb1EESY_IbLb0EEEEDaSU_SV_EUlSU_E_NS1_11comp_targetILNS1_3genE9ELNS1_11target_archE1100ELNS1_3gpuE3ELNS1_3repE0EEENS1_30default_config_static_selectorELNS0_4arch9wavefront6targetE0EEEvT1_, .Lfunc_end329-_ZN7rocprim17ROCPRIM_400000_NS6detail17trampoline_kernelINS0_14default_configENS1_33run_length_encode_config_selectorIdjNS0_4plusIjEEEEZZNS1_33reduce_by_key_impl_wrapped_configILNS1_25lookback_scan_determinismE0ES3_S7_PKdNS0_17constant_iteratorIjlEEPdPlSF_S6_NS0_8equal_toIdEEEE10hipError_tPvRmT2_T3_mT4_T5_T6_T7_T8_P12ihipStream_tbENKUlT_T0_E_clISt17integral_constantIbLb1EESY_IbLb0EEEEDaSU_SV_EUlSU_E_NS1_11comp_targetILNS1_3genE9ELNS1_11target_archE1100ELNS1_3gpuE3ELNS1_3repE0EEENS1_30default_config_static_selectorELNS0_4arch9wavefront6targetE0EEEvT1_
                                        ; -- End function
	.set _ZN7rocprim17ROCPRIM_400000_NS6detail17trampoline_kernelINS0_14default_configENS1_33run_length_encode_config_selectorIdjNS0_4plusIjEEEEZZNS1_33reduce_by_key_impl_wrapped_configILNS1_25lookback_scan_determinismE0ES3_S7_PKdNS0_17constant_iteratorIjlEEPdPlSF_S6_NS0_8equal_toIdEEEE10hipError_tPvRmT2_T3_mT4_T5_T6_T7_T8_P12ihipStream_tbENKUlT_T0_E_clISt17integral_constantIbLb1EESY_IbLb0EEEEDaSU_SV_EUlSU_E_NS1_11comp_targetILNS1_3genE9ELNS1_11target_archE1100ELNS1_3gpuE3ELNS1_3repE0EEENS1_30default_config_static_selectorELNS0_4arch9wavefront6targetE0EEEvT1_.num_vgpr, 0
	.set _ZN7rocprim17ROCPRIM_400000_NS6detail17trampoline_kernelINS0_14default_configENS1_33run_length_encode_config_selectorIdjNS0_4plusIjEEEEZZNS1_33reduce_by_key_impl_wrapped_configILNS1_25lookback_scan_determinismE0ES3_S7_PKdNS0_17constant_iteratorIjlEEPdPlSF_S6_NS0_8equal_toIdEEEE10hipError_tPvRmT2_T3_mT4_T5_T6_T7_T8_P12ihipStream_tbENKUlT_T0_E_clISt17integral_constantIbLb1EESY_IbLb0EEEEDaSU_SV_EUlSU_E_NS1_11comp_targetILNS1_3genE9ELNS1_11target_archE1100ELNS1_3gpuE3ELNS1_3repE0EEENS1_30default_config_static_selectorELNS0_4arch9wavefront6targetE0EEEvT1_.num_agpr, 0
	.set _ZN7rocprim17ROCPRIM_400000_NS6detail17trampoline_kernelINS0_14default_configENS1_33run_length_encode_config_selectorIdjNS0_4plusIjEEEEZZNS1_33reduce_by_key_impl_wrapped_configILNS1_25lookback_scan_determinismE0ES3_S7_PKdNS0_17constant_iteratorIjlEEPdPlSF_S6_NS0_8equal_toIdEEEE10hipError_tPvRmT2_T3_mT4_T5_T6_T7_T8_P12ihipStream_tbENKUlT_T0_E_clISt17integral_constantIbLb1EESY_IbLb0EEEEDaSU_SV_EUlSU_E_NS1_11comp_targetILNS1_3genE9ELNS1_11target_archE1100ELNS1_3gpuE3ELNS1_3repE0EEENS1_30default_config_static_selectorELNS0_4arch9wavefront6targetE0EEEvT1_.numbered_sgpr, 0
	.set _ZN7rocprim17ROCPRIM_400000_NS6detail17trampoline_kernelINS0_14default_configENS1_33run_length_encode_config_selectorIdjNS0_4plusIjEEEEZZNS1_33reduce_by_key_impl_wrapped_configILNS1_25lookback_scan_determinismE0ES3_S7_PKdNS0_17constant_iteratorIjlEEPdPlSF_S6_NS0_8equal_toIdEEEE10hipError_tPvRmT2_T3_mT4_T5_T6_T7_T8_P12ihipStream_tbENKUlT_T0_E_clISt17integral_constantIbLb1EESY_IbLb0EEEEDaSU_SV_EUlSU_E_NS1_11comp_targetILNS1_3genE9ELNS1_11target_archE1100ELNS1_3gpuE3ELNS1_3repE0EEENS1_30default_config_static_selectorELNS0_4arch9wavefront6targetE0EEEvT1_.num_named_barrier, 0
	.set _ZN7rocprim17ROCPRIM_400000_NS6detail17trampoline_kernelINS0_14default_configENS1_33run_length_encode_config_selectorIdjNS0_4plusIjEEEEZZNS1_33reduce_by_key_impl_wrapped_configILNS1_25lookback_scan_determinismE0ES3_S7_PKdNS0_17constant_iteratorIjlEEPdPlSF_S6_NS0_8equal_toIdEEEE10hipError_tPvRmT2_T3_mT4_T5_T6_T7_T8_P12ihipStream_tbENKUlT_T0_E_clISt17integral_constantIbLb1EESY_IbLb0EEEEDaSU_SV_EUlSU_E_NS1_11comp_targetILNS1_3genE9ELNS1_11target_archE1100ELNS1_3gpuE3ELNS1_3repE0EEENS1_30default_config_static_selectorELNS0_4arch9wavefront6targetE0EEEvT1_.private_seg_size, 0
	.set _ZN7rocprim17ROCPRIM_400000_NS6detail17trampoline_kernelINS0_14default_configENS1_33run_length_encode_config_selectorIdjNS0_4plusIjEEEEZZNS1_33reduce_by_key_impl_wrapped_configILNS1_25lookback_scan_determinismE0ES3_S7_PKdNS0_17constant_iteratorIjlEEPdPlSF_S6_NS0_8equal_toIdEEEE10hipError_tPvRmT2_T3_mT4_T5_T6_T7_T8_P12ihipStream_tbENKUlT_T0_E_clISt17integral_constantIbLb1EESY_IbLb0EEEEDaSU_SV_EUlSU_E_NS1_11comp_targetILNS1_3genE9ELNS1_11target_archE1100ELNS1_3gpuE3ELNS1_3repE0EEENS1_30default_config_static_selectorELNS0_4arch9wavefront6targetE0EEEvT1_.uses_vcc, 0
	.set _ZN7rocprim17ROCPRIM_400000_NS6detail17trampoline_kernelINS0_14default_configENS1_33run_length_encode_config_selectorIdjNS0_4plusIjEEEEZZNS1_33reduce_by_key_impl_wrapped_configILNS1_25lookback_scan_determinismE0ES3_S7_PKdNS0_17constant_iteratorIjlEEPdPlSF_S6_NS0_8equal_toIdEEEE10hipError_tPvRmT2_T3_mT4_T5_T6_T7_T8_P12ihipStream_tbENKUlT_T0_E_clISt17integral_constantIbLb1EESY_IbLb0EEEEDaSU_SV_EUlSU_E_NS1_11comp_targetILNS1_3genE9ELNS1_11target_archE1100ELNS1_3gpuE3ELNS1_3repE0EEENS1_30default_config_static_selectorELNS0_4arch9wavefront6targetE0EEEvT1_.uses_flat_scratch, 0
	.set _ZN7rocprim17ROCPRIM_400000_NS6detail17trampoline_kernelINS0_14default_configENS1_33run_length_encode_config_selectorIdjNS0_4plusIjEEEEZZNS1_33reduce_by_key_impl_wrapped_configILNS1_25lookback_scan_determinismE0ES3_S7_PKdNS0_17constant_iteratorIjlEEPdPlSF_S6_NS0_8equal_toIdEEEE10hipError_tPvRmT2_T3_mT4_T5_T6_T7_T8_P12ihipStream_tbENKUlT_T0_E_clISt17integral_constantIbLb1EESY_IbLb0EEEEDaSU_SV_EUlSU_E_NS1_11comp_targetILNS1_3genE9ELNS1_11target_archE1100ELNS1_3gpuE3ELNS1_3repE0EEENS1_30default_config_static_selectorELNS0_4arch9wavefront6targetE0EEEvT1_.has_dyn_sized_stack, 0
	.set _ZN7rocprim17ROCPRIM_400000_NS6detail17trampoline_kernelINS0_14default_configENS1_33run_length_encode_config_selectorIdjNS0_4plusIjEEEEZZNS1_33reduce_by_key_impl_wrapped_configILNS1_25lookback_scan_determinismE0ES3_S7_PKdNS0_17constant_iteratorIjlEEPdPlSF_S6_NS0_8equal_toIdEEEE10hipError_tPvRmT2_T3_mT4_T5_T6_T7_T8_P12ihipStream_tbENKUlT_T0_E_clISt17integral_constantIbLb1EESY_IbLb0EEEEDaSU_SV_EUlSU_E_NS1_11comp_targetILNS1_3genE9ELNS1_11target_archE1100ELNS1_3gpuE3ELNS1_3repE0EEENS1_30default_config_static_selectorELNS0_4arch9wavefront6targetE0EEEvT1_.has_recursion, 0
	.set _ZN7rocprim17ROCPRIM_400000_NS6detail17trampoline_kernelINS0_14default_configENS1_33run_length_encode_config_selectorIdjNS0_4plusIjEEEEZZNS1_33reduce_by_key_impl_wrapped_configILNS1_25lookback_scan_determinismE0ES3_S7_PKdNS0_17constant_iteratorIjlEEPdPlSF_S6_NS0_8equal_toIdEEEE10hipError_tPvRmT2_T3_mT4_T5_T6_T7_T8_P12ihipStream_tbENKUlT_T0_E_clISt17integral_constantIbLb1EESY_IbLb0EEEEDaSU_SV_EUlSU_E_NS1_11comp_targetILNS1_3genE9ELNS1_11target_archE1100ELNS1_3gpuE3ELNS1_3repE0EEENS1_30default_config_static_selectorELNS0_4arch9wavefront6targetE0EEEvT1_.has_indirect_call, 0
	.section	.AMDGPU.csdata,"",@progbits
; Kernel info:
; codeLenInByte = 0
; TotalNumSgprs: 0
; NumVgprs: 0
; ScratchSize: 0
; MemoryBound: 0
; FloatMode: 240
; IeeeMode: 1
; LDSByteSize: 0 bytes/workgroup (compile time only)
; SGPRBlocks: 0
; VGPRBlocks: 0
; NumSGPRsForWavesPerEU: 1
; NumVGPRsForWavesPerEU: 1
; NamedBarCnt: 0
; Occupancy: 16
; WaveLimiterHint : 0
; COMPUTE_PGM_RSRC2:SCRATCH_EN: 0
; COMPUTE_PGM_RSRC2:USER_SGPR: 2
; COMPUTE_PGM_RSRC2:TRAP_HANDLER: 0
; COMPUTE_PGM_RSRC2:TGID_X_EN: 1
; COMPUTE_PGM_RSRC2:TGID_Y_EN: 0
; COMPUTE_PGM_RSRC2:TGID_Z_EN: 0
; COMPUTE_PGM_RSRC2:TIDIG_COMP_CNT: 0
	.section	.text._ZN7rocprim17ROCPRIM_400000_NS6detail17trampoline_kernelINS0_14default_configENS1_33run_length_encode_config_selectorIdjNS0_4plusIjEEEEZZNS1_33reduce_by_key_impl_wrapped_configILNS1_25lookback_scan_determinismE0ES3_S7_PKdNS0_17constant_iteratorIjlEEPdPlSF_S6_NS0_8equal_toIdEEEE10hipError_tPvRmT2_T3_mT4_T5_T6_T7_T8_P12ihipStream_tbENKUlT_T0_E_clISt17integral_constantIbLb1EESY_IbLb0EEEEDaSU_SV_EUlSU_E_NS1_11comp_targetILNS1_3genE8ELNS1_11target_archE1030ELNS1_3gpuE2ELNS1_3repE0EEENS1_30default_config_static_selectorELNS0_4arch9wavefront6targetE0EEEvT1_,"axG",@progbits,_ZN7rocprim17ROCPRIM_400000_NS6detail17trampoline_kernelINS0_14default_configENS1_33run_length_encode_config_selectorIdjNS0_4plusIjEEEEZZNS1_33reduce_by_key_impl_wrapped_configILNS1_25lookback_scan_determinismE0ES3_S7_PKdNS0_17constant_iteratorIjlEEPdPlSF_S6_NS0_8equal_toIdEEEE10hipError_tPvRmT2_T3_mT4_T5_T6_T7_T8_P12ihipStream_tbENKUlT_T0_E_clISt17integral_constantIbLb1EESY_IbLb0EEEEDaSU_SV_EUlSU_E_NS1_11comp_targetILNS1_3genE8ELNS1_11target_archE1030ELNS1_3gpuE2ELNS1_3repE0EEENS1_30default_config_static_selectorELNS0_4arch9wavefront6targetE0EEEvT1_,comdat
	.protected	_ZN7rocprim17ROCPRIM_400000_NS6detail17trampoline_kernelINS0_14default_configENS1_33run_length_encode_config_selectorIdjNS0_4plusIjEEEEZZNS1_33reduce_by_key_impl_wrapped_configILNS1_25lookback_scan_determinismE0ES3_S7_PKdNS0_17constant_iteratorIjlEEPdPlSF_S6_NS0_8equal_toIdEEEE10hipError_tPvRmT2_T3_mT4_T5_T6_T7_T8_P12ihipStream_tbENKUlT_T0_E_clISt17integral_constantIbLb1EESY_IbLb0EEEEDaSU_SV_EUlSU_E_NS1_11comp_targetILNS1_3genE8ELNS1_11target_archE1030ELNS1_3gpuE2ELNS1_3repE0EEENS1_30default_config_static_selectorELNS0_4arch9wavefront6targetE0EEEvT1_ ; -- Begin function _ZN7rocprim17ROCPRIM_400000_NS6detail17trampoline_kernelINS0_14default_configENS1_33run_length_encode_config_selectorIdjNS0_4plusIjEEEEZZNS1_33reduce_by_key_impl_wrapped_configILNS1_25lookback_scan_determinismE0ES3_S7_PKdNS0_17constant_iteratorIjlEEPdPlSF_S6_NS0_8equal_toIdEEEE10hipError_tPvRmT2_T3_mT4_T5_T6_T7_T8_P12ihipStream_tbENKUlT_T0_E_clISt17integral_constantIbLb1EESY_IbLb0EEEEDaSU_SV_EUlSU_E_NS1_11comp_targetILNS1_3genE8ELNS1_11target_archE1030ELNS1_3gpuE2ELNS1_3repE0EEENS1_30default_config_static_selectorELNS0_4arch9wavefront6targetE0EEEvT1_
	.globl	_ZN7rocprim17ROCPRIM_400000_NS6detail17trampoline_kernelINS0_14default_configENS1_33run_length_encode_config_selectorIdjNS0_4plusIjEEEEZZNS1_33reduce_by_key_impl_wrapped_configILNS1_25lookback_scan_determinismE0ES3_S7_PKdNS0_17constant_iteratorIjlEEPdPlSF_S6_NS0_8equal_toIdEEEE10hipError_tPvRmT2_T3_mT4_T5_T6_T7_T8_P12ihipStream_tbENKUlT_T0_E_clISt17integral_constantIbLb1EESY_IbLb0EEEEDaSU_SV_EUlSU_E_NS1_11comp_targetILNS1_3genE8ELNS1_11target_archE1030ELNS1_3gpuE2ELNS1_3repE0EEENS1_30default_config_static_selectorELNS0_4arch9wavefront6targetE0EEEvT1_
	.p2align	8
	.type	_ZN7rocprim17ROCPRIM_400000_NS6detail17trampoline_kernelINS0_14default_configENS1_33run_length_encode_config_selectorIdjNS0_4plusIjEEEEZZNS1_33reduce_by_key_impl_wrapped_configILNS1_25lookback_scan_determinismE0ES3_S7_PKdNS0_17constant_iteratorIjlEEPdPlSF_S6_NS0_8equal_toIdEEEE10hipError_tPvRmT2_T3_mT4_T5_T6_T7_T8_P12ihipStream_tbENKUlT_T0_E_clISt17integral_constantIbLb1EESY_IbLb0EEEEDaSU_SV_EUlSU_E_NS1_11comp_targetILNS1_3genE8ELNS1_11target_archE1030ELNS1_3gpuE2ELNS1_3repE0EEENS1_30default_config_static_selectorELNS0_4arch9wavefront6targetE0EEEvT1_,@function
_ZN7rocprim17ROCPRIM_400000_NS6detail17trampoline_kernelINS0_14default_configENS1_33run_length_encode_config_selectorIdjNS0_4plusIjEEEEZZNS1_33reduce_by_key_impl_wrapped_configILNS1_25lookback_scan_determinismE0ES3_S7_PKdNS0_17constant_iteratorIjlEEPdPlSF_S6_NS0_8equal_toIdEEEE10hipError_tPvRmT2_T3_mT4_T5_T6_T7_T8_P12ihipStream_tbENKUlT_T0_E_clISt17integral_constantIbLb1EESY_IbLb0EEEEDaSU_SV_EUlSU_E_NS1_11comp_targetILNS1_3genE8ELNS1_11target_archE1030ELNS1_3gpuE2ELNS1_3repE0EEENS1_30default_config_static_selectorELNS0_4arch9wavefront6targetE0EEEvT1_: ; @_ZN7rocprim17ROCPRIM_400000_NS6detail17trampoline_kernelINS0_14default_configENS1_33run_length_encode_config_selectorIdjNS0_4plusIjEEEEZZNS1_33reduce_by_key_impl_wrapped_configILNS1_25lookback_scan_determinismE0ES3_S7_PKdNS0_17constant_iteratorIjlEEPdPlSF_S6_NS0_8equal_toIdEEEE10hipError_tPvRmT2_T3_mT4_T5_T6_T7_T8_P12ihipStream_tbENKUlT_T0_E_clISt17integral_constantIbLb1EESY_IbLb0EEEEDaSU_SV_EUlSU_E_NS1_11comp_targetILNS1_3genE8ELNS1_11target_archE1030ELNS1_3gpuE2ELNS1_3repE0EEENS1_30default_config_static_selectorELNS0_4arch9wavefront6targetE0EEEvT1_
; %bb.0:
	.section	.rodata,"a",@progbits
	.p2align	6, 0x0
	.amdhsa_kernel _ZN7rocprim17ROCPRIM_400000_NS6detail17trampoline_kernelINS0_14default_configENS1_33run_length_encode_config_selectorIdjNS0_4plusIjEEEEZZNS1_33reduce_by_key_impl_wrapped_configILNS1_25lookback_scan_determinismE0ES3_S7_PKdNS0_17constant_iteratorIjlEEPdPlSF_S6_NS0_8equal_toIdEEEE10hipError_tPvRmT2_T3_mT4_T5_T6_T7_T8_P12ihipStream_tbENKUlT_T0_E_clISt17integral_constantIbLb1EESY_IbLb0EEEEDaSU_SV_EUlSU_E_NS1_11comp_targetILNS1_3genE8ELNS1_11target_archE1030ELNS1_3gpuE2ELNS1_3repE0EEENS1_30default_config_static_selectorELNS0_4arch9wavefront6targetE0EEEvT1_
		.amdhsa_group_segment_fixed_size 0
		.amdhsa_private_segment_fixed_size 0
		.amdhsa_kernarg_size 128
		.amdhsa_user_sgpr_count 2
		.amdhsa_user_sgpr_dispatch_ptr 0
		.amdhsa_user_sgpr_queue_ptr 0
		.amdhsa_user_sgpr_kernarg_segment_ptr 1
		.amdhsa_user_sgpr_dispatch_id 0
		.amdhsa_user_sgpr_kernarg_preload_length 0
		.amdhsa_user_sgpr_kernarg_preload_offset 0
		.amdhsa_user_sgpr_private_segment_size 0
		.amdhsa_wavefront_size32 1
		.amdhsa_uses_dynamic_stack 0
		.amdhsa_enable_private_segment 0
		.amdhsa_system_sgpr_workgroup_id_x 1
		.amdhsa_system_sgpr_workgroup_id_y 0
		.amdhsa_system_sgpr_workgroup_id_z 0
		.amdhsa_system_sgpr_workgroup_info 0
		.amdhsa_system_vgpr_workitem_id 0
		.amdhsa_next_free_vgpr 1
		.amdhsa_next_free_sgpr 1
		.amdhsa_named_barrier_count 0
		.amdhsa_reserve_vcc 0
		.amdhsa_float_round_mode_32 0
		.amdhsa_float_round_mode_16_64 0
		.amdhsa_float_denorm_mode_32 3
		.amdhsa_float_denorm_mode_16_64 3
		.amdhsa_fp16_overflow 0
		.amdhsa_memory_ordered 1
		.amdhsa_forward_progress 1
		.amdhsa_inst_pref_size 0
		.amdhsa_round_robin_scheduling 0
		.amdhsa_exception_fp_ieee_invalid_op 0
		.amdhsa_exception_fp_denorm_src 0
		.amdhsa_exception_fp_ieee_div_zero 0
		.amdhsa_exception_fp_ieee_overflow 0
		.amdhsa_exception_fp_ieee_underflow 0
		.amdhsa_exception_fp_ieee_inexact 0
		.amdhsa_exception_int_div_zero 0
	.end_amdhsa_kernel
	.section	.text._ZN7rocprim17ROCPRIM_400000_NS6detail17trampoline_kernelINS0_14default_configENS1_33run_length_encode_config_selectorIdjNS0_4plusIjEEEEZZNS1_33reduce_by_key_impl_wrapped_configILNS1_25lookback_scan_determinismE0ES3_S7_PKdNS0_17constant_iteratorIjlEEPdPlSF_S6_NS0_8equal_toIdEEEE10hipError_tPvRmT2_T3_mT4_T5_T6_T7_T8_P12ihipStream_tbENKUlT_T0_E_clISt17integral_constantIbLb1EESY_IbLb0EEEEDaSU_SV_EUlSU_E_NS1_11comp_targetILNS1_3genE8ELNS1_11target_archE1030ELNS1_3gpuE2ELNS1_3repE0EEENS1_30default_config_static_selectorELNS0_4arch9wavefront6targetE0EEEvT1_,"axG",@progbits,_ZN7rocprim17ROCPRIM_400000_NS6detail17trampoline_kernelINS0_14default_configENS1_33run_length_encode_config_selectorIdjNS0_4plusIjEEEEZZNS1_33reduce_by_key_impl_wrapped_configILNS1_25lookback_scan_determinismE0ES3_S7_PKdNS0_17constant_iteratorIjlEEPdPlSF_S6_NS0_8equal_toIdEEEE10hipError_tPvRmT2_T3_mT4_T5_T6_T7_T8_P12ihipStream_tbENKUlT_T0_E_clISt17integral_constantIbLb1EESY_IbLb0EEEEDaSU_SV_EUlSU_E_NS1_11comp_targetILNS1_3genE8ELNS1_11target_archE1030ELNS1_3gpuE2ELNS1_3repE0EEENS1_30default_config_static_selectorELNS0_4arch9wavefront6targetE0EEEvT1_,comdat
.Lfunc_end330:
	.size	_ZN7rocprim17ROCPRIM_400000_NS6detail17trampoline_kernelINS0_14default_configENS1_33run_length_encode_config_selectorIdjNS0_4plusIjEEEEZZNS1_33reduce_by_key_impl_wrapped_configILNS1_25lookback_scan_determinismE0ES3_S7_PKdNS0_17constant_iteratorIjlEEPdPlSF_S6_NS0_8equal_toIdEEEE10hipError_tPvRmT2_T3_mT4_T5_T6_T7_T8_P12ihipStream_tbENKUlT_T0_E_clISt17integral_constantIbLb1EESY_IbLb0EEEEDaSU_SV_EUlSU_E_NS1_11comp_targetILNS1_3genE8ELNS1_11target_archE1030ELNS1_3gpuE2ELNS1_3repE0EEENS1_30default_config_static_selectorELNS0_4arch9wavefront6targetE0EEEvT1_, .Lfunc_end330-_ZN7rocprim17ROCPRIM_400000_NS6detail17trampoline_kernelINS0_14default_configENS1_33run_length_encode_config_selectorIdjNS0_4plusIjEEEEZZNS1_33reduce_by_key_impl_wrapped_configILNS1_25lookback_scan_determinismE0ES3_S7_PKdNS0_17constant_iteratorIjlEEPdPlSF_S6_NS0_8equal_toIdEEEE10hipError_tPvRmT2_T3_mT4_T5_T6_T7_T8_P12ihipStream_tbENKUlT_T0_E_clISt17integral_constantIbLb1EESY_IbLb0EEEEDaSU_SV_EUlSU_E_NS1_11comp_targetILNS1_3genE8ELNS1_11target_archE1030ELNS1_3gpuE2ELNS1_3repE0EEENS1_30default_config_static_selectorELNS0_4arch9wavefront6targetE0EEEvT1_
                                        ; -- End function
	.set _ZN7rocprim17ROCPRIM_400000_NS6detail17trampoline_kernelINS0_14default_configENS1_33run_length_encode_config_selectorIdjNS0_4plusIjEEEEZZNS1_33reduce_by_key_impl_wrapped_configILNS1_25lookback_scan_determinismE0ES3_S7_PKdNS0_17constant_iteratorIjlEEPdPlSF_S6_NS0_8equal_toIdEEEE10hipError_tPvRmT2_T3_mT4_T5_T6_T7_T8_P12ihipStream_tbENKUlT_T0_E_clISt17integral_constantIbLb1EESY_IbLb0EEEEDaSU_SV_EUlSU_E_NS1_11comp_targetILNS1_3genE8ELNS1_11target_archE1030ELNS1_3gpuE2ELNS1_3repE0EEENS1_30default_config_static_selectorELNS0_4arch9wavefront6targetE0EEEvT1_.num_vgpr, 0
	.set _ZN7rocprim17ROCPRIM_400000_NS6detail17trampoline_kernelINS0_14default_configENS1_33run_length_encode_config_selectorIdjNS0_4plusIjEEEEZZNS1_33reduce_by_key_impl_wrapped_configILNS1_25lookback_scan_determinismE0ES3_S7_PKdNS0_17constant_iteratorIjlEEPdPlSF_S6_NS0_8equal_toIdEEEE10hipError_tPvRmT2_T3_mT4_T5_T6_T7_T8_P12ihipStream_tbENKUlT_T0_E_clISt17integral_constantIbLb1EESY_IbLb0EEEEDaSU_SV_EUlSU_E_NS1_11comp_targetILNS1_3genE8ELNS1_11target_archE1030ELNS1_3gpuE2ELNS1_3repE0EEENS1_30default_config_static_selectorELNS0_4arch9wavefront6targetE0EEEvT1_.num_agpr, 0
	.set _ZN7rocprim17ROCPRIM_400000_NS6detail17trampoline_kernelINS0_14default_configENS1_33run_length_encode_config_selectorIdjNS0_4plusIjEEEEZZNS1_33reduce_by_key_impl_wrapped_configILNS1_25lookback_scan_determinismE0ES3_S7_PKdNS0_17constant_iteratorIjlEEPdPlSF_S6_NS0_8equal_toIdEEEE10hipError_tPvRmT2_T3_mT4_T5_T6_T7_T8_P12ihipStream_tbENKUlT_T0_E_clISt17integral_constantIbLb1EESY_IbLb0EEEEDaSU_SV_EUlSU_E_NS1_11comp_targetILNS1_3genE8ELNS1_11target_archE1030ELNS1_3gpuE2ELNS1_3repE0EEENS1_30default_config_static_selectorELNS0_4arch9wavefront6targetE0EEEvT1_.numbered_sgpr, 0
	.set _ZN7rocprim17ROCPRIM_400000_NS6detail17trampoline_kernelINS0_14default_configENS1_33run_length_encode_config_selectorIdjNS0_4plusIjEEEEZZNS1_33reduce_by_key_impl_wrapped_configILNS1_25lookback_scan_determinismE0ES3_S7_PKdNS0_17constant_iteratorIjlEEPdPlSF_S6_NS0_8equal_toIdEEEE10hipError_tPvRmT2_T3_mT4_T5_T6_T7_T8_P12ihipStream_tbENKUlT_T0_E_clISt17integral_constantIbLb1EESY_IbLb0EEEEDaSU_SV_EUlSU_E_NS1_11comp_targetILNS1_3genE8ELNS1_11target_archE1030ELNS1_3gpuE2ELNS1_3repE0EEENS1_30default_config_static_selectorELNS0_4arch9wavefront6targetE0EEEvT1_.num_named_barrier, 0
	.set _ZN7rocprim17ROCPRIM_400000_NS6detail17trampoline_kernelINS0_14default_configENS1_33run_length_encode_config_selectorIdjNS0_4plusIjEEEEZZNS1_33reduce_by_key_impl_wrapped_configILNS1_25lookback_scan_determinismE0ES3_S7_PKdNS0_17constant_iteratorIjlEEPdPlSF_S6_NS0_8equal_toIdEEEE10hipError_tPvRmT2_T3_mT4_T5_T6_T7_T8_P12ihipStream_tbENKUlT_T0_E_clISt17integral_constantIbLb1EESY_IbLb0EEEEDaSU_SV_EUlSU_E_NS1_11comp_targetILNS1_3genE8ELNS1_11target_archE1030ELNS1_3gpuE2ELNS1_3repE0EEENS1_30default_config_static_selectorELNS0_4arch9wavefront6targetE0EEEvT1_.private_seg_size, 0
	.set _ZN7rocprim17ROCPRIM_400000_NS6detail17trampoline_kernelINS0_14default_configENS1_33run_length_encode_config_selectorIdjNS0_4plusIjEEEEZZNS1_33reduce_by_key_impl_wrapped_configILNS1_25lookback_scan_determinismE0ES3_S7_PKdNS0_17constant_iteratorIjlEEPdPlSF_S6_NS0_8equal_toIdEEEE10hipError_tPvRmT2_T3_mT4_T5_T6_T7_T8_P12ihipStream_tbENKUlT_T0_E_clISt17integral_constantIbLb1EESY_IbLb0EEEEDaSU_SV_EUlSU_E_NS1_11comp_targetILNS1_3genE8ELNS1_11target_archE1030ELNS1_3gpuE2ELNS1_3repE0EEENS1_30default_config_static_selectorELNS0_4arch9wavefront6targetE0EEEvT1_.uses_vcc, 0
	.set _ZN7rocprim17ROCPRIM_400000_NS6detail17trampoline_kernelINS0_14default_configENS1_33run_length_encode_config_selectorIdjNS0_4plusIjEEEEZZNS1_33reduce_by_key_impl_wrapped_configILNS1_25lookback_scan_determinismE0ES3_S7_PKdNS0_17constant_iteratorIjlEEPdPlSF_S6_NS0_8equal_toIdEEEE10hipError_tPvRmT2_T3_mT4_T5_T6_T7_T8_P12ihipStream_tbENKUlT_T0_E_clISt17integral_constantIbLb1EESY_IbLb0EEEEDaSU_SV_EUlSU_E_NS1_11comp_targetILNS1_3genE8ELNS1_11target_archE1030ELNS1_3gpuE2ELNS1_3repE0EEENS1_30default_config_static_selectorELNS0_4arch9wavefront6targetE0EEEvT1_.uses_flat_scratch, 0
	.set _ZN7rocprim17ROCPRIM_400000_NS6detail17trampoline_kernelINS0_14default_configENS1_33run_length_encode_config_selectorIdjNS0_4plusIjEEEEZZNS1_33reduce_by_key_impl_wrapped_configILNS1_25lookback_scan_determinismE0ES3_S7_PKdNS0_17constant_iteratorIjlEEPdPlSF_S6_NS0_8equal_toIdEEEE10hipError_tPvRmT2_T3_mT4_T5_T6_T7_T8_P12ihipStream_tbENKUlT_T0_E_clISt17integral_constantIbLb1EESY_IbLb0EEEEDaSU_SV_EUlSU_E_NS1_11comp_targetILNS1_3genE8ELNS1_11target_archE1030ELNS1_3gpuE2ELNS1_3repE0EEENS1_30default_config_static_selectorELNS0_4arch9wavefront6targetE0EEEvT1_.has_dyn_sized_stack, 0
	.set _ZN7rocprim17ROCPRIM_400000_NS6detail17trampoline_kernelINS0_14default_configENS1_33run_length_encode_config_selectorIdjNS0_4plusIjEEEEZZNS1_33reduce_by_key_impl_wrapped_configILNS1_25lookback_scan_determinismE0ES3_S7_PKdNS0_17constant_iteratorIjlEEPdPlSF_S6_NS0_8equal_toIdEEEE10hipError_tPvRmT2_T3_mT4_T5_T6_T7_T8_P12ihipStream_tbENKUlT_T0_E_clISt17integral_constantIbLb1EESY_IbLb0EEEEDaSU_SV_EUlSU_E_NS1_11comp_targetILNS1_3genE8ELNS1_11target_archE1030ELNS1_3gpuE2ELNS1_3repE0EEENS1_30default_config_static_selectorELNS0_4arch9wavefront6targetE0EEEvT1_.has_recursion, 0
	.set _ZN7rocprim17ROCPRIM_400000_NS6detail17trampoline_kernelINS0_14default_configENS1_33run_length_encode_config_selectorIdjNS0_4plusIjEEEEZZNS1_33reduce_by_key_impl_wrapped_configILNS1_25lookback_scan_determinismE0ES3_S7_PKdNS0_17constant_iteratorIjlEEPdPlSF_S6_NS0_8equal_toIdEEEE10hipError_tPvRmT2_T3_mT4_T5_T6_T7_T8_P12ihipStream_tbENKUlT_T0_E_clISt17integral_constantIbLb1EESY_IbLb0EEEEDaSU_SV_EUlSU_E_NS1_11comp_targetILNS1_3genE8ELNS1_11target_archE1030ELNS1_3gpuE2ELNS1_3repE0EEENS1_30default_config_static_selectorELNS0_4arch9wavefront6targetE0EEEvT1_.has_indirect_call, 0
	.section	.AMDGPU.csdata,"",@progbits
; Kernel info:
; codeLenInByte = 0
; TotalNumSgprs: 0
; NumVgprs: 0
; ScratchSize: 0
; MemoryBound: 0
; FloatMode: 240
; IeeeMode: 1
; LDSByteSize: 0 bytes/workgroup (compile time only)
; SGPRBlocks: 0
; VGPRBlocks: 0
; NumSGPRsForWavesPerEU: 1
; NumVGPRsForWavesPerEU: 1
; NamedBarCnt: 0
; Occupancy: 16
; WaveLimiterHint : 0
; COMPUTE_PGM_RSRC2:SCRATCH_EN: 0
; COMPUTE_PGM_RSRC2:USER_SGPR: 2
; COMPUTE_PGM_RSRC2:TRAP_HANDLER: 0
; COMPUTE_PGM_RSRC2:TGID_X_EN: 1
; COMPUTE_PGM_RSRC2:TGID_Y_EN: 0
; COMPUTE_PGM_RSRC2:TGID_Z_EN: 0
; COMPUTE_PGM_RSRC2:TIDIG_COMP_CNT: 0
	.section	.text._ZN7rocprim17ROCPRIM_400000_NS6detail17trampoline_kernelINS0_14default_configENS1_33run_length_encode_config_selectorIdjNS0_4plusIjEEEEZZNS1_33reduce_by_key_impl_wrapped_configILNS1_25lookback_scan_determinismE0ES3_S7_PKdNS0_17constant_iteratorIjlEEPdPlSF_S6_NS0_8equal_toIdEEEE10hipError_tPvRmT2_T3_mT4_T5_T6_T7_T8_P12ihipStream_tbENKUlT_T0_E_clISt17integral_constantIbLb0EESY_IbLb1EEEEDaSU_SV_EUlSU_E_NS1_11comp_targetILNS1_3genE0ELNS1_11target_archE4294967295ELNS1_3gpuE0ELNS1_3repE0EEENS1_30default_config_static_selectorELNS0_4arch9wavefront6targetE0EEEvT1_,"axG",@progbits,_ZN7rocprim17ROCPRIM_400000_NS6detail17trampoline_kernelINS0_14default_configENS1_33run_length_encode_config_selectorIdjNS0_4plusIjEEEEZZNS1_33reduce_by_key_impl_wrapped_configILNS1_25lookback_scan_determinismE0ES3_S7_PKdNS0_17constant_iteratorIjlEEPdPlSF_S6_NS0_8equal_toIdEEEE10hipError_tPvRmT2_T3_mT4_T5_T6_T7_T8_P12ihipStream_tbENKUlT_T0_E_clISt17integral_constantIbLb0EESY_IbLb1EEEEDaSU_SV_EUlSU_E_NS1_11comp_targetILNS1_3genE0ELNS1_11target_archE4294967295ELNS1_3gpuE0ELNS1_3repE0EEENS1_30default_config_static_selectorELNS0_4arch9wavefront6targetE0EEEvT1_,comdat
	.protected	_ZN7rocprim17ROCPRIM_400000_NS6detail17trampoline_kernelINS0_14default_configENS1_33run_length_encode_config_selectorIdjNS0_4plusIjEEEEZZNS1_33reduce_by_key_impl_wrapped_configILNS1_25lookback_scan_determinismE0ES3_S7_PKdNS0_17constant_iteratorIjlEEPdPlSF_S6_NS0_8equal_toIdEEEE10hipError_tPvRmT2_T3_mT4_T5_T6_T7_T8_P12ihipStream_tbENKUlT_T0_E_clISt17integral_constantIbLb0EESY_IbLb1EEEEDaSU_SV_EUlSU_E_NS1_11comp_targetILNS1_3genE0ELNS1_11target_archE4294967295ELNS1_3gpuE0ELNS1_3repE0EEENS1_30default_config_static_selectorELNS0_4arch9wavefront6targetE0EEEvT1_ ; -- Begin function _ZN7rocprim17ROCPRIM_400000_NS6detail17trampoline_kernelINS0_14default_configENS1_33run_length_encode_config_selectorIdjNS0_4plusIjEEEEZZNS1_33reduce_by_key_impl_wrapped_configILNS1_25lookback_scan_determinismE0ES3_S7_PKdNS0_17constant_iteratorIjlEEPdPlSF_S6_NS0_8equal_toIdEEEE10hipError_tPvRmT2_T3_mT4_T5_T6_T7_T8_P12ihipStream_tbENKUlT_T0_E_clISt17integral_constantIbLb0EESY_IbLb1EEEEDaSU_SV_EUlSU_E_NS1_11comp_targetILNS1_3genE0ELNS1_11target_archE4294967295ELNS1_3gpuE0ELNS1_3repE0EEENS1_30default_config_static_selectorELNS0_4arch9wavefront6targetE0EEEvT1_
	.globl	_ZN7rocprim17ROCPRIM_400000_NS6detail17trampoline_kernelINS0_14default_configENS1_33run_length_encode_config_selectorIdjNS0_4plusIjEEEEZZNS1_33reduce_by_key_impl_wrapped_configILNS1_25lookback_scan_determinismE0ES3_S7_PKdNS0_17constant_iteratorIjlEEPdPlSF_S6_NS0_8equal_toIdEEEE10hipError_tPvRmT2_T3_mT4_T5_T6_T7_T8_P12ihipStream_tbENKUlT_T0_E_clISt17integral_constantIbLb0EESY_IbLb1EEEEDaSU_SV_EUlSU_E_NS1_11comp_targetILNS1_3genE0ELNS1_11target_archE4294967295ELNS1_3gpuE0ELNS1_3repE0EEENS1_30default_config_static_selectorELNS0_4arch9wavefront6targetE0EEEvT1_
	.p2align	8
	.type	_ZN7rocprim17ROCPRIM_400000_NS6detail17trampoline_kernelINS0_14default_configENS1_33run_length_encode_config_selectorIdjNS0_4plusIjEEEEZZNS1_33reduce_by_key_impl_wrapped_configILNS1_25lookback_scan_determinismE0ES3_S7_PKdNS0_17constant_iteratorIjlEEPdPlSF_S6_NS0_8equal_toIdEEEE10hipError_tPvRmT2_T3_mT4_T5_T6_T7_T8_P12ihipStream_tbENKUlT_T0_E_clISt17integral_constantIbLb0EESY_IbLb1EEEEDaSU_SV_EUlSU_E_NS1_11comp_targetILNS1_3genE0ELNS1_11target_archE4294967295ELNS1_3gpuE0ELNS1_3repE0EEENS1_30default_config_static_selectorELNS0_4arch9wavefront6targetE0EEEvT1_,@function
_ZN7rocprim17ROCPRIM_400000_NS6detail17trampoline_kernelINS0_14default_configENS1_33run_length_encode_config_selectorIdjNS0_4plusIjEEEEZZNS1_33reduce_by_key_impl_wrapped_configILNS1_25lookback_scan_determinismE0ES3_S7_PKdNS0_17constant_iteratorIjlEEPdPlSF_S6_NS0_8equal_toIdEEEE10hipError_tPvRmT2_T3_mT4_T5_T6_T7_T8_P12ihipStream_tbENKUlT_T0_E_clISt17integral_constantIbLb0EESY_IbLb1EEEEDaSU_SV_EUlSU_E_NS1_11comp_targetILNS1_3genE0ELNS1_11target_archE4294967295ELNS1_3gpuE0ELNS1_3repE0EEENS1_30default_config_static_selectorELNS0_4arch9wavefront6targetE0EEEvT1_: ; @_ZN7rocprim17ROCPRIM_400000_NS6detail17trampoline_kernelINS0_14default_configENS1_33run_length_encode_config_selectorIdjNS0_4plusIjEEEEZZNS1_33reduce_by_key_impl_wrapped_configILNS1_25lookback_scan_determinismE0ES3_S7_PKdNS0_17constant_iteratorIjlEEPdPlSF_S6_NS0_8equal_toIdEEEE10hipError_tPvRmT2_T3_mT4_T5_T6_T7_T8_P12ihipStream_tbENKUlT_T0_E_clISt17integral_constantIbLb0EESY_IbLb1EEEEDaSU_SV_EUlSU_E_NS1_11comp_targetILNS1_3genE0ELNS1_11target_archE4294967295ELNS1_3gpuE0ELNS1_3repE0EEENS1_30default_config_static_selectorELNS0_4arch9wavefront6targetE0EEEvT1_
; %bb.0:
	s_clause 0x5
	s_load_b32 s8, s[0:1], 0x10
	s_load_b128 s[36:39], s[0:1], 0x20
	s_load_b64 s[34:35], s[0:1], 0x30
	s_load_b64 s[40:41], s[0:1], 0x70
	s_load_b128 s[20:23], s[0:1], 0x60
	s_load_b256 s[24:31], s[0:1], 0x40
	v_cmp_ne_u32_e64 s3, 0, v0
	v_cmp_eq_u32_e64 s2, 0, v0
	s_and_saveexec_b32 s4, s2
	s_cbranch_execz .LBB331_4
; %bb.1:
	s_mov_b32 s6, exec_lo
	s_mov_b32 s5, exec_lo
	v_mbcnt_lo_u32_b32 v1, s6, 0
                                        ; implicit-def: $vgpr2
	s_delay_alu instid0(VALU_DEP_1)
	v_cmpx_eq_u32_e32 0, v1
	s_cbranch_execz .LBB331_3
; %bb.2:
	s_load_b64 s[10:11], s[0:1], 0x78
	s_bcnt1_i32_b32 s6, s6
	s_delay_alu instid0(SALU_CYCLE_1)
	v_dual_mov_b32 v2, 0 :: v_dual_mov_b32 v3, s6
	s_wait_xcnt 0x0
	s_wait_kmcnt 0x0
	global_atomic_add_u32 v2, v2, v3, s[10:11] th:TH_ATOMIC_RETURN scope:SCOPE_DEV
.LBB331_3:
	s_wait_xcnt 0x0
	s_or_b32 exec_lo, exec_lo, s5
	s_wait_loadcnt 0x0
	v_readfirstlane_b32 s5, v2
	s_delay_alu instid0(VALU_DEP_1)
	v_dual_mov_b32 v2, 0 :: v_dual_add_nc_u32 v1, s5, v1
	ds_store_b32 v2, v1
.LBB331_4:
	s_or_b32 exec_lo, exec_lo, s4
	v_mov_b32_e32 v3, 0
	s_wait_dscnt 0x0
	s_barrier_signal -1
	s_barrier_wait -1
	ds_load_b32 v1, v3
	s_load_b128 s[4:7], s[0:1], 0x0
	s_wait_kmcnt 0x0
	s_mul_u64 s[0:1], s[28:29], s[26:27]
	s_mov_b32 s29, 0
	s_wait_dscnt 0x0
	s_barrier_signal -1
	s_barrier_wait -1
	v_mul_lo_u32 v2, 0xf00, v1
	v_readfirstlane_b32 s28, v1
	s_lshl_b64 s[6:7], s[6:7], 3
	s_delay_alu instid0(SALU_CYCLE_1)
	s_add_nc_u64 s[4:5], s[4:5], s[6:7]
	s_add_nc_u64 s[6:7], s[30:31], -1
	s_add_nc_u64 s[16:17], s[0:1], s[28:29]
	s_mul_i32 s42, s6, 0xfffff100
	s_cmp_eq_u64 s[16:17], s[6:7]
	s_cselect_b32 s33, -1, 0
	v_lshlrev_b64_e32 v[2:3], 3, v[2:3]
	s_cmp_lg_u64 s[16:17], s[6:7]
	s_cselect_b32 s0, -1, 0
	s_and_b32 vcc_lo, exec_lo, s33
	s_delay_alu instid0(VALU_DEP_1)
	v_add_nc_u64_e32 v[44:45], s[4:5], v[2:3]
	s_cbranch_vccnz .LBB331_6
; %bb.5:
	s_delay_alu instid0(VALU_DEP_1) | instskip(NEXT) | instid1(VALU_DEP_2)
	v_readfirstlane_b32 s4, v44
	v_readfirstlane_b32 s5, v45
	v_lshlrev_b32_e32 v1, 3, v0
	s_mov_b32 s1, 0
	s_mov_b32 s29, -1
	s_clause 0xe
	global_load_b64 v[2:3], v0, s[4:5] scale_offset
	global_load_b64 v[4:5], v0, s[4:5] offset:2048 scale_offset
	global_load_b64 v[6:7], v0, s[4:5] offset:4096 scale_offset
	global_load_b64 v[8:9], v0, s[4:5] offset:6144 scale_offset
	global_load_b64 v[10:11], v0, s[4:5] offset:8192 scale_offset
	global_load_b64 v[12:13], v0, s[4:5] offset:10240 scale_offset
	global_load_b64 v[14:15], v0, s[4:5] offset:12288 scale_offset
	global_load_b64 v[16:17], v0, s[4:5] offset:14336 scale_offset
	global_load_b64 v[18:19], v0, s[4:5] offset:16384 scale_offset
	global_load_b64 v[20:21], v0, s[4:5] offset:18432 scale_offset
	global_load_b64 v[22:23], v0, s[4:5] offset:20480 scale_offset
	global_load_b64 v[24:25], v0, s[4:5] offset:22528 scale_offset
	global_load_b64 v[26:27], v0, s[4:5] offset:24576 scale_offset
	global_load_b64 v[28:29], v0, s[4:5] offset:26624 scale_offset
	global_load_b64 v[30:31], v0, s[4:5] offset:28672 scale_offset
	v_mad_u32_u24 v32, 0x70, v0, v1
	s_wait_loadcnt 0xd
	ds_store_2addr_stride64_b64 v1, v[2:3], v[4:5] offset1:4
	s_wait_loadcnt 0xb
	ds_store_2addr_stride64_b64 v1, v[6:7], v[8:9] offset0:8 offset1:12
	s_wait_loadcnt 0x9
	ds_store_2addr_stride64_b64 v1, v[10:11], v[12:13] offset0:16 offset1:20
	;; [unrolled: 2-line block ×6, first 2 shown]
	s_wait_loadcnt 0x0
	ds_store_b64 v1, v[30:31] offset:28672
	s_wait_dscnt 0x0
	s_barrier_signal -1
	s_barrier_wait -1
	ds_load_2addr_b64 v[26:29], v32 offset1:1
	ds_load_2addr_b64 v[22:25], v32 offset0:2 offset1:3
	ds_load_2addr_b64 v[18:21], v32 offset0:4 offset1:5
	;; [unrolled: 1-line block ×6, first 2 shown]
	ds_load_b64 v[42:43], v32 offset:112
	s_wait_dscnt 0x7
	v_dual_mov_b32 v30, v26 :: v_dual_mov_b32 v31, v27
	s_wait_dscnt 0x6
	v_dual_mov_b32 v32, v22 :: v_dual_mov_b32 v33, v23
	;; [unrolled: 2-line block ×7, first 2 shown]
	s_branch .LBB331_7
.LBB331_6:
	s_mov_b32 s1, -1
                                        ; implicit-def: $vgpr42_vgpr43
                                        ; implicit-def: $vgpr2_vgpr3
                                        ; implicit-def: $vgpr6_vgpr7
                                        ; implicit-def: $vgpr10_vgpr11
                                        ; implicit-def: $vgpr14_vgpr15
                                        ; implicit-def: $vgpr18_vgpr19
                                        ; implicit-def: $vgpr22_vgpr23
                                        ; implicit-def: $vgpr26_vgpr27
                                        ; implicit-def: $vgpr38_vgpr39_vgpr40_vgpr41
                                        ; implicit-def: $vgpr34_vgpr35_vgpr36_vgpr37
                                        ; implicit-def: $vgpr30_vgpr31_vgpr32_vgpr33
                                        ; implicit-def: $vgpr46_vgpr47
.LBB331_7:
	v_dual_mov_b32 v68, s8 :: v_dual_mov_b32 v69, s8
	v_dual_mov_b32 v70, s8 :: v_dual_mov_b32 v71, s8
	;; [unrolled: 1-line block ×7, first 2 shown]
	s_and_not1_b32 vcc_lo, exec_lo, s1
	s_add_co_i32 s42, s42, s20
                                        ; implicit-def: $vgpr96
	s_cbranch_vccnz .LBB331_39
; %bb.8:
	s_mov_b32 s1, exec_lo
                                        ; implicit-def: $vgpr2_vgpr3
	v_cmpx_gt_u32_e64 s42, v0
	s_cbranch_execz .LBB331_10
; %bb.9:
	v_readfirstlane_b32 s4, v44
	v_readfirstlane_b32 s5, v45
	global_load_b64 v[2:3], v0, s[4:5] scale_offset
.LBB331_10:
	s_wait_xcnt 0x0
	s_or_b32 exec_lo, exec_lo, s1
	v_or_b32_e32 v1, 0x100, v0
	s_mov_b32 s1, exec_lo
                                        ; implicit-def: $vgpr4_vgpr5
	s_delay_alu instid0(VALU_DEP_1)
	v_cmpx_gt_u32_e64 s42, v1
	s_cbranch_execz .LBB331_12
; %bb.11:
	v_readfirstlane_b32 s4, v44
	v_readfirstlane_b32 s5, v45
	global_load_b64 v[4:5], v0, s[4:5] offset:2048 scale_offset
.LBB331_12:
	s_wait_xcnt 0x0
	s_or_b32 exec_lo, exec_lo, s1
	v_or_b32_e32 v1, 0x200, v0
	s_mov_b32 s1, exec_lo
                                        ; implicit-def: $vgpr6_vgpr7
	s_delay_alu instid0(VALU_DEP_1)
	v_cmpx_gt_u32_e64 s42, v1
	s_cbranch_execz .LBB331_14
; %bb.13:
	v_readfirstlane_b32 s4, v44
	v_readfirstlane_b32 s5, v45
	global_load_b64 v[6:7], v0, s[4:5] offset:4096 scale_offset
.LBB331_14:
	s_wait_xcnt 0x0
	s_or_b32 exec_lo, exec_lo, s1
	v_or_b32_e32 v1, 0x300, v0
	s_mov_b32 s1, exec_lo
                                        ; implicit-def: $vgpr8_vgpr9
	s_delay_alu instid0(VALU_DEP_1)
	v_cmpx_gt_u32_e64 s42, v1
	s_cbranch_execz .LBB331_16
; %bb.15:
	v_readfirstlane_b32 s4, v44
	v_readfirstlane_b32 s5, v45
	global_load_b64 v[8:9], v0, s[4:5] offset:6144 scale_offset
.LBB331_16:
	s_wait_xcnt 0x0
	s_or_b32 exec_lo, exec_lo, s1
	v_or_b32_e32 v1, 0x400, v0
	s_mov_b32 s1, exec_lo
                                        ; implicit-def: $vgpr10_vgpr11
	s_delay_alu instid0(VALU_DEP_1)
	v_cmpx_gt_u32_e64 s42, v1
	s_cbranch_execz .LBB331_18
; %bb.17:
	v_readfirstlane_b32 s4, v44
	v_readfirstlane_b32 s5, v45
	global_load_b64 v[10:11], v0, s[4:5] offset:8192 scale_offset
.LBB331_18:
	s_wait_xcnt 0x0
	s_or_b32 exec_lo, exec_lo, s1
	v_or_b32_e32 v1, 0x500, v0
	s_mov_b32 s1, exec_lo
                                        ; implicit-def: $vgpr12_vgpr13
	s_delay_alu instid0(VALU_DEP_1)
	v_cmpx_gt_u32_e64 s42, v1
	s_cbranch_execz .LBB331_20
; %bb.19:
	v_readfirstlane_b32 s4, v44
	v_readfirstlane_b32 s5, v45
	global_load_b64 v[12:13], v0, s[4:5] offset:10240 scale_offset
.LBB331_20:
	s_wait_xcnt 0x0
	s_or_b32 exec_lo, exec_lo, s1
	v_or_b32_e32 v1, 0x600, v0
	s_mov_b32 s1, exec_lo
                                        ; implicit-def: $vgpr14_vgpr15
	s_delay_alu instid0(VALU_DEP_1)
	v_cmpx_gt_u32_e64 s42, v1
	s_cbranch_execz .LBB331_22
; %bb.21:
	v_readfirstlane_b32 s4, v44
	v_readfirstlane_b32 s5, v45
	global_load_b64 v[14:15], v0, s[4:5] offset:12288 scale_offset
.LBB331_22:
	s_wait_xcnt 0x0
	s_or_b32 exec_lo, exec_lo, s1
	v_or_b32_e32 v1, 0x700, v0
	s_mov_b32 s1, exec_lo
                                        ; implicit-def: $vgpr16_vgpr17
	s_delay_alu instid0(VALU_DEP_1)
	v_cmpx_gt_u32_e64 s42, v1
	s_cbranch_execz .LBB331_24
; %bb.23:
	v_readfirstlane_b32 s4, v44
	v_readfirstlane_b32 s5, v45
	global_load_b64 v[16:17], v0, s[4:5] offset:14336 scale_offset
.LBB331_24:
	s_wait_xcnt 0x0
	s_or_b32 exec_lo, exec_lo, s1
	v_or_b32_e32 v1, 0x800, v0
	s_mov_b32 s1, exec_lo
                                        ; implicit-def: $vgpr18_vgpr19
	s_delay_alu instid0(VALU_DEP_1)
	v_cmpx_gt_u32_e64 s42, v1
	s_cbranch_execz .LBB331_26
; %bb.25:
	v_readfirstlane_b32 s4, v44
	v_readfirstlane_b32 s5, v45
	global_load_b64 v[18:19], v0, s[4:5] offset:16384 scale_offset
.LBB331_26:
	s_wait_xcnt 0x0
	s_or_b32 exec_lo, exec_lo, s1
	v_or_b32_e32 v1, 0x900, v0
	s_mov_b32 s1, exec_lo
                                        ; implicit-def: $vgpr20_vgpr21
	s_delay_alu instid0(VALU_DEP_1)
	v_cmpx_gt_u32_e64 s42, v1
	s_cbranch_execz .LBB331_28
; %bb.27:
	v_readfirstlane_b32 s4, v44
	v_readfirstlane_b32 s5, v45
	global_load_b64 v[20:21], v0, s[4:5] offset:18432 scale_offset
.LBB331_28:
	s_wait_xcnt 0x0
	s_or_b32 exec_lo, exec_lo, s1
	v_or_b32_e32 v1, 0xa00, v0
	s_mov_b32 s1, exec_lo
                                        ; implicit-def: $vgpr22_vgpr23
	s_delay_alu instid0(VALU_DEP_1)
	v_cmpx_gt_u32_e64 s42, v1
	s_cbranch_execz .LBB331_30
; %bb.29:
	v_readfirstlane_b32 s4, v44
	v_readfirstlane_b32 s5, v45
	global_load_b64 v[22:23], v0, s[4:5] offset:20480 scale_offset
.LBB331_30:
	s_wait_xcnt 0x0
	s_or_b32 exec_lo, exec_lo, s1
	v_or_b32_e32 v1, 0xb00, v0
	s_mov_b32 s1, exec_lo
                                        ; implicit-def: $vgpr24_vgpr25
	s_delay_alu instid0(VALU_DEP_1)
	v_cmpx_gt_u32_e64 s42, v1
	s_cbranch_execz .LBB331_32
; %bb.31:
	v_readfirstlane_b32 s4, v44
	v_readfirstlane_b32 s5, v45
	global_load_b64 v[24:25], v0, s[4:5] offset:22528 scale_offset
.LBB331_32:
	s_wait_xcnt 0x0
	s_or_b32 exec_lo, exec_lo, s1
	v_or_b32_e32 v1, 0xc00, v0
	s_mov_b32 s1, exec_lo
                                        ; implicit-def: $vgpr26_vgpr27
	s_delay_alu instid0(VALU_DEP_1)
	v_cmpx_gt_u32_e64 s42, v1
	s_cbranch_execz .LBB331_34
; %bb.33:
	v_readfirstlane_b32 s4, v44
	v_readfirstlane_b32 s5, v45
	global_load_b64 v[26:27], v0, s[4:5] offset:24576 scale_offset
.LBB331_34:
	s_wait_xcnt 0x0
	s_or_b32 exec_lo, exec_lo, s1
	v_or_b32_e32 v1, 0xd00, v0
	s_mov_b32 s1, exec_lo
                                        ; implicit-def: $vgpr28_vgpr29
	s_delay_alu instid0(VALU_DEP_1)
	v_cmpx_gt_u32_e64 s42, v1
	s_cbranch_execz .LBB331_36
; %bb.35:
	v_readfirstlane_b32 s4, v44
	v_readfirstlane_b32 s5, v45
	global_load_b64 v[28:29], v0, s[4:5] offset:26624 scale_offset
.LBB331_36:
	s_wait_xcnt 0x0
	s_or_b32 exec_lo, exec_lo, s1
	v_or_b32_e32 v1, 0xe00, v0
	s_mov_b32 s1, exec_lo
                                        ; implicit-def: $vgpr30_vgpr31
	s_delay_alu instid0(VALU_DEP_1)
	v_cmpx_gt_u32_e64 s42, v1
	s_cbranch_execz .LBB331_38
; %bb.37:
	v_readfirstlane_b32 s4, v44
	v_readfirstlane_b32 s5, v45
	global_load_b64 v[30:31], v0, s[4:5] offset:28672 scale_offset
.LBB331_38:
	s_wait_xcnt 0x0
	s_or_b32 exec_lo, exec_lo, s1
	v_lshlrev_b32_e32 v1, 3, v0
	s_wait_loadcnt 0x0
	ds_store_2addr_stride64_b64 v1, v[2:3], v[4:5] offset1:4
	ds_store_2addr_stride64_b64 v1, v[6:7], v[8:9] offset0:8 offset1:12
	ds_store_2addr_stride64_b64 v1, v[10:11], v[12:13] offset0:16 offset1:20
	;; [unrolled: 1-line block ×6, first 2 shown]
	ds_store_b64 v1, v[30:31] offset:28672
	v_mul_u32_u24_e32 v30, 15, v0
	v_mad_u32_u24 v1, 0x70, v0, v1
	v_mad_u32_u24 v31, v0, 15, 1
	s_wait_dscnt 0x0
	s_barrier_signal -1
	v_cmp_gt_u32_e32 vcc_lo, s42, v30
	s_barrier_wait -1
	ds_load_2addr_b64 v[26:29], v1 offset1:1
	ds_load_2addr_b64 v[22:25], v1 offset0:2 offset1:3
	ds_load_2addr_b64 v[18:21], v1 offset0:4 offset1:5
	;; [unrolled: 1-line block ×6, first 2 shown]
	ds_load_b64 v[42:43], v1 offset:112
	v_mad_u32_u24 v1, v0, 15, 2
	v_cndmask_b32_e64 v75, 0, s8, vcc_lo
	v_cmp_gt_u32_e32 vcc_lo, s42, v31
	v_mad_u32_u24 v30, v0, 15, 3
	v_mad_u32_u24 v31, v0, 15, 5
	v_mov_b32_e32 v96, 0
	v_cndmask_b32_e64 v72, 0, s8, vcc_lo
	v_cmp_gt_u32_e32 vcc_lo, s42, v1
	v_mad_u32_u24 v1, v0, 15, 4
	v_cndmask_b32_e64 v74, 0, s8, vcc_lo
	v_cmp_gt_u32_e32 vcc_lo, s42, v30
	v_mad_u32_u24 v30, v0, 15, 6
	s_wait_dscnt 0x5
	v_dual_mov_b32 v33, v23 :: v_dual_mov_b32 v34, v18
	s_wait_dscnt 0x4
	v_dual_mov_b32 v35, v19 :: v_dual_mov_b32 v36, v14
	v_cndmask_b32_e64 v92, 0, s8, vcc_lo
	v_cmp_gt_u32_e32 vcc_lo, s42, v1
	v_mad_u32_u24 v1, v0, 15, 7
	s_wait_dscnt 0x3
	v_dual_mov_b32 v37, v15 :: v_dual_mov_b32 v38, v10
	s_wait_dscnt 0x2
	v_dual_mov_b32 v39, v11 :: v_dual_mov_b32 v40, v6
	v_cndmask_b32_e64 v94, 0, s8, vcc_lo
	v_cmp_gt_u32_e32 vcc_lo, s42, v31
	v_mad_u32_u24 v31, v0, 15, 9
	s_wait_dscnt 0x1
	v_dual_mov_b32 v41, v7 :: v_dual_mov_b32 v46, v2
	v_mov_b32_e32 v47, v3
	v_cndmask_b32_e64 v90, 0, s8, vcc_lo
	v_cmp_gt_u32_e32 vcc_lo, s42, v30
	v_mad_u32_u24 v30, v0, 15, 8
	v_mov_b32_e32 v32, v22
	v_cndmask_b32_e64 v89, 0, s8, vcc_lo
	v_cmp_gt_u32_e32 vcc_lo, s42, v1
	v_mad_u32_u24 v1, v0, 15, 10
	v_cndmask_b32_e64 v93, 0, s8, vcc_lo
	v_cmp_gt_u32_e32 vcc_lo, s42, v30
	v_mad_u32_u24 v30, v0, 15, 11
	;; [unrolled: 3-line block ×5, first 2 shown]
	v_cndmask_b32_e64 v70, 0, s8, vcc_lo
	v_cmp_gt_u32_e32 vcc_lo, s42, v1
	s_delay_alu instid0(VALU_DEP_3)
	v_cmp_gt_u32_e64 s29, s42, v30
	v_mov_b32_e32 v30, v26
	v_cndmask_b32_e64 v69, 0, s8, vcc_lo
	v_cmp_gt_u32_e32 vcc_lo, s42, v31
	v_mov_b32_e32 v31, v27
	v_cndmask_b32_e64 v68, 0, s8, vcc_lo
.LBB331_39:
	s_and_saveexec_b32 s1, s29
; %bb.40:
	v_mov_b32_e32 v96, s8
; %bb.41:
	s_or_b32 exec_lo, exec_lo, s1
	s_cmp_eq_u64 s[16:17], 0
	s_wait_dscnt 0x0
	s_cselect_b32 s29, -1, 0
	s_cmp_lg_u64 s[16:17], 0
	s_barrier_signal -1
	s_cselect_b32 s18, -1, 0
	s_and_b32 vcc_lo, exec_lo, s0
	s_barrier_wait -1
	s_cbranch_vccz .LBB331_46
; %bb.42:
	s_and_b32 vcc_lo, exec_lo, s18
	s_cbranch_vccz .LBB331_47
; %bb.43:
	global_load_b64 v[48:49], v[44:45], off offset:-8
	v_lshlrev_b32_e32 v1, 3, v0
	ds_store_b64 v1, v[42:43]
	s_wait_loadcnt_dscnt 0x0
	s_barrier_signal -1
	s_barrier_wait -1
	s_and_saveexec_b32 s0, s3
; %bb.44:
	v_add_nc_u32_e32 v1, -8, v1
	ds_load_b64 v[48:49], v1
; %bb.45:
	s_or_b32 exec_lo, exec_lo, s0
	v_cmp_neq_f64_e32 vcc_lo, v[30:31], v[28:29]
	s_wait_dscnt 0x0
	v_cmp_neq_f64_e64 s15, v[48:49], v[26:27]
	s_mov_b32 s43, -1
	v_cndmask_b32_e64 v88, 0, 1, vcc_lo
	v_cmp_neq_f64_e32 vcc_lo, v[32:33], v[28:29]
	v_cndmask_b32_e64 v87, 0, 1, vcc_lo
	v_cmp_neq_f64_e32 vcc_lo, v[32:33], v[24:25]
	;; [unrolled: 2-line block ×13, first 2 shown]
	v_cndmask_b32_e64 v86, 0, 1, vcc_lo
	s_branch .LBB331_51
.LBB331_46:
	s_mov_b32 s43, 0
                                        ; implicit-def: $sgpr15
                                        ; implicit-def: $vgpr86
                                        ; implicit-def: $vgpr83
                                        ; implicit-def: $vgpr84
                                        ; implicit-def: $vgpr77
                                        ; implicit-def: $vgpr1
                                        ; implicit-def: $vgpr76
                                        ; implicit-def: $vgpr78
                                        ; implicit-def: $vgpr79
                                        ; implicit-def: $vgpr81
                                        ; implicit-def: $vgpr80
                                        ; implicit-def: $vgpr82
                                        ; implicit-def: $vgpr85
                                        ; implicit-def: $vgpr87
                                        ; implicit-def: $vgpr88
	s_cbranch_execnz .LBB331_52
	s_branch .LBB331_60
.LBB331_47:
	s_mov_b32 s43, 0
                                        ; implicit-def: $sgpr15
                                        ; implicit-def: $vgpr86
                                        ; implicit-def: $vgpr83
                                        ; implicit-def: $vgpr84
                                        ; implicit-def: $vgpr77
                                        ; implicit-def: $vgpr1
                                        ; implicit-def: $vgpr76
                                        ; implicit-def: $vgpr78
                                        ; implicit-def: $vgpr79
                                        ; implicit-def: $vgpr81
                                        ; implicit-def: $vgpr80
                                        ; implicit-def: $vgpr82
                                        ; implicit-def: $vgpr85
                                        ; implicit-def: $vgpr87
                                        ; implicit-def: $vgpr88
	s_cbranch_execz .LBB331_51
; %bb.48:
	v_cmp_neq_f64_e64 s0, v[4:5], v[46:47]
	v_cmp_neq_f64_e64 s1, v[46:47], v[8:9]
	;; [unrolled: 1-line block ×13, first 2 shown]
	v_lshlrev_b32_e32 v1, 3, v0
	v_cmp_neq_f64_e32 vcc_lo, v[4:5], v[42:43]
                                        ; implicit-def: $sgpr15
	ds_store_b64 v1, v[42:43]
	s_wait_dscnt 0x0
	s_barrier_signal -1
	s_barrier_wait -1
	s_and_saveexec_b32 s19, s3
	s_delay_alu instid0(SALU_CYCLE_1)
	s_xor_b32 s19, exec_lo, s19
	s_cbranch_execz .LBB331_50
; %bb.49:
	v_add_nc_u32_e32 v1, -8, v1
	s_or_b32 s43, s43, exec_lo
	ds_load_b64 v[30:31], v1
	s_wait_dscnt 0x0
	v_cmp_neq_f64_e64 s15, v[30:31], v[26:27]
.LBB331_50:
	s_or_b32 exec_lo, exec_lo, s19
	v_cndmask_b32_e64 v88, 0, 1, s14
	v_cndmask_b32_e64 v87, 0, 1, s13
	;; [unrolled: 1-line block ×13, first 2 shown]
	v_cndmask_b32_e64 v86, 0, 1, vcc_lo
.LBB331_51:
	s_branch .LBB331_60
.LBB331_52:
	v_cmp_neq_f64_e64 s14, v[4:5], v[42:43]
	v_cmp_neq_f64_e64 s15, v[2:3], v[4:5]
	;; [unrolled: 1-line block ×14, first 2 shown]
	s_mov_b64 s[30:31], 0xfffffffffffff100
	v_mad_u32_u24 v30, v0, 15, 14
	v_mad_u32_u24 v60, v0, 15, 13
	;; [unrolled: 1-line block ×14, first 2 shown]
	s_mul_u64 s[16:17], s[16:17], s[30:31]
	s_and_b32 vcc_lo, exec_lo, s18
	s_add_nc_u64 s[30:31], s[16:17], s[20:21]
	s_cbranch_vccz .LBB331_56
; %bb.53:
	global_load_b64 v[44:45], v[44:45], off offset:-8
	v_dual_lshlrev_b32 v1, 3, v0 :: v_dual_mov_b32 v31, 0
	v_mul_u32_u24_e32 v62, 15, v0
	ds_store_b64 v1, v[42:43]
	v_dual_mov_b32 v61, v31 :: v_dual_mov_b32 v59, v31
	v_cmp_gt_u64_e32 vcc_lo, s[30:31], v[30:31]
	v_dual_mov_b32 v57, v31 :: v_dual_mov_b32 v55, v31
	s_delay_alu instid0(VALU_DEP_3) | instskip(SKIP_2) | instid1(VALU_DEP_4)
	v_cmp_gt_u64_e64 s16, s[30:31], v[60:61]
	v_dual_mov_b32 v53, v31 :: v_dual_mov_b32 v51, v31
	v_cmp_gt_u64_e64 s17, s[30:31], v[58:59]
	v_cmp_gt_u64_e64 s18, s[30:31], v[56:57]
	s_and_b32 s19, vcc_lo, s14
	v_cmp_gt_u64_e32 vcc_lo, s[30:31], v[54:55]
	s_and_b32 s16, s16, s15
	v_cmp_gt_u64_e64 s14, s[30:31], v[52:53]
	v_cmp_gt_u64_e64 s15, s[30:31], v[50:51]
	v_dual_mov_b32 v49, v31 :: v_dual_mov_b32 v47, v31
	v_dual_mov_b32 v41, v31 :: v_dual_mov_b32 v39, v31
	;; [unrolled: 1-line block ×3, first 2 shown]
	v_mov_b32_e32 v33, v31
	s_and_b32 s17, s17, s12
	s_and_b32 s18, s18, s13
	s_and_b32 s21, vcc_lo, s9
	s_and_b32 s20, s14, s10
	s_and_b32 s15, s15, s11
	v_cmp_gt_u64_e32 vcc_lo, s[30:31], v[48:49]
	v_cmp_gt_u64_e64 s9, s[30:31], v[46:47]
	v_cmp_gt_u64_e64 s10, s[30:31], v[40:41]
	;; [unrolled: 1-line block ×6, first 2 shown]
	s_and_b32 s0, vcc_lo, s0
	s_and_b32 s9, s9, s1
	s_and_b32 s1, s10, s4
	;; [unrolled: 1-line block ×6, first 2 shown]
	s_wait_loadcnt_dscnt 0x0
	s_barrier_signal -1
	s_barrier_wait -1
	s_and_saveexec_b32 s8, s3
; %bb.54:
	v_add_nc_u32_e32 v1, -8, v1
	ds_load_b64 v[44:45], v1
; %bb.55:
	s_or_b32 exec_lo, exec_lo, s8
	s_wait_dscnt 0x0
	v_cmp_neq_f64_e32 vcc_lo, v[44:45], v[26:27]
	v_mov_b32_e32 v63, v31
	v_cndmask_b32_e64 v79, 0, 1, s0
	v_cndmask_b32_e64 v86, 0, 1, s19
	;; [unrolled: 1-line block ×4, first 2 shown]
	v_cmp_gt_u64_e64 s0, s[30:31], v[62:63]
	v_cndmask_b32_e64 v77, 0, 1, s18
	v_cndmask_b32_e64 v1, 0, 1, s21
	;; [unrolled: 1-line block ×10, first 2 shown]
	s_mov_b32 s43, -1
	s_and_b32 s15, s0, vcc_lo
	s_branch .LBB331_60
.LBB331_56:
                                        ; implicit-def: $sgpr15
                                        ; implicit-def: $vgpr86
                                        ; implicit-def: $vgpr83
                                        ; implicit-def: $vgpr84
                                        ; implicit-def: $vgpr77
                                        ; implicit-def: $vgpr1
                                        ; implicit-def: $vgpr76
                                        ; implicit-def: $vgpr78
                                        ; implicit-def: $vgpr79
                                        ; implicit-def: $vgpr81
                                        ; implicit-def: $vgpr80
                                        ; implicit-def: $vgpr82
                                        ; implicit-def: $vgpr85
                                        ; implicit-def: $vgpr87
                                        ; implicit-def: $vgpr88
	s_cbranch_execz .LBB331_60
; %bb.57:
	v_cmp_neq_f64_e32 vcc_lo, v[4:5], v[42:43]
	v_cmp_neq_f64_e64 s0, v[2:3], v[4:5]
	v_cmp_neq_f64_e64 s1, v[8:9], v[2:3]
	;; [unrolled: 1-line block ×13, first 2 shown]
	v_dual_lshlrev_b32 v1, 3, v0 :: v_dual_mov_b32 v31, 0
	ds_store_b64 v1, v[42:43]
	v_dual_mov_b32 v61, v31 :: v_dual_mov_b32 v59, v31
	v_dual_mov_b32 v57, v31 :: v_dual_mov_b32 v55, v31
	;; [unrolled: 1-line block ×3, first 2 shown]
	v_cmp_gt_u64_e64 s15, s[30:31], v[30:31]
	s_delay_alu instid0(VALU_DEP_4)
	v_cmp_gt_u64_e64 s16, s[30:31], v[60:61]
	v_cmp_gt_u64_e64 s17, s[30:31], v[58:59]
	;; [unrolled: 1-line block ×6, first 2 shown]
	v_dual_mov_b32 v49, v31 :: v_dual_mov_b32 v47, v31
	v_dual_mov_b32 v41, v31 :: v_dual_mov_b32 v39, v31
	;; [unrolled: 1-line block ×3, first 2 shown]
	v_mov_b32_e32 v33, v31
	s_and_b32 s44, s15, vcc_lo
	s_and_b32 s16, s16, s0
	s_and_b32 s17, s17, s1
	;; [unrolled: 1-line block ×6, first 2 shown]
	v_cmp_gt_u64_e32 vcc_lo, s[30:31], v[48:49]
	v_cmp_gt_u64_e64 s0, s[30:31], v[46:47]
	v_cmp_gt_u64_e64 s1, s[30:31], v[40:41]
	;; [unrolled: 1-line block ×6, first 2 shown]
	s_and_b32 s8, vcc_lo, s8
	s_and_b32 s9, s0, s9
	s_and_b32 s1, s1, s10
	;; [unrolled: 1-line block ×6, first 2 shown]
	s_wait_dscnt 0x0
	s_barrier_signal -1
	s_barrier_wait -1
                                        ; implicit-def: $sgpr15
	s_and_saveexec_b32 s10, s3
	s_cbranch_execz .LBB331_59
; %bb.58:
	v_add_nc_u32_e32 v1, -8, v1
	v_mul_u32_u24_e32 v30, 15, v0
	s_or_b32 s43, s43, exec_lo
	ds_load_b64 v[32:33], v1
	v_cmp_gt_u64_e64 s0, s[30:31], v[30:31]
	s_wait_dscnt 0x0
	v_cmp_neq_f64_e32 vcc_lo, v[32:33], v[26:27]
	s_and_b32 s15, s0, vcc_lo
.LBB331_59:
	s_or_b32 exec_lo, exec_lo, s10
	v_cndmask_b32_e64 v86, 0, 1, s44
	v_cndmask_b32_e64 v83, 0, 1, s16
	;; [unrolled: 1-line block ×14, first 2 shown]
.LBB331_60:
	v_mov_b32_e32 v95, 1
	s_and_saveexec_b32 s0, s43
; %bb.61:
	v_cndmask_b32_e64 v95, 0, 1, s15
; %bb.62:
	s_or_b32 exec_lo, exec_lo, s0
	s_delay_alu instid0(VALU_DEP_1)
	v_add3_u32 v30, v88, v95, v87
	v_cmp_eq_u32_e64 s13, 0, v88
	v_cmp_eq_u32_e64 s12, 0, v87
	;; [unrolled: 1-line block ×4, first 2 shown]
	v_add3_u32 v100, v30, v85, v82
	v_cmp_eq_u32_e64 s9, 0, v80
	v_cmp_eq_u32_e64 s8, 0, v81
	;; [unrolled: 1-line block ×9, first 2 shown]
	v_mbcnt_lo_u32_b32 v97, -1, 0
	v_dual_lshrrev_b32 v98, 5, v0 :: v_dual_bitop2_b32 v99, 31, v0 bitop3:0x54
	s_cmp_eq_u64 s[26:27], 0
	v_cmp_eq_u32_e32 vcc_lo, 0, v86
	s_cselect_b32 s17, -1, 0
	s_cmp_lg_u32 s28, 0
	s_cbranch_scc0 .LBB331_83
; %bb.63:
	v_dual_cndmask_b32 v30, 0, v75, s13 :: v_dual_bitop2_b32 v33, 15, v97 bitop3:0x40
	v_add3_u32 v31, v100, v80, v81
	s_delay_alu instid0(VALU_DEP_2) | instskip(NEXT) | instid1(VALU_DEP_2)
	v_add_nc_u32_e32 v30, v30, v72
	v_add3_u32 v31, v31, v79, v78
	s_delay_alu instid0(VALU_DEP_2) | instskip(NEXT) | instid1(VALU_DEP_2)
	v_cndmask_b32_e64 v30, 0, v30, s12
	v_add3_u32 v31, v31, v76, v1
	s_delay_alu instid0(VALU_DEP_2) | instskip(NEXT) | instid1(VALU_DEP_2)
	v_add_nc_u32_e32 v30, v30, v74
	v_add3_u32 v31, v31, v77, v84
	s_delay_alu instid0(VALU_DEP_1) | instskip(NEXT) | instid1(VALU_DEP_3)
	v_add3_u32 v31, v31, v83, v86
	v_cndmask_b32_e64 v30, 0, v30, s11
	s_delay_alu instid0(VALU_DEP_2) | instskip(NEXT) | instid1(VALU_DEP_2)
	v_mov_b32_dpp v34, v31 row_shr:1 row_mask:0xf bank_mask:0xf
	v_add_nc_u32_e32 v30, v30, v92
	s_delay_alu instid0(VALU_DEP_1) | instskip(NEXT) | instid1(VALU_DEP_1)
	v_cndmask_b32_e64 v30, 0, v30, s10
	v_add_nc_u32_e32 v30, v30, v94
	s_delay_alu instid0(VALU_DEP_1) | instskip(NEXT) | instid1(VALU_DEP_1)
	v_cndmask_b32_e64 v30, 0, v30, s9
	v_add_nc_u32_e32 v30, v30, v90
	s_delay_alu instid0(VALU_DEP_1) | instskip(NEXT) | instid1(VALU_DEP_1)
	v_cndmask_b32_e64 v30, 0, v30, s8
	v_add_nc_u32_e32 v30, v30, v89
	s_delay_alu instid0(VALU_DEP_1) | instskip(NEXT) | instid1(VALU_DEP_1)
	v_cndmask_b32_e64 v30, 0, v30, s7
	v_add_nc_u32_e32 v30, v30, v93
	s_delay_alu instid0(VALU_DEP_1) | instskip(NEXT) | instid1(VALU_DEP_1)
	v_cndmask_b32_e64 v30, 0, v30, s6
	v_add_nc_u32_e32 v30, v30, v91
	s_delay_alu instid0(VALU_DEP_1) | instskip(NEXT) | instid1(VALU_DEP_1)
	v_cndmask_b32_e64 v30, 0, v30, s5
	v_add_nc_u32_e32 v30, v30, v73
	s_delay_alu instid0(VALU_DEP_1) | instskip(NEXT) | instid1(VALU_DEP_1)
	v_cndmask_b32_e64 v30, 0, v30, s4
	v_add_nc_u32_e32 v30, v30, v71
	s_delay_alu instid0(VALU_DEP_1) | instskip(NEXT) | instid1(VALU_DEP_1)
	v_cndmask_b32_e64 v30, 0, v30, s3
	v_add_nc_u32_e32 v30, v30, v70
	s_delay_alu instid0(VALU_DEP_1) | instskip(NEXT) | instid1(VALU_DEP_1)
	v_cndmask_b32_e64 v30, 0, v30, s1
	v_add_nc_u32_e32 v30, v30, v69
	s_delay_alu instid0(VALU_DEP_1) | instskip(NEXT) | instid1(VALU_DEP_1)
	v_cndmask_b32_e64 v30, 0, v30, s0
	v_add_nc_u32_e32 v30, v30, v68
	s_delay_alu instid0(VALU_DEP_1) | instskip(SKIP_1) | instid1(VALU_DEP_2)
	v_cndmask_b32_e32 v30, 0, v30, vcc_lo
	v_cmp_eq_u32_e32 vcc_lo, 0, v31
	v_add_nc_u32_e32 v30, v30, v96
	s_delay_alu instid0(VALU_DEP_1) | instskip(NEXT) | instid1(VALU_DEP_1)
	v_mov_b32_dpp v32, v30 row_shr:1 row_mask:0xf bank_mask:0xf
	v_cndmask_b32_e32 v32, 0, v32, vcc_lo
	v_cmp_eq_u32_e32 vcc_lo, 0, v33
	v_cndmask_b32_e64 v34, v34, 0, vcc_lo
	s_delay_alu instid0(VALU_DEP_3) | instskip(SKIP_1) | instid1(VALU_DEP_2)
	v_cndmask_b32_e64 v32, v32, 0, vcc_lo
	v_cmp_lt_u32_e32 vcc_lo, 1, v33
	v_dual_add_nc_u32 v31, v34, v31 :: v_dual_add_nc_u32 v30, v32, v30
	s_delay_alu instid0(VALU_DEP_1) | instskip(SKIP_1) | instid1(VALU_DEP_3)
	v_mov_b32_dpp v32, v31 row_shr:2 row_mask:0xf bank_mask:0xf
	v_cmp_eq_u32_e64 s14, 0, v31
	v_mov_b32_dpp v34, v30 row_shr:2 row_mask:0xf bank_mask:0xf
	s_delay_alu instid0(VALU_DEP_3) | instskip(SKIP_1) | instid1(VALU_DEP_2)
	v_cndmask_b32_e32 v32, 0, v32, vcc_lo
	s_and_b32 vcc_lo, vcc_lo, s14
	v_cndmask_b32_e32 v34, 0, v34, vcc_lo
	v_cmp_lt_u32_e32 vcc_lo, 3, v33
	s_delay_alu instid0(VALU_DEP_2) | instskip(NEXT) | instid1(VALU_DEP_1)
	v_dual_add_nc_u32 v31, v31, v32 :: v_dual_add_nc_u32 v30, v34, v30
	v_mov_b32_dpp v32, v31 row_shr:4 row_mask:0xf bank_mask:0xf
	v_cmp_eq_u32_e64 s14, 0, v31
	s_delay_alu instid0(VALU_DEP_3) | instskip(NEXT) | instid1(VALU_DEP_3)
	v_mov_b32_dpp v34, v30 row_shr:4 row_mask:0xf bank_mask:0xf
	v_cndmask_b32_e32 v32, 0, v32, vcc_lo
	s_and_b32 vcc_lo, vcc_lo, s14
	s_delay_alu instid0(VALU_DEP_2) | instskip(SKIP_1) | instid1(VALU_DEP_2)
	v_cndmask_b32_e32 v34, 0, v34, vcc_lo
	v_cmp_lt_u32_e32 vcc_lo, 7, v33
	v_dual_add_nc_u32 v31, v32, v31 :: v_dual_add_nc_u32 v30, v30, v34
	v_bfe_i32 v34, v97, 4, 1
	s_delay_alu instid0(VALU_DEP_2) | instskip(SKIP_1) | instid1(VALU_DEP_4)
	v_mov_b32_dpp v32, v31 row_shr:8 row_mask:0xf bank_mask:0xf
	v_cmp_eq_u32_e64 s14, 0, v31
	v_mov_b32_dpp v33, v30 row_shr:8 row_mask:0xf bank_mask:0xf
	s_delay_alu instid0(VALU_DEP_3) | instskip(SKIP_2) | instid1(VALU_DEP_2)
	v_cndmask_b32_e32 v32, 0, v32, vcc_lo
	s_and_b32 vcc_lo, vcc_lo, s14
	s_mov_b32 s14, exec_lo
	v_cndmask_b32_e32 v33, 0, v33, vcc_lo
	s_delay_alu instid0(VALU_DEP_1)
	v_dual_add_nc_u32 v33, v33, v30 :: v_dual_add_nc_u32 v30, v32, v31
	ds_swizzle_b32 v31, v33 offset:swizzle(BROADCAST,32,15)
	ds_swizzle_b32 v32, v30 offset:swizzle(BROADCAST,32,15)
	v_cmp_eq_u32_e32 vcc_lo, 0, v30
	s_wait_dscnt 0x0
	v_dual_cndmask_b32 v31, 0, v31, vcc_lo :: v_dual_bitop2_b32 v32, v34, v32 bitop3:0x40
	s_delay_alu instid0(VALU_DEP_1) | instskip(NEXT) | instid1(VALU_DEP_1)
	v_dual_add_nc_u32 v30, v32, v30 :: v_dual_bitop2_b32 v31, v34, v31 bitop3:0x40
	v_dual_lshlrev_b32 v32, 3, v98 :: v_dual_add_nc_u32 v31, v31, v33
	v_cmpx_eq_u32_e64 v0, v99
; %bb.64:
	ds_store_b64 v32, v[30:31] offset:4112
; %bb.65:
	s_or_b32 exec_lo, exec_lo, s14
	s_delay_alu instid0(SALU_CYCLE_1)
	s_mov_b32 s15, exec_lo
	s_wait_dscnt 0x0
	s_barrier_signal -1
	s_barrier_wait -1
	v_cmpx_gt_u32_e32 8, v0
	s_cbranch_execz .LBB331_67
; %bb.66:
	v_dual_lshlrev_b32 v33, 3, v0 :: v_dual_bitop2_b32 v37, 7, v97 bitop3:0x40
	ds_load_b64 v[34:35], v33 offset:4112
	s_wait_dscnt 0x0
	v_mov_b32_dpp v36, v35 row_shr:1 row_mask:0xf bank_mask:0xf
	v_cmp_eq_u32_e32 vcc_lo, 0, v34
	v_mov_b32_dpp v38, v34 row_shr:1 row_mask:0xf bank_mask:0xf
	s_delay_alu instid0(VALU_DEP_3) | instskip(SKIP_1) | instid1(VALU_DEP_3)
	v_cndmask_b32_e32 v36, 0, v36, vcc_lo
	v_cmp_eq_u32_e32 vcc_lo, 0, v37
	v_cndmask_b32_e64 v38, v38, 0, vcc_lo
	s_delay_alu instid0(VALU_DEP_1) | instskip(NEXT) | instid1(VALU_DEP_4)
	v_add_nc_u32_e32 v34, v38, v34
	v_cndmask_b32_e64 v36, v36, 0, vcc_lo
	v_cmp_lt_u32_e32 vcc_lo, 1, v37
	s_delay_alu instid0(VALU_DEP_3) | instskip(NEXT) | instid1(VALU_DEP_3)
	v_cmp_eq_u32_e64 s14, 0, v34
	v_add_nc_u32_e32 v35, v36, v35
	v_mov_b32_dpp v36, v34 row_shr:2 row_mask:0xf bank_mask:0xf
	s_delay_alu instid0(VALU_DEP_1) | instskip(NEXT) | instid1(VALU_DEP_3)
	v_cndmask_b32_e32 v36, 0, v36, vcc_lo
	v_mov_b32_dpp v38, v35 row_shr:2 row_mask:0xf bank_mask:0xf
	s_and_b32 vcc_lo, vcc_lo, s14
	s_delay_alu instid0(VALU_DEP_2) | instskip(NEXT) | instid1(VALU_DEP_1)
	v_add_nc_u32_e32 v34, v36, v34
	v_mov_b32_dpp v36, v34 row_shr:4 row_mask:0xf bank_mask:0xf
	s_delay_alu instid0(VALU_DEP_3) | instskip(SKIP_1) | instid1(VALU_DEP_2)
	v_cndmask_b32_e32 v38, 0, v38, vcc_lo
	v_cmp_lt_u32_e32 vcc_lo, 3, v37
	v_dual_cndmask_b32 v36, 0, v36 :: v_dual_add_nc_u32 v35, v38, v35
	v_cmp_eq_u32_e64 s14, 0, v34
	s_delay_alu instid0(VALU_DEP_2) | instskip(NEXT) | instid1(VALU_DEP_3)
	v_add_nc_u32_e32 v34, v36, v34
	v_mov_b32_dpp v37, v35 row_shr:4 row_mask:0xf bank_mask:0xf
	s_and_b32 vcc_lo, vcc_lo, s14
	s_delay_alu instid0(VALU_DEP_1) | instskip(NEXT) | instid1(VALU_DEP_1)
	v_cndmask_b32_e32 v37, 0, v37, vcc_lo
	v_add_nc_u32_e32 v35, v37, v35
	ds_store_b64 v33, v[34:35] offset:4112
.LBB331_67:
	s_or_b32 exec_lo, exec_lo, s15
	v_dual_mov_b32 v38, 0 :: v_dual_mov_b32 v39, 0
	s_mov_b32 s15, exec_lo
	v_cmp_gt_u32_e32 vcc_lo, 32, v0
	s_wait_dscnt 0x0
	s_barrier_signal -1
	s_barrier_wait -1
	v_cmpx_lt_u32_e32 31, v0
	s_cbranch_execz .LBB331_69
; %bb.68:
	ds_load_b64 v[38:39], v32 offset:4104
	v_cmp_eq_u32_e64 s14, 0, v30
	s_wait_dscnt 0x0
	s_delay_alu instid0(VALU_DEP_1) | instskip(NEXT) | instid1(VALU_DEP_1)
	v_dual_cndmask_b32 v32, 0, v39, s14 :: v_dual_add_nc_u32 v30, v38, v30
	v_add_nc_u32_e32 v31, v32, v31
.LBB331_69:
	s_or_b32 exec_lo, exec_lo, s15
	v_sub_co_u32 v32, s14, v97, 1
	s_delay_alu instid0(VALU_DEP_1) | instskip(NEXT) | instid1(VALU_DEP_1)
	v_cmp_gt_i32_e64 s15, 0, v32
	v_cndmask_b32_e64 v32, v32, v97, s15
	s_delay_alu instid0(VALU_DEP_1)
	v_lshlrev_b32_e32 v32, 2, v32
	ds_bpermute_b32 v46, v32, v30
	ds_bpermute_b32 v47, v32, v31
	s_and_saveexec_b32 s18, vcc_lo
	s_cbranch_execz .LBB331_88
; %bb.70:
	v_mov_b32_e32 v33, 0
	ds_load_b64 v[30:31], v33 offset:4168
	s_and_saveexec_b32 s15, s14
	s_cbranch_execz .LBB331_72
; %bb.71:
	s_add_co_i32 s20, s28, 32
	s_mov_b32 s21, 0
	v_mov_b32_e32 v32, 1
	s_lshl_b64 s[20:21], s[20:21], 4
	s_delay_alu instid0(SALU_CYCLE_1) | instskip(NEXT) | instid1(SALU_CYCLE_1)
	s_add_nc_u64 s[20:21], s[24:25], s[20:21]
	v_mov_b64_e32 v[34:35], s[20:21]
	s_wait_dscnt 0x0
	;;#ASMSTART
	global_store_b128 v[34:35], v[30:33] off scope:SCOPE_DEV	
s_wait_storecnt 0x0
	;;#ASMEND
.LBB331_72:
	s_or_b32 exec_lo, exec_lo, s15
	v_xad_u32 v40, v97, -1, s28
	s_mov_b32 s16, 0
	s_mov_b32 s15, exec_lo
	s_delay_alu instid0(VALU_DEP_1) | instskip(NEXT) | instid1(VALU_DEP_1)
	v_add_nc_u32_e32 v32, 32, v40
	v_lshl_add_u64 v[32:33], v[32:33], 4, s[24:25]
	;;#ASMSTART
	global_load_b128 v[34:37], v[32:33] off scope:SCOPE_DEV	
s_wait_loadcnt 0x0
	;;#ASMEND
	v_and_b32_e32 v37, 0xff, v36
	s_delay_alu instid0(VALU_DEP_1)
	v_cmpx_eq_u16_e32 0, v37
	s_cbranch_execz .LBB331_75
.LBB331_73:                             ; =>This Inner Loop Header: Depth=1
	;;#ASMSTART
	global_load_b128 v[34:37], v[32:33] off scope:SCOPE_DEV	
s_wait_loadcnt 0x0
	;;#ASMEND
	v_and_b32_e32 v37, 0xff, v36
	s_delay_alu instid0(VALU_DEP_1) | instskip(SKIP_1) | instid1(SALU_CYCLE_1)
	v_cmp_ne_u16_e32 vcc_lo, 0, v37
	s_or_b32 s16, vcc_lo, s16
	s_and_not1_b32 exec_lo, exec_lo, s16
	s_cbranch_execnz .LBB331_73
; %bb.74:
	s_or_b32 exec_lo, exec_lo, s16
.LBB331_75:
	s_delay_alu instid0(SALU_CYCLE_1)
	s_or_b32 exec_lo, exec_lo, s15
	v_cmp_ne_u32_e32 vcc_lo, 31, v97
	v_lshlrev_b32_e64 v49, v97, -1
	v_cmp_gt_u32_e64 s16, 30, v97
	v_lshl_or_b32 v56, v97, 2, 64
	v_add_nc_u32_e32 v51, 2, v97
	v_add_co_ci_u32_e64 v32, null, 0, v97, vcc_lo
	s_delay_alu instid0(VALU_DEP_4) | instskip(SKIP_1) | instid1(VALU_DEP_3)
	v_cndmask_b32_e64 v41, 0, 2, s16
	v_dual_add_nc_u32 v53, 4, v97 :: v_dual_add_nc_u32 v55, 8, v97
	v_lshlrev_b32_e32 v48, 2, v32
	v_and_b32_e32 v32, 0xff, v36
	s_delay_alu instid0(VALU_DEP_4)
	v_add_lshl_u32 v50, v41, v97, 2
	v_add_nc_u32_e32 v57, 16, v97
	ds_bpermute_b32 v33, v48, v34
	v_cmp_eq_u16_e32 vcc_lo, 2, v32
	v_and_or_b32 v37, vcc_lo, v49, 0x80000000
	v_cmp_eq_u32_e32 vcc_lo, 0, v34
	s_delay_alu instid0(VALU_DEP_2) | instskip(NEXT) | instid1(VALU_DEP_1)
	v_ctz_i32_b32_e32 v37, v37
	v_cmp_lt_u32_e64 s15, v97, v37
	s_wait_dscnt 0x0
	s_delay_alu instid0(VALU_DEP_1) | instskip(SKIP_4) | instid1(VALU_DEP_1)
	v_cndmask_b32_e64 v33, 0, v33, s15
	ds_bpermute_b32 v32, v48, v35
	s_and_b32 vcc_lo, s15, vcc_lo
	s_wait_dscnt 0x0
	v_dual_cndmask_b32 v32, 0, v32 :: v_dual_add_nc_u32 v33, v33, v34
	v_cmp_eq_u32_e32 vcc_lo, 0, v33
	s_delay_alu instid0(VALU_DEP_2)
	v_add_nc_u32_e32 v32, v32, v35
	ds_bpermute_b32 v35, v50, v32
	s_wait_dscnt 0x0
	v_cndmask_b32_e32 v34, 0, v35, vcc_lo
	ds_bpermute_b32 v35, v50, v33
	v_cmp_gt_u32_e32 vcc_lo, 28, v97
	v_cndmask_b32_e64 v41, 0, 4, vcc_lo
	v_cmp_gt_u32_e32 vcc_lo, v51, v37
	s_delay_alu instid0(VALU_DEP_2) | instskip(SKIP_2) | instid1(VALU_DEP_1)
	v_add_lshl_u32 v52, v41, v97, 2
	s_wait_dscnt 0x0
	v_cndmask_b32_e64 v35, v35, 0, vcc_lo
	v_add_nc_u32_e32 v33, v33, v35
	v_cndmask_b32_e64 v34, v34, 0, vcc_lo
	ds_bpermute_b32 v35, v52, v33
	v_add_nc_u32_e32 v32, v34, v32
	v_cmp_eq_u32_e32 vcc_lo, 0, v33
	ds_bpermute_b32 v34, v52, v32
	s_wait_dscnt 0x0
	v_cndmask_b32_e32 v34, 0, v34, vcc_lo
	v_cmp_gt_u32_e32 vcc_lo, 24, v97
	v_cndmask_b32_e64 v41, 0, 8, vcc_lo
	v_cmp_gt_u32_e32 vcc_lo, v53, v37
	s_delay_alu instid0(VALU_DEP_2) | instskip(SKIP_1) | instid1(VALU_DEP_1)
	v_add_lshl_u32 v54, v41, v97, 2
	v_cndmask_b32_e64 v35, v35, 0, vcc_lo
	v_dual_mov_b32 v41, 0 :: v_dual_add_nc_u32 v33, v33, v35
	v_cndmask_b32_e64 v34, v34, 0, vcc_lo
	ds_bpermute_b32 v35, v54, v33
	v_add_nc_u32_e32 v32, v32, v34
	v_cmp_eq_u32_e32 vcc_lo, 0, v33
	ds_bpermute_b32 v34, v54, v32
	s_wait_dscnt 0x0
	v_cndmask_b32_e32 v34, 0, v34, vcc_lo
	v_cmp_gt_u32_e32 vcc_lo, v55, v37
	s_delay_alu instid0(VALU_DEP_2) | instskip(NEXT) | instid1(VALU_DEP_1)
	v_cndmask_b32_e64 v34, v34, 0, vcc_lo
	v_add_nc_u32_e32 v32, v32, v34
	v_cndmask_b32_e64 v34, v35, 0, vcc_lo
	s_delay_alu instid0(VALU_DEP_1)
	v_add_nc_u32_e32 v33, v33, v34
	ds_bpermute_b32 v35, v56, v32
	ds_bpermute_b32 v34, v56, v33
	v_cmp_eq_u32_e32 vcc_lo, 0, v33
	s_wait_dscnt 0x1
	v_cndmask_b32_e32 v35, 0, v35, vcc_lo
	v_cmp_gt_u32_e32 vcc_lo, v57, v37
	s_wait_dscnt 0x0
	v_cndmask_b32_e64 v34, v34, 0, vcc_lo
	s_delay_alu instid0(VALU_DEP_1) | instskip(SKIP_1) | instid1(VALU_DEP_1)
	v_add_nc_u32_e32 v34, v34, v33
	v_cndmask_b32_e64 v35, v35, 0, vcc_lo
	v_add_nc_u32_e32 v35, v35, v32
	s_branch .LBB331_79
.LBB331_76:                             ;   in Loop: Header=BB331_79 Depth=1
	s_or_b32 exec_lo, exec_lo, s16
.LBB331_77:                             ;   in Loop: Header=BB331_79 Depth=1
	s_delay_alu instid0(SALU_CYCLE_1)
	s_or_b32 exec_lo, exec_lo, s15
	v_and_b32_e32 v37, 0xff, v36
	ds_bpermute_b32 v44, v48, v34
	v_subrev_nc_u32_e32 v40, 32, v40
	v_cmp_eq_u16_e32 vcc_lo, 2, v37
	ds_bpermute_b32 v37, v48, v35
	v_and_or_b32 v45, vcc_lo, v49, 0x80000000
	v_cmp_eq_u32_e32 vcc_lo, 0, v34
	s_delay_alu instid0(VALU_DEP_2) | instskip(NEXT) | instid1(VALU_DEP_1)
	v_ctz_i32_b32_e32 v45, v45
	v_cmp_lt_u32_e64 s15, v97, v45
	s_and_b32 vcc_lo, s15, vcc_lo
	s_wait_dscnt 0x0
	v_dual_cndmask_b32 v44, 0, v44, s15 :: v_dual_cndmask_b32 v37, 0, v37, vcc_lo
	s_mov_b32 s15, 0
	s_delay_alu instid0(VALU_DEP_1)
	v_dual_add_nc_u32 v34, v44, v34 :: v_dual_add_nc_u32 v35, v37, v35
	ds_bpermute_b32 v44, v50, v34
	ds_bpermute_b32 v37, v50, v35
	v_cmp_eq_u32_e32 vcc_lo, 0, v34
	s_wait_dscnt 0x0
	v_cndmask_b32_e32 v37, 0, v37, vcc_lo
	v_cmp_gt_u32_e32 vcc_lo, v51, v45
	v_cndmask_b32_e64 v44, v44, 0, vcc_lo
	s_delay_alu instid0(VALU_DEP_1) | instskip(NEXT) | instid1(VALU_DEP_4)
	v_add_nc_u32_e32 v34, v34, v44
	v_cndmask_b32_e64 v37, v37, 0, vcc_lo
	s_delay_alu instid0(VALU_DEP_2) | instskip(NEXT) | instid1(VALU_DEP_2)
	v_cmp_eq_u32_e32 vcc_lo, 0, v34
	v_add_nc_u32_e32 v35, v37, v35
	ds_bpermute_b32 v44, v52, v34
	ds_bpermute_b32 v37, v52, v35
	s_wait_dscnt 0x0
	v_cndmask_b32_e32 v37, 0, v37, vcc_lo
	v_cmp_gt_u32_e32 vcc_lo, v53, v45
	s_delay_alu instid0(VALU_DEP_2) | instskip(SKIP_1) | instid1(VALU_DEP_1)
	v_cndmask_b32_e64 v37, v37, 0, vcc_lo
	v_cndmask_b32_e64 v44, v44, 0, vcc_lo
	v_dual_add_nc_u32 v35, v35, v37 :: v_dual_add_nc_u32 v34, v34, v44
	ds_bpermute_b32 v37, v54, v35
	ds_bpermute_b32 v44, v54, v34
	v_cmp_eq_u32_e32 vcc_lo, 0, v34
	s_wait_dscnt 0x1
	v_cndmask_b32_e32 v37, 0, v37, vcc_lo
	v_cmp_gt_u32_e32 vcc_lo, v55, v45
	s_wait_dscnt 0x0
	v_cndmask_b32_e64 v44, v44, 0, vcc_lo
	s_delay_alu instid0(VALU_DEP_1) | instskip(SKIP_1) | instid1(VALU_DEP_2)
	v_add_nc_u32_e32 v34, v34, v44
	v_cndmask_b32_e64 v37, v37, 0, vcc_lo
	v_cmp_eq_u32_e32 vcc_lo, 0, v34
	s_delay_alu instid0(VALU_DEP_2)
	v_add_nc_u32_e32 v35, v35, v37
	ds_bpermute_b32 v44, v56, v34
	ds_bpermute_b32 v37, v56, v35
	s_wait_dscnt 0x0
	v_cndmask_b32_e32 v37, 0, v37, vcc_lo
	v_cmp_gt_u32_e32 vcc_lo, v57, v45
	s_delay_alu instid0(VALU_DEP_2) | instskip(NEXT) | instid1(VALU_DEP_1)
	v_cndmask_b32_e64 v37, v37, 0, vcc_lo
	v_add_nc_u32_e32 v35, v37, v35
	v_cndmask_b32_e64 v37, v44, 0, vcc_lo
	v_cmp_eq_u32_e32 vcc_lo, 0, v32
	s_delay_alu instid0(VALU_DEP_2) | instskip(NEXT) | instid1(VALU_DEP_4)
	v_add3_u32 v34, v34, v32, v37
	v_cndmask_b32_e32 v35, 0, v35, vcc_lo
	s_delay_alu instid0(VALU_DEP_1)
	v_add_nc_u32_e32 v35, v35, v33
.LBB331_78:                             ;   in Loop: Header=BB331_79 Depth=1
	s_and_b32 vcc_lo, exec_lo, s15
	s_cbranch_vccnz .LBB331_84
.LBB331_79:                             ; =>This Loop Header: Depth=1
                                        ;     Child Loop BB331_82 Depth 2
	v_and_b32_e32 v32, 0xff, v36
	s_delay_alu instid0(VALU_DEP_2) | instskip(SKIP_1) | instid1(VALU_DEP_2)
	v_mov_b32_e32 v33, v35
	s_mov_b32 s15, -1
                                        ; implicit-def: $vgpr35
                                        ; implicit-def: $vgpr36
	v_cmp_ne_u16_e32 vcc_lo, 2, v32
	v_mov_b32_e32 v32, v34
                                        ; implicit-def: $vgpr34
	s_cmp_lg_u32 vcc_lo, exec_lo
	s_cbranch_scc1 .LBB331_78
; %bb.80:                               ;   in Loop: Header=BB331_79 Depth=1
	v_lshl_add_u64 v[44:45], v[40:41], 4, s[24:25]
	;;#ASMSTART
	global_load_b128 v[34:37], v[44:45] off scope:SCOPE_DEV	
s_wait_loadcnt 0x0
	;;#ASMEND
	v_and_b32_e32 v37, 0xff, v36
	s_mov_b32 s15, exec_lo
	s_delay_alu instid0(VALU_DEP_1)
	v_cmpx_eq_u16_e32 0, v37
	s_cbranch_execz .LBB331_77
; %bb.81:                               ;   in Loop: Header=BB331_79 Depth=1
	s_mov_b32 s16, 0
.LBB331_82:                             ;   Parent Loop BB331_79 Depth=1
                                        ; =>  This Inner Loop Header: Depth=2
	;;#ASMSTART
	global_load_b128 v[34:37], v[44:45] off scope:SCOPE_DEV	
s_wait_loadcnt 0x0
	;;#ASMEND
	v_and_b32_e32 v37, 0xff, v36
	s_delay_alu instid0(VALU_DEP_1) | instskip(SKIP_1) | instid1(SALU_CYCLE_1)
	v_cmp_ne_u16_e32 vcc_lo, 0, v37
	s_or_b32 s16, vcc_lo, s16
	s_and_not1_b32 exec_lo, exec_lo, s16
	s_cbranch_execnz .LBB331_82
	s_branch .LBB331_76
.LBB331_83:
                                        ; implicit-def: $vgpr30
                                        ; implicit-def: $vgpr34
                                        ; implicit-def: $vgpr36_vgpr37
                                        ; implicit-def: $vgpr44_vgpr45
                                        ; implicit-def: $vgpr50_vgpr51
                                        ; implicit-def: $vgpr46_vgpr47
                                        ; implicit-def: $vgpr62_vgpr63
                                        ; implicit-def: $vgpr66_vgpr67
                                        ; implicit-def: $vgpr64_vgpr65
                                        ; implicit-def: $vgpr60_vgpr61
                                        ; implicit-def: $vgpr56_vgpr57
                                        ; implicit-def: $vgpr52_vgpr53
                                        ; implicit-def: $vgpr48_vgpr49
                                        ; implicit-def: $vgpr54_vgpr55
                                        ; implicit-def: $vgpr58_vgpr59
                                        ; implicit-def: $vgpr38_vgpr39
                                        ; implicit-def: $vgpr40_vgpr41
	s_cbranch_execnz .LBB331_89
	s_branch .LBB331_100
.LBB331_84:
	s_and_saveexec_b32 s15, s14
	s_cbranch_execz .LBB331_86
; %bb.85:
	v_cmp_eq_u32_e32 vcc_lo, 0, v30
	s_mov_b32 s21, 0
	s_add_co_i32 s20, s28, 32
	v_mov_b32_e32 v37, 0
	s_lshl_b64 s[20:21], s[20:21], 4
	v_dual_cndmask_b32 v35, 0, v33 :: v_dual_add_nc_u32 v34, v32, v30
	s_add_nc_u64 s[20:21], s[24:25], s[20:21]
	v_mov_b32_e32 v36, 2
	v_mov_b64_e32 v[40:41], s[20:21]
	s_delay_alu instid0(VALU_DEP_3)
	v_add_nc_u32_e32 v35, v35, v31
	;;#ASMSTART
	global_store_b128 v[40:41], v[34:37] off scope:SCOPE_DEV	
s_wait_storecnt 0x0
	;;#ASMEND
	ds_store_b128 v37, v[30:33] offset:4096
.LBB331_86:
	s_or_b32 exec_lo, exec_lo, s15
	s_delay_alu instid0(SALU_CYCLE_1)
	s_and_b32 exec_lo, exec_lo, s2
; %bb.87:
	v_mov_b32_e32 v30, 0
	ds_store_b64 v30, v[32:33] offset:4168
.LBB331_88:
	s_or_b32 exec_lo, exec_lo, s18
	s_wait_dscnt 0x1
	v_dual_mov_b32 v32, 0 :: v_dual_cndmask_b32 v33, v46, v38, s14
	s_wait_dscnt 0x0
	s_barrier_signal -1
	s_barrier_wait -1
	ds_load_b64 v[30:31], v32 offset:4168
	v_cmp_eq_u32_e32 vcc_lo, 0, v33
	v_cndmask_b32_e64 v34, v47, v39, s14
	s_wait_dscnt 0x0
	s_barrier_signal -1
	s_barrier_wait -1
	v_cndmask_b32_e32 v35, 0, v31, vcc_lo
	v_cmp_eq_u32_e32 vcc_lo, 0, v95
	s_delay_alu instid0(VALU_DEP_2) | instskip(NEXT) | instid1(VALU_DEP_1)
	v_add_nc_u32_e32 v34, v35, v34
	v_cndmask_b32_e64 v63, v34, v31, s2
	s_delay_alu instid0(VALU_DEP_1) | instskip(NEXT) | instid1(VALU_DEP_1)
	v_cndmask_b32_e32 v31, 0, v63, vcc_lo
	v_add_nc_u32_e32 v67, v31, v75
	s_delay_alu instid0(VALU_DEP_1) | instskip(NEXT) | instid1(VALU_DEP_1)
	v_cndmask_b32_e64 v31, 0, v67, s13
	v_add_nc_u32_e32 v65, v31, v72
	s_delay_alu instid0(VALU_DEP_1) | instskip(NEXT) | instid1(VALU_DEP_1)
	v_cndmask_b32_e64 v31, 0, v65, s12
	;; [unrolled: 3-line block ×5, first 2 shown]
	v_add_nc_u32_e32 v49, v31, v90
	v_cndmask_b32_e64 v31, v33, 0, s2
	s_delay_alu instid0(VALU_DEP_1) | instskip(NEXT) | instid1(VALU_DEP_1)
	v_dual_cndmask_b32 v33, 0, v49, s8 :: v_dual_add_nc_u32 v62, v30, v31
	v_dual_add_nc_u32 v55, v33, v89 :: v_dual_add_nc_u32 v66, v62, v95
	s_delay_alu instid0(VALU_DEP_1) | instskip(NEXT) | instid1(VALU_DEP_1)
	v_dual_cndmask_b32 v30, 0, v55, s7 :: v_dual_add_nc_u32 v64, v66, v88
	v_dual_add_nc_u32 v59, v30, v93 :: v_dual_add_nc_u32 v60, v64, v87
	;; [unrolled: 3-line block ×3, first 2 shown]
	s_delay_alu instid0(VALU_DEP_1) | instskip(NEXT) | instid1(VALU_DEP_1)
	v_dual_cndmask_b32 v30, 0, v39, s5 :: v_dual_add_nc_u32 v48, v52, v80
	v_add_nc_u32_e32 v41, v30, v73
	s_delay_alu instid0(VALU_DEP_2) | instskip(NEXT) | instid1(VALU_DEP_1)
	v_add_nc_u32_e32 v54, v48, v81
	v_dual_cndmask_b32 v30, 0, v41, s4 :: v_dual_add_nc_u32 v58, v54, v79
	s_delay_alu instid0(VALU_DEP_1) | instskip(NEXT) | instid1(VALU_DEP_2)
	v_add_nc_u32_e32 v47, v30, v71
	v_add_nc_u32_e32 v38, v58, v78
	ds_load_b128 v[30:33], v32 offset:4096
	v_dual_cndmask_b32 v34, 0, v47, s3 :: v_dual_add_nc_u32 v40, v38, v76
	s_delay_alu instid0(VALU_DEP_1) | instskip(NEXT) | instid1(VALU_DEP_1)
	v_dual_add_nc_u32 v51, v34, v70 :: v_dual_add_nc_u32 v46, v40, v1
	v_dual_cndmask_b32 v34, 0, v51, s1 :: v_dual_add_nc_u32 v50, v46, v77
	s_delay_alu instid0(VALU_DEP_1) | instskip(NEXT) | instid1(VALU_DEP_2)
	v_add_nc_u32_e32 v44, v50, v84
	v_add_nc_u32_e32 v45, v34, v69
	s_wait_dscnt 0x0
	v_cmp_eq_u32_e32 vcc_lo, 0, v30
	s_delay_alu instid0(VALU_DEP_2) | instskip(SKIP_1) | instid1(VALU_DEP_1)
	v_dual_add_nc_u32 v36, v44, v83 :: v_dual_cndmask_b32 v34, 0, v45, s0
	v_cndmask_b32_e32 v33, 0, v33, vcc_lo
	v_dual_add_nc_u32 v37, v34, v68 :: v_dual_add_nc_u32 v34, v33, v31
	s_branch .LBB331_100
.LBB331_89:
	s_cmp_eq_u64 s[40:41], 0
	v_mov_b32_e32 v34, v75
	s_cselect_b32 s0, -1, 0
	s_delay_alu instid0(SALU_CYCLE_1) | instskip(NEXT) | instid1(SALU_CYCLE_1)
	s_or_b32 s0, s17, s0
	s_and_b32 vcc_lo, exec_lo, s0
	s_cbranch_vccnz .LBB331_91
; %bb.90:
	v_mov_b32_e32 v30, 0
	global_load_b32 v34, v30, s[40:41]
.LBB331_91:
	v_add3_u32 v31, v100, v80, v81
	v_cmp_eq_u32_e64 s7, 0, v88
	v_cmp_eq_u32_e64 s8, 0, v87
	;; [unrolled: 1-line block ×4, first 2 shown]
	v_add3_u32 v31, v31, v79, v78
	s_wait_xcnt 0x0
	v_dual_cndmask_b32 v30, 0, v75, s7 :: v_dual_bitop2_b32 v33, 15, v97 bitop3:0x40
	v_cmp_eq_u32_e64 s11, 0, v80
	v_cmp_eq_u32_e64 s12, 0, v81
	v_add3_u32 v31, v31, v76, v1
	v_cmp_eq_u32_e64 s6, 0, v79
	v_cmp_eq_u32_e64 s5, 0, v78
	v_cmp_eq_u32_e64 s4, 0, v76
	v_cmp_eq_u32_e64 s3, 0, v1
	v_add3_u32 v31, v31, v77, v84
	v_cmp_eq_u32_e64 s1, 0, v77
	v_cmp_eq_u32_e32 vcc_lo, 0, v84
	v_cmp_eq_u32_e64 s0, 0, v83
	v_cmp_eq_u32_e64 s13, 0, v86
	v_add3_u32 v31, v31, v83, v86
	v_add_nc_u32_e32 v30, v30, v72
	s_delay_alu instid0(VALU_DEP_2) | instskip(NEXT) | instid1(VALU_DEP_2)
	v_mov_b32_dpp v35, v31 row_shr:1 row_mask:0xf bank_mask:0xf
	v_cndmask_b32_e64 v30, 0, v30, s8
	s_delay_alu instid0(VALU_DEP_1) | instskip(NEXT) | instid1(VALU_DEP_1)
	v_add_nc_u32_e32 v30, v30, v74
	v_cndmask_b32_e64 v30, 0, v30, s9
	s_delay_alu instid0(VALU_DEP_1) | instskip(NEXT) | instid1(VALU_DEP_1)
	v_add_nc_u32_e32 v30, v30, v92
	;; [unrolled: 3-line block ×10, first 2 shown]
	v_cndmask_b32_e32 v30, 0, v30, vcc_lo
	s_delay_alu instid0(VALU_DEP_1) | instskip(NEXT) | instid1(VALU_DEP_1)
	v_add_nc_u32_e32 v30, v30, v69
	v_cndmask_b32_e64 v30, 0, v30, s0
	s_delay_alu instid0(VALU_DEP_1) | instskip(NEXT) | instid1(VALU_DEP_1)
	v_add_nc_u32_e32 v30, v30, v68
	v_cndmask_b32_e64 v30, 0, v30, s13
	v_cmp_eq_u32_e64 s13, 0, v31
	s_delay_alu instid0(VALU_DEP_2) | instskip(NEXT) | instid1(VALU_DEP_1)
	v_add_nc_u32_e32 v30, v30, v96
	v_mov_b32_dpp v32, v30 row_shr:1 row_mask:0xf bank_mask:0xf
	s_delay_alu instid0(VALU_DEP_1) | instskip(SKIP_1) | instid1(VALU_DEP_1)
	v_cndmask_b32_e64 v32, 0, v32, s13
	v_cmp_eq_u32_e64 s13, 0, v33
	v_cndmask_b32_e64 v35, v35, 0, s13
	s_delay_alu instid0(VALU_DEP_3) | instskip(SKIP_1) | instid1(VALU_DEP_2)
	v_cndmask_b32_e64 v32, v32, 0, s13
	v_cmp_lt_u32_e64 s13, 1, v33
	v_dual_add_nc_u32 v31, v35, v31 :: v_dual_add_nc_u32 v30, v32, v30
	s_delay_alu instid0(VALU_DEP_1) | instskip(SKIP_1) | instid1(VALU_DEP_3)
	v_mov_b32_dpp v32, v31 row_shr:2 row_mask:0xf bank_mask:0xf
	v_cmp_eq_u32_e64 s14, 0, v31
	v_mov_b32_dpp v35, v30 row_shr:2 row_mask:0xf bank_mask:0xf
	s_delay_alu instid0(VALU_DEP_3)
	v_cndmask_b32_e64 v32, 0, v32, s13
	s_and_b32 s13, s13, s14
	s_delay_alu instid0(VALU_DEP_2) | instid1(SALU_CYCLE_1)
	v_cndmask_b32_e64 v35, 0, v35, s13
	v_cmp_lt_u32_e64 s13, 3, v33
	s_delay_alu instid0(VALU_DEP_3) | instskip(NEXT) | instid1(VALU_DEP_3)
	v_add_nc_u32_e32 v31, v31, v32
	v_add_nc_u32_e32 v30, v35, v30
	s_delay_alu instid0(VALU_DEP_2) | instskip(SKIP_1) | instid1(VALU_DEP_3)
	v_mov_b32_dpp v32, v31 row_shr:4 row_mask:0xf bank_mask:0xf
	v_cmp_eq_u32_e64 s14, 0, v31
	v_mov_b32_dpp v35, v30 row_shr:4 row_mask:0xf bank_mask:0xf
	s_delay_alu instid0(VALU_DEP_3)
	v_cndmask_b32_e64 v32, 0, v32, s13
	s_and_b32 s13, s13, s14
	s_delay_alu instid0(VALU_DEP_2) | instid1(SALU_CYCLE_1)
	v_cndmask_b32_e64 v35, 0, v35, s13
	v_cmp_lt_u32_e64 s13, 7, v33
	s_delay_alu instid0(VALU_DEP_3) | instskip(NEXT) | instid1(VALU_DEP_3)
	v_add_nc_u32_e32 v31, v32, v31
	v_add_nc_u32_e32 v30, v30, v35
	v_bfe_i32 v35, v97, 4, 1
	s_delay_alu instid0(VALU_DEP_3) | instskip(SKIP_1) | instid1(VALU_DEP_4)
	v_mov_b32_dpp v32, v31 row_shr:8 row_mask:0xf bank_mask:0xf
	v_cmp_eq_u32_e64 s14, 0, v31
	v_mov_b32_dpp v33, v30 row_shr:8 row_mask:0xf bank_mask:0xf
	s_delay_alu instid0(VALU_DEP_3) | instskip(SKIP_2) | instid1(VALU_DEP_2)
	v_cndmask_b32_e64 v32, 0, v32, s13
	s_and_b32 s13, s13, s14
	s_mov_b32 s14, exec_lo
	v_cndmask_b32_e64 v33, 0, v33, s13
	s_delay_alu instid0(VALU_DEP_1) | instskip(SKIP_4) | instid1(VALU_DEP_1)
	v_dual_add_nc_u32 v33, v33, v30 :: v_dual_add_nc_u32 v30, v32, v31
	ds_swizzle_b32 v31, v33 offset:swizzle(BROADCAST,32,15)
	ds_swizzle_b32 v32, v30 offset:swizzle(BROADCAST,32,15)
	v_cmp_eq_u32_e64 s13, 0, v30
	s_wait_dscnt 0x0
	v_dual_cndmask_b32 v31, 0, v31, s13 :: v_dual_bitop2_b32 v32, v35, v32 bitop3:0x40
	s_delay_alu instid0(VALU_DEP_1) | instskip(NEXT) | instid1(VALU_DEP_1)
	v_dual_add_nc_u32 v30, v32, v30 :: v_dual_bitop2_b32 v31, v35, v31 bitop3:0x40
	v_dual_add_nc_u32 v31, v31, v33 :: v_dual_lshlrev_b32 v33, 3, v98
	v_cmpx_eq_u32_e64 v0, v99
; %bb.92:
	ds_store_b64 v33, v[30:31] offset:4112
; %bb.93:
	s_or_b32 exec_lo, exec_lo, s14
	s_delay_alu instid0(SALU_CYCLE_1)
	s_mov_b32 s15, exec_lo
	s_wait_loadcnt_dscnt 0x0
	s_barrier_signal -1
	s_barrier_wait -1
	v_cmpx_gt_u32_e32 8, v0
	s_cbranch_execz .LBB331_95
; %bb.94:
	v_dual_lshlrev_b32 v32, 3, v0 :: v_dual_bitop2_b32 v38, 7, v97 bitop3:0x40
	ds_load_b64 v[36:37], v32 offset:4112
	s_wait_dscnt 0x0
	v_mov_b32_dpp v35, v37 row_shr:1 row_mask:0xf bank_mask:0xf
	v_cmp_eq_u32_e64 s13, 0, v36
	v_mov_b32_dpp v39, v36 row_shr:1 row_mask:0xf bank_mask:0xf
	s_delay_alu instid0(VALU_DEP_2) | instskip(SKIP_1) | instid1(VALU_DEP_1)
	v_cndmask_b32_e64 v35, 0, v35, s13
	v_cmp_eq_u32_e64 s13, 0, v38
	v_cndmask_b32_e64 v39, v39, 0, s13
	s_delay_alu instid0(VALU_DEP_1) | instskip(NEXT) | instid1(VALU_DEP_4)
	v_add_nc_u32_e32 v36, v39, v36
	v_cndmask_b32_e64 v35, v35, 0, s13
	v_cmp_lt_u32_e64 s13, 1, v38
	s_delay_alu instid0(VALU_DEP_3) | instskip(NEXT) | instid1(VALU_DEP_3)
	v_cmp_eq_u32_e64 s14, 0, v36
	v_add_nc_u32_e32 v35, v35, v37
	v_mov_b32_dpp v37, v36 row_shr:2 row_mask:0xf bank_mask:0xf
	s_delay_alu instid0(VALU_DEP_1) | instskip(NEXT) | instid1(VALU_DEP_3)
	v_cndmask_b32_e64 v37, 0, v37, s13
	v_mov_b32_dpp v39, v35 row_shr:2 row_mask:0xf bank_mask:0xf
	s_and_b32 s13, s13, s14
	s_delay_alu instid0(VALU_DEP_1) | instid1(SALU_CYCLE_1)
	v_dual_add_nc_u32 v36, v37, v36 :: v_dual_cndmask_b32 v39, 0, v39, s13
	v_cmp_lt_u32_e64 s13, 3, v38
	s_delay_alu instid0(VALU_DEP_2) | instskip(NEXT) | instid1(VALU_DEP_3)
	v_mov_b32_dpp v37, v36 row_shr:4 row_mask:0xf bank_mask:0xf
	v_add_nc_u32_e32 v35, v39, v35
	v_cmp_eq_u32_e64 s14, 0, v36
	s_delay_alu instid0(VALU_DEP_3) | instskip(NEXT) | instid1(VALU_DEP_3)
	v_cndmask_b32_e64 v37, 0, v37, s13
	v_mov_b32_dpp v38, v35 row_shr:4 row_mask:0xf bank_mask:0xf
	s_and_b32 s13, s13, s14
	s_delay_alu instid0(VALU_DEP_1) | instid1(SALU_CYCLE_1)
	v_dual_add_nc_u32 v36, v37, v36 :: v_dual_cndmask_b32 v38, 0, v38, s13
	s_delay_alu instid0(VALU_DEP_1)
	v_add_nc_u32_e32 v37, v38, v35
	ds_store_b64 v32, v[36:37] offset:4112
.LBB331_95:
	s_or_b32 exec_lo, exec_lo, s15
	v_dual_mov_b32 v35, 0 :: v_dual_mov_b32 v32, 0
	v_mov_b32_e32 v36, v34
	s_mov_b32 s14, exec_lo
	s_wait_dscnt 0x0
	s_barrier_signal -1
	s_barrier_wait -1
	v_cmpx_lt_u32_e32 31, v0
	s_cbranch_execz .LBB331_97
; %bb.96:
	ds_load_b64 v[32:33], v33 offset:4104
	s_wait_dscnt 0x0
	v_cmp_eq_u32_e64 s13, 0, v32
	s_delay_alu instid0(VALU_DEP_1) | instskip(NEXT) | instid1(VALU_DEP_1)
	v_cndmask_b32_e64 v36, 0, v34, s13
	v_add_nc_u32_e32 v36, v36, v33
.LBB331_97:
	s_or_b32 exec_lo, exec_lo, s14
	v_sub_co_u32 v33, s13, v97, 1
	s_delay_alu instid0(VALU_DEP_1) | instskip(NEXT) | instid1(VALU_DEP_1)
	v_cmp_gt_i32_e64 s14, 0, v33
	v_cndmask_b32_e64 v33, v33, v97, s14
	v_cmp_eq_u32_e64 s14, 0, v30
	s_delay_alu instid0(VALU_DEP_1) | instskip(NEXT) | instid1(VALU_DEP_3)
	v_dual_cndmask_b32 v37, 0, v36, s14 :: v_dual_add_nc_u32 v30, v32, v30
	v_lshlrev_b32_e32 v33, 2, v33
	ds_bpermute_b32 v30, v33, v30
	s_wait_dscnt 0x0
	v_dual_add_nc_u32 v31, v37, v31 :: v_dual_cndmask_b32 v30, v30, v32, s13
	ds_bpermute_b32 v31, v33, v31
	v_cndmask_b32_e64 v62, v30, 0, s2
	s_delay_alu instid0(VALU_DEP_1) | instskip(NEXT) | instid1(VALU_DEP_1)
	v_add_nc_u32_e32 v66, v62, v95
	v_add_nc_u32_e32 v64, v66, v88
	s_wait_dscnt 0x0
	s_delay_alu instid0(VALU_DEP_1) | instskip(SKIP_1) | instid1(VALU_DEP_2)
	v_dual_add_nc_u32 v60, v64, v87 :: v_dual_cndmask_b32 v31, v31, v36, s13
	v_cmp_eq_u32_e64 s13, 0, v95
	v_dual_add_nc_u32 v56, v60, v85 :: v_dual_cndmask_b32 v63, v31, v34, s2
	s_delay_alu instid0(VALU_DEP_1) | instskip(NEXT) | instid1(VALU_DEP_1)
	v_dual_add_nc_u32 v52, v56, v82 :: v_dual_cndmask_b32 v31, 0, v63, s13
	v_add_nc_u32_e32 v67, v31, v75
	s_delay_alu instid0(VALU_DEP_1) | instskip(NEXT) | instid1(VALU_DEP_1)
	v_cndmask_b32_e64 v31, 0, v67, s7
	v_add_nc_u32_e32 v65, v31, v72
	s_delay_alu instid0(VALU_DEP_1) | instskip(NEXT) | instid1(VALU_DEP_1)
	v_cndmask_b32_e64 v31, 0, v65, s8
	;; [unrolled: 3-line block ×8, first 2 shown]
	v_add_nc_u32_e32 v39, v30, v91
	s_delay_alu instid0(VALU_DEP_1) | instskip(NEXT) | instid1(VALU_DEP_1)
	v_dual_cndmask_b32 v30, 0, v39, s4 :: v_dual_add_nc_u32 v48, v52, v80
	v_add_nc_u32_e32 v41, v30, v73
	s_delay_alu instid0(VALU_DEP_1) | instskip(NEXT) | instid1(VALU_DEP_1)
	v_cndmask_b32_e64 v30, 0, v41, s3
	v_dual_add_nc_u32 v54, v48, v81 :: v_dual_add_nc_u32 v47, v30, v71
	ds_load_b64 v[30:31], v35 offset:4168
	v_add_nc_u32_e32 v58, v54, v79
	s_delay_alu instid0(VALU_DEP_1) | instskip(NEXT) | instid1(VALU_DEP_1)
	v_dual_cndmask_b32 v32, 0, v47, s1 :: v_dual_add_nc_u32 v38, v58, v78
	v_dual_add_nc_u32 v51, v32, v70 :: v_dual_add_nc_u32 v40, v38, v76
	s_delay_alu instid0(VALU_DEP_1) | instskip(SKIP_2) | instid1(VALU_DEP_2)
	v_dual_cndmask_b32 v32, 0, v51, vcc_lo :: v_dual_add_nc_u32 v46, v40, v1
	s_wait_dscnt 0x0
	v_cmp_eq_u32_e32 vcc_lo, 0, v30
	v_dual_cndmask_b32 v33, 0, v34 :: v_dual_add_nc_u32 v50, v46, v77
	s_delay_alu instid0(VALU_DEP_1) | instskip(NEXT) | instid1(VALU_DEP_1)
	v_dual_add_nc_u32 v45, v32, v69 :: v_dual_add_nc_u32 v44, v50, v84
	v_dual_add_nc_u32 v34, v33, v31 :: v_dual_cndmask_b32 v32, 0, v45, s0
	s_delay_alu instid0(VALU_DEP_2) | instskip(NEXT) | instid1(VALU_DEP_2)
	v_add_nc_u32_e32 v36, v44, v83
	v_add_nc_u32_e32 v37, v32, v68
	s_and_saveexec_b32 s0, s2
	s_cbranch_execz .LBB331_99
; %bb.98:
	s_add_nc_u64 s[4:5], s[24:25], 0x200
	v_dual_mov_b32 v32, 2 :: v_dual_mov_b32 v33, 0
	v_mov_b32_e32 v31, v34
	v_mov_b64_e32 v[68:69], s[4:5]
	;;#ASMSTART
	global_store_b128 v[68:69], v[30:33] off scope:SCOPE_DEV	
s_wait_storecnt 0x0
	;;#ASMEND
.LBB331_99:
	s_or_b32 exec_lo, exec_lo, s0
	v_mov_b32_e32 v32, 0
.LBB331_100:
	s_cmp_eq_u64 s[22:23], 0
	v_mov_b64_e32 v[68:69], 0
	s_cselect_b32 s0, -1, 0
	s_delay_alu instid0(SALU_CYCLE_1)
	s_or_b32 s0, s17, s0
	s_barrier_signal -1
	s_and_b32 vcc_lo, exec_lo, s0
	s_barrier_wait -1
	s_cbranch_vccnz .LBB331_102
; %bb.101:
	v_mov_b32_e32 v31, 0
	global_load_b64 v[68:69], v31, s[22:23]
.LBB331_102:
	v_cmp_eq_u32_e32 vcc_lo, 0, v95
	s_wait_loadcnt 0x0
	v_lshlrev_b64_e32 v[70:71], 3, v[68:69]
	v_cmp_ne_u32_e64 s15, 0, v95
	v_cmp_ne_u32_e64 s14, 0, v88
	;; [unrolled: 1-line block ×3, first 2 shown]
	v_cndmask_b32_e64 v31, 1, 2, vcc_lo
	v_cmp_eq_u32_e32 vcc_lo, 0, v88
	v_cmp_ne_u32_e64 s12, 0, v85
	v_add_nc_u64_e32 v[74:75], s[36:37], v[70:71]
	v_cmp_ne_u32_e64 s11, 0, v82
	v_cmp_ne_u32_e64 s10, 0, v80
	v_cndmask_b32_e64 v33, 1, 2, vcc_lo
	v_cmp_eq_u32_e32 vcc_lo, 0, v87
	v_cmp_ne_u32_e64 s9, 0, v81
	v_cmp_ne_u32_e64 s8, 0, v79
	;; [unrolled: 1-line block ×4, first 2 shown]
	v_cndmask_b32_e64 v35, 1, 2, vcc_lo
	v_cmp_eq_u32_e32 vcc_lo, 0, v85
	v_cmp_ne_u32_e64 s5, 0, v1
	v_cmp_ne_u32_e64 s4, 0, v77
	;; [unrolled: 1-line block ×3, first 2 shown]
	v_bitop3_b16 v31, v33, v35, v31 bitop3:0x80
	v_cndmask_b32_e64 v35, 1, 2, vcc_lo
	v_cmp_eq_u32_e32 vcc_lo, 0, v82
	v_mov_b32_e32 v33, 0
	v_cmp_ne_u32_e64 s1, 0, v83
	v_cmp_ne_u32_e64 s0, 0, v86
	s_mov_b32 s17, -1
	v_cndmask_b32_e64 v72, 1, 2, vcc_lo
	v_cmp_eq_u32_e32 vcc_lo, 0, v80
	s_delay_alu instid0(VALU_DEP_2)
	v_bitop3_b16 v31, v31, v72, v35 bitop3:0x80
	v_cndmask_b32_e64 v35, 1, 2, vcc_lo
	v_cmp_eq_u32_e32 vcc_lo, 0, v81
	v_lshlrev_b64_e32 v[72:73], 3, v[32:33]
	v_cndmask_b32_e64 v89, 1, 2, vcc_lo
	v_cmp_eq_u32_e32 vcc_lo, 0, v79
	s_delay_alu instid0(VALU_DEP_3) | instskip(NEXT) | instid1(VALU_DEP_3)
	v_add_nc_u64_e32 v[74:75], v[74:75], v[72:73]
	v_bitop3_b16 v31, v31, v89, v35 bitop3:0x80
	v_cndmask_b32_e64 v35, 1, 2, vcc_lo
	v_cmp_eq_u32_e32 vcc_lo, 0, v78
	v_cndmask_b32_e64 v89, 1, 2, vcc_lo
	v_cmp_eq_u32_e32 vcc_lo, 0, v76
	s_delay_alu instid0(VALU_DEP_2) | instskip(SKIP_4) | instid1(VALU_DEP_2)
	v_bitop3_b16 v31, v31, v89, v35 bitop3:0x80
	v_cndmask_b32_e64 v35, 1, 2, vcc_lo
	v_cmp_eq_u32_e32 vcc_lo, 0, v1
	v_cndmask_b32_e64 v89, 1, 2, vcc_lo
	v_cmp_eq_u32_e32 vcc_lo, 0, v77
	v_bitop3_b16 v31, v31, v89, v35 bitop3:0x80
	v_cndmask_b32_e64 v35, 1, 2, vcc_lo
	v_cmp_eq_u32_e32 vcc_lo, 0, v84
	v_cndmask_b32_e64 v89, 1, 2, vcc_lo
	v_cmp_eq_u32_e32 vcc_lo, 0, v83
	s_delay_alu instid0(VALU_DEP_2) | instskip(SKIP_4) | instid1(VALU_DEP_2)
	v_bitop3_b16 v31, v31, v89, v35 bitop3:0x80
	v_cndmask_b32_e64 v35, 1, 2, vcc_lo
	v_cmp_eq_u32_e32 vcc_lo, 0, v86
	v_cndmask_b32_e64 v89, 1, 2, vcc_lo
	v_cmp_gt_u32_e32 vcc_lo, 0x100, v30
	v_bitop3_b16 v31, v31, v89, v35 bitop3:0x80
	s_delay_alu instid0(VALU_DEP_1)
	v_cmp_gt_i16_e64 s16, 2, v31
	s_cbranch_vccz .LBB331_109
; %bb.103:
	s_and_saveexec_b32 s17, s16
	s_cbranch_execz .LBB331_108
; %bb.104:
	s_mov_b32 s18, 0
	s_mov_b32 s16, exec_lo
	v_cmpx_ne_u16_e32 1, v31
	s_xor_b32 s16, exec_lo, s16
	s_cbranch_execnz .LBB331_140
; %bb.105:
	s_and_not1_saveexec_b32 s16, s16
	s_cbranch_execnz .LBB331_156
.LBB331_106:
	s_or_b32 exec_lo, exec_lo, s16
	s_delay_alu instid0(SALU_CYCLE_1)
	s_and_b32 exec_lo, exec_lo, s18
	s_cbranch_execz .LBB331_108
.LBB331_107:
	v_sub_nc_u32_e32 v35, v36, v32
	v_readfirstlane_b32 s18, v74
	v_readfirstlane_b32 s19, v75
	global_store_b64 v35, v[42:43], s[18:19] scale_offset
.LBB331_108:
	s_wait_xcnt 0x0
	s_or_b32 exec_lo, exec_lo, s17
	s_mov_b32 s17, 0
.LBB331_109:
	s_delay_alu instid0(SALU_CYCLE_1)
	s_and_b32 vcc_lo, exec_lo, s17
	s_cbranch_vccz .LBB331_119
; %bb.110:
	s_mov_b32 s16, exec_lo
	v_cmpx_gt_i16_e32 2, v31
	s_cbranch_execz .LBB331_115
; %bb.111:
	s_mov_b32 s18, 0
	s_mov_b32 s17, exec_lo
	v_cmpx_ne_u16_e32 1, v31
	s_xor_b32 s17, exec_lo, s17
	s_cbranch_execnz .LBB331_157
; %bb.112:
	s_and_not1_saveexec_b32 s0, s17
	s_cbranch_execnz .LBB331_173
.LBB331_113:
	s_or_b32 exec_lo, exec_lo, s0
	s_delay_alu instid0(SALU_CYCLE_1)
	s_and_b32 exec_lo, exec_lo, s18
.LBB331_114:
	v_sub_nc_u32_e32 v2, v36, v32
	s_delay_alu instid0(VALU_DEP_1)
	v_lshlrev_b32_e32 v2, 3, v2
	ds_store_b64 v2, v[42:43]
.LBB331_115:
	s_or_b32 exec_lo, exec_lo, s16
	s_delay_alu instid0(SALU_CYCLE_1)
	s_mov_b32 s0, exec_lo
	s_wait_storecnt_dscnt 0x0
	s_barrier_signal -1
	s_barrier_wait -1
	v_cmpx_lt_u32_e64 v0, v30
	s_cbranch_execz .LBB331_118
; %bb.116:
	v_dual_mov_b32 v3, v0 :: v_dual_lshlrev_b32 v2, 3, v0
	s_mov_b32 s1, 0
.LBB331_117:                            ; =>This Inner Loop Header: Depth=1
	ds_load_b64 v[4:5], v2
	v_readfirstlane_b32 s4, v74
	v_readfirstlane_b32 s5, v75
	v_add_nc_u32_e32 v2, 0x800, v2
	s_wait_dscnt 0x0
	global_store_b64 v3, v[4:5], s[4:5] scale_offset
	s_wait_xcnt 0x0
	v_add_nc_u32_e32 v3, 0x100, v3
	s_delay_alu instid0(VALU_DEP_1) | instskip(SKIP_1) | instid1(SALU_CYCLE_1)
	v_cmp_ge_u32_e32 vcc_lo, v3, v30
	s_or_b32 s1, vcc_lo, s1
	s_and_not1_b32 exec_lo, exec_lo, s1
	s_cbranch_execnz .LBB331_117
.LBB331_118:
	s_or_b32 exec_lo, exec_lo, s0
.LBB331_119:
	s_cmp_lg_u32 s42, 0xf00
	v_cndmask_b32_e64 v6, 0, 1, s29
	s_cselect_b32 s0, -1, 0
	v_mad_i32_i24 v4, v0, -15, s42
	s_and_b32 s0, s0, s33
	s_and_b32 s1, s2, s29
	v_cndmask_b32_e64 v3, 0, 1, s0
	s_mul_hi_u32 s0, s42, 0x88888889
	v_sub_nc_u32_e32 v2, v30, v6
	s_lshr_b32 s0, s0, 3
	v_cndmask_b32_e64 v5, v95, 0, s1
	v_cmp_eq_u32_e32 vcc_lo, s0, v0
	v_cmp_ne_u32_e64 s0, 0, v4
	v_add_nc_u32_e32 v8, v2, v3
	s_mov_b32 s16, -1
	s_wait_storecnt 0x0
	s_and_b32 vcc_lo, vcc_lo, s33
	v_cndmask_b32_e64 v2, 1, v5, s0
	v_cmp_ne_u32_e64 s0, 1, v4
	s_barrier_signal -1
	s_barrier_wait -1
	s_delay_alu instid0(VALU_DEP_1) | instskip(SKIP_1) | instid1(VALU_DEP_1)
	v_cndmask_b32_e64 v3, 1, v88, s0
	v_cmp_ne_u32_e64 s0, 2, v4
	v_cndmask_b32_e64 v7, 1, v87, s0
	v_cmp_ne_u32_e64 s0, 3, v4
	s_delay_alu instid0(VALU_DEP_1) | instskip(SKIP_2) | instid1(VALU_DEP_3)
	v_cndmask_b32_e64 v9, 1, v85, s0
	v_cmp_ne_u32_e64 s0, 4, v4
	v_cndmask_b32_e32 v21, v88, v3, vcc_lo
	v_dual_cndmask_b32 v7, v87, v7, vcc_lo :: v_dual_cndmask_b32 v9, v85, v9, vcc_lo
	s_delay_alu instid0(VALU_DEP_3) | instskip(SKIP_1) | instid1(VALU_DEP_4)
	v_cndmask_b32_e64 v10, 1, v82, s0
	v_cmp_ne_u32_e64 s0, 5, v4
	v_cmp_ne_u32_e64 s13, 0, v21
	s_delay_alu instid0(VALU_DEP_4) | instskip(SKIP_1) | instid1(VALU_DEP_4)
	v_cmp_ne_u32_e64 s12, 0, v7
	v_cmp_ne_u32_e64 s11, 0, v9
	v_cndmask_b32_e64 v11, 1, v80, s0
	v_cmp_ne_u32_e64 s0, 6, v4
	s_delay_alu instid0(VALU_DEP_2) | instskip(NEXT) | instid1(VALU_DEP_2)
	v_dual_cndmask_b32 v10, v82, v10 :: v_dual_cndmask_b32 v11, v80, v11
	v_cndmask_b32_e64 v12, 1, v81, s0
	v_cmp_ne_u32_e64 s0, 7, v4
	s_delay_alu instid0(VALU_DEP_3) | instskip(NEXT) | instid1(VALU_DEP_2)
	v_cmp_ne_u32_e64 s10, 0, v10
	v_cndmask_b32_e64 v13, 1, v79, s0
	v_cmp_ne_u32_e64 s0, 8, v4
	s_delay_alu instid0(VALU_DEP_2) | instskip(NEXT) | instid1(VALU_DEP_2)
	v_dual_cndmask_b32 v12, v81, v12 :: v_dual_cndmask_b32 v13, v79, v13
	v_cndmask_b32_e64 v14, 1, v78, s0
	v_cmp_ne_u32_e64 s0, 9, v4
	s_delay_alu instid0(VALU_DEP_3) | instskip(NEXT) | instid1(VALU_DEP_4)
	v_cmp_ne_u32_e64 s8, 0, v12
	v_cmp_ne_u32_e64 s7, 0, v13
	s_delay_alu instid0(VALU_DEP_3) | instskip(SKIP_1) | instid1(VALU_DEP_1)
	v_cndmask_b32_e64 v15, 1, v76, s0
	v_cmp_ne_u32_e64 s0, 10, v4
	v_dual_cndmask_b32 v14, v78, v14, vcc_lo :: v_dual_cndmask_b32 v16, 1, v1, s0
	v_cmp_ne_u32_e64 s0, 11, v4
	s_delay_alu instid0(VALU_DEP_2) | instskip(NEXT) | instid1(VALU_DEP_2)
	v_cmp_ne_u32_e64 s6, 0, v14
	v_cndmask_b32_e64 v17, 1, v77, s0
	v_cmp_ne_u32_e64 s0, 14, v4
	s_delay_alu instid0(VALU_DEP_1) | instskip(SKIP_3) | instid1(VALU_DEP_3)
	v_cndmask_b32_e64 v18, 1, v86, s0
	v_cmp_ne_u32_e64 s0, 13, v4
	v_dual_cndmask_b32 v15, v76, v15 :: v_dual_cndmask_b32 v16, v1, v16
	v_add_nc_u32_e32 v1, v32, v6
	v_dual_cndmask_b32 v18, v86, v18, vcc_lo :: v_dual_cndmask_b32 v19, 1, v83, s0
	v_cmp_ne_u32_e64 s0, 12, v4
	v_cndmask_b32_e32 v20, v5, v2, vcc_lo
	v_cndmask_b32_e32 v17, v77, v17, vcc_lo
	v_add_nc_u64_e32 v[2:3], s[38:39], v[70:71]
	s_delay_alu instid0(VALU_DEP_4) | instskip(NEXT) | instid1(VALU_DEP_4)
	v_dual_cndmask_b32 v19, v83, v19, vcc_lo :: v_dual_cndmask_b32 v4, 1, v84, s0
	v_cmp_eq_u32_e64 s0, 0, v20
	v_cmp_ne_u32_e64 s14, 0, v20
	v_cmp_ne_u32_e64 s5, 0, v15
	;; [unrolled: 1-line block ×3, first 2 shown]
	v_cndmask_b32_e32 v22, v84, v4, vcc_lo
	v_cndmask_b32_e64 v4, 1, 2, s0
	v_cmp_eq_u32_e64 s0, 0, v21
	v_cmp_eq_u32_e32 vcc_lo, 0, v15
	v_add_nc_u64_e32 v[2:3], v[2:3], v[72:73]
	v_cmp_ne_u32_e64 s3, 0, v17
	v_cmp_ne_u32_e64 s2, 0, v22
	v_cndmask_b32_e64 v5, 1, 2, s0
	v_cmp_eq_u32_e64 s0, 0, v7
	v_cmp_ne_u32_e64 s1, 0, v19
	s_delay_alu instid0(VALU_DEP_2) | instskip(SKIP_1) | instid1(VALU_DEP_2)
	v_cndmask_b32_e64 v23, 1, 2, s0
	v_cmp_eq_u32_e64 s0, 0, v9
	v_bitop3_b16 v23, v5, v23, v4 bitop3:0x80
	s_delay_alu instid0(VALU_DEP_2) | instskip(SKIP_3) | instid1(VALU_DEP_3)
	v_cndmask_b32_e64 v24, 1, 2, s0
	v_cmp_eq_u32_e64 s0, 0, v10
	v_dual_mov_b32 v5, 0 :: v_dual_lshlrev_b32 v4, 3, v6
	v_cmp_ne_u32_e64 s9, 0, v11
	v_cndmask_b32_e64 v25, 1, 2, s0
	v_cmp_eq_u32_e64 s0, 0, v11
	s_delay_alu instid0(VALU_DEP_4) | instskip(NEXT) | instid1(VALU_DEP_3)
	v_add_nc_u64_e32 v[4:5], v[2:3], v[4:5]
	v_bitop3_b16 v23, v23, v25, v24 bitop3:0x80
	s_delay_alu instid0(VALU_DEP_3) | instskip(SKIP_1) | instid1(VALU_DEP_4)
	v_cndmask_b32_e64 v24, 1, 2, s0
	v_cmp_eq_u32_e64 s0, 0, v12
	v_add_nc_u64_e32 v[4:5], -8, v[4:5]
	s_delay_alu instid0(VALU_DEP_2) | instskip(SKIP_1) | instid1(VALU_DEP_2)
	v_cndmask_b32_e64 v25, 1, 2, s0
	v_cmp_eq_u32_e64 s0, 0, v13
	v_bitop3_b16 v23, v23, v25, v24 bitop3:0x80
	s_delay_alu instid0(VALU_DEP_2) | instskip(SKIP_1) | instid1(VALU_DEP_1)
	v_cndmask_b32_e64 v24, 1, 2, s0
	v_cmp_eq_u32_e64 s0, 0, v14
	v_cndmask_b32_e64 v25, 1, 2, s0
	v_cmp_ne_u32_e64 s0, 0, v18
	s_delay_alu instid0(VALU_DEP_2) | instskip(SKIP_4) | instid1(VALU_DEP_2)
	v_bitop3_b16 v6, v23, v25, v24 bitop3:0x80
	v_cndmask_b32_e64 v23, 1, 2, vcc_lo
	v_cmp_eq_u32_e32 vcc_lo, 0, v16
	v_cndmask_b32_e64 v24, 1, 2, vcc_lo
	v_cmp_eq_u32_e32 vcc_lo, 0, v17
	v_bitop3_b16 v6, v6, v24, v23 bitop3:0x80
	v_cndmask_b32_e64 v7, 1, 2, vcc_lo
	v_cmp_eq_u32_e32 vcc_lo, 0, v22
	v_cndmask_b32_e64 v9, 1, 2, vcc_lo
	v_cmp_eq_u32_e32 vcc_lo, 0, v19
	s_delay_alu instid0(VALU_DEP_2) | instskip(SKIP_4) | instid1(VALU_DEP_2)
	v_bitop3_b16 v6, v6, v9, v7 bitop3:0x80
	v_cndmask_b32_e64 v7, 1, 2, vcc_lo
	v_cmp_eq_u32_e32 vcc_lo, 0, v18
	v_cndmask_b32_e64 v9, 1, 2, vcc_lo
	v_cmp_gt_u32_e32 vcc_lo, 0x100, v8
	v_bitop3_b16 v6, v6, v9, v7 bitop3:0x80
	s_delay_alu instid0(VALU_DEP_1)
	v_cmp_gt_i16_e64 s15, 2, v6
	s_cbranch_vccnz .LBB331_123
; %bb.120:
	s_and_b32 vcc_lo, exec_lo, s16
	s_cbranch_vccnz .LBB331_129
.LBB331_121:
	v_cmp_eq_u32_e32 vcc_lo, 0xff, v0
	s_and_b32 s0, vcc_lo, s33
	s_delay_alu instid0(SALU_CYCLE_1)
	s_and_saveexec_b32 s1, s0
	s_cbranch_execnz .LBB331_138
.LBB331_122:
	s_sendmsg sendmsg(MSG_DEALLOC_VGPRS)
	s_endpgm
.LBB331_123:
	s_and_saveexec_b32 s16, s15
	s_cbranch_execz .LBB331_128
; %bb.124:
	s_mov_b32 s17, 0
	s_mov_b32 s15, exec_lo
	v_cmpx_ne_u16_e32 1, v6
	s_xor_b32 s15, exec_lo, s15
	s_cbranch_execnz .LBB331_174
; %bb.125:
	s_and_not1_saveexec_b32 s15, s15
	s_cbranch_execnz .LBB331_190
.LBB331_126:
	s_or_b32 exec_lo, exec_lo, s15
	s_delay_alu instid0(SALU_CYCLE_1)
	s_and_b32 exec_lo, exec_lo, s17
	s_cbranch_execz .LBB331_128
.LBB331_127:
	v_dual_mov_b32 v11, 0 :: v_dual_mov_b32 v10, v37
	v_sub_nc_u32_e32 v7, v36, v1
	v_readfirstlane_b32 s18, v4
	v_readfirstlane_b32 s19, v5
	global_store_b64 v7, v[10:11], s[18:19] scale_offset
.LBB331_128:
	s_wait_xcnt 0x0
	s_or_b32 exec_lo, exec_lo, s16
	s_branch .LBB331_121
.LBB331_129:
	s_mov_b32 s15, exec_lo
	v_cmpx_gt_i16_e32 2, v6
	s_cbranch_execz .LBB331_134
; %bb.130:
	s_mov_b32 s17, 0
	s_mov_b32 s16, exec_lo
	v_cmpx_ne_u16_e32 1, v6
	s_xor_b32 s16, exec_lo, s16
	s_cbranch_execnz .LBB331_191
; %bb.131:
	s_and_not1_saveexec_b32 s0, s16
	s_cbranch_execnz .LBB331_207
.LBB331_132:
	s_or_b32 exec_lo, exec_lo, s0
	s_delay_alu instid0(SALU_CYCLE_1)
	s_and_b32 exec_lo, exec_lo, s17
.LBB331_133:
	v_sub_nc_u32_e32 v1, v36, v1
	s_delay_alu instid0(VALU_DEP_1)
	v_lshlrev_b32_e32 v1, 2, v1
	ds_store_b32 v1, v37
.LBB331_134:
	s_or_b32 exec_lo, exec_lo, s15
	s_delay_alu instid0(SALU_CYCLE_1)
	s_mov_b32 s0, exec_lo
	s_wait_storecnt_dscnt 0x0
	s_barrier_signal -1
	s_barrier_wait -1
	v_cmpx_lt_u32_e64 v0, v8
	s_cbranch_execz .LBB331_137
; %bb.135:
	v_dual_lshlrev_b32 v1, 2, v0 :: v_dual_mov_b32 v7, 0
	v_mov_b32_e32 v9, v0
	s_mov_b32 s1, 0
.LBB331_136:                            ; =>This Inner Loop Header: Depth=1
	ds_load_b32 v6, v1
	v_readfirstlane_b32 s2, v4
	v_readfirstlane_b32 s3, v5
	v_add_nc_u32_e32 v1, 0x400, v1
	s_wait_dscnt 0x0
	global_store_b64 v9, v[6:7], s[2:3] scale_offset
	s_wait_xcnt 0x0
	v_add_nc_u32_e32 v9, 0x100, v9
	s_delay_alu instid0(VALU_DEP_1) | instskip(SKIP_1) | instid1(SALU_CYCLE_1)
	v_cmp_ge_u32_e32 vcc_lo, v9, v8
	s_or_b32 s1, vcc_lo, s1
	s_and_not1_b32 exec_lo, exec_lo, s1
	s_cbranch_execnz .LBB331_136
.LBB331_137:
	s_or_b32 exec_lo, exec_lo, s0
	v_cmp_eq_u32_e32 vcc_lo, 0xff, v0
	s_and_b32 s0, vcc_lo, s33
	s_delay_alu instid0(SALU_CYCLE_1)
	s_and_saveexec_b32 s1, s0
	s_cbranch_execz .LBB331_122
.LBB331_138:
	v_mov_b32_e32 v31, 0
	s_cmp_lg_u32 s42, 0xf00
	s_delay_alu instid0(VALU_DEP_1) | instskip(NEXT) | instid1(VALU_DEP_1)
	v_add_nc_u64_e32 v[0:1], v[30:31], v[32:33]
	v_add_nc_u64_e32 v[0:1], v[0:1], v[68:69]
	global_store_b64 v31, v[0:1], s[34:35]
	s_cbranch_scc1 .LBB331_122
; %bb.139:
	s_wait_xcnt 0x0
	v_lshlrev_b64_e32 v[0:1], 3, v[30:31]
	v_mov_b32_e32 v35, v31
	s_delay_alu instid0(VALU_DEP_2)
	v_add_nc_u64_e32 v[0:1], v[2:3], v[0:1]
	global_store_b64 v[0:1], v[34:35], off offset:-8
	s_sendmsg sendmsg(MSG_DEALLOC_VGPRS)
	s_endpgm
.LBB331_140:
	s_and_saveexec_b32 s18, s15
	s_cbranch_execnz .LBB331_208
; %bb.141:
	s_or_b32 exec_lo, exec_lo, s18
	s_and_saveexec_b32 s18, s14
	s_cbranch_execnz .LBB331_209
.LBB331_142:
	s_or_b32 exec_lo, exec_lo, s18
	s_and_saveexec_b32 s18, s13
	s_cbranch_execnz .LBB331_210
.LBB331_143:
	s_or_b32 exec_lo, exec_lo, s18
	s_and_saveexec_b32 s18, s12
	s_cbranch_execnz .LBB331_211
.LBB331_144:
	s_or_b32 exec_lo, exec_lo, s18
	s_and_saveexec_b32 s18, s11
	s_cbranch_execnz .LBB331_212
.LBB331_145:
	s_or_b32 exec_lo, exec_lo, s18
	s_and_saveexec_b32 s18, s10
	s_cbranch_execnz .LBB331_213
.LBB331_146:
	s_or_b32 exec_lo, exec_lo, s18
	s_and_saveexec_b32 s18, s9
	s_cbranch_execnz .LBB331_214
.LBB331_147:
	s_or_b32 exec_lo, exec_lo, s18
	s_and_saveexec_b32 s18, s8
	s_cbranch_execnz .LBB331_215
.LBB331_148:
	s_or_b32 exec_lo, exec_lo, s18
	s_and_saveexec_b32 s18, s7
	s_cbranch_execnz .LBB331_216
.LBB331_149:
	s_or_b32 exec_lo, exec_lo, s18
	s_and_saveexec_b32 s18, s6
	s_cbranch_execnz .LBB331_217
.LBB331_150:
	s_or_b32 exec_lo, exec_lo, s18
	s_and_saveexec_b32 s18, s5
	s_cbranch_execnz .LBB331_218
.LBB331_151:
	s_or_b32 exec_lo, exec_lo, s18
	s_and_saveexec_b32 s18, s4
	s_cbranch_execnz .LBB331_219
.LBB331_152:
	s_or_b32 exec_lo, exec_lo, s18
	s_and_saveexec_b32 s18, s3
	s_cbranch_execnz .LBB331_220
.LBB331_153:
	s_or_b32 exec_lo, exec_lo, s18
	s_and_saveexec_b32 s18, s1
	s_cbranch_execz .LBB331_155
.LBB331_154:
	v_sub_nc_u32_e32 v35, v44, v32
	v_readfirstlane_b32 s20, v74
	v_readfirstlane_b32 s21, v75
	global_store_b64 v35, v[4:5], s[20:21] scale_offset
.LBB331_155:
	s_wait_xcnt 0x0
	s_or_b32 exec_lo, exec_lo, s18
	s_delay_alu instid0(SALU_CYCLE_1)
	s_and_b32 s18, s0, exec_lo
	s_and_not1_saveexec_b32 s16, s16
	s_cbranch_execz .LBB331_106
.LBB331_156:
	v_dual_sub_nc_u32 v35, v62, v32 :: v_dual_sub_nc_u32 v90, v64, v32
	v_readfirstlane_b32 s20, v74
	v_readfirstlane_b32 s21, v75
	v_dual_sub_nc_u32 v89, v66, v32 :: v_dual_sub_nc_u32 v91, v60, v32
	s_clause 0x2
	global_store_b64 v35, v[26:27], s[20:21] scale_offset
	global_store_b64 v89, v[28:29], s[20:21] scale_offset
	;; [unrolled: 1-line block ×3, first 2 shown]
	s_wait_xcnt 0x2
	v_sub_nc_u32_e32 v35, v56, v32
	s_wait_xcnt 0x1
	v_sub_nc_u32_e32 v89, v52, v32
	;; [unrolled: 2-line block ×3, first 2 shown]
	global_store_b64 v91, v[24:25], s[20:21] scale_offset
	s_wait_xcnt 0x0
	v_sub_nc_u32_e32 v91, v54, v32
	global_store_b64 v35, v[18:19], s[20:21] scale_offset
	s_wait_xcnt 0x0
	v_sub_nc_u32_e32 v35, v58, v32
	s_clause 0x2
	global_store_b64 v89, v[20:21], s[20:21] scale_offset
	global_store_b64 v90, v[14:15], s[20:21] scale_offset
	;; [unrolled: 1-line block ×3, first 2 shown]
	s_wait_xcnt 0x2
	v_sub_nc_u32_e32 v89, v38, v32
	s_wait_xcnt 0x0
	v_sub_nc_u32_e32 v91, v50, v32
	v_sub_nc_u32_e32 v90, v46, v32
	global_store_b64 v35, v[10:11], s[20:21] scale_offset
	s_wait_xcnt 0x0
	v_sub_nc_u32_e32 v35, v40, v32
	global_store_b64 v89, v[12:13], s[20:21] scale_offset
	s_wait_xcnt 0x0
	v_sub_nc_u32_e32 v89, v44, v32
	s_or_b32 s18, s18, exec_lo
	s_clause 0x3
	global_store_b64 v35, v[6:7], s[20:21] scale_offset
	global_store_b64 v90, v[8:9], s[20:21] scale_offset
	;; [unrolled: 1-line block ×4, first 2 shown]
	s_wait_xcnt 0x0
	s_or_b32 exec_lo, exec_lo, s16
	s_delay_alu instid0(SALU_CYCLE_1)
	s_and_b32 exec_lo, exec_lo, s18
	s_cbranch_execnz .LBB331_107
	s_branch .LBB331_108
.LBB331_157:
	s_and_saveexec_b32 s18, s15
	s_cbranch_execnz .LBB331_221
; %bb.158:
	s_or_b32 exec_lo, exec_lo, s18
	s_and_saveexec_b32 s15, s14
	s_cbranch_execnz .LBB331_222
.LBB331_159:
	s_or_b32 exec_lo, exec_lo, s15
	s_and_saveexec_b32 s14, s13
	s_cbranch_execnz .LBB331_223
.LBB331_160:
	s_or_b32 exec_lo, exec_lo, s14
	s_and_saveexec_b32 s13, s12
	s_cbranch_execnz .LBB331_224
.LBB331_161:
	s_or_b32 exec_lo, exec_lo, s13
	s_and_saveexec_b32 s12, s11
	s_cbranch_execnz .LBB331_225
.LBB331_162:
	s_or_b32 exec_lo, exec_lo, s12
	s_and_saveexec_b32 s11, s10
	s_cbranch_execnz .LBB331_226
.LBB331_163:
	s_or_b32 exec_lo, exec_lo, s11
	s_and_saveexec_b32 s10, s9
	s_cbranch_execnz .LBB331_227
.LBB331_164:
	s_or_b32 exec_lo, exec_lo, s10
	s_and_saveexec_b32 s9, s8
	s_cbranch_execnz .LBB331_228
.LBB331_165:
	s_or_b32 exec_lo, exec_lo, s9
	s_and_saveexec_b32 s8, s7
	s_cbranch_execnz .LBB331_229
.LBB331_166:
	s_or_b32 exec_lo, exec_lo, s8
	s_and_saveexec_b32 s7, s6
	s_cbranch_execnz .LBB331_230
.LBB331_167:
	s_or_b32 exec_lo, exec_lo, s7
	s_and_saveexec_b32 s6, s5
	s_cbranch_execnz .LBB331_231
.LBB331_168:
	s_or_b32 exec_lo, exec_lo, s6
	s_and_saveexec_b32 s5, s4
	s_cbranch_execnz .LBB331_232
.LBB331_169:
	s_or_b32 exec_lo, exec_lo, s5
	s_and_saveexec_b32 s4, s3
	s_cbranch_execnz .LBB331_233
.LBB331_170:
	s_or_b32 exec_lo, exec_lo, s4
	s_and_saveexec_b32 s3, s1
.LBB331_171:
	v_sub_nc_u32_e32 v2, v44, v32
	s_delay_alu instid0(VALU_DEP_1)
	v_lshlrev_b32_e32 v2, 3, v2
	ds_store_b64 v2, v[4:5]
.LBB331_172:
	s_or_b32 exec_lo, exec_lo, s3
	s_delay_alu instid0(SALU_CYCLE_1)
	s_and_b32 s18, s0, exec_lo
                                        ; implicit-def: $vgpr2_vgpr3
                                        ; implicit-def: $vgpr6_vgpr7
                                        ; implicit-def: $vgpr10_vgpr11
                                        ; implicit-def: $vgpr14_vgpr15
                                        ; implicit-def: $vgpr18_vgpr19
                                        ; implicit-def: $vgpr22_vgpr23
                                        ; implicit-def: $vgpr26_vgpr27
	s_and_not1_saveexec_b32 s0, s17
	s_cbranch_execz .LBB331_113
.LBB331_173:
	v_dual_sub_nc_u32 v31, v62, v32 :: v_dual_sub_nc_u32 v89, v64, v32
	v_dual_sub_nc_u32 v35, v66, v32 :: v_dual_sub_nc_u32 v90, v60, v32
	s_or_b32 s18, s18, exec_lo
	s_delay_alu instid0(VALU_DEP_2) | instskip(NEXT) | instid1(VALU_DEP_2)
	v_dual_lshlrev_b32 v31, 3, v31 :: v_dual_lshlrev_b32 v89, 3, v89
	v_dual_lshlrev_b32 v35, 3, v35 :: v_dual_lshlrev_b32 v90, 3, v90
	ds_store_b64 v31, v[26:27]
	ds_store_b64 v35, v[28:29]
	;; [unrolled: 1-line block ×3, first 2 shown]
	v_sub_nc_u32_e32 v22, v56, v32
	ds_store_b64 v90, v[24:25]
	v_dual_sub_nc_u32 v25, v54, v32 :: v_dual_sub_nc_u32 v23, v52, v32
	v_dual_sub_nc_u32 v24, v48, v32 :: v_dual_sub_nc_u32 v26, v58, v32
	s_delay_alu instid0(VALU_DEP_2) | instskip(NEXT) | instid1(VALU_DEP_2)
	v_dual_lshlrev_b32 v22, 3, v22 :: v_dual_lshlrev_b32 v25, 3, v25
	v_dual_lshlrev_b32 v23, 3, v23 :: v_dual_lshlrev_b32 v24, 3, v24
	ds_store_b64 v22, v[18:19]
	v_lshlrev_b32_e32 v18, 3, v26
	ds_store_b64 v23, v[20:21]
	ds_store_b64 v24, v[14:15]
	;; [unrolled: 1-line block ×3, first 2 shown]
	v_sub_nc_u32_e32 v14, v38, v32
	v_dual_sub_nc_u32 v15, v50, v32 :: v_dual_sub_nc_u32 v16, v44, v32
	ds_store_b64 v18, v[10:11]
	v_dual_sub_nc_u32 v10, v40, v32 :: v_dual_sub_nc_u32 v11, v46, v32
	v_dual_lshlrev_b32 v14, 3, v14 :: v_dual_lshlrev_b32 v15, 3, v15
	s_delay_alu instid0(VALU_DEP_2)
	v_dual_lshlrev_b32 v10, 3, v10 :: v_dual_lshlrev_b32 v11, 3, v11
	ds_store_b64 v14, v[12:13]
	v_lshlrev_b32_e32 v12, 3, v16
	ds_store_b64 v10, v[6:7]
	ds_store_b64 v11, v[8:9]
	;; [unrolled: 1-line block ×4, first 2 shown]
	s_or_b32 exec_lo, exec_lo, s0
	s_delay_alu instid0(SALU_CYCLE_1)
	s_and_b32 exec_lo, exec_lo, s18
	s_cbranch_execnz .LBB331_114
	s_branch .LBB331_115
.LBB331_174:
	s_and_saveexec_b32 s17, s14
	s_cbranch_execnz .LBB331_234
; %bb.175:
	s_or_b32 exec_lo, exec_lo, s17
	s_and_saveexec_b32 s17, s13
	s_cbranch_execnz .LBB331_235
.LBB331_176:
	s_or_b32 exec_lo, exec_lo, s17
	s_and_saveexec_b32 s17, s12
	s_cbranch_execnz .LBB331_236
.LBB331_177:
	s_or_b32 exec_lo, exec_lo, s17
	s_and_saveexec_b32 s17, s11
	s_cbranch_execnz .LBB331_237
.LBB331_178:
	s_or_b32 exec_lo, exec_lo, s17
	s_and_saveexec_b32 s17, s10
	s_cbranch_execnz .LBB331_238
.LBB331_179:
	s_or_b32 exec_lo, exec_lo, s17
	s_and_saveexec_b32 s17, s9
	s_cbranch_execnz .LBB331_239
.LBB331_180:
	s_or_b32 exec_lo, exec_lo, s17
	s_and_saveexec_b32 s17, s8
	s_cbranch_execnz .LBB331_240
.LBB331_181:
	s_or_b32 exec_lo, exec_lo, s17
	s_and_saveexec_b32 s17, s7
	s_cbranch_execnz .LBB331_241
.LBB331_182:
	s_or_b32 exec_lo, exec_lo, s17
	s_and_saveexec_b32 s17, s6
	s_cbranch_execnz .LBB331_242
.LBB331_183:
	s_or_b32 exec_lo, exec_lo, s17
	s_and_saveexec_b32 s17, s5
	s_cbranch_execnz .LBB331_243
.LBB331_184:
	s_or_b32 exec_lo, exec_lo, s17
	s_and_saveexec_b32 s17, s4
	s_cbranch_execnz .LBB331_244
.LBB331_185:
	s_or_b32 exec_lo, exec_lo, s17
	s_and_saveexec_b32 s17, s3
	s_cbranch_execnz .LBB331_245
.LBB331_186:
	s_or_b32 exec_lo, exec_lo, s17
	s_and_saveexec_b32 s17, s2
	s_cbranch_execnz .LBB331_246
.LBB331_187:
	s_or_b32 exec_lo, exec_lo, s17
	s_and_saveexec_b32 s17, s1
	s_cbranch_execz .LBB331_189
.LBB331_188:
	v_dual_sub_nc_u32 v7, v44, v1 :: v_dual_mov_b32 v11, 0
	v_mov_b32_e32 v10, v45
	v_readfirstlane_b32 s18, v4
	v_readfirstlane_b32 s19, v5
	global_store_b64 v7, v[10:11], s[18:19] scale_offset
.LBB331_189:
	s_wait_xcnt 0x0
	s_or_b32 exec_lo, exec_lo, s17
	s_delay_alu instid0(SALU_CYCLE_1)
	s_and_b32 s17, s0, exec_lo
	s_and_not1_saveexec_b32 s15, s15
	s_cbranch_execz .LBB331_126
.LBB331_190:
	v_dual_mov_b32 v11, 0 :: v_dual_mov_b32 v10, v63
	v_sub_nc_u32_e32 v7, v62, v1
	v_readfirstlane_b32 s18, v4
	v_readfirstlane_b32 s19, v5
	v_sub_nc_u32_e32 v9, v64, v1
	s_or_b32 s17, s17, exec_lo
	global_store_b64 v7, v[10:11], s[18:19] scale_offset
	s_wait_xcnt 0x0
	v_dual_mov_b32 v10, v67 :: v_dual_sub_nc_u32 v7, v66, v1
	global_store_b64 v7, v[10:11], s[18:19] scale_offset
	s_wait_xcnt 0x0
	v_dual_mov_b32 v10, v65 :: v_dual_sub_nc_u32 v7, v60, v1
	;; [unrolled: 3-line block ×12, first 2 shown]
	global_store_b64 v9, v[10:11], s[18:19] scale_offset
	s_wait_xcnt 0x0
	v_mov_b32_e32 v10, v45
	global_store_b64 v7, v[10:11], s[18:19] scale_offset
	s_wait_xcnt 0x0
	s_or_b32 exec_lo, exec_lo, s15
	s_delay_alu instid0(SALU_CYCLE_1)
	s_and_b32 exec_lo, exec_lo, s17
	s_cbranch_execnz .LBB331_127
	s_branch .LBB331_128
.LBB331_191:
	s_and_saveexec_b32 s17, s14
	s_cbranch_execnz .LBB331_247
; %bb.192:
	s_or_b32 exec_lo, exec_lo, s17
	s_and_saveexec_b32 s14, s13
	s_cbranch_execnz .LBB331_248
.LBB331_193:
	s_or_b32 exec_lo, exec_lo, s14
	s_and_saveexec_b32 s13, s12
	s_cbranch_execnz .LBB331_249
.LBB331_194:
	s_or_b32 exec_lo, exec_lo, s13
	s_and_saveexec_b32 s12, s11
	s_cbranch_execnz .LBB331_250
.LBB331_195:
	s_or_b32 exec_lo, exec_lo, s12
	s_and_saveexec_b32 s11, s10
	s_cbranch_execnz .LBB331_251
.LBB331_196:
	s_or_b32 exec_lo, exec_lo, s11
	s_and_saveexec_b32 s10, s9
	s_cbranch_execnz .LBB331_252
.LBB331_197:
	s_or_b32 exec_lo, exec_lo, s10
	s_and_saveexec_b32 s9, s8
	s_cbranch_execnz .LBB331_253
.LBB331_198:
	s_or_b32 exec_lo, exec_lo, s9
	s_and_saveexec_b32 s8, s7
	s_cbranch_execnz .LBB331_254
.LBB331_199:
	s_or_b32 exec_lo, exec_lo, s8
	s_and_saveexec_b32 s7, s6
	s_cbranch_execnz .LBB331_255
.LBB331_200:
	s_or_b32 exec_lo, exec_lo, s7
	s_and_saveexec_b32 s6, s5
	s_cbranch_execnz .LBB331_256
.LBB331_201:
	s_or_b32 exec_lo, exec_lo, s6
	s_and_saveexec_b32 s5, s4
	s_cbranch_execnz .LBB331_257
.LBB331_202:
	s_or_b32 exec_lo, exec_lo, s5
	s_and_saveexec_b32 s4, s3
	s_cbranch_execnz .LBB331_258
.LBB331_203:
	s_or_b32 exec_lo, exec_lo, s4
	s_and_saveexec_b32 s3, s2
	s_cbranch_execnz .LBB331_259
.LBB331_204:
	s_or_b32 exec_lo, exec_lo, s3
	s_and_saveexec_b32 s2, s1
.LBB331_205:
	v_sub_nc_u32_e32 v6, v44, v1
	s_delay_alu instid0(VALU_DEP_1)
	v_lshlrev_b32_e32 v6, 2, v6
	ds_store_b32 v6, v45
.LBB331_206:
	s_or_b32 exec_lo, exec_lo, s2
	s_delay_alu instid0(SALU_CYCLE_1)
	s_and_b32 s17, s0, exec_lo
                                        ; implicit-def: $vgpr44_vgpr45
                                        ; implicit-def: $vgpr50_vgpr51
                                        ; implicit-def: $vgpr46_vgpr47
                                        ; implicit-def: $vgpr62_vgpr63
                                        ; implicit-def: $vgpr66_vgpr67
                                        ; implicit-def: $vgpr64_vgpr65
                                        ; implicit-def: $vgpr60_vgpr61
                                        ; implicit-def: $vgpr56_vgpr57
                                        ; implicit-def: $vgpr52_vgpr53
                                        ; implicit-def: $vgpr48_vgpr49
                                        ; implicit-def: $vgpr54_vgpr55
                                        ; implicit-def: $vgpr58_vgpr59
                                        ; implicit-def: $vgpr38_vgpr39
                                        ; implicit-def: $vgpr40_vgpr41
	s_and_not1_saveexec_b32 s0, s16
	s_cbranch_execz .LBB331_132
.LBB331_207:
	v_dual_sub_nc_u32 v6, v62, v1 :: v_dual_sub_nc_u32 v9, v64, v1
	v_dual_sub_nc_u32 v7, v66, v1 :: v_dual_sub_nc_u32 v10, v60, v1
	s_or_b32 s17, s17, exec_lo
	s_delay_alu instid0(VALU_DEP_2) | instskip(NEXT) | instid1(VALU_DEP_2)
	v_dual_lshlrev_b32 v6, 2, v6 :: v_dual_lshlrev_b32 v9, 2, v9
	v_dual_lshlrev_b32 v7, 2, v7 :: v_dual_lshlrev_b32 v10, 2, v10
	ds_store_b32 v6, v63
	ds_store_b32 v7, v67
	;; [unrolled: 1-line block ×3, first 2 shown]
	v_sub_nc_u32_e32 v6, v56, v1
	ds_store_b32 v10, v61
	v_dual_sub_nc_u32 v10, v54, v1 :: v_dual_sub_nc_u32 v7, v52, v1
	v_dual_sub_nc_u32 v9, v48, v1 :: v_dual_sub_nc_u32 v11, v58, v1
	v_lshlrev_b32_e32 v6, 2, v6
	s_delay_alu instid0(VALU_DEP_3) | instskip(NEXT) | instid1(VALU_DEP_3)
	v_dual_lshlrev_b32 v10, 2, v10 :: v_dual_lshlrev_b32 v7, 2, v7
	v_lshlrev_b32_e32 v9, 2, v9
	ds_store_b32 v6, v57
	v_lshlrev_b32_e32 v6, 2, v11
	ds_store_b32 v7, v53
	ds_store_b32 v9, v49
	;; [unrolled: 1-line block ×3, first 2 shown]
	v_sub_nc_u32_e32 v7, v38, v1
	v_dual_sub_nc_u32 v10, v50, v1 :: v_dual_sub_nc_u32 v11, v44, v1
	ds_store_b32 v6, v59
	v_dual_sub_nc_u32 v6, v40, v1 :: v_dual_sub_nc_u32 v9, v46, v1
	v_dual_lshlrev_b32 v7, 2, v7 :: v_dual_lshlrev_b32 v10, 2, v10
	s_delay_alu instid0(VALU_DEP_2)
	v_dual_lshlrev_b32 v6, 2, v6 :: v_dual_lshlrev_b32 v9, 2, v9
	ds_store_b32 v7, v39
	v_lshlrev_b32_e32 v7, 2, v11
	ds_store_b32 v6, v41
	ds_store_b32 v9, v47
	;; [unrolled: 1-line block ×4, first 2 shown]
	s_or_b32 exec_lo, exec_lo, s0
	s_delay_alu instid0(SALU_CYCLE_1)
	s_and_b32 exec_lo, exec_lo, s17
	s_cbranch_execnz .LBB331_133
	s_branch .LBB331_134
.LBB331_208:
	v_sub_nc_u32_e32 v35, v62, v32
	v_readfirstlane_b32 s20, v74
	v_readfirstlane_b32 s21, v75
	global_store_b64 v35, v[26:27], s[20:21] scale_offset
	s_wait_xcnt 0x0
	s_or_b32 exec_lo, exec_lo, s18
	s_and_saveexec_b32 s18, s14
	s_cbranch_execz .LBB331_142
.LBB331_209:
	v_sub_nc_u32_e32 v35, v66, v32
	v_readfirstlane_b32 s20, v74
	v_readfirstlane_b32 s21, v75
	global_store_b64 v35, v[28:29], s[20:21] scale_offset
	s_wait_xcnt 0x0
	s_or_b32 exec_lo, exec_lo, s18
	s_and_saveexec_b32 s18, s13
	s_cbranch_execz .LBB331_143
.LBB331_210:
	v_sub_nc_u32_e32 v35, v64, v32
	v_readfirstlane_b32 s20, v74
	v_readfirstlane_b32 s21, v75
	global_store_b64 v35, v[22:23], s[20:21] scale_offset
	s_wait_xcnt 0x0
	s_or_b32 exec_lo, exec_lo, s18
	s_and_saveexec_b32 s18, s12
	s_cbranch_execz .LBB331_144
.LBB331_211:
	v_sub_nc_u32_e32 v35, v60, v32
	v_readfirstlane_b32 s20, v74
	v_readfirstlane_b32 s21, v75
	global_store_b64 v35, v[24:25], s[20:21] scale_offset
	s_wait_xcnt 0x0
	s_or_b32 exec_lo, exec_lo, s18
	s_and_saveexec_b32 s18, s11
	s_cbranch_execz .LBB331_145
.LBB331_212:
	v_sub_nc_u32_e32 v35, v56, v32
	v_readfirstlane_b32 s20, v74
	v_readfirstlane_b32 s21, v75
	global_store_b64 v35, v[18:19], s[20:21] scale_offset
	s_wait_xcnt 0x0
	s_or_b32 exec_lo, exec_lo, s18
	s_and_saveexec_b32 s18, s10
	s_cbranch_execz .LBB331_146
.LBB331_213:
	v_sub_nc_u32_e32 v35, v52, v32
	v_readfirstlane_b32 s20, v74
	v_readfirstlane_b32 s21, v75
	global_store_b64 v35, v[20:21], s[20:21] scale_offset
	s_wait_xcnt 0x0
	s_or_b32 exec_lo, exec_lo, s18
	s_and_saveexec_b32 s18, s9
	s_cbranch_execz .LBB331_147
.LBB331_214:
	v_sub_nc_u32_e32 v35, v48, v32
	v_readfirstlane_b32 s20, v74
	v_readfirstlane_b32 s21, v75
	global_store_b64 v35, v[14:15], s[20:21] scale_offset
	s_wait_xcnt 0x0
	s_or_b32 exec_lo, exec_lo, s18
	s_and_saveexec_b32 s18, s8
	s_cbranch_execz .LBB331_148
.LBB331_215:
	v_sub_nc_u32_e32 v35, v54, v32
	v_readfirstlane_b32 s20, v74
	v_readfirstlane_b32 s21, v75
	global_store_b64 v35, v[16:17], s[20:21] scale_offset
	s_wait_xcnt 0x0
	s_or_b32 exec_lo, exec_lo, s18
	s_and_saveexec_b32 s18, s7
	s_cbranch_execz .LBB331_149
.LBB331_216:
	v_sub_nc_u32_e32 v35, v58, v32
	v_readfirstlane_b32 s20, v74
	v_readfirstlane_b32 s21, v75
	global_store_b64 v35, v[10:11], s[20:21] scale_offset
	s_wait_xcnt 0x0
	s_or_b32 exec_lo, exec_lo, s18
	s_and_saveexec_b32 s18, s6
	s_cbranch_execz .LBB331_150
.LBB331_217:
	v_sub_nc_u32_e32 v35, v38, v32
	v_readfirstlane_b32 s20, v74
	v_readfirstlane_b32 s21, v75
	global_store_b64 v35, v[12:13], s[20:21] scale_offset
	s_wait_xcnt 0x0
	s_or_b32 exec_lo, exec_lo, s18
	s_and_saveexec_b32 s18, s5
	s_cbranch_execz .LBB331_151
.LBB331_218:
	v_sub_nc_u32_e32 v35, v40, v32
	v_readfirstlane_b32 s20, v74
	v_readfirstlane_b32 s21, v75
	global_store_b64 v35, v[6:7], s[20:21] scale_offset
	s_wait_xcnt 0x0
	s_or_b32 exec_lo, exec_lo, s18
	s_and_saveexec_b32 s18, s4
	s_cbranch_execz .LBB331_152
.LBB331_219:
	v_sub_nc_u32_e32 v35, v46, v32
	v_readfirstlane_b32 s20, v74
	v_readfirstlane_b32 s21, v75
	global_store_b64 v35, v[8:9], s[20:21] scale_offset
	s_wait_xcnt 0x0
	s_or_b32 exec_lo, exec_lo, s18
	s_and_saveexec_b32 s18, s3
	s_cbranch_execz .LBB331_153
.LBB331_220:
	v_sub_nc_u32_e32 v35, v50, v32
	v_readfirstlane_b32 s20, v74
	v_readfirstlane_b32 s21, v75
	global_store_b64 v35, v[2:3], s[20:21] scale_offset
	s_wait_xcnt 0x0
	s_or_b32 exec_lo, exec_lo, s18
	s_and_saveexec_b32 s18, s1
	s_cbranch_execnz .LBB331_154
	s_branch .LBB331_155
.LBB331_221:
	v_sub_nc_u32_e32 v31, v62, v32
	s_delay_alu instid0(VALU_DEP_1)
	v_lshlrev_b32_e32 v31, 3, v31
	ds_store_b64 v31, v[26:27]
	s_or_b32 exec_lo, exec_lo, s18
	s_and_saveexec_b32 s15, s14
	s_cbranch_execz .LBB331_159
.LBB331_222:
	v_sub_nc_u32_e32 v26, v66, v32
	s_delay_alu instid0(VALU_DEP_1)
	v_lshlrev_b32_e32 v26, 3, v26
	ds_store_b64 v26, v[28:29]
	s_or_b32 exec_lo, exec_lo, s15
	s_and_saveexec_b32 s14, s13
	s_cbranch_execz .LBB331_160
.LBB331_223:
	v_sub_nc_u32_e32 v26, v64, v32
	s_delay_alu instid0(VALU_DEP_1)
	v_lshlrev_b32_e32 v26, 3, v26
	ds_store_b64 v26, v[22:23]
	s_or_b32 exec_lo, exec_lo, s14
	s_and_saveexec_b32 s13, s12
	s_cbranch_execz .LBB331_161
.LBB331_224:
	v_sub_nc_u32_e32 v22, v60, v32
	s_delay_alu instid0(VALU_DEP_1)
	v_lshlrev_b32_e32 v22, 3, v22
	ds_store_b64 v22, v[24:25]
	s_or_b32 exec_lo, exec_lo, s13
	s_and_saveexec_b32 s12, s11
	s_cbranch_execz .LBB331_162
.LBB331_225:
	v_sub_nc_u32_e32 v22, v56, v32
	s_delay_alu instid0(VALU_DEP_1)
	v_lshlrev_b32_e32 v22, 3, v22
	ds_store_b64 v22, v[18:19]
	s_or_b32 exec_lo, exec_lo, s12
	s_and_saveexec_b32 s11, s10
	s_cbranch_execz .LBB331_163
.LBB331_226:
	v_sub_nc_u32_e32 v18, v52, v32
	s_delay_alu instid0(VALU_DEP_1)
	v_lshlrev_b32_e32 v18, 3, v18
	ds_store_b64 v18, v[20:21]
	s_or_b32 exec_lo, exec_lo, s11
	s_and_saveexec_b32 s10, s9
	s_cbranch_execz .LBB331_164
.LBB331_227:
	v_sub_nc_u32_e32 v18, v48, v32
	s_delay_alu instid0(VALU_DEP_1)
	v_lshlrev_b32_e32 v18, 3, v18
	ds_store_b64 v18, v[14:15]
	s_or_b32 exec_lo, exec_lo, s10
	s_and_saveexec_b32 s9, s8
	s_cbranch_execz .LBB331_165
.LBB331_228:
	v_sub_nc_u32_e32 v14, v54, v32
	s_delay_alu instid0(VALU_DEP_1)
	v_lshlrev_b32_e32 v14, 3, v14
	ds_store_b64 v14, v[16:17]
	s_or_b32 exec_lo, exec_lo, s9
	s_and_saveexec_b32 s8, s7
	s_cbranch_execz .LBB331_166
.LBB331_229:
	v_sub_nc_u32_e32 v14, v58, v32
	s_delay_alu instid0(VALU_DEP_1)
	v_lshlrev_b32_e32 v14, 3, v14
	ds_store_b64 v14, v[10:11]
	s_or_b32 exec_lo, exec_lo, s8
	s_and_saveexec_b32 s7, s6
	s_cbranch_execz .LBB331_167
.LBB331_230:
	v_sub_nc_u32_e32 v10, v38, v32
	s_delay_alu instid0(VALU_DEP_1)
	v_lshlrev_b32_e32 v10, 3, v10
	ds_store_b64 v10, v[12:13]
	s_or_b32 exec_lo, exec_lo, s7
	s_and_saveexec_b32 s6, s5
	s_cbranch_execz .LBB331_168
.LBB331_231:
	v_sub_nc_u32_e32 v10, v40, v32
	s_delay_alu instid0(VALU_DEP_1)
	v_lshlrev_b32_e32 v10, 3, v10
	ds_store_b64 v10, v[6:7]
	s_or_b32 exec_lo, exec_lo, s6
	s_and_saveexec_b32 s5, s4
	s_cbranch_execz .LBB331_169
.LBB331_232:
	v_sub_nc_u32_e32 v6, v46, v32
	s_delay_alu instid0(VALU_DEP_1)
	v_lshlrev_b32_e32 v6, 3, v6
	ds_store_b64 v6, v[8:9]
	s_or_b32 exec_lo, exec_lo, s5
	s_and_saveexec_b32 s4, s3
	s_cbranch_execz .LBB331_170
.LBB331_233:
	v_sub_nc_u32_e32 v6, v50, v32
	s_delay_alu instid0(VALU_DEP_1)
	v_lshlrev_b32_e32 v6, 3, v6
	ds_store_b64 v6, v[2:3]
	s_or_b32 exec_lo, exec_lo, s4
	s_and_saveexec_b32 s3, s1
	s_cbranch_execnz .LBB331_171
	s_branch .LBB331_172
.LBB331_234:
	v_dual_sub_nc_u32 v7, v62, v1 :: v_dual_mov_b32 v11, 0
	v_mov_b32_e32 v10, v63
	v_readfirstlane_b32 s18, v4
	v_readfirstlane_b32 s19, v5
	global_store_b64 v7, v[10:11], s[18:19] scale_offset
	s_wait_xcnt 0x0
	s_or_b32 exec_lo, exec_lo, s17
	s_and_saveexec_b32 s17, s13
	s_cbranch_execz .LBB331_176
.LBB331_235:
	v_dual_sub_nc_u32 v7, v66, v1 :: v_dual_mov_b32 v11, 0
	v_mov_b32_e32 v10, v67
	v_readfirstlane_b32 s18, v4
	v_readfirstlane_b32 s19, v5
	global_store_b64 v7, v[10:11], s[18:19] scale_offset
	s_wait_xcnt 0x0
	s_or_b32 exec_lo, exec_lo, s17
	s_and_saveexec_b32 s17, s12
	s_cbranch_execz .LBB331_177
.LBB331_236:
	v_dual_sub_nc_u32 v7, v64, v1 :: v_dual_mov_b32 v11, 0
	v_mov_b32_e32 v10, v65
	v_readfirstlane_b32 s18, v4
	v_readfirstlane_b32 s19, v5
	global_store_b64 v7, v[10:11], s[18:19] scale_offset
	s_wait_xcnt 0x0
	s_or_b32 exec_lo, exec_lo, s17
	s_and_saveexec_b32 s17, s11
	s_cbranch_execz .LBB331_178
.LBB331_237:
	v_dual_sub_nc_u32 v7, v60, v1 :: v_dual_mov_b32 v11, 0
	v_mov_b32_e32 v10, v61
	v_readfirstlane_b32 s18, v4
	v_readfirstlane_b32 s19, v5
	global_store_b64 v7, v[10:11], s[18:19] scale_offset
	s_wait_xcnt 0x0
	s_or_b32 exec_lo, exec_lo, s17
	s_and_saveexec_b32 s17, s10
	s_cbranch_execz .LBB331_179
.LBB331_238:
	v_dual_sub_nc_u32 v7, v56, v1 :: v_dual_mov_b32 v11, 0
	v_mov_b32_e32 v10, v57
	v_readfirstlane_b32 s18, v4
	v_readfirstlane_b32 s19, v5
	global_store_b64 v7, v[10:11], s[18:19] scale_offset
	s_wait_xcnt 0x0
	s_or_b32 exec_lo, exec_lo, s17
	s_and_saveexec_b32 s17, s9
	s_cbranch_execz .LBB331_180
.LBB331_239:
	v_dual_sub_nc_u32 v7, v52, v1 :: v_dual_mov_b32 v11, 0
	v_mov_b32_e32 v10, v53
	v_readfirstlane_b32 s18, v4
	v_readfirstlane_b32 s19, v5
	global_store_b64 v7, v[10:11], s[18:19] scale_offset
	s_wait_xcnt 0x0
	s_or_b32 exec_lo, exec_lo, s17
	s_and_saveexec_b32 s17, s8
	s_cbranch_execz .LBB331_181
.LBB331_240:
	v_dual_sub_nc_u32 v7, v48, v1 :: v_dual_mov_b32 v11, 0
	v_mov_b32_e32 v10, v49
	v_readfirstlane_b32 s18, v4
	v_readfirstlane_b32 s19, v5
	global_store_b64 v7, v[10:11], s[18:19] scale_offset
	s_wait_xcnt 0x0
	s_or_b32 exec_lo, exec_lo, s17
	s_and_saveexec_b32 s17, s7
	s_cbranch_execz .LBB331_182
.LBB331_241:
	v_dual_sub_nc_u32 v7, v54, v1 :: v_dual_mov_b32 v11, 0
	v_mov_b32_e32 v10, v55
	v_readfirstlane_b32 s18, v4
	v_readfirstlane_b32 s19, v5
	global_store_b64 v7, v[10:11], s[18:19] scale_offset
	s_wait_xcnt 0x0
	s_or_b32 exec_lo, exec_lo, s17
	s_and_saveexec_b32 s17, s6
	s_cbranch_execz .LBB331_183
.LBB331_242:
	v_dual_sub_nc_u32 v7, v58, v1 :: v_dual_mov_b32 v11, 0
	v_mov_b32_e32 v10, v59
	v_readfirstlane_b32 s18, v4
	v_readfirstlane_b32 s19, v5
	global_store_b64 v7, v[10:11], s[18:19] scale_offset
	s_wait_xcnt 0x0
	s_or_b32 exec_lo, exec_lo, s17
	s_and_saveexec_b32 s17, s5
	s_cbranch_execz .LBB331_184
.LBB331_243:
	v_dual_sub_nc_u32 v7, v38, v1 :: v_dual_mov_b32 v11, 0
	v_mov_b32_e32 v10, v39
	v_readfirstlane_b32 s18, v4
	v_readfirstlane_b32 s19, v5
	global_store_b64 v7, v[10:11], s[18:19] scale_offset
	s_wait_xcnt 0x0
	s_or_b32 exec_lo, exec_lo, s17
	s_and_saveexec_b32 s17, s4
	s_cbranch_execz .LBB331_185
.LBB331_244:
	v_dual_sub_nc_u32 v7, v40, v1 :: v_dual_mov_b32 v11, 0
	v_mov_b32_e32 v10, v41
	v_readfirstlane_b32 s18, v4
	v_readfirstlane_b32 s19, v5
	global_store_b64 v7, v[10:11], s[18:19] scale_offset
	s_wait_xcnt 0x0
	s_or_b32 exec_lo, exec_lo, s17
	s_and_saveexec_b32 s17, s3
	s_cbranch_execz .LBB331_186
.LBB331_245:
	v_dual_sub_nc_u32 v7, v46, v1 :: v_dual_mov_b32 v11, 0
	v_mov_b32_e32 v10, v47
	v_readfirstlane_b32 s18, v4
	v_readfirstlane_b32 s19, v5
	global_store_b64 v7, v[10:11], s[18:19] scale_offset
	s_wait_xcnt 0x0
	s_or_b32 exec_lo, exec_lo, s17
	s_and_saveexec_b32 s17, s2
	s_cbranch_execz .LBB331_187
.LBB331_246:
	v_dual_sub_nc_u32 v7, v50, v1 :: v_dual_mov_b32 v11, 0
	v_mov_b32_e32 v10, v51
	v_readfirstlane_b32 s18, v4
	v_readfirstlane_b32 s19, v5
	global_store_b64 v7, v[10:11], s[18:19] scale_offset
	s_wait_xcnt 0x0
	s_or_b32 exec_lo, exec_lo, s17
	s_and_saveexec_b32 s17, s1
	s_cbranch_execnz .LBB331_188
	s_branch .LBB331_189
.LBB331_247:
	v_sub_nc_u32_e32 v6, v62, v1
	s_delay_alu instid0(VALU_DEP_1)
	v_lshlrev_b32_e32 v6, 2, v6
	ds_store_b32 v6, v63
	s_or_b32 exec_lo, exec_lo, s17
	s_and_saveexec_b32 s14, s13
	s_cbranch_execz .LBB331_193
.LBB331_248:
	v_sub_nc_u32_e32 v6, v66, v1
	s_delay_alu instid0(VALU_DEP_1)
	v_lshlrev_b32_e32 v6, 2, v6
	ds_store_b32 v6, v67
	s_or_b32 exec_lo, exec_lo, s14
	s_and_saveexec_b32 s13, s12
	s_cbranch_execz .LBB331_194
.LBB331_249:
	v_sub_nc_u32_e32 v6, v64, v1
	s_delay_alu instid0(VALU_DEP_1)
	v_lshlrev_b32_e32 v6, 2, v6
	ds_store_b32 v6, v65
	s_or_b32 exec_lo, exec_lo, s13
	s_and_saveexec_b32 s12, s11
	s_cbranch_execz .LBB331_195
.LBB331_250:
	v_sub_nc_u32_e32 v6, v60, v1
	s_delay_alu instid0(VALU_DEP_1)
	v_lshlrev_b32_e32 v6, 2, v6
	ds_store_b32 v6, v61
	s_or_b32 exec_lo, exec_lo, s12
	s_and_saveexec_b32 s11, s10
	s_cbranch_execz .LBB331_196
.LBB331_251:
	v_sub_nc_u32_e32 v6, v56, v1
	s_delay_alu instid0(VALU_DEP_1)
	v_lshlrev_b32_e32 v6, 2, v6
	ds_store_b32 v6, v57
	s_or_b32 exec_lo, exec_lo, s11
	s_and_saveexec_b32 s10, s9
	s_cbranch_execz .LBB331_197
.LBB331_252:
	v_sub_nc_u32_e32 v6, v52, v1
	s_delay_alu instid0(VALU_DEP_1)
	v_lshlrev_b32_e32 v6, 2, v6
	ds_store_b32 v6, v53
	s_or_b32 exec_lo, exec_lo, s10
	s_and_saveexec_b32 s9, s8
	s_cbranch_execz .LBB331_198
.LBB331_253:
	v_sub_nc_u32_e32 v6, v48, v1
	s_delay_alu instid0(VALU_DEP_1)
	v_lshlrev_b32_e32 v6, 2, v6
	ds_store_b32 v6, v49
	s_or_b32 exec_lo, exec_lo, s9
	s_and_saveexec_b32 s8, s7
	s_cbranch_execz .LBB331_199
.LBB331_254:
	v_sub_nc_u32_e32 v6, v54, v1
	s_delay_alu instid0(VALU_DEP_1)
	v_lshlrev_b32_e32 v6, 2, v6
	ds_store_b32 v6, v55
	s_or_b32 exec_lo, exec_lo, s8
	s_and_saveexec_b32 s7, s6
	s_cbranch_execz .LBB331_200
.LBB331_255:
	v_sub_nc_u32_e32 v6, v58, v1
	s_delay_alu instid0(VALU_DEP_1)
	v_lshlrev_b32_e32 v6, 2, v6
	ds_store_b32 v6, v59
	s_or_b32 exec_lo, exec_lo, s7
	s_and_saveexec_b32 s6, s5
	s_cbranch_execz .LBB331_201
.LBB331_256:
	v_sub_nc_u32_e32 v6, v38, v1
	s_delay_alu instid0(VALU_DEP_1)
	v_lshlrev_b32_e32 v6, 2, v6
	ds_store_b32 v6, v39
	s_or_b32 exec_lo, exec_lo, s6
	s_and_saveexec_b32 s5, s4
	s_cbranch_execz .LBB331_202
.LBB331_257:
	v_sub_nc_u32_e32 v6, v40, v1
	s_delay_alu instid0(VALU_DEP_1)
	v_lshlrev_b32_e32 v6, 2, v6
	ds_store_b32 v6, v41
	s_or_b32 exec_lo, exec_lo, s5
	s_and_saveexec_b32 s4, s3
	s_cbranch_execz .LBB331_203
.LBB331_258:
	v_sub_nc_u32_e32 v6, v46, v1
	s_delay_alu instid0(VALU_DEP_1)
	v_lshlrev_b32_e32 v6, 2, v6
	ds_store_b32 v6, v47
	s_or_b32 exec_lo, exec_lo, s4
	s_and_saveexec_b32 s3, s2
	s_cbranch_execz .LBB331_204
.LBB331_259:
	v_sub_nc_u32_e32 v6, v50, v1
	s_delay_alu instid0(VALU_DEP_1)
	v_lshlrev_b32_e32 v6, 2, v6
	ds_store_b32 v6, v51
	s_or_b32 exec_lo, exec_lo, s3
	s_and_saveexec_b32 s2, s1
	s_cbranch_execnz .LBB331_205
	s_branch .LBB331_206
	.section	.rodata,"a",@progbits
	.p2align	6, 0x0
	.amdhsa_kernel _ZN7rocprim17ROCPRIM_400000_NS6detail17trampoline_kernelINS0_14default_configENS1_33run_length_encode_config_selectorIdjNS0_4plusIjEEEEZZNS1_33reduce_by_key_impl_wrapped_configILNS1_25lookback_scan_determinismE0ES3_S7_PKdNS0_17constant_iteratorIjlEEPdPlSF_S6_NS0_8equal_toIdEEEE10hipError_tPvRmT2_T3_mT4_T5_T6_T7_T8_P12ihipStream_tbENKUlT_T0_E_clISt17integral_constantIbLb0EESY_IbLb1EEEEDaSU_SV_EUlSU_E_NS1_11comp_targetILNS1_3genE0ELNS1_11target_archE4294967295ELNS1_3gpuE0ELNS1_3repE0EEENS1_30default_config_static_selectorELNS0_4arch9wavefront6targetE0EEEvT1_
		.amdhsa_group_segment_fixed_size 30720
		.amdhsa_private_segment_fixed_size 0
		.amdhsa_kernarg_size 128
		.amdhsa_user_sgpr_count 2
		.amdhsa_user_sgpr_dispatch_ptr 0
		.amdhsa_user_sgpr_queue_ptr 0
		.amdhsa_user_sgpr_kernarg_segment_ptr 1
		.amdhsa_user_sgpr_dispatch_id 0
		.amdhsa_user_sgpr_kernarg_preload_length 0
		.amdhsa_user_sgpr_kernarg_preload_offset 0
		.amdhsa_user_sgpr_private_segment_size 0
		.amdhsa_wavefront_size32 1
		.amdhsa_uses_dynamic_stack 0
		.amdhsa_enable_private_segment 0
		.amdhsa_system_sgpr_workgroup_id_x 1
		.amdhsa_system_sgpr_workgroup_id_y 0
		.amdhsa_system_sgpr_workgroup_id_z 0
		.amdhsa_system_sgpr_workgroup_info 0
		.amdhsa_system_vgpr_workitem_id 0
		.amdhsa_next_free_vgpr 101
		.amdhsa_next_free_sgpr 45
		.amdhsa_named_barrier_count 0
		.amdhsa_reserve_vcc 1
		.amdhsa_float_round_mode_32 0
		.amdhsa_float_round_mode_16_64 0
		.amdhsa_float_denorm_mode_32 3
		.amdhsa_float_denorm_mode_16_64 3
		.amdhsa_fp16_overflow 0
		.amdhsa_memory_ordered 1
		.amdhsa_forward_progress 1
		.amdhsa_inst_pref_size 117
		.amdhsa_round_robin_scheduling 0
		.amdhsa_exception_fp_ieee_invalid_op 0
		.amdhsa_exception_fp_denorm_src 0
		.amdhsa_exception_fp_ieee_div_zero 0
		.amdhsa_exception_fp_ieee_overflow 0
		.amdhsa_exception_fp_ieee_underflow 0
		.amdhsa_exception_fp_ieee_inexact 0
		.amdhsa_exception_int_div_zero 0
	.end_amdhsa_kernel
	.section	.text._ZN7rocprim17ROCPRIM_400000_NS6detail17trampoline_kernelINS0_14default_configENS1_33run_length_encode_config_selectorIdjNS0_4plusIjEEEEZZNS1_33reduce_by_key_impl_wrapped_configILNS1_25lookback_scan_determinismE0ES3_S7_PKdNS0_17constant_iteratorIjlEEPdPlSF_S6_NS0_8equal_toIdEEEE10hipError_tPvRmT2_T3_mT4_T5_T6_T7_T8_P12ihipStream_tbENKUlT_T0_E_clISt17integral_constantIbLb0EESY_IbLb1EEEEDaSU_SV_EUlSU_E_NS1_11comp_targetILNS1_3genE0ELNS1_11target_archE4294967295ELNS1_3gpuE0ELNS1_3repE0EEENS1_30default_config_static_selectorELNS0_4arch9wavefront6targetE0EEEvT1_,"axG",@progbits,_ZN7rocprim17ROCPRIM_400000_NS6detail17trampoline_kernelINS0_14default_configENS1_33run_length_encode_config_selectorIdjNS0_4plusIjEEEEZZNS1_33reduce_by_key_impl_wrapped_configILNS1_25lookback_scan_determinismE0ES3_S7_PKdNS0_17constant_iteratorIjlEEPdPlSF_S6_NS0_8equal_toIdEEEE10hipError_tPvRmT2_T3_mT4_T5_T6_T7_T8_P12ihipStream_tbENKUlT_T0_E_clISt17integral_constantIbLb0EESY_IbLb1EEEEDaSU_SV_EUlSU_E_NS1_11comp_targetILNS1_3genE0ELNS1_11target_archE4294967295ELNS1_3gpuE0ELNS1_3repE0EEENS1_30default_config_static_selectorELNS0_4arch9wavefront6targetE0EEEvT1_,comdat
.Lfunc_end331:
	.size	_ZN7rocprim17ROCPRIM_400000_NS6detail17trampoline_kernelINS0_14default_configENS1_33run_length_encode_config_selectorIdjNS0_4plusIjEEEEZZNS1_33reduce_by_key_impl_wrapped_configILNS1_25lookback_scan_determinismE0ES3_S7_PKdNS0_17constant_iteratorIjlEEPdPlSF_S6_NS0_8equal_toIdEEEE10hipError_tPvRmT2_T3_mT4_T5_T6_T7_T8_P12ihipStream_tbENKUlT_T0_E_clISt17integral_constantIbLb0EESY_IbLb1EEEEDaSU_SV_EUlSU_E_NS1_11comp_targetILNS1_3genE0ELNS1_11target_archE4294967295ELNS1_3gpuE0ELNS1_3repE0EEENS1_30default_config_static_selectorELNS0_4arch9wavefront6targetE0EEEvT1_, .Lfunc_end331-_ZN7rocprim17ROCPRIM_400000_NS6detail17trampoline_kernelINS0_14default_configENS1_33run_length_encode_config_selectorIdjNS0_4plusIjEEEEZZNS1_33reduce_by_key_impl_wrapped_configILNS1_25lookback_scan_determinismE0ES3_S7_PKdNS0_17constant_iteratorIjlEEPdPlSF_S6_NS0_8equal_toIdEEEE10hipError_tPvRmT2_T3_mT4_T5_T6_T7_T8_P12ihipStream_tbENKUlT_T0_E_clISt17integral_constantIbLb0EESY_IbLb1EEEEDaSU_SV_EUlSU_E_NS1_11comp_targetILNS1_3genE0ELNS1_11target_archE4294967295ELNS1_3gpuE0ELNS1_3repE0EEENS1_30default_config_static_selectorELNS0_4arch9wavefront6targetE0EEEvT1_
                                        ; -- End function
	.set _ZN7rocprim17ROCPRIM_400000_NS6detail17trampoline_kernelINS0_14default_configENS1_33run_length_encode_config_selectorIdjNS0_4plusIjEEEEZZNS1_33reduce_by_key_impl_wrapped_configILNS1_25lookback_scan_determinismE0ES3_S7_PKdNS0_17constant_iteratorIjlEEPdPlSF_S6_NS0_8equal_toIdEEEE10hipError_tPvRmT2_T3_mT4_T5_T6_T7_T8_P12ihipStream_tbENKUlT_T0_E_clISt17integral_constantIbLb0EESY_IbLb1EEEEDaSU_SV_EUlSU_E_NS1_11comp_targetILNS1_3genE0ELNS1_11target_archE4294967295ELNS1_3gpuE0ELNS1_3repE0EEENS1_30default_config_static_selectorELNS0_4arch9wavefront6targetE0EEEvT1_.num_vgpr, 101
	.set _ZN7rocprim17ROCPRIM_400000_NS6detail17trampoline_kernelINS0_14default_configENS1_33run_length_encode_config_selectorIdjNS0_4plusIjEEEEZZNS1_33reduce_by_key_impl_wrapped_configILNS1_25lookback_scan_determinismE0ES3_S7_PKdNS0_17constant_iteratorIjlEEPdPlSF_S6_NS0_8equal_toIdEEEE10hipError_tPvRmT2_T3_mT4_T5_T6_T7_T8_P12ihipStream_tbENKUlT_T0_E_clISt17integral_constantIbLb0EESY_IbLb1EEEEDaSU_SV_EUlSU_E_NS1_11comp_targetILNS1_3genE0ELNS1_11target_archE4294967295ELNS1_3gpuE0ELNS1_3repE0EEENS1_30default_config_static_selectorELNS0_4arch9wavefront6targetE0EEEvT1_.num_agpr, 0
	.set _ZN7rocprim17ROCPRIM_400000_NS6detail17trampoline_kernelINS0_14default_configENS1_33run_length_encode_config_selectorIdjNS0_4plusIjEEEEZZNS1_33reduce_by_key_impl_wrapped_configILNS1_25lookback_scan_determinismE0ES3_S7_PKdNS0_17constant_iteratorIjlEEPdPlSF_S6_NS0_8equal_toIdEEEE10hipError_tPvRmT2_T3_mT4_T5_T6_T7_T8_P12ihipStream_tbENKUlT_T0_E_clISt17integral_constantIbLb0EESY_IbLb1EEEEDaSU_SV_EUlSU_E_NS1_11comp_targetILNS1_3genE0ELNS1_11target_archE4294967295ELNS1_3gpuE0ELNS1_3repE0EEENS1_30default_config_static_selectorELNS0_4arch9wavefront6targetE0EEEvT1_.numbered_sgpr, 45
	.set _ZN7rocprim17ROCPRIM_400000_NS6detail17trampoline_kernelINS0_14default_configENS1_33run_length_encode_config_selectorIdjNS0_4plusIjEEEEZZNS1_33reduce_by_key_impl_wrapped_configILNS1_25lookback_scan_determinismE0ES3_S7_PKdNS0_17constant_iteratorIjlEEPdPlSF_S6_NS0_8equal_toIdEEEE10hipError_tPvRmT2_T3_mT4_T5_T6_T7_T8_P12ihipStream_tbENKUlT_T0_E_clISt17integral_constantIbLb0EESY_IbLb1EEEEDaSU_SV_EUlSU_E_NS1_11comp_targetILNS1_3genE0ELNS1_11target_archE4294967295ELNS1_3gpuE0ELNS1_3repE0EEENS1_30default_config_static_selectorELNS0_4arch9wavefront6targetE0EEEvT1_.num_named_barrier, 0
	.set _ZN7rocprim17ROCPRIM_400000_NS6detail17trampoline_kernelINS0_14default_configENS1_33run_length_encode_config_selectorIdjNS0_4plusIjEEEEZZNS1_33reduce_by_key_impl_wrapped_configILNS1_25lookback_scan_determinismE0ES3_S7_PKdNS0_17constant_iteratorIjlEEPdPlSF_S6_NS0_8equal_toIdEEEE10hipError_tPvRmT2_T3_mT4_T5_T6_T7_T8_P12ihipStream_tbENKUlT_T0_E_clISt17integral_constantIbLb0EESY_IbLb1EEEEDaSU_SV_EUlSU_E_NS1_11comp_targetILNS1_3genE0ELNS1_11target_archE4294967295ELNS1_3gpuE0ELNS1_3repE0EEENS1_30default_config_static_selectorELNS0_4arch9wavefront6targetE0EEEvT1_.private_seg_size, 0
	.set _ZN7rocprim17ROCPRIM_400000_NS6detail17trampoline_kernelINS0_14default_configENS1_33run_length_encode_config_selectorIdjNS0_4plusIjEEEEZZNS1_33reduce_by_key_impl_wrapped_configILNS1_25lookback_scan_determinismE0ES3_S7_PKdNS0_17constant_iteratorIjlEEPdPlSF_S6_NS0_8equal_toIdEEEE10hipError_tPvRmT2_T3_mT4_T5_T6_T7_T8_P12ihipStream_tbENKUlT_T0_E_clISt17integral_constantIbLb0EESY_IbLb1EEEEDaSU_SV_EUlSU_E_NS1_11comp_targetILNS1_3genE0ELNS1_11target_archE4294967295ELNS1_3gpuE0ELNS1_3repE0EEENS1_30default_config_static_selectorELNS0_4arch9wavefront6targetE0EEEvT1_.uses_vcc, 1
	.set _ZN7rocprim17ROCPRIM_400000_NS6detail17trampoline_kernelINS0_14default_configENS1_33run_length_encode_config_selectorIdjNS0_4plusIjEEEEZZNS1_33reduce_by_key_impl_wrapped_configILNS1_25lookback_scan_determinismE0ES3_S7_PKdNS0_17constant_iteratorIjlEEPdPlSF_S6_NS0_8equal_toIdEEEE10hipError_tPvRmT2_T3_mT4_T5_T6_T7_T8_P12ihipStream_tbENKUlT_T0_E_clISt17integral_constantIbLb0EESY_IbLb1EEEEDaSU_SV_EUlSU_E_NS1_11comp_targetILNS1_3genE0ELNS1_11target_archE4294967295ELNS1_3gpuE0ELNS1_3repE0EEENS1_30default_config_static_selectorELNS0_4arch9wavefront6targetE0EEEvT1_.uses_flat_scratch, 0
	.set _ZN7rocprim17ROCPRIM_400000_NS6detail17trampoline_kernelINS0_14default_configENS1_33run_length_encode_config_selectorIdjNS0_4plusIjEEEEZZNS1_33reduce_by_key_impl_wrapped_configILNS1_25lookback_scan_determinismE0ES3_S7_PKdNS0_17constant_iteratorIjlEEPdPlSF_S6_NS0_8equal_toIdEEEE10hipError_tPvRmT2_T3_mT4_T5_T6_T7_T8_P12ihipStream_tbENKUlT_T0_E_clISt17integral_constantIbLb0EESY_IbLb1EEEEDaSU_SV_EUlSU_E_NS1_11comp_targetILNS1_3genE0ELNS1_11target_archE4294967295ELNS1_3gpuE0ELNS1_3repE0EEENS1_30default_config_static_selectorELNS0_4arch9wavefront6targetE0EEEvT1_.has_dyn_sized_stack, 0
	.set _ZN7rocprim17ROCPRIM_400000_NS6detail17trampoline_kernelINS0_14default_configENS1_33run_length_encode_config_selectorIdjNS0_4plusIjEEEEZZNS1_33reduce_by_key_impl_wrapped_configILNS1_25lookback_scan_determinismE0ES3_S7_PKdNS0_17constant_iteratorIjlEEPdPlSF_S6_NS0_8equal_toIdEEEE10hipError_tPvRmT2_T3_mT4_T5_T6_T7_T8_P12ihipStream_tbENKUlT_T0_E_clISt17integral_constantIbLb0EESY_IbLb1EEEEDaSU_SV_EUlSU_E_NS1_11comp_targetILNS1_3genE0ELNS1_11target_archE4294967295ELNS1_3gpuE0ELNS1_3repE0EEENS1_30default_config_static_selectorELNS0_4arch9wavefront6targetE0EEEvT1_.has_recursion, 0
	.set _ZN7rocprim17ROCPRIM_400000_NS6detail17trampoline_kernelINS0_14default_configENS1_33run_length_encode_config_selectorIdjNS0_4plusIjEEEEZZNS1_33reduce_by_key_impl_wrapped_configILNS1_25lookback_scan_determinismE0ES3_S7_PKdNS0_17constant_iteratorIjlEEPdPlSF_S6_NS0_8equal_toIdEEEE10hipError_tPvRmT2_T3_mT4_T5_T6_T7_T8_P12ihipStream_tbENKUlT_T0_E_clISt17integral_constantIbLb0EESY_IbLb1EEEEDaSU_SV_EUlSU_E_NS1_11comp_targetILNS1_3genE0ELNS1_11target_archE4294967295ELNS1_3gpuE0ELNS1_3repE0EEENS1_30default_config_static_selectorELNS0_4arch9wavefront6targetE0EEEvT1_.has_indirect_call, 0
	.section	.AMDGPU.csdata,"",@progbits
; Kernel info:
; codeLenInByte = 14972
; TotalNumSgprs: 47
; NumVgprs: 101
; ScratchSize: 0
; MemoryBound: 0
; FloatMode: 240
; IeeeMode: 1
; LDSByteSize: 30720 bytes/workgroup (compile time only)
; SGPRBlocks: 0
; VGPRBlocks: 6
; NumSGPRsForWavesPerEU: 47
; NumVGPRsForWavesPerEU: 101
; NamedBarCnt: 0
; Occupancy: 9
; WaveLimiterHint : 1
; COMPUTE_PGM_RSRC2:SCRATCH_EN: 0
; COMPUTE_PGM_RSRC2:USER_SGPR: 2
; COMPUTE_PGM_RSRC2:TRAP_HANDLER: 0
; COMPUTE_PGM_RSRC2:TGID_X_EN: 1
; COMPUTE_PGM_RSRC2:TGID_Y_EN: 0
; COMPUTE_PGM_RSRC2:TGID_Z_EN: 0
; COMPUTE_PGM_RSRC2:TIDIG_COMP_CNT: 0
	.section	.text._ZN7rocprim17ROCPRIM_400000_NS6detail17trampoline_kernelINS0_14default_configENS1_33run_length_encode_config_selectorIdjNS0_4plusIjEEEEZZNS1_33reduce_by_key_impl_wrapped_configILNS1_25lookback_scan_determinismE0ES3_S7_PKdNS0_17constant_iteratorIjlEEPdPlSF_S6_NS0_8equal_toIdEEEE10hipError_tPvRmT2_T3_mT4_T5_T6_T7_T8_P12ihipStream_tbENKUlT_T0_E_clISt17integral_constantIbLb0EESY_IbLb1EEEEDaSU_SV_EUlSU_E_NS1_11comp_targetILNS1_3genE5ELNS1_11target_archE942ELNS1_3gpuE9ELNS1_3repE0EEENS1_30default_config_static_selectorELNS0_4arch9wavefront6targetE0EEEvT1_,"axG",@progbits,_ZN7rocprim17ROCPRIM_400000_NS6detail17trampoline_kernelINS0_14default_configENS1_33run_length_encode_config_selectorIdjNS0_4plusIjEEEEZZNS1_33reduce_by_key_impl_wrapped_configILNS1_25lookback_scan_determinismE0ES3_S7_PKdNS0_17constant_iteratorIjlEEPdPlSF_S6_NS0_8equal_toIdEEEE10hipError_tPvRmT2_T3_mT4_T5_T6_T7_T8_P12ihipStream_tbENKUlT_T0_E_clISt17integral_constantIbLb0EESY_IbLb1EEEEDaSU_SV_EUlSU_E_NS1_11comp_targetILNS1_3genE5ELNS1_11target_archE942ELNS1_3gpuE9ELNS1_3repE0EEENS1_30default_config_static_selectorELNS0_4arch9wavefront6targetE0EEEvT1_,comdat
	.protected	_ZN7rocprim17ROCPRIM_400000_NS6detail17trampoline_kernelINS0_14default_configENS1_33run_length_encode_config_selectorIdjNS0_4plusIjEEEEZZNS1_33reduce_by_key_impl_wrapped_configILNS1_25lookback_scan_determinismE0ES3_S7_PKdNS0_17constant_iteratorIjlEEPdPlSF_S6_NS0_8equal_toIdEEEE10hipError_tPvRmT2_T3_mT4_T5_T6_T7_T8_P12ihipStream_tbENKUlT_T0_E_clISt17integral_constantIbLb0EESY_IbLb1EEEEDaSU_SV_EUlSU_E_NS1_11comp_targetILNS1_3genE5ELNS1_11target_archE942ELNS1_3gpuE9ELNS1_3repE0EEENS1_30default_config_static_selectorELNS0_4arch9wavefront6targetE0EEEvT1_ ; -- Begin function _ZN7rocprim17ROCPRIM_400000_NS6detail17trampoline_kernelINS0_14default_configENS1_33run_length_encode_config_selectorIdjNS0_4plusIjEEEEZZNS1_33reduce_by_key_impl_wrapped_configILNS1_25lookback_scan_determinismE0ES3_S7_PKdNS0_17constant_iteratorIjlEEPdPlSF_S6_NS0_8equal_toIdEEEE10hipError_tPvRmT2_T3_mT4_T5_T6_T7_T8_P12ihipStream_tbENKUlT_T0_E_clISt17integral_constantIbLb0EESY_IbLb1EEEEDaSU_SV_EUlSU_E_NS1_11comp_targetILNS1_3genE5ELNS1_11target_archE942ELNS1_3gpuE9ELNS1_3repE0EEENS1_30default_config_static_selectorELNS0_4arch9wavefront6targetE0EEEvT1_
	.globl	_ZN7rocprim17ROCPRIM_400000_NS6detail17trampoline_kernelINS0_14default_configENS1_33run_length_encode_config_selectorIdjNS0_4plusIjEEEEZZNS1_33reduce_by_key_impl_wrapped_configILNS1_25lookback_scan_determinismE0ES3_S7_PKdNS0_17constant_iteratorIjlEEPdPlSF_S6_NS0_8equal_toIdEEEE10hipError_tPvRmT2_T3_mT4_T5_T6_T7_T8_P12ihipStream_tbENKUlT_T0_E_clISt17integral_constantIbLb0EESY_IbLb1EEEEDaSU_SV_EUlSU_E_NS1_11comp_targetILNS1_3genE5ELNS1_11target_archE942ELNS1_3gpuE9ELNS1_3repE0EEENS1_30default_config_static_selectorELNS0_4arch9wavefront6targetE0EEEvT1_
	.p2align	8
	.type	_ZN7rocprim17ROCPRIM_400000_NS6detail17trampoline_kernelINS0_14default_configENS1_33run_length_encode_config_selectorIdjNS0_4plusIjEEEEZZNS1_33reduce_by_key_impl_wrapped_configILNS1_25lookback_scan_determinismE0ES3_S7_PKdNS0_17constant_iteratorIjlEEPdPlSF_S6_NS0_8equal_toIdEEEE10hipError_tPvRmT2_T3_mT4_T5_T6_T7_T8_P12ihipStream_tbENKUlT_T0_E_clISt17integral_constantIbLb0EESY_IbLb1EEEEDaSU_SV_EUlSU_E_NS1_11comp_targetILNS1_3genE5ELNS1_11target_archE942ELNS1_3gpuE9ELNS1_3repE0EEENS1_30default_config_static_selectorELNS0_4arch9wavefront6targetE0EEEvT1_,@function
_ZN7rocprim17ROCPRIM_400000_NS6detail17trampoline_kernelINS0_14default_configENS1_33run_length_encode_config_selectorIdjNS0_4plusIjEEEEZZNS1_33reduce_by_key_impl_wrapped_configILNS1_25lookback_scan_determinismE0ES3_S7_PKdNS0_17constant_iteratorIjlEEPdPlSF_S6_NS0_8equal_toIdEEEE10hipError_tPvRmT2_T3_mT4_T5_T6_T7_T8_P12ihipStream_tbENKUlT_T0_E_clISt17integral_constantIbLb0EESY_IbLb1EEEEDaSU_SV_EUlSU_E_NS1_11comp_targetILNS1_3genE5ELNS1_11target_archE942ELNS1_3gpuE9ELNS1_3repE0EEENS1_30default_config_static_selectorELNS0_4arch9wavefront6targetE0EEEvT1_: ; @_ZN7rocprim17ROCPRIM_400000_NS6detail17trampoline_kernelINS0_14default_configENS1_33run_length_encode_config_selectorIdjNS0_4plusIjEEEEZZNS1_33reduce_by_key_impl_wrapped_configILNS1_25lookback_scan_determinismE0ES3_S7_PKdNS0_17constant_iteratorIjlEEPdPlSF_S6_NS0_8equal_toIdEEEE10hipError_tPvRmT2_T3_mT4_T5_T6_T7_T8_P12ihipStream_tbENKUlT_T0_E_clISt17integral_constantIbLb0EESY_IbLb1EEEEDaSU_SV_EUlSU_E_NS1_11comp_targetILNS1_3genE5ELNS1_11target_archE942ELNS1_3gpuE9ELNS1_3repE0EEENS1_30default_config_static_selectorELNS0_4arch9wavefront6targetE0EEEvT1_
; %bb.0:
	.section	.rodata,"a",@progbits
	.p2align	6, 0x0
	.amdhsa_kernel _ZN7rocprim17ROCPRIM_400000_NS6detail17trampoline_kernelINS0_14default_configENS1_33run_length_encode_config_selectorIdjNS0_4plusIjEEEEZZNS1_33reduce_by_key_impl_wrapped_configILNS1_25lookback_scan_determinismE0ES3_S7_PKdNS0_17constant_iteratorIjlEEPdPlSF_S6_NS0_8equal_toIdEEEE10hipError_tPvRmT2_T3_mT4_T5_T6_T7_T8_P12ihipStream_tbENKUlT_T0_E_clISt17integral_constantIbLb0EESY_IbLb1EEEEDaSU_SV_EUlSU_E_NS1_11comp_targetILNS1_3genE5ELNS1_11target_archE942ELNS1_3gpuE9ELNS1_3repE0EEENS1_30default_config_static_selectorELNS0_4arch9wavefront6targetE0EEEvT1_
		.amdhsa_group_segment_fixed_size 0
		.amdhsa_private_segment_fixed_size 0
		.amdhsa_kernarg_size 128
		.amdhsa_user_sgpr_count 2
		.amdhsa_user_sgpr_dispatch_ptr 0
		.amdhsa_user_sgpr_queue_ptr 0
		.amdhsa_user_sgpr_kernarg_segment_ptr 1
		.amdhsa_user_sgpr_dispatch_id 0
		.amdhsa_user_sgpr_kernarg_preload_length 0
		.amdhsa_user_sgpr_kernarg_preload_offset 0
		.amdhsa_user_sgpr_private_segment_size 0
		.amdhsa_wavefront_size32 1
		.amdhsa_uses_dynamic_stack 0
		.amdhsa_enable_private_segment 0
		.amdhsa_system_sgpr_workgroup_id_x 1
		.amdhsa_system_sgpr_workgroup_id_y 0
		.amdhsa_system_sgpr_workgroup_id_z 0
		.amdhsa_system_sgpr_workgroup_info 0
		.amdhsa_system_vgpr_workitem_id 0
		.amdhsa_next_free_vgpr 1
		.amdhsa_next_free_sgpr 1
		.amdhsa_named_barrier_count 0
		.amdhsa_reserve_vcc 0
		.amdhsa_float_round_mode_32 0
		.amdhsa_float_round_mode_16_64 0
		.amdhsa_float_denorm_mode_32 3
		.amdhsa_float_denorm_mode_16_64 3
		.amdhsa_fp16_overflow 0
		.amdhsa_memory_ordered 1
		.amdhsa_forward_progress 1
		.amdhsa_inst_pref_size 0
		.amdhsa_round_robin_scheduling 0
		.amdhsa_exception_fp_ieee_invalid_op 0
		.amdhsa_exception_fp_denorm_src 0
		.amdhsa_exception_fp_ieee_div_zero 0
		.amdhsa_exception_fp_ieee_overflow 0
		.amdhsa_exception_fp_ieee_underflow 0
		.amdhsa_exception_fp_ieee_inexact 0
		.amdhsa_exception_int_div_zero 0
	.end_amdhsa_kernel
	.section	.text._ZN7rocprim17ROCPRIM_400000_NS6detail17trampoline_kernelINS0_14default_configENS1_33run_length_encode_config_selectorIdjNS0_4plusIjEEEEZZNS1_33reduce_by_key_impl_wrapped_configILNS1_25lookback_scan_determinismE0ES3_S7_PKdNS0_17constant_iteratorIjlEEPdPlSF_S6_NS0_8equal_toIdEEEE10hipError_tPvRmT2_T3_mT4_T5_T6_T7_T8_P12ihipStream_tbENKUlT_T0_E_clISt17integral_constantIbLb0EESY_IbLb1EEEEDaSU_SV_EUlSU_E_NS1_11comp_targetILNS1_3genE5ELNS1_11target_archE942ELNS1_3gpuE9ELNS1_3repE0EEENS1_30default_config_static_selectorELNS0_4arch9wavefront6targetE0EEEvT1_,"axG",@progbits,_ZN7rocprim17ROCPRIM_400000_NS6detail17trampoline_kernelINS0_14default_configENS1_33run_length_encode_config_selectorIdjNS0_4plusIjEEEEZZNS1_33reduce_by_key_impl_wrapped_configILNS1_25lookback_scan_determinismE0ES3_S7_PKdNS0_17constant_iteratorIjlEEPdPlSF_S6_NS0_8equal_toIdEEEE10hipError_tPvRmT2_T3_mT4_T5_T6_T7_T8_P12ihipStream_tbENKUlT_T0_E_clISt17integral_constantIbLb0EESY_IbLb1EEEEDaSU_SV_EUlSU_E_NS1_11comp_targetILNS1_3genE5ELNS1_11target_archE942ELNS1_3gpuE9ELNS1_3repE0EEENS1_30default_config_static_selectorELNS0_4arch9wavefront6targetE0EEEvT1_,comdat
.Lfunc_end332:
	.size	_ZN7rocprim17ROCPRIM_400000_NS6detail17trampoline_kernelINS0_14default_configENS1_33run_length_encode_config_selectorIdjNS0_4plusIjEEEEZZNS1_33reduce_by_key_impl_wrapped_configILNS1_25lookback_scan_determinismE0ES3_S7_PKdNS0_17constant_iteratorIjlEEPdPlSF_S6_NS0_8equal_toIdEEEE10hipError_tPvRmT2_T3_mT4_T5_T6_T7_T8_P12ihipStream_tbENKUlT_T0_E_clISt17integral_constantIbLb0EESY_IbLb1EEEEDaSU_SV_EUlSU_E_NS1_11comp_targetILNS1_3genE5ELNS1_11target_archE942ELNS1_3gpuE9ELNS1_3repE0EEENS1_30default_config_static_selectorELNS0_4arch9wavefront6targetE0EEEvT1_, .Lfunc_end332-_ZN7rocprim17ROCPRIM_400000_NS6detail17trampoline_kernelINS0_14default_configENS1_33run_length_encode_config_selectorIdjNS0_4plusIjEEEEZZNS1_33reduce_by_key_impl_wrapped_configILNS1_25lookback_scan_determinismE0ES3_S7_PKdNS0_17constant_iteratorIjlEEPdPlSF_S6_NS0_8equal_toIdEEEE10hipError_tPvRmT2_T3_mT4_T5_T6_T7_T8_P12ihipStream_tbENKUlT_T0_E_clISt17integral_constantIbLb0EESY_IbLb1EEEEDaSU_SV_EUlSU_E_NS1_11comp_targetILNS1_3genE5ELNS1_11target_archE942ELNS1_3gpuE9ELNS1_3repE0EEENS1_30default_config_static_selectorELNS0_4arch9wavefront6targetE0EEEvT1_
                                        ; -- End function
	.set _ZN7rocprim17ROCPRIM_400000_NS6detail17trampoline_kernelINS0_14default_configENS1_33run_length_encode_config_selectorIdjNS0_4plusIjEEEEZZNS1_33reduce_by_key_impl_wrapped_configILNS1_25lookback_scan_determinismE0ES3_S7_PKdNS0_17constant_iteratorIjlEEPdPlSF_S6_NS0_8equal_toIdEEEE10hipError_tPvRmT2_T3_mT4_T5_T6_T7_T8_P12ihipStream_tbENKUlT_T0_E_clISt17integral_constantIbLb0EESY_IbLb1EEEEDaSU_SV_EUlSU_E_NS1_11comp_targetILNS1_3genE5ELNS1_11target_archE942ELNS1_3gpuE9ELNS1_3repE0EEENS1_30default_config_static_selectorELNS0_4arch9wavefront6targetE0EEEvT1_.num_vgpr, 0
	.set _ZN7rocprim17ROCPRIM_400000_NS6detail17trampoline_kernelINS0_14default_configENS1_33run_length_encode_config_selectorIdjNS0_4plusIjEEEEZZNS1_33reduce_by_key_impl_wrapped_configILNS1_25lookback_scan_determinismE0ES3_S7_PKdNS0_17constant_iteratorIjlEEPdPlSF_S6_NS0_8equal_toIdEEEE10hipError_tPvRmT2_T3_mT4_T5_T6_T7_T8_P12ihipStream_tbENKUlT_T0_E_clISt17integral_constantIbLb0EESY_IbLb1EEEEDaSU_SV_EUlSU_E_NS1_11comp_targetILNS1_3genE5ELNS1_11target_archE942ELNS1_3gpuE9ELNS1_3repE0EEENS1_30default_config_static_selectorELNS0_4arch9wavefront6targetE0EEEvT1_.num_agpr, 0
	.set _ZN7rocprim17ROCPRIM_400000_NS6detail17trampoline_kernelINS0_14default_configENS1_33run_length_encode_config_selectorIdjNS0_4plusIjEEEEZZNS1_33reduce_by_key_impl_wrapped_configILNS1_25lookback_scan_determinismE0ES3_S7_PKdNS0_17constant_iteratorIjlEEPdPlSF_S6_NS0_8equal_toIdEEEE10hipError_tPvRmT2_T3_mT4_T5_T6_T7_T8_P12ihipStream_tbENKUlT_T0_E_clISt17integral_constantIbLb0EESY_IbLb1EEEEDaSU_SV_EUlSU_E_NS1_11comp_targetILNS1_3genE5ELNS1_11target_archE942ELNS1_3gpuE9ELNS1_3repE0EEENS1_30default_config_static_selectorELNS0_4arch9wavefront6targetE0EEEvT1_.numbered_sgpr, 0
	.set _ZN7rocprim17ROCPRIM_400000_NS6detail17trampoline_kernelINS0_14default_configENS1_33run_length_encode_config_selectorIdjNS0_4plusIjEEEEZZNS1_33reduce_by_key_impl_wrapped_configILNS1_25lookback_scan_determinismE0ES3_S7_PKdNS0_17constant_iteratorIjlEEPdPlSF_S6_NS0_8equal_toIdEEEE10hipError_tPvRmT2_T3_mT4_T5_T6_T7_T8_P12ihipStream_tbENKUlT_T0_E_clISt17integral_constantIbLb0EESY_IbLb1EEEEDaSU_SV_EUlSU_E_NS1_11comp_targetILNS1_3genE5ELNS1_11target_archE942ELNS1_3gpuE9ELNS1_3repE0EEENS1_30default_config_static_selectorELNS0_4arch9wavefront6targetE0EEEvT1_.num_named_barrier, 0
	.set _ZN7rocprim17ROCPRIM_400000_NS6detail17trampoline_kernelINS0_14default_configENS1_33run_length_encode_config_selectorIdjNS0_4plusIjEEEEZZNS1_33reduce_by_key_impl_wrapped_configILNS1_25lookback_scan_determinismE0ES3_S7_PKdNS0_17constant_iteratorIjlEEPdPlSF_S6_NS0_8equal_toIdEEEE10hipError_tPvRmT2_T3_mT4_T5_T6_T7_T8_P12ihipStream_tbENKUlT_T0_E_clISt17integral_constantIbLb0EESY_IbLb1EEEEDaSU_SV_EUlSU_E_NS1_11comp_targetILNS1_3genE5ELNS1_11target_archE942ELNS1_3gpuE9ELNS1_3repE0EEENS1_30default_config_static_selectorELNS0_4arch9wavefront6targetE0EEEvT1_.private_seg_size, 0
	.set _ZN7rocprim17ROCPRIM_400000_NS6detail17trampoline_kernelINS0_14default_configENS1_33run_length_encode_config_selectorIdjNS0_4plusIjEEEEZZNS1_33reduce_by_key_impl_wrapped_configILNS1_25lookback_scan_determinismE0ES3_S7_PKdNS0_17constant_iteratorIjlEEPdPlSF_S6_NS0_8equal_toIdEEEE10hipError_tPvRmT2_T3_mT4_T5_T6_T7_T8_P12ihipStream_tbENKUlT_T0_E_clISt17integral_constantIbLb0EESY_IbLb1EEEEDaSU_SV_EUlSU_E_NS1_11comp_targetILNS1_3genE5ELNS1_11target_archE942ELNS1_3gpuE9ELNS1_3repE0EEENS1_30default_config_static_selectorELNS0_4arch9wavefront6targetE0EEEvT1_.uses_vcc, 0
	.set _ZN7rocprim17ROCPRIM_400000_NS6detail17trampoline_kernelINS0_14default_configENS1_33run_length_encode_config_selectorIdjNS0_4plusIjEEEEZZNS1_33reduce_by_key_impl_wrapped_configILNS1_25lookback_scan_determinismE0ES3_S7_PKdNS0_17constant_iteratorIjlEEPdPlSF_S6_NS0_8equal_toIdEEEE10hipError_tPvRmT2_T3_mT4_T5_T6_T7_T8_P12ihipStream_tbENKUlT_T0_E_clISt17integral_constantIbLb0EESY_IbLb1EEEEDaSU_SV_EUlSU_E_NS1_11comp_targetILNS1_3genE5ELNS1_11target_archE942ELNS1_3gpuE9ELNS1_3repE0EEENS1_30default_config_static_selectorELNS0_4arch9wavefront6targetE0EEEvT1_.uses_flat_scratch, 0
	.set _ZN7rocprim17ROCPRIM_400000_NS6detail17trampoline_kernelINS0_14default_configENS1_33run_length_encode_config_selectorIdjNS0_4plusIjEEEEZZNS1_33reduce_by_key_impl_wrapped_configILNS1_25lookback_scan_determinismE0ES3_S7_PKdNS0_17constant_iteratorIjlEEPdPlSF_S6_NS0_8equal_toIdEEEE10hipError_tPvRmT2_T3_mT4_T5_T6_T7_T8_P12ihipStream_tbENKUlT_T0_E_clISt17integral_constantIbLb0EESY_IbLb1EEEEDaSU_SV_EUlSU_E_NS1_11comp_targetILNS1_3genE5ELNS1_11target_archE942ELNS1_3gpuE9ELNS1_3repE0EEENS1_30default_config_static_selectorELNS0_4arch9wavefront6targetE0EEEvT1_.has_dyn_sized_stack, 0
	.set _ZN7rocprim17ROCPRIM_400000_NS6detail17trampoline_kernelINS0_14default_configENS1_33run_length_encode_config_selectorIdjNS0_4plusIjEEEEZZNS1_33reduce_by_key_impl_wrapped_configILNS1_25lookback_scan_determinismE0ES3_S7_PKdNS0_17constant_iteratorIjlEEPdPlSF_S6_NS0_8equal_toIdEEEE10hipError_tPvRmT2_T3_mT4_T5_T6_T7_T8_P12ihipStream_tbENKUlT_T0_E_clISt17integral_constantIbLb0EESY_IbLb1EEEEDaSU_SV_EUlSU_E_NS1_11comp_targetILNS1_3genE5ELNS1_11target_archE942ELNS1_3gpuE9ELNS1_3repE0EEENS1_30default_config_static_selectorELNS0_4arch9wavefront6targetE0EEEvT1_.has_recursion, 0
	.set _ZN7rocprim17ROCPRIM_400000_NS6detail17trampoline_kernelINS0_14default_configENS1_33run_length_encode_config_selectorIdjNS0_4plusIjEEEEZZNS1_33reduce_by_key_impl_wrapped_configILNS1_25lookback_scan_determinismE0ES3_S7_PKdNS0_17constant_iteratorIjlEEPdPlSF_S6_NS0_8equal_toIdEEEE10hipError_tPvRmT2_T3_mT4_T5_T6_T7_T8_P12ihipStream_tbENKUlT_T0_E_clISt17integral_constantIbLb0EESY_IbLb1EEEEDaSU_SV_EUlSU_E_NS1_11comp_targetILNS1_3genE5ELNS1_11target_archE942ELNS1_3gpuE9ELNS1_3repE0EEENS1_30default_config_static_selectorELNS0_4arch9wavefront6targetE0EEEvT1_.has_indirect_call, 0
	.section	.AMDGPU.csdata,"",@progbits
; Kernel info:
; codeLenInByte = 0
; TotalNumSgprs: 0
; NumVgprs: 0
; ScratchSize: 0
; MemoryBound: 0
; FloatMode: 240
; IeeeMode: 1
; LDSByteSize: 0 bytes/workgroup (compile time only)
; SGPRBlocks: 0
; VGPRBlocks: 0
; NumSGPRsForWavesPerEU: 1
; NumVGPRsForWavesPerEU: 1
; NamedBarCnt: 0
; Occupancy: 16
; WaveLimiterHint : 0
; COMPUTE_PGM_RSRC2:SCRATCH_EN: 0
; COMPUTE_PGM_RSRC2:USER_SGPR: 2
; COMPUTE_PGM_RSRC2:TRAP_HANDLER: 0
; COMPUTE_PGM_RSRC2:TGID_X_EN: 1
; COMPUTE_PGM_RSRC2:TGID_Y_EN: 0
; COMPUTE_PGM_RSRC2:TGID_Z_EN: 0
; COMPUTE_PGM_RSRC2:TIDIG_COMP_CNT: 0
	.section	.text._ZN7rocprim17ROCPRIM_400000_NS6detail17trampoline_kernelINS0_14default_configENS1_33run_length_encode_config_selectorIdjNS0_4plusIjEEEEZZNS1_33reduce_by_key_impl_wrapped_configILNS1_25lookback_scan_determinismE0ES3_S7_PKdNS0_17constant_iteratorIjlEEPdPlSF_S6_NS0_8equal_toIdEEEE10hipError_tPvRmT2_T3_mT4_T5_T6_T7_T8_P12ihipStream_tbENKUlT_T0_E_clISt17integral_constantIbLb0EESY_IbLb1EEEEDaSU_SV_EUlSU_E_NS1_11comp_targetILNS1_3genE4ELNS1_11target_archE910ELNS1_3gpuE8ELNS1_3repE0EEENS1_30default_config_static_selectorELNS0_4arch9wavefront6targetE0EEEvT1_,"axG",@progbits,_ZN7rocprim17ROCPRIM_400000_NS6detail17trampoline_kernelINS0_14default_configENS1_33run_length_encode_config_selectorIdjNS0_4plusIjEEEEZZNS1_33reduce_by_key_impl_wrapped_configILNS1_25lookback_scan_determinismE0ES3_S7_PKdNS0_17constant_iteratorIjlEEPdPlSF_S6_NS0_8equal_toIdEEEE10hipError_tPvRmT2_T3_mT4_T5_T6_T7_T8_P12ihipStream_tbENKUlT_T0_E_clISt17integral_constantIbLb0EESY_IbLb1EEEEDaSU_SV_EUlSU_E_NS1_11comp_targetILNS1_3genE4ELNS1_11target_archE910ELNS1_3gpuE8ELNS1_3repE0EEENS1_30default_config_static_selectorELNS0_4arch9wavefront6targetE0EEEvT1_,comdat
	.protected	_ZN7rocprim17ROCPRIM_400000_NS6detail17trampoline_kernelINS0_14default_configENS1_33run_length_encode_config_selectorIdjNS0_4plusIjEEEEZZNS1_33reduce_by_key_impl_wrapped_configILNS1_25lookback_scan_determinismE0ES3_S7_PKdNS0_17constant_iteratorIjlEEPdPlSF_S6_NS0_8equal_toIdEEEE10hipError_tPvRmT2_T3_mT4_T5_T6_T7_T8_P12ihipStream_tbENKUlT_T0_E_clISt17integral_constantIbLb0EESY_IbLb1EEEEDaSU_SV_EUlSU_E_NS1_11comp_targetILNS1_3genE4ELNS1_11target_archE910ELNS1_3gpuE8ELNS1_3repE0EEENS1_30default_config_static_selectorELNS0_4arch9wavefront6targetE0EEEvT1_ ; -- Begin function _ZN7rocprim17ROCPRIM_400000_NS6detail17trampoline_kernelINS0_14default_configENS1_33run_length_encode_config_selectorIdjNS0_4plusIjEEEEZZNS1_33reduce_by_key_impl_wrapped_configILNS1_25lookback_scan_determinismE0ES3_S7_PKdNS0_17constant_iteratorIjlEEPdPlSF_S6_NS0_8equal_toIdEEEE10hipError_tPvRmT2_T3_mT4_T5_T6_T7_T8_P12ihipStream_tbENKUlT_T0_E_clISt17integral_constantIbLb0EESY_IbLb1EEEEDaSU_SV_EUlSU_E_NS1_11comp_targetILNS1_3genE4ELNS1_11target_archE910ELNS1_3gpuE8ELNS1_3repE0EEENS1_30default_config_static_selectorELNS0_4arch9wavefront6targetE0EEEvT1_
	.globl	_ZN7rocprim17ROCPRIM_400000_NS6detail17trampoline_kernelINS0_14default_configENS1_33run_length_encode_config_selectorIdjNS0_4plusIjEEEEZZNS1_33reduce_by_key_impl_wrapped_configILNS1_25lookback_scan_determinismE0ES3_S7_PKdNS0_17constant_iteratorIjlEEPdPlSF_S6_NS0_8equal_toIdEEEE10hipError_tPvRmT2_T3_mT4_T5_T6_T7_T8_P12ihipStream_tbENKUlT_T0_E_clISt17integral_constantIbLb0EESY_IbLb1EEEEDaSU_SV_EUlSU_E_NS1_11comp_targetILNS1_3genE4ELNS1_11target_archE910ELNS1_3gpuE8ELNS1_3repE0EEENS1_30default_config_static_selectorELNS0_4arch9wavefront6targetE0EEEvT1_
	.p2align	8
	.type	_ZN7rocprim17ROCPRIM_400000_NS6detail17trampoline_kernelINS0_14default_configENS1_33run_length_encode_config_selectorIdjNS0_4plusIjEEEEZZNS1_33reduce_by_key_impl_wrapped_configILNS1_25lookback_scan_determinismE0ES3_S7_PKdNS0_17constant_iteratorIjlEEPdPlSF_S6_NS0_8equal_toIdEEEE10hipError_tPvRmT2_T3_mT4_T5_T6_T7_T8_P12ihipStream_tbENKUlT_T0_E_clISt17integral_constantIbLb0EESY_IbLb1EEEEDaSU_SV_EUlSU_E_NS1_11comp_targetILNS1_3genE4ELNS1_11target_archE910ELNS1_3gpuE8ELNS1_3repE0EEENS1_30default_config_static_selectorELNS0_4arch9wavefront6targetE0EEEvT1_,@function
_ZN7rocprim17ROCPRIM_400000_NS6detail17trampoline_kernelINS0_14default_configENS1_33run_length_encode_config_selectorIdjNS0_4plusIjEEEEZZNS1_33reduce_by_key_impl_wrapped_configILNS1_25lookback_scan_determinismE0ES3_S7_PKdNS0_17constant_iteratorIjlEEPdPlSF_S6_NS0_8equal_toIdEEEE10hipError_tPvRmT2_T3_mT4_T5_T6_T7_T8_P12ihipStream_tbENKUlT_T0_E_clISt17integral_constantIbLb0EESY_IbLb1EEEEDaSU_SV_EUlSU_E_NS1_11comp_targetILNS1_3genE4ELNS1_11target_archE910ELNS1_3gpuE8ELNS1_3repE0EEENS1_30default_config_static_selectorELNS0_4arch9wavefront6targetE0EEEvT1_: ; @_ZN7rocprim17ROCPRIM_400000_NS6detail17trampoline_kernelINS0_14default_configENS1_33run_length_encode_config_selectorIdjNS0_4plusIjEEEEZZNS1_33reduce_by_key_impl_wrapped_configILNS1_25lookback_scan_determinismE0ES3_S7_PKdNS0_17constant_iteratorIjlEEPdPlSF_S6_NS0_8equal_toIdEEEE10hipError_tPvRmT2_T3_mT4_T5_T6_T7_T8_P12ihipStream_tbENKUlT_T0_E_clISt17integral_constantIbLb0EESY_IbLb1EEEEDaSU_SV_EUlSU_E_NS1_11comp_targetILNS1_3genE4ELNS1_11target_archE910ELNS1_3gpuE8ELNS1_3repE0EEENS1_30default_config_static_selectorELNS0_4arch9wavefront6targetE0EEEvT1_
; %bb.0:
	.section	.rodata,"a",@progbits
	.p2align	6, 0x0
	.amdhsa_kernel _ZN7rocprim17ROCPRIM_400000_NS6detail17trampoline_kernelINS0_14default_configENS1_33run_length_encode_config_selectorIdjNS0_4plusIjEEEEZZNS1_33reduce_by_key_impl_wrapped_configILNS1_25lookback_scan_determinismE0ES3_S7_PKdNS0_17constant_iteratorIjlEEPdPlSF_S6_NS0_8equal_toIdEEEE10hipError_tPvRmT2_T3_mT4_T5_T6_T7_T8_P12ihipStream_tbENKUlT_T0_E_clISt17integral_constantIbLb0EESY_IbLb1EEEEDaSU_SV_EUlSU_E_NS1_11comp_targetILNS1_3genE4ELNS1_11target_archE910ELNS1_3gpuE8ELNS1_3repE0EEENS1_30default_config_static_selectorELNS0_4arch9wavefront6targetE0EEEvT1_
		.amdhsa_group_segment_fixed_size 0
		.amdhsa_private_segment_fixed_size 0
		.amdhsa_kernarg_size 128
		.amdhsa_user_sgpr_count 2
		.amdhsa_user_sgpr_dispatch_ptr 0
		.amdhsa_user_sgpr_queue_ptr 0
		.amdhsa_user_sgpr_kernarg_segment_ptr 1
		.amdhsa_user_sgpr_dispatch_id 0
		.amdhsa_user_sgpr_kernarg_preload_length 0
		.amdhsa_user_sgpr_kernarg_preload_offset 0
		.amdhsa_user_sgpr_private_segment_size 0
		.amdhsa_wavefront_size32 1
		.amdhsa_uses_dynamic_stack 0
		.amdhsa_enable_private_segment 0
		.amdhsa_system_sgpr_workgroup_id_x 1
		.amdhsa_system_sgpr_workgroup_id_y 0
		.amdhsa_system_sgpr_workgroup_id_z 0
		.amdhsa_system_sgpr_workgroup_info 0
		.amdhsa_system_vgpr_workitem_id 0
		.amdhsa_next_free_vgpr 1
		.amdhsa_next_free_sgpr 1
		.amdhsa_named_barrier_count 0
		.amdhsa_reserve_vcc 0
		.amdhsa_float_round_mode_32 0
		.amdhsa_float_round_mode_16_64 0
		.amdhsa_float_denorm_mode_32 3
		.amdhsa_float_denorm_mode_16_64 3
		.amdhsa_fp16_overflow 0
		.amdhsa_memory_ordered 1
		.amdhsa_forward_progress 1
		.amdhsa_inst_pref_size 0
		.amdhsa_round_robin_scheduling 0
		.amdhsa_exception_fp_ieee_invalid_op 0
		.amdhsa_exception_fp_denorm_src 0
		.amdhsa_exception_fp_ieee_div_zero 0
		.amdhsa_exception_fp_ieee_overflow 0
		.amdhsa_exception_fp_ieee_underflow 0
		.amdhsa_exception_fp_ieee_inexact 0
		.amdhsa_exception_int_div_zero 0
	.end_amdhsa_kernel
	.section	.text._ZN7rocprim17ROCPRIM_400000_NS6detail17trampoline_kernelINS0_14default_configENS1_33run_length_encode_config_selectorIdjNS0_4plusIjEEEEZZNS1_33reduce_by_key_impl_wrapped_configILNS1_25lookback_scan_determinismE0ES3_S7_PKdNS0_17constant_iteratorIjlEEPdPlSF_S6_NS0_8equal_toIdEEEE10hipError_tPvRmT2_T3_mT4_T5_T6_T7_T8_P12ihipStream_tbENKUlT_T0_E_clISt17integral_constantIbLb0EESY_IbLb1EEEEDaSU_SV_EUlSU_E_NS1_11comp_targetILNS1_3genE4ELNS1_11target_archE910ELNS1_3gpuE8ELNS1_3repE0EEENS1_30default_config_static_selectorELNS0_4arch9wavefront6targetE0EEEvT1_,"axG",@progbits,_ZN7rocprim17ROCPRIM_400000_NS6detail17trampoline_kernelINS0_14default_configENS1_33run_length_encode_config_selectorIdjNS0_4plusIjEEEEZZNS1_33reduce_by_key_impl_wrapped_configILNS1_25lookback_scan_determinismE0ES3_S7_PKdNS0_17constant_iteratorIjlEEPdPlSF_S6_NS0_8equal_toIdEEEE10hipError_tPvRmT2_T3_mT4_T5_T6_T7_T8_P12ihipStream_tbENKUlT_T0_E_clISt17integral_constantIbLb0EESY_IbLb1EEEEDaSU_SV_EUlSU_E_NS1_11comp_targetILNS1_3genE4ELNS1_11target_archE910ELNS1_3gpuE8ELNS1_3repE0EEENS1_30default_config_static_selectorELNS0_4arch9wavefront6targetE0EEEvT1_,comdat
.Lfunc_end333:
	.size	_ZN7rocprim17ROCPRIM_400000_NS6detail17trampoline_kernelINS0_14default_configENS1_33run_length_encode_config_selectorIdjNS0_4plusIjEEEEZZNS1_33reduce_by_key_impl_wrapped_configILNS1_25lookback_scan_determinismE0ES3_S7_PKdNS0_17constant_iteratorIjlEEPdPlSF_S6_NS0_8equal_toIdEEEE10hipError_tPvRmT2_T3_mT4_T5_T6_T7_T8_P12ihipStream_tbENKUlT_T0_E_clISt17integral_constantIbLb0EESY_IbLb1EEEEDaSU_SV_EUlSU_E_NS1_11comp_targetILNS1_3genE4ELNS1_11target_archE910ELNS1_3gpuE8ELNS1_3repE0EEENS1_30default_config_static_selectorELNS0_4arch9wavefront6targetE0EEEvT1_, .Lfunc_end333-_ZN7rocprim17ROCPRIM_400000_NS6detail17trampoline_kernelINS0_14default_configENS1_33run_length_encode_config_selectorIdjNS0_4plusIjEEEEZZNS1_33reduce_by_key_impl_wrapped_configILNS1_25lookback_scan_determinismE0ES3_S7_PKdNS0_17constant_iteratorIjlEEPdPlSF_S6_NS0_8equal_toIdEEEE10hipError_tPvRmT2_T3_mT4_T5_T6_T7_T8_P12ihipStream_tbENKUlT_T0_E_clISt17integral_constantIbLb0EESY_IbLb1EEEEDaSU_SV_EUlSU_E_NS1_11comp_targetILNS1_3genE4ELNS1_11target_archE910ELNS1_3gpuE8ELNS1_3repE0EEENS1_30default_config_static_selectorELNS0_4arch9wavefront6targetE0EEEvT1_
                                        ; -- End function
	.set _ZN7rocprim17ROCPRIM_400000_NS6detail17trampoline_kernelINS0_14default_configENS1_33run_length_encode_config_selectorIdjNS0_4plusIjEEEEZZNS1_33reduce_by_key_impl_wrapped_configILNS1_25lookback_scan_determinismE0ES3_S7_PKdNS0_17constant_iteratorIjlEEPdPlSF_S6_NS0_8equal_toIdEEEE10hipError_tPvRmT2_T3_mT4_T5_T6_T7_T8_P12ihipStream_tbENKUlT_T0_E_clISt17integral_constantIbLb0EESY_IbLb1EEEEDaSU_SV_EUlSU_E_NS1_11comp_targetILNS1_3genE4ELNS1_11target_archE910ELNS1_3gpuE8ELNS1_3repE0EEENS1_30default_config_static_selectorELNS0_4arch9wavefront6targetE0EEEvT1_.num_vgpr, 0
	.set _ZN7rocprim17ROCPRIM_400000_NS6detail17trampoline_kernelINS0_14default_configENS1_33run_length_encode_config_selectorIdjNS0_4plusIjEEEEZZNS1_33reduce_by_key_impl_wrapped_configILNS1_25lookback_scan_determinismE0ES3_S7_PKdNS0_17constant_iteratorIjlEEPdPlSF_S6_NS0_8equal_toIdEEEE10hipError_tPvRmT2_T3_mT4_T5_T6_T7_T8_P12ihipStream_tbENKUlT_T0_E_clISt17integral_constantIbLb0EESY_IbLb1EEEEDaSU_SV_EUlSU_E_NS1_11comp_targetILNS1_3genE4ELNS1_11target_archE910ELNS1_3gpuE8ELNS1_3repE0EEENS1_30default_config_static_selectorELNS0_4arch9wavefront6targetE0EEEvT1_.num_agpr, 0
	.set _ZN7rocprim17ROCPRIM_400000_NS6detail17trampoline_kernelINS0_14default_configENS1_33run_length_encode_config_selectorIdjNS0_4plusIjEEEEZZNS1_33reduce_by_key_impl_wrapped_configILNS1_25lookback_scan_determinismE0ES3_S7_PKdNS0_17constant_iteratorIjlEEPdPlSF_S6_NS0_8equal_toIdEEEE10hipError_tPvRmT2_T3_mT4_T5_T6_T7_T8_P12ihipStream_tbENKUlT_T0_E_clISt17integral_constantIbLb0EESY_IbLb1EEEEDaSU_SV_EUlSU_E_NS1_11comp_targetILNS1_3genE4ELNS1_11target_archE910ELNS1_3gpuE8ELNS1_3repE0EEENS1_30default_config_static_selectorELNS0_4arch9wavefront6targetE0EEEvT1_.numbered_sgpr, 0
	.set _ZN7rocprim17ROCPRIM_400000_NS6detail17trampoline_kernelINS0_14default_configENS1_33run_length_encode_config_selectorIdjNS0_4plusIjEEEEZZNS1_33reduce_by_key_impl_wrapped_configILNS1_25lookback_scan_determinismE0ES3_S7_PKdNS0_17constant_iteratorIjlEEPdPlSF_S6_NS0_8equal_toIdEEEE10hipError_tPvRmT2_T3_mT4_T5_T6_T7_T8_P12ihipStream_tbENKUlT_T0_E_clISt17integral_constantIbLb0EESY_IbLb1EEEEDaSU_SV_EUlSU_E_NS1_11comp_targetILNS1_3genE4ELNS1_11target_archE910ELNS1_3gpuE8ELNS1_3repE0EEENS1_30default_config_static_selectorELNS0_4arch9wavefront6targetE0EEEvT1_.num_named_barrier, 0
	.set _ZN7rocprim17ROCPRIM_400000_NS6detail17trampoline_kernelINS0_14default_configENS1_33run_length_encode_config_selectorIdjNS0_4plusIjEEEEZZNS1_33reduce_by_key_impl_wrapped_configILNS1_25lookback_scan_determinismE0ES3_S7_PKdNS0_17constant_iteratorIjlEEPdPlSF_S6_NS0_8equal_toIdEEEE10hipError_tPvRmT2_T3_mT4_T5_T6_T7_T8_P12ihipStream_tbENKUlT_T0_E_clISt17integral_constantIbLb0EESY_IbLb1EEEEDaSU_SV_EUlSU_E_NS1_11comp_targetILNS1_3genE4ELNS1_11target_archE910ELNS1_3gpuE8ELNS1_3repE0EEENS1_30default_config_static_selectorELNS0_4arch9wavefront6targetE0EEEvT1_.private_seg_size, 0
	.set _ZN7rocprim17ROCPRIM_400000_NS6detail17trampoline_kernelINS0_14default_configENS1_33run_length_encode_config_selectorIdjNS0_4plusIjEEEEZZNS1_33reduce_by_key_impl_wrapped_configILNS1_25lookback_scan_determinismE0ES3_S7_PKdNS0_17constant_iteratorIjlEEPdPlSF_S6_NS0_8equal_toIdEEEE10hipError_tPvRmT2_T3_mT4_T5_T6_T7_T8_P12ihipStream_tbENKUlT_T0_E_clISt17integral_constantIbLb0EESY_IbLb1EEEEDaSU_SV_EUlSU_E_NS1_11comp_targetILNS1_3genE4ELNS1_11target_archE910ELNS1_3gpuE8ELNS1_3repE0EEENS1_30default_config_static_selectorELNS0_4arch9wavefront6targetE0EEEvT1_.uses_vcc, 0
	.set _ZN7rocprim17ROCPRIM_400000_NS6detail17trampoline_kernelINS0_14default_configENS1_33run_length_encode_config_selectorIdjNS0_4plusIjEEEEZZNS1_33reduce_by_key_impl_wrapped_configILNS1_25lookback_scan_determinismE0ES3_S7_PKdNS0_17constant_iteratorIjlEEPdPlSF_S6_NS0_8equal_toIdEEEE10hipError_tPvRmT2_T3_mT4_T5_T6_T7_T8_P12ihipStream_tbENKUlT_T0_E_clISt17integral_constantIbLb0EESY_IbLb1EEEEDaSU_SV_EUlSU_E_NS1_11comp_targetILNS1_3genE4ELNS1_11target_archE910ELNS1_3gpuE8ELNS1_3repE0EEENS1_30default_config_static_selectorELNS0_4arch9wavefront6targetE0EEEvT1_.uses_flat_scratch, 0
	.set _ZN7rocprim17ROCPRIM_400000_NS6detail17trampoline_kernelINS0_14default_configENS1_33run_length_encode_config_selectorIdjNS0_4plusIjEEEEZZNS1_33reduce_by_key_impl_wrapped_configILNS1_25lookback_scan_determinismE0ES3_S7_PKdNS0_17constant_iteratorIjlEEPdPlSF_S6_NS0_8equal_toIdEEEE10hipError_tPvRmT2_T3_mT4_T5_T6_T7_T8_P12ihipStream_tbENKUlT_T0_E_clISt17integral_constantIbLb0EESY_IbLb1EEEEDaSU_SV_EUlSU_E_NS1_11comp_targetILNS1_3genE4ELNS1_11target_archE910ELNS1_3gpuE8ELNS1_3repE0EEENS1_30default_config_static_selectorELNS0_4arch9wavefront6targetE0EEEvT1_.has_dyn_sized_stack, 0
	.set _ZN7rocprim17ROCPRIM_400000_NS6detail17trampoline_kernelINS0_14default_configENS1_33run_length_encode_config_selectorIdjNS0_4plusIjEEEEZZNS1_33reduce_by_key_impl_wrapped_configILNS1_25lookback_scan_determinismE0ES3_S7_PKdNS0_17constant_iteratorIjlEEPdPlSF_S6_NS0_8equal_toIdEEEE10hipError_tPvRmT2_T3_mT4_T5_T6_T7_T8_P12ihipStream_tbENKUlT_T0_E_clISt17integral_constantIbLb0EESY_IbLb1EEEEDaSU_SV_EUlSU_E_NS1_11comp_targetILNS1_3genE4ELNS1_11target_archE910ELNS1_3gpuE8ELNS1_3repE0EEENS1_30default_config_static_selectorELNS0_4arch9wavefront6targetE0EEEvT1_.has_recursion, 0
	.set _ZN7rocprim17ROCPRIM_400000_NS6detail17trampoline_kernelINS0_14default_configENS1_33run_length_encode_config_selectorIdjNS0_4plusIjEEEEZZNS1_33reduce_by_key_impl_wrapped_configILNS1_25lookback_scan_determinismE0ES3_S7_PKdNS0_17constant_iteratorIjlEEPdPlSF_S6_NS0_8equal_toIdEEEE10hipError_tPvRmT2_T3_mT4_T5_T6_T7_T8_P12ihipStream_tbENKUlT_T0_E_clISt17integral_constantIbLb0EESY_IbLb1EEEEDaSU_SV_EUlSU_E_NS1_11comp_targetILNS1_3genE4ELNS1_11target_archE910ELNS1_3gpuE8ELNS1_3repE0EEENS1_30default_config_static_selectorELNS0_4arch9wavefront6targetE0EEEvT1_.has_indirect_call, 0
	.section	.AMDGPU.csdata,"",@progbits
; Kernel info:
; codeLenInByte = 0
; TotalNumSgprs: 0
; NumVgprs: 0
; ScratchSize: 0
; MemoryBound: 0
; FloatMode: 240
; IeeeMode: 1
; LDSByteSize: 0 bytes/workgroup (compile time only)
; SGPRBlocks: 0
; VGPRBlocks: 0
; NumSGPRsForWavesPerEU: 1
; NumVGPRsForWavesPerEU: 1
; NamedBarCnt: 0
; Occupancy: 16
; WaveLimiterHint : 0
; COMPUTE_PGM_RSRC2:SCRATCH_EN: 0
; COMPUTE_PGM_RSRC2:USER_SGPR: 2
; COMPUTE_PGM_RSRC2:TRAP_HANDLER: 0
; COMPUTE_PGM_RSRC2:TGID_X_EN: 1
; COMPUTE_PGM_RSRC2:TGID_Y_EN: 0
; COMPUTE_PGM_RSRC2:TGID_Z_EN: 0
; COMPUTE_PGM_RSRC2:TIDIG_COMP_CNT: 0
	.section	.text._ZN7rocprim17ROCPRIM_400000_NS6detail17trampoline_kernelINS0_14default_configENS1_33run_length_encode_config_selectorIdjNS0_4plusIjEEEEZZNS1_33reduce_by_key_impl_wrapped_configILNS1_25lookback_scan_determinismE0ES3_S7_PKdNS0_17constant_iteratorIjlEEPdPlSF_S6_NS0_8equal_toIdEEEE10hipError_tPvRmT2_T3_mT4_T5_T6_T7_T8_P12ihipStream_tbENKUlT_T0_E_clISt17integral_constantIbLb0EESY_IbLb1EEEEDaSU_SV_EUlSU_E_NS1_11comp_targetILNS1_3genE3ELNS1_11target_archE908ELNS1_3gpuE7ELNS1_3repE0EEENS1_30default_config_static_selectorELNS0_4arch9wavefront6targetE0EEEvT1_,"axG",@progbits,_ZN7rocprim17ROCPRIM_400000_NS6detail17trampoline_kernelINS0_14default_configENS1_33run_length_encode_config_selectorIdjNS0_4plusIjEEEEZZNS1_33reduce_by_key_impl_wrapped_configILNS1_25lookback_scan_determinismE0ES3_S7_PKdNS0_17constant_iteratorIjlEEPdPlSF_S6_NS0_8equal_toIdEEEE10hipError_tPvRmT2_T3_mT4_T5_T6_T7_T8_P12ihipStream_tbENKUlT_T0_E_clISt17integral_constantIbLb0EESY_IbLb1EEEEDaSU_SV_EUlSU_E_NS1_11comp_targetILNS1_3genE3ELNS1_11target_archE908ELNS1_3gpuE7ELNS1_3repE0EEENS1_30default_config_static_selectorELNS0_4arch9wavefront6targetE0EEEvT1_,comdat
	.protected	_ZN7rocprim17ROCPRIM_400000_NS6detail17trampoline_kernelINS0_14default_configENS1_33run_length_encode_config_selectorIdjNS0_4plusIjEEEEZZNS1_33reduce_by_key_impl_wrapped_configILNS1_25lookback_scan_determinismE0ES3_S7_PKdNS0_17constant_iteratorIjlEEPdPlSF_S6_NS0_8equal_toIdEEEE10hipError_tPvRmT2_T3_mT4_T5_T6_T7_T8_P12ihipStream_tbENKUlT_T0_E_clISt17integral_constantIbLb0EESY_IbLb1EEEEDaSU_SV_EUlSU_E_NS1_11comp_targetILNS1_3genE3ELNS1_11target_archE908ELNS1_3gpuE7ELNS1_3repE0EEENS1_30default_config_static_selectorELNS0_4arch9wavefront6targetE0EEEvT1_ ; -- Begin function _ZN7rocprim17ROCPRIM_400000_NS6detail17trampoline_kernelINS0_14default_configENS1_33run_length_encode_config_selectorIdjNS0_4plusIjEEEEZZNS1_33reduce_by_key_impl_wrapped_configILNS1_25lookback_scan_determinismE0ES3_S7_PKdNS0_17constant_iteratorIjlEEPdPlSF_S6_NS0_8equal_toIdEEEE10hipError_tPvRmT2_T3_mT4_T5_T6_T7_T8_P12ihipStream_tbENKUlT_T0_E_clISt17integral_constantIbLb0EESY_IbLb1EEEEDaSU_SV_EUlSU_E_NS1_11comp_targetILNS1_3genE3ELNS1_11target_archE908ELNS1_3gpuE7ELNS1_3repE0EEENS1_30default_config_static_selectorELNS0_4arch9wavefront6targetE0EEEvT1_
	.globl	_ZN7rocprim17ROCPRIM_400000_NS6detail17trampoline_kernelINS0_14default_configENS1_33run_length_encode_config_selectorIdjNS0_4plusIjEEEEZZNS1_33reduce_by_key_impl_wrapped_configILNS1_25lookback_scan_determinismE0ES3_S7_PKdNS0_17constant_iteratorIjlEEPdPlSF_S6_NS0_8equal_toIdEEEE10hipError_tPvRmT2_T3_mT4_T5_T6_T7_T8_P12ihipStream_tbENKUlT_T0_E_clISt17integral_constantIbLb0EESY_IbLb1EEEEDaSU_SV_EUlSU_E_NS1_11comp_targetILNS1_3genE3ELNS1_11target_archE908ELNS1_3gpuE7ELNS1_3repE0EEENS1_30default_config_static_selectorELNS0_4arch9wavefront6targetE0EEEvT1_
	.p2align	8
	.type	_ZN7rocprim17ROCPRIM_400000_NS6detail17trampoline_kernelINS0_14default_configENS1_33run_length_encode_config_selectorIdjNS0_4plusIjEEEEZZNS1_33reduce_by_key_impl_wrapped_configILNS1_25lookback_scan_determinismE0ES3_S7_PKdNS0_17constant_iteratorIjlEEPdPlSF_S6_NS0_8equal_toIdEEEE10hipError_tPvRmT2_T3_mT4_T5_T6_T7_T8_P12ihipStream_tbENKUlT_T0_E_clISt17integral_constantIbLb0EESY_IbLb1EEEEDaSU_SV_EUlSU_E_NS1_11comp_targetILNS1_3genE3ELNS1_11target_archE908ELNS1_3gpuE7ELNS1_3repE0EEENS1_30default_config_static_selectorELNS0_4arch9wavefront6targetE0EEEvT1_,@function
_ZN7rocprim17ROCPRIM_400000_NS6detail17trampoline_kernelINS0_14default_configENS1_33run_length_encode_config_selectorIdjNS0_4plusIjEEEEZZNS1_33reduce_by_key_impl_wrapped_configILNS1_25lookback_scan_determinismE0ES3_S7_PKdNS0_17constant_iteratorIjlEEPdPlSF_S6_NS0_8equal_toIdEEEE10hipError_tPvRmT2_T3_mT4_T5_T6_T7_T8_P12ihipStream_tbENKUlT_T0_E_clISt17integral_constantIbLb0EESY_IbLb1EEEEDaSU_SV_EUlSU_E_NS1_11comp_targetILNS1_3genE3ELNS1_11target_archE908ELNS1_3gpuE7ELNS1_3repE0EEENS1_30default_config_static_selectorELNS0_4arch9wavefront6targetE0EEEvT1_: ; @_ZN7rocprim17ROCPRIM_400000_NS6detail17trampoline_kernelINS0_14default_configENS1_33run_length_encode_config_selectorIdjNS0_4plusIjEEEEZZNS1_33reduce_by_key_impl_wrapped_configILNS1_25lookback_scan_determinismE0ES3_S7_PKdNS0_17constant_iteratorIjlEEPdPlSF_S6_NS0_8equal_toIdEEEE10hipError_tPvRmT2_T3_mT4_T5_T6_T7_T8_P12ihipStream_tbENKUlT_T0_E_clISt17integral_constantIbLb0EESY_IbLb1EEEEDaSU_SV_EUlSU_E_NS1_11comp_targetILNS1_3genE3ELNS1_11target_archE908ELNS1_3gpuE7ELNS1_3repE0EEENS1_30default_config_static_selectorELNS0_4arch9wavefront6targetE0EEEvT1_
; %bb.0:
	.section	.rodata,"a",@progbits
	.p2align	6, 0x0
	.amdhsa_kernel _ZN7rocprim17ROCPRIM_400000_NS6detail17trampoline_kernelINS0_14default_configENS1_33run_length_encode_config_selectorIdjNS0_4plusIjEEEEZZNS1_33reduce_by_key_impl_wrapped_configILNS1_25lookback_scan_determinismE0ES3_S7_PKdNS0_17constant_iteratorIjlEEPdPlSF_S6_NS0_8equal_toIdEEEE10hipError_tPvRmT2_T3_mT4_T5_T6_T7_T8_P12ihipStream_tbENKUlT_T0_E_clISt17integral_constantIbLb0EESY_IbLb1EEEEDaSU_SV_EUlSU_E_NS1_11comp_targetILNS1_3genE3ELNS1_11target_archE908ELNS1_3gpuE7ELNS1_3repE0EEENS1_30default_config_static_selectorELNS0_4arch9wavefront6targetE0EEEvT1_
		.amdhsa_group_segment_fixed_size 0
		.amdhsa_private_segment_fixed_size 0
		.amdhsa_kernarg_size 128
		.amdhsa_user_sgpr_count 2
		.amdhsa_user_sgpr_dispatch_ptr 0
		.amdhsa_user_sgpr_queue_ptr 0
		.amdhsa_user_sgpr_kernarg_segment_ptr 1
		.amdhsa_user_sgpr_dispatch_id 0
		.amdhsa_user_sgpr_kernarg_preload_length 0
		.amdhsa_user_sgpr_kernarg_preload_offset 0
		.amdhsa_user_sgpr_private_segment_size 0
		.amdhsa_wavefront_size32 1
		.amdhsa_uses_dynamic_stack 0
		.amdhsa_enable_private_segment 0
		.amdhsa_system_sgpr_workgroup_id_x 1
		.amdhsa_system_sgpr_workgroup_id_y 0
		.amdhsa_system_sgpr_workgroup_id_z 0
		.amdhsa_system_sgpr_workgroup_info 0
		.amdhsa_system_vgpr_workitem_id 0
		.amdhsa_next_free_vgpr 1
		.amdhsa_next_free_sgpr 1
		.amdhsa_named_barrier_count 0
		.amdhsa_reserve_vcc 0
		.amdhsa_float_round_mode_32 0
		.amdhsa_float_round_mode_16_64 0
		.amdhsa_float_denorm_mode_32 3
		.amdhsa_float_denorm_mode_16_64 3
		.amdhsa_fp16_overflow 0
		.amdhsa_memory_ordered 1
		.amdhsa_forward_progress 1
		.amdhsa_inst_pref_size 0
		.amdhsa_round_robin_scheduling 0
		.amdhsa_exception_fp_ieee_invalid_op 0
		.amdhsa_exception_fp_denorm_src 0
		.amdhsa_exception_fp_ieee_div_zero 0
		.amdhsa_exception_fp_ieee_overflow 0
		.amdhsa_exception_fp_ieee_underflow 0
		.amdhsa_exception_fp_ieee_inexact 0
		.amdhsa_exception_int_div_zero 0
	.end_amdhsa_kernel
	.section	.text._ZN7rocprim17ROCPRIM_400000_NS6detail17trampoline_kernelINS0_14default_configENS1_33run_length_encode_config_selectorIdjNS0_4plusIjEEEEZZNS1_33reduce_by_key_impl_wrapped_configILNS1_25lookback_scan_determinismE0ES3_S7_PKdNS0_17constant_iteratorIjlEEPdPlSF_S6_NS0_8equal_toIdEEEE10hipError_tPvRmT2_T3_mT4_T5_T6_T7_T8_P12ihipStream_tbENKUlT_T0_E_clISt17integral_constantIbLb0EESY_IbLb1EEEEDaSU_SV_EUlSU_E_NS1_11comp_targetILNS1_3genE3ELNS1_11target_archE908ELNS1_3gpuE7ELNS1_3repE0EEENS1_30default_config_static_selectorELNS0_4arch9wavefront6targetE0EEEvT1_,"axG",@progbits,_ZN7rocprim17ROCPRIM_400000_NS6detail17trampoline_kernelINS0_14default_configENS1_33run_length_encode_config_selectorIdjNS0_4plusIjEEEEZZNS1_33reduce_by_key_impl_wrapped_configILNS1_25lookback_scan_determinismE0ES3_S7_PKdNS0_17constant_iteratorIjlEEPdPlSF_S6_NS0_8equal_toIdEEEE10hipError_tPvRmT2_T3_mT4_T5_T6_T7_T8_P12ihipStream_tbENKUlT_T0_E_clISt17integral_constantIbLb0EESY_IbLb1EEEEDaSU_SV_EUlSU_E_NS1_11comp_targetILNS1_3genE3ELNS1_11target_archE908ELNS1_3gpuE7ELNS1_3repE0EEENS1_30default_config_static_selectorELNS0_4arch9wavefront6targetE0EEEvT1_,comdat
.Lfunc_end334:
	.size	_ZN7rocprim17ROCPRIM_400000_NS6detail17trampoline_kernelINS0_14default_configENS1_33run_length_encode_config_selectorIdjNS0_4plusIjEEEEZZNS1_33reduce_by_key_impl_wrapped_configILNS1_25lookback_scan_determinismE0ES3_S7_PKdNS0_17constant_iteratorIjlEEPdPlSF_S6_NS0_8equal_toIdEEEE10hipError_tPvRmT2_T3_mT4_T5_T6_T7_T8_P12ihipStream_tbENKUlT_T0_E_clISt17integral_constantIbLb0EESY_IbLb1EEEEDaSU_SV_EUlSU_E_NS1_11comp_targetILNS1_3genE3ELNS1_11target_archE908ELNS1_3gpuE7ELNS1_3repE0EEENS1_30default_config_static_selectorELNS0_4arch9wavefront6targetE0EEEvT1_, .Lfunc_end334-_ZN7rocprim17ROCPRIM_400000_NS6detail17trampoline_kernelINS0_14default_configENS1_33run_length_encode_config_selectorIdjNS0_4plusIjEEEEZZNS1_33reduce_by_key_impl_wrapped_configILNS1_25lookback_scan_determinismE0ES3_S7_PKdNS0_17constant_iteratorIjlEEPdPlSF_S6_NS0_8equal_toIdEEEE10hipError_tPvRmT2_T3_mT4_T5_T6_T7_T8_P12ihipStream_tbENKUlT_T0_E_clISt17integral_constantIbLb0EESY_IbLb1EEEEDaSU_SV_EUlSU_E_NS1_11comp_targetILNS1_3genE3ELNS1_11target_archE908ELNS1_3gpuE7ELNS1_3repE0EEENS1_30default_config_static_selectorELNS0_4arch9wavefront6targetE0EEEvT1_
                                        ; -- End function
	.set _ZN7rocprim17ROCPRIM_400000_NS6detail17trampoline_kernelINS0_14default_configENS1_33run_length_encode_config_selectorIdjNS0_4plusIjEEEEZZNS1_33reduce_by_key_impl_wrapped_configILNS1_25lookback_scan_determinismE0ES3_S7_PKdNS0_17constant_iteratorIjlEEPdPlSF_S6_NS0_8equal_toIdEEEE10hipError_tPvRmT2_T3_mT4_T5_T6_T7_T8_P12ihipStream_tbENKUlT_T0_E_clISt17integral_constantIbLb0EESY_IbLb1EEEEDaSU_SV_EUlSU_E_NS1_11comp_targetILNS1_3genE3ELNS1_11target_archE908ELNS1_3gpuE7ELNS1_3repE0EEENS1_30default_config_static_selectorELNS0_4arch9wavefront6targetE0EEEvT1_.num_vgpr, 0
	.set _ZN7rocprim17ROCPRIM_400000_NS6detail17trampoline_kernelINS0_14default_configENS1_33run_length_encode_config_selectorIdjNS0_4plusIjEEEEZZNS1_33reduce_by_key_impl_wrapped_configILNS1_25lookback_scan_determinismE0ES3_S7_PKdNS0_17constant_iteratorIjlEEPdPlSF_S6_NS0_8equal_toIdEEEE10hipError_tPvRmT2_T3_mT4_T5_T6_T7_T8_P12ihipStream_tbENKUlT_T0_E_clISt17integral_constantIbLb0EESY_IbLb1EEEEDaSU_SV_EUlSU_E_NS1_11comp_targetILNS1_3genE3ELNS1_11target_archE908ELNS1_3gpuE7ELNS1_3repE0EEENS1_30default_config_static_selectorELNS0_4arch9wavefront6targetE0EEEvT1_.num_agpr, 0
	.set _ZN7rocprim17ROCPRIM_400000_NS6detail17trampoline_kernelINS0_14default_configENS1_33run_length_encode_config_selectorIdjNS0_4plusIjEEEEZZNS1_33reduce_by_key_impl_wrapped_configILNS1_25lookback_scan_determinismE0ES3_S7_PKdNS0_17constant_iteratorIjlEEPdPlSF_S6_NS0_8equal_toIdEEEE10hipError_tPvRmT2_T3_mT4_T5_T6_T7_T8_P12ihipStream_tbENKUlT_T0_E_clISt17integral_constantIbLb0EESY_IbLb1EEEEDaSU_SV_EUlSU_E_NS1_11comp_targetILNS1_3genE3ELNS1_11target_archE908ELNS1_3gpuE7ELNS1_3repE0EEENS1_30default_config_static_selectorELNS0_4arch9wavefront6targetE0EEEvT1_.numbered_sgpr, 0
	.set _ZN7rocprim17ROCPRIM_400000_NS6detail17trampoline_kernelINS0_14default_configENS1_33run_length_encode_config_selectorIdjNS0_4plusIjEEEEZZNS1_33reduce_by_key_impl_wrapped_configILNS1_25lookback_scan_determinismE0ES3_S7_PKdNS0_17constant_iteratorIjlEEPdPlSF_S6_NS0_8equal_toIdEEEE10hipError_tPvRmT2_T3_mT4_T5_T6_T7_T8_P12ihipStream_tbENKUlT_T0_E_clISt17integral_constantIbLb0EESY_IbLb1EEEEDaSU_SV_EUlSU_E_NS1_11comp_targetILNS1_3genE3ELNS1_11target_archE908ELNS1_3gpuE7ELNS1_3repE0EEENS1_30default_config_static_selectorELNS0_4arch9wavefront6targetE0EEEvT1_.num_named_barrier, 0
	.set _ZN7rocprim17ROCPRIM_400000_NS6detail17trampoline_kernelINS0_14default_configENS1_33run_length_encode_config_selectorIdjNS0_4plusIjEEEEZZNS1_33reduce_by_key_impl_wrapped_configILNS1_25lookback_scan_determinismE0ES3_S7_PKdNS0_17constant_iteratorIjlEEPdPlSF_S6_NS0_8equal_toIdEEEE10hipError_tPvRmT2_T3_mT4_T5_T6_T7_T8_P12ihipStream_tbENKUlT_T0_E_clISt17integral_constantIbLb0EESY_IbLb1EEEEDaSU_SV_EUlSU_E_NS1_11comp_targetILNS1_3genE3ELNS1_11target_archE908ELNS1_3gpuE7ELNS1_3repE0EEENS1_30default_config_static_selectorELNS0_4arch9wavefront6targetE0EEEvT1_.private_seg_size, 0
	.set _ZN7rocprim17ROCPRIM_400000_NS6detail17trampoline_kernelINS0_14default_configENS1_33run_length_encode_config_selectorIdjNS0_4plusIjEEEEZZNS1_33reduce_by_key_impl_wrapped_configILNS1_25lookback_scan_determinismE0ES3_S7_PKdNS0_17constant_iteratorIjlEEPdPlSF_S6_NS0_8equal_toIdEEEE10hipError_tPvRmT2_T3_mT4_T5_T6_T7_T8_P12ihipStream_tbENKUlT_T0_E_clISt17integral_constantIbLb0EESY_IbLb1EEEEDaSU_SV_EUlSU_E_NS1_11comp_targetILNS1_3genE3ELNS1_11target_archE908ELNS1_3gpuE7ELNS1_3repE0EEENS1_30default_config_static_selectorELNS0_4arch9wavefront6targetE0EEEvT1_.uses_vcc, 0
	.set _ZN7rocprim17ROCPRIM_400000_NS6detail17trampoline_kernelINS0_14default_configENS1_33run_length_encode_config_selectorIdjNS0_4plusIjEEEEZZNS1_33reduce_by_key_impl_wrapped_configILNS1_25lookback_scan_determinismE0ES3_S7_PKdNS0_17constant_iteratorIjlEEPdPlSF_S6_NS0_8equal_toIdEEEE10hipError_tPvRmT2_T3_mT4_T5_T6_T7_T8_P12ihipStream_tbENKUlT_T0_E_clISt17integral_constantIbLb0EESY_IbLb1EEEEDaSU_SV_EUlSU_E_NS1_11comp_targetILNS1_3genE3ELNS1_11target_archE908ELNS1_3gpuE7ELNS1_3repE0EEENS1_30default_config_static_selectorELNS0_4arch9wavefront6targetE0EEEvT1_.uses_flat_scratch, 0
	.set _ZN7rocprim17ROCPRIM_400000_NS6detail17trampoline_kernelINS0_14default_configENS1_33run_length_encode_config_selectorIdjNS0_4plusIjEEEEZZNS1_33reduce_by_key_impl_wrapped_configILNS1_25lookback_scan_determinismE0ES3_S7_PKdNS0_17constant_iteratorIjlEEPdPlSF_S6_NS0_8equal_toIdEEEE10hipError_tPvRmT2_T3_mT4_T5_T6_T7_T8_P12ihipStream_tbENKUlT_T0_E_clISt17integral_constantIbLb0EESY_IbLb1EEEEDaSU_SV_EUlSU_E_NS1_11comp_targetILNS1_3genE3ELNS1_11target_archE908ELNS1_3gpuE7ELNS1_3repE0EEENS1_30default_config_static_selectorELNS0_4arch9wavefront6targetE0EEEvT1_.has_dyn_sized_stack, 0
	.set _ZN7rocprim17ROCPRIM_400000_NS6detail17trampoline_kernelINS0_14default_configENS1_33run_length_encode_config_selectorIdjNS0_4plusIjEEEEZZNS1_33reduce_by_key_impl_wrapped_configILNS1_25lookback_scan_determinismE0ES3_S7_PKdNS0_17constant_iteratorIjlEEPdPlSF_S6_NS0_8equal_toIdEEEE10hipError_tPvRmT2_T3_mT4_T5_T6_T7_T8_P12ihipStream_tbENKUlT_T0_E_clISt17integral_constantIbLb0EESY_IbLb1EEEEDaSU_SV_EUlSU_E_NS1_11comp_targetILNS1_3genE3ELNS1_11target_archE908ELNS1_3gpuE7ELNS1_3repE0EEENS1_30default_config_static_selectorELNS0_4arch9wavefront6targetE0EEEvT1_.has_recursion, 0
	.set _ZN7rocprim17ROCPRIM_400000_NS6detail17trampoline_kernelINS0_14default_configENS1_33run_length_encode_config_selectorIdjNS0_4plusIjEEEEZZNS1_33reduce_by_key_impl_wrapped_configILNS1_25lookback_scan_determinismE0ES3_S7_PKdNS0_17constant_iteratorIjlEEPdPlSF_S6_NS0_8equal_toIdEEEE10hipError_tPvRmT2_T3_mT4_T5_T6_T7_T8_P12ihipStream_tbENKUlT_T0_E_clISt17integral_constantIbLb0EESY_IbLb1EEEEDaSU_SV_EUlSU_E_NS1_11comp_targetILNS1_3genE3ELNS1_11target_archE908ELNS1_3gpuE7ELNS1_3repE0EEENS1_30default_config_static_selectorELNS0_4arch9wavefront6targetE0EEEvT1_.has_indirect_call, 0
	.section	.AMDGPU.csdata,"",@progbits
; Kernel info:
; codeLenInByte = 0
; TotalNumSgprs: 0
; NumVgprs: 0
; ScratchSize: 0
; MemoryBound: 0
; FloatMode: 240
; IeeeMode: 1
; LDSByteSize: 0 bytes/workgroup (compile time only)
; SGPRBlocks: 0
; VGPRBlocks: 0
; NumSGPRsForWavesPerEU: 1
; NumVGPRsForWavesPerEU: 1
; NamedBarCnt: 0
; Occupancy: 16
; WaveLimiterHint : 0
; COMPUTE_PGM_RSRC2:SCRATCH_EN: 0
; COMPUTE_PGM_RSRC2:USER_SGPR: 2
; COMPUTE_PGM_RSRC2:TRAP_HANDLER: 0
; COMPUTE_PGM_RSRC2:TGID_X_EN: 1
; COMPUTE_PGM_RSRC2:TGID_Y_EN: 0
; COMPUTE_PGM_RSRC2:TGID_Z_EN: 0
; COMPUTE_PGM_RSRC2:TIDIG_COMP_CNT: 0
	.section	.text._ZN7rocprim17ROCPRIM_400000_NS6detail17trampoline_kernelINS0_14default_configENS1_33run_length_encode_config_selectorIdjNS0_4plusIjEEEEZZNS1_33reduce_by_key_impl_wrapped_configILNS1_25lookback_scan_determinismE0ES3_S7_PKdNS0_17constant_iteratorIjlEEPdPlSF_S6_NS0_8equal_toIdEEEE10hipError_tPvRmT2_T3_mT4_T5_T6_T7_T8_P12ihipStream_tbENKUlT_T0_E_clISt17integral_constantIbLb0EESY_IbLb1EEEEDaSU_SV_EUlSU_E_NS1_11comp_targetILNS1_3genE2ELNS1_11target_archE906ELNS1_3gpuE6ELNS1_3repE0EEENS1_30default_config_static_selectorELNS0_4arch9wavefront6targetE0EEEvT1_,"axG",@progbits,_ZN7rocprim17ROCPRIM_400000_NS6detail17trampoline_kernelINS0_14default_configENS1_33run_length_encode_config_selectorIdjNS0_4plusIjEEEEZZNS1_33reduce_by_key_impl_wrapped_configILNS1_25lookback_scan_determinismE0ES3_S7_PKdNS0_17constant_iteratorIjlEEPdPlSF_S6_NS0_8equal_toIdEEEE10hipError_tPvRmT2_T3_mT4_T5_T6_T7_T8_P12ihipStream_tbENKUlT_T0_E_clISt17integral_constantIbLb0EESY_IbLb1EEEEDaSU_SV_EUlSU_E_NS1_11comp_targetILNS1_3genE2ELNS1_11target_archE906ELNS1_3gpuE6ELNS1_3repE0EEENS1_30default_config_static_selectorELNS0_4arch9wavefront6targetE0EEEvT1_,comdat
	.protected	_ZN7rocprim17ROCPRIM_400000_NS6detail17trampoline_kernelINS0_14default_configENS1_33run_length_encode_config_selectorIdjNS0_4plusIjEEEEZZNS1_33reduce_by_key_impl_wrapped_configILNS1_25lookback_scan_determinismE0ES3_S7_PKdNS0_17constant_iteratorIjlEEPdPlSF_S6_NS0_8equal_toIdEEEE10hipError_tPvRmT2_T3_mT4_T5_T6_T7_T8_P12ihipStream_tbENKUlT_T0_E_clISt17integral_constantIbLb0EESY_IbLb1EEEEDaSU_SV_EUlSU_E_NS1_11comp_targetILNS1_3genE2ELNS1_11target_archE906ELNS1_3gpuE6ELNS1_3repE0EEENS1_30default_config_static_selectorELNS0_4arch9wavefront6targetE0EEEvT1_ ; -- Begin function _ZN7rocprim17ROCPRIM_400000_NS6detail17trampoline_kernelINS0_14default_configENS1_33run_length_encode_config_selectorIdjNS0_4plusIjEEEEZZNS1_33reduce_by_key_impl_wrapped_configILNS1_25lookback_scan_determinismE0ES3_S7_PKdNS0_17constant_iteratorIjlEEPdPlSF_S6_NS0_8equal_toIdEEEE10hipError_tPvRmT2_T3_mT4_T5_T6_T7_T8_P12ihipStream_tbENKUlT_T0_E_clISt17integral_constantIbLb0EESY_IbLb1EEEEDaSU_SV_EUlSU_E_NS1_11comp_targetILNS1_3genE2ELNS1_11target_archE906ELNS1_3gpuE6ELNS1_3repE0EEENS1_30default_config_static_selectorELNS0_4arch9wavefront6targetE0EEEvT1_
	.globl	_ZN7rocprim17ROCPRIM_400000_NS6detail17trampoline_kernelINS0_14default_configENS1_33run_length_encode_config_selectorIdjNS0_4plusIjEEEEZZNS1_33reduce_by_key_impl_wrapped_configILNS1_25lookback_scan_determinismE0ES3_S7_PKdNS0_17constant_iteratorIjlEEPdPlSF_S6_NS0_8equal_toIdEEEE10hipError_tPvRmT2_T3_mT4_T5_T6_T7_T8_P12ihipStream_tbENKUlT_T0_E_clISt17integral_constantIbLb0EESY_IbLb1EEEEDaSU_SV_EUlSU_E_NS1_11comp_targetILNS1_3genE2ELNS1_11target_archE906ELNS1_3gpuE6ELNS1_3repE0EEENS1_30default_config_static_selectorELNS0_4arch9wavefront6targetE0EEEvT1_
	.p2align	8
	.type	_ZN7rocprim17ROCPRIM_400000_NS6detail17trampoline_kernelINS0_14default_configENS1_33run_length_encode_config_selectorIdjNS0_4plusIjEEEEZZNS1_33reduce_by_key_impl_wrapped_configILNS1_25lookback_scan_determinismE0ES3_S7_PKdNS0_17constant_iteratorIjlEEPdPlSF_S6_NS0_8equal_toIdEEEE10hipError_tPvRmT2_T3_mT4_T5_T6_T7_T8_P12ihipStream_tbENKUlT_T0_E_clISt17integral_constantIbLb0EESY_IbLb1EEEEDaSU_SV_EUlSU_E_NS1_11comp_targetILNS1_3genE2ELNS1_11target_archE906ELNS1_3gpuE6ELNS1_3repE0EEENS1_30default_config_static_selectorELNS0_4arch9wavefront6targetE0EEEvT1_,@function
_ZN7rocprim17ROCPRIM_400000_NS6detail17trampoline_kernelINS0_14default_configENS1_33run_length_encode_config_selectorIdjNS0_4plusIjEEEEZZNS1_33reduce_by_key_impl_wrapped_configILNS1_25lookback_scan_determinismE0ES3_S7_PKdNS0_17constant_iteratorIjlEEPdPlSF_S6_NS0_8equal_toIdEEEE10hipError_tPvRmT2_T3_mT4_T5_T6_T7_T8_P12ihipStream_tbENKUlT_T0_E_clISt17integral_constantIbLb0EESY_IbLb1EEEEDaSU_SV_EUlSU_E_NS1_11comp_targetILNS1_3genE2ELNS1_11target_archE906ELNS1_3gpuE6ELNS1_3repE0EEENS1_30default_config_static_selectorELNS0_4arch9wavefront6targetE0EEEvT1_: ; @_ZN7rocprim17ROCPRIM_400000_NS6detail17trampoline_kernelINS0_14default_configENS1_33run_length_encode_config_selectorIdjNS0_4plusIjEEEEZZNS1_33reduce_by_key_impl_wrapped_configILNS1_25lookback_scan_determinismE0ES3_S7_PKdNS0_17constant_iteratorIjlEEPdPlSF_S6_NS0_8equal_toIdEEEE10hipError_tPvRmT2_T3_mT4_T5_T6_T7_T8_P12ihipStream_tbENKUlT_T0_E_clISt17integral_constantIbLb0EESY_IbLb1EEEEDaSU_SV_EUlSU_E_NS1_11comp_targetILNS1_3genE2ELNS1_11target_archE906ELNS1_3gpuE6ELNS1_3repE0EEENS1_30default_config_static_selectorELNS0_4arch9wavefront6targetE0EEEvT1_
; %bb.0:
	.section	.rodata,"a",@progbits
	.p2align	6, 0x0
	.amdhsa_kernel _ZN7rocprim17ROCPRIM_400000_NS6detail17trampoline_kernelINS0_14default_configENS1_33run_length_encode_config_selectorIdjNS0_4plusIjEEEEZZNS1_33reduce_by_key_impl_wrapped_configILNS1_25lookback_scan_determinismE0ES3_S7_PKdNS0_17constant_iteratorIjlEEPdPlSF_S6_NS0_8equal_toIdEEEE10hipError_tPvRmT2_T3_mT4_T5_T6_T7_T8_P12ihipStream_tbENKUlT_T0_E_clISt17integral_constantIbLb0EESY_IbLb1EEEEDaSU_SV_EUlSU_E_NS1_11comp_targetILNS1_3genE2ELNS1_11target_archE906ELNS1_3gpuE6ELNS1_3repE0EEENS1_30default_config_static_selectorELNS0_4arch9wavefront6targetE0EEEvT1_
		.amdhsa_group_segment_fixed_size 0
		.amdhsa_private_segment_fixed_size 0
		.amdhsa_kernarg_size 128
		.amdhsa_user_sgpr_count 2
		.amdhsa_user_sgpr_dispatch_ptr 0
		.amdhsa_user_sgpr_queue_ptr 0
		.amdhsa_user_sgpr_kernarg_segment_ptr 1
		.amdhsa_user_sgpr_dispatch_id 0
		.amdhsa_user_sgpr_kernarg_preload_length 0
		.amdhsa_user_sgpr_kernarg_preload_offset 0
		.amdhsa_user_sgpr_private_segment_size 0
		.amdhsa_wavefront_size32 1
		.amdhsa_uses_dynamic_stack 0
		.amdhsa_enable_private_segment 0
		.amdhsa_system_sgpr_workgroup_id_x 1
		.amdhsa_system_sgpr_workgroup_id_y 0
		.amdhsa_system_sgpr_workgroup_id_z 0
		.amdhsa_system_sgpr_workgroup_info 0
		.amdhsa_system_vgpr_workitem_id 0
		.amdhsa_next_free_vgpr 1
		.amdhsa_next_free_sgpr 1
		.amdhsa_named_barrier_count 0
		.amdhsa_reserve_vcc 0
		.amdhsa_float_round_mode_32 0
		.amdhsa_float_round_mode_16_64 0
		.amdhsa_float_denorm_mode_32 3
		.amdhsa_float_denorm_mode_16_64 3
		.amdhsa_fp16_overflow 0
		.amdhsa_memory_ordered 1
		.amdhsa_forward_progress 1
		.amdhsa_inst_pref_size 0
		.amdhsa_round_robin_scheduling 0
		.amdhsa_exception_fp_ieee_invalid_op 0
		.amdhsa_exception_fp_denorm_src 0
		.amdhsa_exception_fp_ieee_div_zero 0
		.amdhsa_exception_fp_ieee_overflow 0
		.amdhsa_exception_fp_ieee_underflow 0
		.amdhsa_exception_fp_ieee_inexact 0
		.amdhsa_exception_int_div_zero 0
	.end_amdhsa_kernel
	.section	.text._ZN7rocprim17ROCPRIM_400000_NS6detail17trampoline_kernelINS0_14default_configENS1_33run_length_encode_config_selectorIdjNS0_4plusIjEEEEZZNS1_33reduce_by_key_impl_wrapped_configILNS1_25lookback_scan_determinismE0ES3_S7_PKdNS0_17constant_iteratorIjlEEPdPlSF_S6_NS0_8equal_toIdEEEE10hipError_tPvRmT2_T3_mT4_T5_T6_T7_T8_P12ihipStream_tbENKUlT_T0_E_clISt17integral_constantIbLb0EESY_IbLb1EEEEDaSU_SV_EUlSU_E_NS1_11comp_targetILNS1_3genE2ELNS1_11target_archE906ELNS1_3gpuE6ELNS1_3repE0EEENS1_30default_config_static_selectorELNS0_4arch9wavefront6targetE0EEEvT1_,"axG",@progbits,_ZN7rocprim17ROCPRIM_400000_NS6detail17trampoline_kernelINS0_14default_configENS1_33run_length_encode_config_selectorIdjNS0_4plusIjEEEEZZNS1_33reduce_by_key_impl_wrapped_configILNS1_25lookback_scan_determinismE0ES3_S7_PKdNS0_17constant_iteratorIjlEEPdPlSF_S6_NS0_8equal_toIdEEEE10hipError_tPvRmT2_T3_mT4_T5_T6_T7_T8_P12ihipStream_tbENKUlT_T0_E_clISt17integral_constantIbLb0EESY_IbLb1EEEEDaSU_SV_EUlSU_E_NS1_11comp_targetILNS1_3genE2ELNS1_11target_archE906ELNS1_3gpuE6ELNS1_3repE0EEENS1_30default_config_static_selectorELNS0_4arch9wavefront6targetE0EEEvT1_,comdat
.Lfunc_end335:
	.size	_ZN7rocprim17ROCPRIM_400000_NS6detail17trampoline_kernelINS0_14default_configENS1_33run_length_encode_config_selectorIdjNS0_4plusIjEEEEZZNS1_33reduce_by_key_impl_wrapped_configILNS1_25lookback_scan_determinismE0ES3_S7_PKdNS0_17constant_iteratorIjlEEPdPlSF_S6_NS0_8equal_toIdEEEE10hipError_tPvRmT2_T3_mT4_T5_T6_T7_T8_P12ihipStream_tbENKUlT_T0_E_clISt17integral_constantIbLb0EESY_IbLb1EEEEDaSU_SV_EUlSU_E_NS1_11comp_targetILNS1_3genE2ELNS1_11target_archE906ELNS1_3gpuE6ELNS1_3repE0EEENS1_30default_config_static_selectorELNS0_4arch9wavefront6targetE0EEEvT1_, .Lfunc_end335-_ZN7rocprim17ROCPRIM_400000_NS6detail17trampoline_kernelINS0_14default_configENS1_33run_length_encode_config_selectorIdjNS0_4plusIjEEEEZZNS1_33reduce_by_key_impl_wrapped_configILNS1_25lookback_scan_determinismE0ES3_S7_PKdNS0_17constant_iteratorIjlEEPdPlSF_S6_NS0_8equal_toIdEEEE10hipError_tPvRmT2_T3_mT4_T5_T6_T7_T8_P12ihipStream_tbENKUlT_T0_E_clISt17integral_constantIbLb0EESY_IbLb1EEEEDaSU_SV_EUlSU_E_NS1_11comp_targetILNS1_3genE2ELNS1_11target_archE906ELNS1_3gpuE6ELNS1_3repE0EEENS1_30default_config_static_selectorELNS0_4arch9wavefront6targetE0EEEvT1_
                                        ; -- End function
	.set _ZN7rocprim17ROCPRIM_400000_NS6detail17trampoline_kernelINS0_14default_configENS1_33run_length_encode_config_selectorIdjNS0_4plusIjEEEEZZNS1_33reduce_by_key_impl_wrapped_configILNS1_25lookback_scan_determinismE0ES3_S7_PKdNS0_17constant_iteratorIjlEEPdPlSF_S6_NS0_8equal_toIdEEEE10hipError_tPvRmT2_T3_mT4_T5_T6_T7_T8_P12ihipStream_tbENKUlT_T0_E_clISt17integral_constantIbLb0EESY_IbLb1EEEEDaSU_SV_EUlSU_E_NS1_11comp_targetILNS1_3genE2ELNS1_11target_archE906ELNS1_3gpuE6ELNS1_3repE0EEENS1_30default_config_static_selectorELNS0_4arch9wavefront6targetE0EEEvT1_.num_vgpr, 0
	.set _ZN7rocprim17ROCPRIM_400000_NS6detail17trampoline_kernelINS0_14default_configENS1_33run_length_encode_config_selectorIdjNS0_4plusIjEEEEZZNS1_33reduce_by_key_impl_wrapped_configILNS1_25lookback_scan_determinismE0ES3_S7_PKdNS0_17constant_iteratorIjlEEPdPlSF_S6_NS0_8equal_toIdEEEE10hipError_tPvRmT2_T3_mT4_T5_T6_T7_T8_P12ihipStream_tbENKUlT_T0_E_clISt17integral_constantIbLb0EESY_IbLb1EEEEDaSU_SV_EUlSU_E_NS1_11comp_targetILNS1_3genE2ELNS1_11target_archE906ELNS1_3gpuE6ELNS1_3repE0EEENS1_30default_config_static_selectorELNS0_4arch9wavefront6targetE0EEEvT1_.num_agpr, 0
	.set _ZN7rocprim17ROCPRIM_400000_NS6detail17trampoline_kernelINS0_14default_configENS1_33run_length_encode_config_selectorIdjNS0_4plusIjEEEEZZNS1_33reduce_by_key_impl_wrapped_configILNS1_25lookback_scan_determinismE0ES3_S7_PKdNS0_17constant_iteratorIjlEEPdPlSF_S6_NS0_8equal_toIdEEEE10hipError_tPvRmT2_T3_mT4_T5_T6_T7_T8_P12ihipStream_tbENKUlT_T0_E_clISt17integral_constantIbLb0EESY_IbLb1EEEEDaSU_SV_EUlSU_E_NS1_11comp_targetILNS1_3genE2ELNS1_11target_archE906ELNS1_3gpuE6ELNS1_3repE0EEENS1_30default_config_static_selectorELNS0_4arch9wavefront6targetE0EEEvT1_.numbered_sgpr, 0
	.set _ZN7rocprim17ROCPRIM_400000_NS6detail17trampoline_kernelINS0_14default_configENS1_33run_length_encode_config_selectorIdjNS0_4plusIjEEEEZZNS1_33reduce_by_key_impl_wrapped_configILNS1_25lookback_scan_determinismE0ES3_S7_PKdNS0_17constant_iteratorIjlEEPdPlSF_S6_NS0_8equal_toIdEEEE10hipError_tPvRmT2_T3_mT4_T5_T6_T7_T8_P12ihipStream_tbENKUlT_T0_E_clISt17integral_constantIbLb0EESY_IbLb1EEEEDaSU_SV_EUlSU_E_NS1_11comp_targetILNS1_3genE2ELNS1_11target_archE906ELNS1_3gpuE6ELNS1_3repE0EEENS1_30default_config_static_selectorELNS0_4arch9wavefront6targetE0EEEvT1_.num_named_barrier, 0
	.set _ZN7rocprim17ROCPRIM_400000_NS6detail17trampoline_kernelINS0_14default_configENS1_33run_length_encode_config_selectorIdjNS0_4plusIjEEEEZZNS1_33reduce_by_key_impl_wrapped_configILNS1_25lookback_scan_determinismE0ES3_S7_PKdNS0_17constant_iteratorIjlEEPdPlSF_S6_NS0_8equal_toIdEEEE10hipError_tPvRmT2_T3_mT4_T5_T6_T7_T8_P12ihipStream_tbENKUlT_T0_E_clISt17integral_constantIbLb0EESY_IbLb1EEEEDaSU_SV_EUlSU_E_NS1_11comp_targetILNS1_3genE2ELNS1_11target_archE906ELNS1_3gpuE6ELNS1_3repE0EEENS1_30default_config_static_selectorELNS0_4arch9wavefront6targetE0EEEvT1_.private_seg_size, 0
	.set _ZN7rocprim17ROCPRIM_400000_NS6detail17trampoline_kernelINS0_14default_configENS1_33run_length_encode_config_selectorIdjNS0_4plusIjEEEEZZNS1_33reduce_by_key_impl_wrapped_configILNS1_25lookback_scan_determinismE0ES3_S7_PKdNS0_17constant_iteratorIjlEEPdPlSF_S6_NS0_8equal_toIdEEEE10hipError_tPvRmT2_T3_mT4_T5_T6_T7_T8_P12ihipStream_tbENKUlT_T0_E_clISt17integral_constantIbLb0EESY_IbLb1EEEEDaSU_SV_EUlSU_E_NS1_11comp_targetILNS1_3genE2ELNS1_11target_archE906ELNS1_3gpuE6ELNS1_3repE0EEENS1_30default_config_static_selectorELNS0_4arch9wavefront6targetE0EEEvT1_.uses_vcc, 0
	.set _ZN7rocprim17ROCPRIM_400000_NS6detail17trampoline_kernelINS0_14default_configENS1_33run_length_encode_config_selectorIdjNS0_4plusIjEEEEZZNS1_33reduce_by_key_impl_wrapped_configILNS1_25lookback_scan_determinismE0ES3_S7_PKdNS0_17constant_iteratorIjlEEPdPlSF_S6_NS0_8equal_toIdEEEE10hipError_tPvRmT2_T3_mT4_T5_T6_T7_T8_P12ihipStream_tbENKUlT_T0_E_clISt17integral_constantIbLb0EESY_IbLb1EEEEDaSU_SV_EUlSU_E_NS1_11comp_targetILNS1_3genE2ELNS1_11target_archE906ELNS1_3gpuE6ELNS1_3repE0EEENS1_30default_config_static_selectorELNS0_4arch9wavefront6targetE0EEEvT1_.uses_flat_scratch, 0
	.set _ZN7rocprim17ROCPRIM_400000_NS6detail17trampoline_kernelINS0_14default_configENS1_33run_length_encode_config_selectorIdjNS0_4plusIjEEEEZZNS1_33reduce_by_key_impl_wrapped_configILNS1_25lookback_scan_determinismE0ES3_S7_PKdNS0_17constant_iteratorIjlEEPdPlSF_S6_NS0_8equal_toIdEEEE10hipError_tPvRmT2_T3_mT4_T5_T6_T7_T8_P12ihipStream_tbENKUlT_T0_E_clISt17integral_constantIbLb0EESY_IbLb1EEEEDaSU_SV_EUlSU_E_NS1_11comp_targetILNS1_3genE2ELNS1_11target_archE906ELNS1_3gpuE6ELNS1_3repE0EEENS1_30default_config_static_selectorELNS0_4arch9wavefront6targetE0EEEvT1_.has_dyn_sized_stack, 0
	.set _ZN7rocprim17ROCPRIM_400000_NS6detail17trampoline_kernelINS0_14default_configENS1_33run_length_encode_config_selectorIdjNS0_4plusIjEEEEZZNS1_33reduce_by_key_impl_wrapped_configILNS1_25lookback_scan_determinismE0ES3_S7_PKdNS0_17constant_iteratorIjlEEPdPlSF_S6_NS0_8equal_toIdEEEE10hipError_tPvRmT2_T3_mT4_T5_T6_T7_T8_P12ihipStream_tbENKUlT_T0_E_clISt17integral_constantIbLb0EESY_IbLb1EEEEDaSU_SV_EUlSU_E_NS1_11comp_targetILNS1_3genE2ELNS1_11target_archE906ELNS1_3gpuE6ELNS1_3repE0EEENS1_30default_config_static_selectorELNS0_4arch9wavefront6targetE0EEEvT1_.has_recursion, 0
	.set _ZN7rocprim17ROCPRIM_400000_NS6detail17trampoline_kernelINS0_14default_configENS1_33run_length_encode_config_selectorIdjNS0_4plusIjEEEEZZNS1_33reduce_by_key_impl_wrapped_configILNS1_25lookback_scan_determinismE0ES3_S7_PKdNS0_17constant_iteratorIjlEEPdPlSF_S6_NS0_8equal_toIdEEEE10hipError_tPvRmT2_T3_mT4_T5_T6_T7_T8_P12ihipStream_tbENKUlT_T0_E_clISt17integral_constantIbLb0EESY_IbLb1EEEEDaSU_SV_EUlSU_E_NS1_11comp_targetILNS1_3genE2ELNS1_11target_archE906ELNS1_3gpuE6ELNS1_3repE0EEENS1_30default_config_static_selectorELNS0_4arch9wavefront6targetE0EEEvT1_.has_indirect_call, 0
	.section	.AMDGPU.csdata,"",@progbits
; Kernel info:
; codeLenInByte = 0
; TotalNumSgprs: 0
; NumVgprs: 0
; ScratchSize: 0
; MemoryBound: 0
; FloatMode: 240
; IeeeMode: 1
; LDSByteSize: 0 bytes/workgroup (compile time only)
; SGPRBlocks: 0
; VGPRBlocks: 0
; NumSGPRsForWavesPerEU: 1
; NumVGPRsForWavesPerEU: 1
; NamedBarCnt: 0
; Occupancy: 16
; WaveLimiterHint : 0
; COMPUTE_PGM_RSRC2:SCRATCH_EN: 0
; COMPUTE_PGM_RSRC2:USER_SGPR: 2
; COMPUTE_PGM_RSRC2:TRAP_HANDLER: 0
; COMPUTE_PGM_RSRC2:TGID_X_EN: 1
; COMPUTE_PGM_RSRC2:TGID_Y_EN: 0
; COMPUTE_PGM_RSRC2:TGID_Z_EN: 0
; COMPUTE_PGM_RSRC2:TIDIG_COMP_CNT: 0
	.section	.text._ZN7rocprim17ROCPRIM_400000_NS6detail17trampoline_kernelINS0_14default_configENS1_33run_length_encode_config_selectorIdjNS0_4plusIjEEEEZZNS1_33reduce_by_key_impl_wrapped_configILNS1_25lookback_scan_determinismE0ES3_S7_PKdNS0_17constant_iteratorIjlEEPdPlSF_S6_NS0_8equal_toIdEEEE10hipError_tPvRmT2_T3_mT4_T5_T6_T7_T8_P12ihipStream_tbENKUlT_T0_E_clISt17integral_constantIbLb0EESY_IbLb1EEEEDaSU_SV_EUlSU_E_NS1_11comp_targetILNS1_3genE10ELNS1_11target_archE1201ELNS1_3gpuE5ELNS1_3repE0EEENS1_30default_config_static_selectorELNS0_4arch9wavefront6targetE0EEEvT1_,"axG",@progbits,_ZN7rocprim17ROCPRIM_400000_NS6detail17trampoline_kernelINS0_14default_configENS1_33run_length_encode_config_selectorIdjNS0_4plusIjEEEEZZNS1_33reduce_by_key_impl_wrapped_configILNS1_25lookback_scan_determinismE0ES3_S7_PKdNS0_17constant_iteratorIjlEEPdPlSF_S6_NS0_8equal_toIdEEEE10hipError_tPvRmT2_T3_mT4_T5_T6_T7_T8_P12ihipStream_tbENKUlT_T0_E_clISt17integral_constantIbLb0EESY_IbLb1EEEEDaSU_SV_EUlSU_E_NS1_11comp_targetILNS1_3genE10ELNS1_11target_archE1201ELNS1_3gpuE5ELNS1_3repE0EEENS1_30default_config_static_selectorELNS0_4arch9wavefront6targetE0EEEvT1_,comdat
	.protected	_ZN7rocprim17ROCPRIM_400000_NS6detail17trampoline_kernelINS0_14default_configENS1_33run_length_encode_config_selectorIdjNS0_4plusIjEEEEZZNS1_33reduce_by_key_impl_wrapped_configILNS1_25lookback_scan_determinismE0ES3_S7_PKdNS0_17constant_iteratorIjlEEPdPlSF_S6_NS0_8equal_toIdEEEE10hipError_tPvRmT2_T3_mT4_T5_T6_T7_T8_P12ihipStream_tbENKUlT_T0_E_clISt17integral_constantIbLb0EESY_IbLb1EEEEDaSU_SV_EUlSU_E_NS1_11comp_targetILNS1_3genE10ELNS1_11target_archE1201ELNS1_3gpuE5ELNS1_3repE0EEENS1_30default_config_static_selectorELNS0_4arch9wavefront6targetE0EEEvT1_ ; -- Begin function _ZN7rocprim17ROCPRIM_400000_NS6detail17trampoline_kernelINS0_14default_configENS1_33run_length_encode_config_selectorIdjNS0_4plusIjEEEEZZNS1_33reduce_by_key_impl_wrapped_configILNS1_25lookback_scan_determinismE0ES3_S7_PKdNS0_17constant_iteratorIjlEEPdPlSF_S6_NS0_8equal_toIdEEEE10hipError_tPvRmT2_T3_mT4_T5_T6_T7_T8_P12ihipStream_tbENKUlT_T0_E_clISt17integral_constantIbLb0EESY_IbLb1EEEEDaSU_SV_EUlSU_E_NS1_11comp_targetILNS1_3genE10ELNS1_11target_archE1201ELNS1_3gpuE5ELNS1_3repE0EEENS1_30default_config_static_selectorELNS0_4arch9wavefront6targetE0EEEvT1_
	.globl	_ZN7rocprim17ROCPRIM_400000_NS6detail17trampoline_kernelINS0_14default_configENS1_33run_length_encode_config_selectorIdjNS0_4plusIjEEEEZZNS1_33reduce_by_key_impl_wrapped_configILNS1_25lookback_scan_determinismE0ES3_S7_PKdNS0_17constant_iteratorIjlEEPdPlSF_S6_NS0_8equal_toIdEEEE10hipError_tPvRmT2_T3_mT4_T5_T6_T7_T8_P12ihipStream_tbENKUlT_T0_E_clISt17integral_constantIbLb0EESY_IbLb1EEEEDaSU_SV_EUlSU_E_NS1_11comp_targetILNS1_3genE10ELNS1_11target_archE1201ELNS1_3gpuE5ELNS1_3repE0EEENS1_30default_config_static_selectorELNS0_4arch9wavefront6targetE0EEEvT1_
	.p2align	8
	.type	_ZN7rocprim17ROCPRIM_400000_NS6detail17trampoline_kernelINS0_14default_configENS1_33run_length_encode_config_selectorIdjNS0_4plusIjEEEEZZNS1_33reduce_by_key_impl_wrapped_configILNS1_25lookback_scan_determinismE0ES3_S7_PKdNS0_17constant_iteratorIjlEEPdPlSF_S6_NS0_8equal_toIdEEEE10hipError_tPvRmT2_T3_mT4_T5_T6_T7_T8_P12ihipStream_tbENKUlT_T0_E_clISt17integral_constantIbLb0EESY_IbLb1EEEEDaSU_SV_EUlSU_E_NS1_11comp_targetILNS1_3genE10ELNS1_11target_archE1201ELNS1_3gpuE5ELNS1_3repE0EEENS1_30default_config_static_selectorELNS0_4arch9wavefront6targetE0EEEvT1_,@function
_ZN7rocprim17ROCPRIM_400000_NS6detail17trampoline_kernelINS0_14default_configENS1_33run_length_encode_config_selectorIdjNS0_4plusIjEEEEZZNS1_33reduce_by_key_impl_wrapped_configILNS1_25lookback_scan_determinismE0ES3_S7_PKdNS0_17constant_iteratorIjlEEPdPlSF_S6_NS0_8equal_toIdEEEE10hipError_tPvRmT2_T3_mT4_T5_T6_T7_T8_P12ihipStream_tbENKUlT_T0_E_clISt17integral_constantIbLb0EESY_IbLb1EEEEDaSU_SV_EUlSU_E_NS1_11comp_targetILNS1_3genE10ELNS1_11target_archE1201ELNS1_3gpuE5ELNS1_3repE0EEENS1_30default_config_static_selectorELNS0_4arch9wavefront6targetE0EEEvT1_: ; @_ZN7rocprim17ROCPRIM_400000_NS6detail17trampoline_kernelINS0_14default_configENS1_33run_length_encode_config_selectorIdjNS0_4plusIjEEEEZZNS1_33reduce_by_key_impl_wrapped_configILNS1_25lookback_scan_determinismE0ES3_S7_PKdNS0_17constant_iteratorIjlEEPdPlSF_S6_NS0_8equal_toIdEEEE10hipError_tPvRmT2_T3_mT4_T5_T6_T7_T8_P12ihipStream_tbENKUlT_T0_E_clISt17integral_constantIbLb0EESY_IbLb1EEEEDaSU_SV_EUlSU_E_NS1_11comp_targetILNS1_3genE10ELNS1_11target_archE1201ELNS1_3gpuE5ELNS1_3repE0EEENS1_30default_config_static_selectorELNS0_4arch9wavefront6targetE0EEEvT1_
; %bb.0:
	.section	.rodata,"a",@progbits
	.p2align	6, 0x0
	.amdhsa_kernel _ZN7rocprim17ROCPRIM_400000_NS6detail17trampoline_kernelINS0_14default_configENS1_33run_length_encode_config_selectorIdjNS0_4plusIjEEEEZZNS1_33reduce_by_key_impl_wrapped_configILNS1_25lookback_scan_determinismE0ES3_S7_PKdNS0_17constant_iteratorIjlEEPdPlSF_S6_NS0_8equal_toIdEEEE10hipError_tPvRmT2_T3_mT4_T5_T6_T7_T8_P12ihipStream_tbENKUlT_T0_E_clISt17integral_constantIbLb0EESY_IbLb1EEEEDaSU_SV_EUlSU_E_NS1_11comp_targetILNS1_3genE10ELNS1_11target_archE1201ELNS1_3gpuE5ELNS1_3repE0EEENS1_30default_config_static_selectorELNS0_4arch9wavefront6targetE0EEEvT1_
		.amdhsa_group_segment_fixed_size 0
		.amdhsa_private_segment_fixed_size 0
		.amdhsa_kernarg_size 128
		.amdhsa_user_sgpr_count 2
		.amdhsa_user_sgpr_dispatch_ptr 0
		.amdhsa_user_sgpr_queue_ptr 0
		.amdhsa_user_sgpr_kernarg_segment_ptr 1
		.amdhsa_user_sgpr_dispatch_id 0
		.amdhsa_user_sgpr_kernarg_preload_length 0
		.amdhsa_user_sgpr_kernarg_preload_offset 0
		.amdhsa_user_sgpr_private_segment_size 0
		.amdhsa_wavefront_size32 1
		.amdhsa_uses_dynamic_stack 0
		.amdhsa_enable_private_segment 0
		.amdhsa_system_sgpr_workgroup_id_x 1
		.amdhsa_system_sgpr_workgroup_id_y 0
		.amdhsa_system_sgpr_workgroup_id_z 0
		.amdhsa_system_sgpr_workgroup_info 0
		.amdhsa_system_vgpr_workitem_id 0
		.amdhsa_next_free_vgpr 1
		.amdhsa_next_free_sgpr 1
		.amdhsa_named_barrier_count 0
		.amdhsa_reserve_vcc 0
		.amdhsa_float_round_mode_32 0
		.amdhsa_float_round_mode_16_64 0
		.amdhsa_float_denorm_mode_32 3
		.amdhsa_float_denorm_mode_16_64 3
		.amdhsa_fp16_overflow 0
		.amdhsa_memory_ordered 1
		.amdhsa_forward_progress 1
		.amdhsa_inst_pref_size 0
		.amdhsa_round_robin_scheduling 0
		.amdhsa_exception_fp_ieee_invalid_op 0
		.amdhsa_exception_fp_denorm_src 0
		.amdhsa_exception_fp_ieee_div_zero 0
		.amdhsa_exception_fp_ieee_overflow 0
		.amdhsa_exception_fp_ieee_underflow 0
		.amdhsa_exception_fp_ieee_inexact 0
		.amdhsa_exception_int_div_zero 0
	.end_amdhsa_kernel
	.section	.text._ZN7rocprim17ROCPRIM_400000_NS6detail17trampoline_kernelINS0_14default_configENS1_33run_length_encode_config_selectorIdjNS0_4plusIjEEEEZZNS1_33reduce_by_key_impl_wrapped_configILNS1_25lookback_scan_determinismE0ES3_S7_PKdNS0_17constant_iteratorIjlEEPdPlSF_S6_NS0_8equal_toIdEEEE10hipError_tPvRmT2_T3_mT4_T5_T6_T7_T8_P12ihipStream_tbENKUlT_T0_E_clISt17integral_constantIbLb0EESY_IbLb1EEEEDaSU_SV_EUlSU_E_NS1_11comp_targetILNS1_3genE10ELNS1_11target_archE1201ELNS1_3gpuE5ELNS1_3repE0EEENS1_30default_config_static_selectorELNS0_4arch9wavefront6targetE0EEEvT1_,"axG",@progbits,_ZN7rocprim17ROCPRIM_400000_NS6detail17trampoline_kernelINS0_14default_configENS1_33run_length_encode_config_selectorIdjNS0_4plusIjEEEEZZNS1_33reduce_by_key_impl_wrapped_configILNS1_25lookback_scan_determinismE0ES3_S7_PKdNS0_17constant_iteratorIjlEEPdPlSF_S6_NS0_8equal_toIdEEEE10hipError_tPvRmT2_T3_mT4_T5_T6_T7_T8_P12ihipStream_tbENKUlT_T0_E_clISt17integral_constantIbLb0EESY_IbLb1EEEEDaSU_SV_EUlSU_E_NS1_11comp_targetILNS1_3genE10ELNS1_11target_archE1201ELNS1_3gpuE5ELNS1_3repE0EEENS1_30default_config_static_selectorELNS0_4arch9wavefront6targetE0EEEvT1_,comdat
.Lfunc_end336:
	.size	_ZN7rocprim17ROCPRIM_400000_NS6detail17trampoline_kernelINS0_14default_configENS1_33run_length_encode_config_selectorIdjNS0_4plusIjEEEEZZNS1_33reduce_by_key_impl_wrapped_configILNS1_25lookback_scan_determinismE0ES3_S7_PKdNS0_17constant_iteratorIjlEEPdPlSF_S6_NS0_8equal_toIdEEEE10hipError_tPvRmT2_T3_mT4_T5_T6_T7_T8_P12ihipStream_tbENKUlT_T0_E_clISt17integral_constantIbLb0EESY_IbLb1EEEEDaSU_SV_EUlSU_E_NS1_11comp_targetILNS1_3genE10ELNS1_11target_archE1201ELNS1_3gpuE5ELNS1_3repE0EEENS1_30default_config_static_selectorELNS0_4arch9wavefront6targetE0EEEvT1_, .Lfunc_end336-_ZN7rocprim17ROCPRIM_400000_NS6detail17trampoline_kernelINS0_14default_configENS1_33run_length_encode_config_selectorIdjNS0_4plusIjEEEEZZNS1_33reduce_by_key_impl_wrapped_configILNS1_25lookback_scan_determinismE0ES3_S7_PKdNS0_17constant_iteratorIjlEEPdPlSF_S6_NS0_8equal_toIdEEEE10hipError_tPvRmT2_T3_mT4_T5_T6_T7_T8_P12ihipStream_tbENKUlT_T0_E_clISt17integral_constantIbLb0EESY_IbLb1EEEEDaSU_SV_EUlSU_E_NS1_11comp_targetILNS1_3genE10ELNS1_11target_archE1201ELNS1_3gpuE5ELNS1_3repE0EEENS1_30default_config_static_selectorELNS0_4arch9wavefront6targetE0EEEvT1_
                                        ; -- End function
	.set _ZN7rocprim17ROCPRIM_400000_NS6detail17trampoline_kernelINS0_14default_configENS1_33run_length_encode_config_selectorIdjNS0_4plusIjEEEEZZNS1_33reduce_by_key_impl_wrapped_configILNS1_25lookback_scan_determinismE0ES3_S7_PKdNS0_17constant_iteratorIjlEEPdPlSF_S6_NS0_8equal_toIdEEEE10hipError_tPvRmT2_T3_mT4_T5_T6_T7_T8_P12ihipStream_tbENKUlT_T0_E_clISt17integral_constantIbLb0EESY_IbLb1EEEEDaSU_SV_EUlSU_E_NS1_11comp_targetILNS1_3genE10ELNS1_11target_archE1201ELNS1_3gpuE5ELNS1_3repE0EEENS1_30default_config_static_selectorELNS0_4arch9wavefront6targetE0EEEvT1_.num_vgpr, 0
	.set _ZN7rocprim17ROCPRIM_400000_NS6detail17trampoline_kernelINS0_14default_configENS1_33run_length_encode_config_selectorIdjNS0_4plusIjEEEEZZNS1_33reduce_by_key_impl_wrapped_configILNS1_25lookback_scan_determinismE0ES3_S7_PKdNS0_17constant_iteratorIjlEEPdPlSF_S6_NS0_8equal_toIdEEEE10hipError_tPvRmT2_T3_mT4_T5_T6_T7_T8_P12ihipStream_tbENKUlT_T0_E_clISt17integral_constantIbLb0EESY_IbLb1EEEEDaSU_SV_EUlSU_E_NS1_11comp_targetILNS1_3genE10ELNS1_11target_archE1201ELNS1_3gpuE5ELNS1_3repE0EEENS1_30default_config_static_selectorELNS0_4arch9wavefront6targetE0EEEvT1_.num_agpr, 0
	.set _ZN7rocprim17ROCPRIM_400000_NS6detail17trampoline_kernelINS0_14default_configENS1_33run_length_encode_config_selectorIdjNS0_4plusIjEEEEZZNS1_33reduce_by_key_impl_wrapped_configILNS1_25lookback_scan_determinismE0ES3_S7_PKdNS0_17constant_iteratorIjlEEPdPlSF_S6_NS0_8equal_toIdEEEE10hipError_tPvRmT2_T3_mT4_T5_T6_T7_T8_P12ihipStream_tbENKUlT_T0_E_clISt17integral_constantIbLb0EESY_IbLb1EEEEDaSU_SV_EUlSU_E_NS1_11comp_targetILNS1_3genE10ELNS1_11target_archE1201ELNS1_3gpuE5ELNS1_3repE0EEENS1_30default_config_static_selectorELNS0_4arch9wavefront6targetE0EEEvT1_.numbered_sgpr, 0
	.set _ZN7rocprim17ROCPRIM_400000_NS6detail17trampoline_kernelINS0_14default_configENS1_33run_length_encode_config_selectorIdjNS0_4plusIjEEEEZZNS1_33reduce_by_key_impl_wrapped_configILNS1_25lookback_scan_determinismE0ES3_S7_PKdNS0_17constant_iteratorIjlEEPdPlSF_S6_NS0_8equal_toIdEEEE10hipError_tPvRmT2_T3_mT4_T5_T6_T7_T8_P12ihipStream_tbENKUlT_T0_E_clISt17integral_constantIbLb0EESY_IbLb1EEEEDaSU_SV_EUlSU_E_NS1_11comp_targetILNS1_3genE10ELNS1_11target_archE1201ELNS1_3gpuE5ELNS1_3repE0EEENS1_30default_config_static_selectorELNS0_4arch9wavefront6targetE0EEEvT1_.num_named_barrier, 0
	.set _ZN7rocprim17ROCPRIM_400000_NS6detail17trampoline_kernelINS0_14default_configENS1_33run_length_encode_config_selectorIdjNS0_4plusIjEEEEZZNS1_33reduce_by_key_impl_wrapped_configILNS1_25lookback_scan_determinismE0ES3_S7_PKdNS0_17constant_iteratorIjlEEPdPlSF_S6_NS0_8equal_toIdEEEE10hipError_tPvRmT2_T3_mT4_T5_T6_T7_T8_P12ihipStream_tbENKUlT_T0_E_clISt17integral_constantIbLb0EESY_IbLb1EEEEDaSU_SV_EUlSU_E_NS1_11comp_targetILNS1_3genE10ELNS1_11target_archE1201ELNS1_3gpuE5ELNS1_3repE0EEENS1_30default_config_static_selectorELNS0_4arch9wavefront6targetE0EEEvT1_.private_seg_size, 0
	.set _ZN7rocprim17ROCPRIM_400000_NS6detail17trampoline_kernelINS0_14default_configENS1_33run_length_encode_config_selectorIdjNS0_4plusIjEEEEZZNS1_33reduce_by_key_impl_wrapped_configILNS1_25lookback_scan_determinismE0ES3_S7_PKdNS0_17constant_iteratorIjlEEPdPlSF_S6_NS0_8equal_toIdEEEE10hipError_tPvRmT2_T3_mT4_T5_T6_T7_T8_P12ihipStream_tbENKUlT_T0_E_clISt17integral_constantIbLb0EESY_IbLb1EEEEDaSU_SV_EUlSU_E_NS1_11comp_targetILNS1_3genE10ELNS1_11target_archE1201ELNS1_3gpuE5ELNS1_3repE0EEENS1_30default_config_static_selectorELNS0_4arch9wavefront6targetE0EEEvT1_.uses_vcc, 0
	.set _ZN7rocprim17ROCPRIM_400000_NS6detail17trampoline_kernelINS0_14default_configENS1_33run_length_encode_config_selectorIdjNS0_4plusIjEEEEZZNS1_33reduce_by_key_impl_wrapped_configILNS1_25lookback_scan_determinismE0ES3_S7_PKdNS0_17constant_iteratorIjlEEPdPlSF_S6_NS0_8equal_toIdEEEE10hipError_tPvRmT2_T3_mT4_T5_T6_T7_T8_P12ihipStream_tbENKUlT_T0_E_clISt17integral_constantIbLb0EESY_IbLb1EEEEDaSU_SV_EUlSU_E_NS1_11comp_targetILNS1_3genE10ELNS1_11target_archE1201ELNS1_3gpuE5ELNS1_3repE0EEENS1_30default_config_static_selectorELNS0_4arch9wavefront6targetE0EEEvT1_.uses_flat_scratch, 0
	.set _ZN7rocprim17ROCPRIM_400000_NS6detail17trampoline_kernelINS0_14default_configENS1_33run_length_encode_config_selectorIdjNS0_4plusIjEEEEZZNS1_33reduce_by_key_impl_wrapped_configILNS1_25lookback_scan_determinismE0ES3_S7_PKdNS0_17constant_iteratorIjlEEPdPlSF_S6_NS0_8equal_toIdEEEE10hipError_tPvRmT2_T3_mT4_T5_T6_T7_T8_P12ihipStream_tbENKUlT_T0_E_clISt17integral_constantIbLb0EESY_IbLb1EEEEDaSU_SV_EUlSU_E_NS1_11comp_targetILNS1_3genE10ELNS1_11target_archE1201ELNS1_3gpuE5ELNS1_3repE0EEENS1_30default_config_static_selectorELNS0_4arch9wavefront6targetE0EEEvT1_.has_dyn_sized_stack, 0
	.set _ZN7rocprim17ROCPRIM_400000_NS6detail17trampoline_kernelINS0_14default_configENS1_33run_length_encode_config_selectorIdjNS0_4plusIjEEEEZZNS1_33reduce_by_key_impl_wrapped_configILNS1_25lookback_scan_determinismE0ES3_S7_PKdNS0_17constant_iteratorIjlEEPdPlSF_S6_NS0_8equal_toIdEEEE10hipError_tPvRmT2_T3_mT4_T5_T6_T7_T8_P12ihipStream_tbENKUlT_T0_E_clISt17integral_constantIbLb0EESY_IbLb1EEEEDaSU_SV_EUlSU_E_NS1_11comp_targetILNS1_3genE10ELNS1_11target_archE1201ELNS1_3gpuE5ELNS1_3repE0EEENS1_30default_config_static_selectorELNS0_4arch9wavefront6targetE0EEEvT1_.has_recursion, 0
	.set _ZN7rocprim17ROCPRIM_400000_NS6detail17trampoline_kernelINS0_14default_configENS1_33run_length_encode_config_selectorIdjNS0_4plusIjEEEEZZNS1_33reduce_by_key_impl_wrapped_configILNS1_25lookback_scan_determinismE0ES3_S7_PKdNS0_17constant_iteratorIjlEEPdPlSF_S6_NS0_8equal_toIdEEEE10hipError_tPvRmT2_T3_mT4_T5_T6_T7_T8_P12ihipStream_tbENKUlT_T0_E_clISt17integral_constantIbLb0EESY_IbLb1EEEEDaSU_SV_EUlSU_E_NS1_11comp_targetILNS1_3genE10ELNS1_11target_archE1201ELNS1_3gpuE5ELNS1_3repE0EEENS1_30default_config_static_selectorELNS0_4arch9wavefront6targetE0EEEvT1_.has_indirect_call, 0
	.section	.AMDGPU.csdata,"",@progbits
; Kernel info:
; codeLenInByte = 0
; TotalNumSgprs: 0
; NumVgprs: 0
; ScratchSize: 0
; MemoryBound: 0
; FloatMode: 240
; IeeeMode: 1
; LDSByteSize: 0 bytes/workgroup (compile time only)
; SGPRBlocks: 0
; VGPRBlocks: 0
; NumSGPRsForWavesPerEU: 1
; NumVGPRsForWavesPerEU: 1
; NamedBarCnt: 0
; Occupancy: 16
; WaveLimiterHint : 0
; COMPUTE_PGM_RSRC2:SCRATCH_EN: 0
; COMPUTE_PGM_RSRC2:USER_SGPR: 2
; COMPUTE_PGM_RSRC2:TRAP_HANDLER: 0
; COMPUTE_PGM_RSRC2:TGID_X_EN: 1
; COMPUTE_PGM_RSRC2:TGID_Y_EN: 0
; COMPUTE_PGM_RSRC2:TGID_Z_EN: 0
; COMPUTE_PGM_RSRC2:TIDIG_COMP_CNT: 0
	.section	.text._ZN7rocprim17ROCPRIM_400000_NS6detail17trampoline_kernelINS0_14default_configENS1_33run_length_encode_config_selectorIdjNS0_4plusIjEEEEZZNS1_33reduce_by_key_impl_wrapped_configILNS1_25lookback_scan_determinismE0ES3_S7_PKdNS0_17constant_iteratorIjlEEPdPlSF_S6_NS0_8equal_toIdEEEE10hipError_tPvRmT2_T3_mT4_T5_T6_T7_T8_P12ihipStream_tbENKUlT_T0_E_clISt17integral_constantIbLb0EESY_IbLb1EEEEDaSU_SV_EUlSU_E_NS1_11comp_targetILNS1_3genE10ELNS1_11target_archE1200ELNS1_3gpuE4ELNS1_3repE0EEENS1_30default_config_static_selectorELNS0_4arch9wavefront6targetE0EEEvT1_,"axG",@progbits,_ZN7rocprim17ROCPRIM_400000_NS6detail17trampoline_kernelINS0_14default_configENS1_33run_length_encode_config_selectorIdjNS0_4plusIjEEEEZZNS1_33reduce_by_key_impl_wrapped_configILNS1_25lookback_scan_determinismE0ES3_S7_PKdNS0_17constant_iteratorIjlEEPdPlSF_S6_NS0_8equal_toIdEEEE10hipError_tPvRmT2_T3_mT4_T5_T6_T7_T8_P12ihipStream_tbENKUlT_T0_E_clISt17integral_constantIbLb0EESY_IbLb1EEEEDaSU_SV_EUlSU_E_NS1_11comp_targetILNS1_3genE10ELNS1_11target_archE1200ELNS1_3gpuE4ELNS1_3repE0EEENS1_30default_config_static_selectorELNS0_4arch9wavefront6targetE0EEEvT1_,comdat
	.protected	_ZN7rocprim17ROCPRIM_400000_NS6detail17trampoline_kernelINS0_14default_configENS1_33run_length_encode_config_selectorIdjNS0_4plusIjEEEEZZNS1_33reduce_by_key_impl_wrapped_configILNS1_25lookback_scan_determinismE0ES3_S7_PKdNS0_17constant_iteratorIjlEEPdPlSF_S6_NS0_8equal_toIdEEEE10hipError_tPvRmT2_T3_mT4_T5_T6_T7_T8_P12ihipStream_tbENKUlT_T0_E_clISt17integral_constantIbLb0EESY_IbLb1EEEEDaSU_SV_EUlSU_E_NS1_11comp_targetILNS1_3genE10ELNS1_11target_archE1200ELNS1_3gpuE4ELNS1_3repE0EEENS1_30default_config_static_selectorELNS0_4arch9wavefront6targetE0EEEvT1_ ; -- Begin function _ZN7rocprim17ROCPRIM_400000_NS6detail17trampoline_kernelINS0_14default_configENS1_33run_length_encode_config_selectorIdjNS0_4plusIjEEEEZZNS1_33reduce_by_key_impl_wrapped_configILNS1_25lookback_scan_determinismE0ES3_S7_PKdNS0_17constant_iteratorIjlEEPdPlSF_S6_NS0_8equal_toIdEEEE10hipError_tPvRmT2_T3_mT4_T5_T6_T7_T8_P12ihipStream_tbENKUlT_T0_E_clISt17integral_constantIbLb0EESY_IbLb1EEEEDaSU_SV_EUlSU_E_NS1_11comp_targetILNS1_3genE10ELNS1_11target_archE1200ELNS1_3gpuE4ELNS1_3repE0EEENS1_30default_config_static_selectorELNS0_4arch9wavefront6targetE0EEEvT1_
	.globl	_ZN7rocprim17ROCPRIM_400000_NS6detail17trampoline_kernelINS0_14default_configENS1_33run_length_encode_config_selectorIdjNS0_4plusIjEEEEZZNS1_33reduce_by_key_impl_wrapped_configILNS1_25lookback_scan_determinismE0ES3_S7_PKdNS0_17constant_iteratorIjlEEPdPlSF_S6_NS0_8equal_toIdEEEE10hipError_tPvRmT2_T3_mT4_T5_T6_T7_T8_P12ihipStream_tbENKUlT_T0_E_clISt17integral_constantIbLb0EESY_IbLb1EEEEDaSU_SV_EUlSU_E_NS1_11comp_targetILNS1_3genE10ELNS1_11target_archE1200ELNS1_3gpuE4ELNS1_3repE0EEENS1_30default_config_static_selectorELNS0_4arch9wavefront6targetE0EEEvT1_
	.p2align	8
	.type	_ZN7rocprim17ROCPRIM_400000_NS6detail17trampoline_kernelINS0_14default_configENS1_33run_length_encode_config_selectorIdjNS0_4plusIjEEEEZZNS1_33reduce_by_key_impl_wrapped_configILNS1_25lookback_scan_determinismE0ES3_S7_PKdNS0_17constant_iteratorIjlEEPdPlSF_S6_NS0_8equal_toIdEEEE10hipError_tPvRmT2_T3_mT4_T5_T6_T7_T8_P12ihipStream_tbENKUlT_T0_E_clISt17integral_constantIbLb0EESY_IbLb1EEEEDaSU_SV_EUlSU_E_NS1_11comp_targetILNS1_3genE10ELNS1_11target_archE1200ELNS1_3gpuE4ELNS1_3repE0EEENS1_30default_config_static_selectorELNS0_4arch9wavefront6targetE0EEEvT1_,@function
_ZN7rocprim17ROCPRIM_400000_NS6detail17trampoline_kernelINS0_14default_configENS1_33run_length_encode_config_selectorIdjNS0_4plusIjEEEEZZNS1_33reduce_by_key_impl_wrapped_configILNS1_25lookback_scan_determinismE0ES3_S7_PKdNS0_17constant_iteratorIjlEEPdPlSF_S6_NS0_8equal_toIdEEEE10hipError_tPvRmT2_T3_mT4_T5_T6_T7_T8_P12ihipStream_tbENKUlT_T0_E_clISt17integral_constantIbLb0EESY_IbLb1EEEEDaSU_SV_EUlSU_E_NS1_11comp_targetILNS1_3genE10ELNS1_11target_archE1200ELNS1_3gpuE4ELNS1_3repE0EEENS1_30default_config_static_selectorELNS0_4arch9wavefront6targetE0EEEvT1_: ; @_ZN7rocprim17ROCPRIM_400000_NS6detail17trampoline_kernelINS0_14default_configENS1_33run_length_encode_config_selectorIdjNS0_4plusIjEEEEZZNS1_33reduce_by_key_impl_wrapped_configILNS1_25lookback_scan_determinismE0ES3_S7_PKdNS0_17constant_iteratorIjlEEPdPlSF_S6_NS0_8equal_toIdEEEE10hipError_tPvRmT2_T3_mT4_T5_T6_T7_T8_P12ihipStream_tbENKUlT_T0_E_clISt17integral_constantIbLb0EESY_IbLb1EEEEDaSU_SV_EUlSU_E_NS1_11comp_targetILNS1_3genE10ELNS1_11target_archE1200ELNS1_3gpuE4ELNS1_3repE0EEENS1_30default_config_static_selectorELNS0_4arch9wavefront6targetE0EEEvT1_
; %bb.0:
	.section	.rodata,"a",@progbits
	.p2align	6, 0x0
	.amdhsa_kernel _ZN7rocprim17ROCPRIM_400000_NS6detail17trampoline_kernelINS0_14default_configENS1_33run_length_encode_config_selectorIdjNS0_4plusIjEEEEZZNS1_33reduce_by_key_impl_wrapped_configILNS1_25lookback_scan_determinismE0ES3_S7_PKdNS0_17constant_iteratorIjlEEPdPlSF_S6_NS0_8equal_toIdEEEE10hipError_tPvRmT2_T3_mT4_T5_T6_T7_T8_P12ihipStream_tbENKUlT_T0_E_clISt17integral_constantIbLb0EESY_IbLb1EEEEDaSU_SV_EUlSU_E_NS1_11comp_targetILNS1_3genE10ELNS1_11target_archE1200ELNS1_3gpuE4ELNS1_3repE0EEENS1_30default_config_static_selectorELNS0_4arch9wavefront6targetE0EEEvT1_
		.amdhsa_group_segment_fixed_size 0
		.amdhsa_private_segment_fixed_size 0
		.amdhsa_kernarg_size 128
		.amdhsa_user_sgpr_count 2
		.amdhsa_user_sgpr_dispatch_ptr 0
		.amdhsa_user_sgpr_queue_ptr 0
		.amdhsa_user_sgpr_kernarg_segment_ptr 1
		.amdhsa_user_sgpr_dispatch_id 0
		.amdhsa_user_sgpr_kernarg_preload_length 0
		.amdhsa_user_sgpr_kernarg_preload_offset 0
		.amdhsa_user_sgpr_private_segment_size 0
		.amdhsa_wavefront_size32 1
		.amdhsa_uses_dynamic_stack 0
		.amdhsa_enable_private_segment 0
		.amdhsa_system_sgpr_workgroup_id_x 1
		.amdhsa_system_sgpr_workgroup_id_y 0
		.amdhsa_system_sgpr_workgroup_id_z 0
		.amdhsa_system_sgpr_workgroup_info 0
		.amdhsa_system_vgpr_workitem_id 0
		.amdhsa_next_free_vgpr 1
		.amdhsa_next_free_sgpr 1
		.amdhsa_named_barrier_count 0
		.amdhsa_reserve_vcc 0
		.amdhsa_float_round_mode_32 0
		.amdhsa_float_round_mode_16_64 0
		.amdhsa_float_denorm_mode_32 3
		.amdhsa_float_denorm_mode_16_64 3
		.amdhsa_fp16_overflow 0
		.amdhsa_memory_ordered 1
		.amdhsa_forward_progress 1
		.amdhsa_inst_pref_size 0
		.amdhsa_round_robin_scheduling 0
		.amdhsa_exception_fp_ieee_invalid_op 0
		.amdhsa_exception_fp_denorm_src 0
		.amdhsa_exception_fp_ieee_div_zero 0
		.amdhsa_exception_fp_ieee_overflow 0
		.amdhsa_exception_fp_ieee_underflow 0
		.amdhsa_exception_fp_ieee_inexact 0
		.amdhsa_exception_int_div_zero 0
	.end_amdhsa_kernel
	.section	.text._ZN7rocprim17ROCPRIM_400000_NS6detail17trampoline_kernelINS0_14default_configENS1_33run_length_encode_config_selectorIdjNS0_4plusIjEEEEZZNS1_33reduce_by_key_impl_wrapped_configILNS1_25lookback_scan_determinismE0ES3_S7_PKdNS0_17constant_iteratorIjlEEPdPlSF_S6_NS0_8equal_toIdEEEE10hipError_tPvRmT2_T3_mT4_T5_T6_T7_T8_P12ihipStream_tbENKUlT_T0_E_clISt17integral_constantIbLb0EESY_IbLb1EEEEDaSU_SV_EUlSU_E_NS1_11comp_targetILNS1_3genE10ELNS1_11target_archE1200ELNS1_3gpuE4ELNS1_3repE0EEENS1_30default_config_static_selectorELNS0_4arch9wavefront6targetE0EEEvT1_,"axG",@progbits,_ZN7rocprim17ROCPRIM_400000_NS6detail17trampoline_kernelINS0_14default_configENS1_33run_length_encode_config_selectorIdjNS0_4plusIjEEEEZZNS1_33reduce_by_key_impl_wrapped_configILNS1_25lookback_scan_determinismE0ES3_S7_PKdNS0_17constant_iteratorIjlEEPdPlSF_S6_NS0_8equal_toIdEEEE10hipError_tPvRmT2_T3_mT4_T5_T6_T7_T8_P12ihipStream_tbENKUlT_T0_E_clISt17integral_constantIbLb0EESY_IbLb1EEEEDaSU_SV_EUlSU_E_NS1_11comp_targetILNS1_3genE10ELNS1_11target_archE1200ELNS1_3gpuE4ELNS1_3repE0EEENS1_30default_config_static_selectorELNS0_4arch9wavefront6targetE0EEEvT1_,comdat
.Lfunc_end337:
	.size	_ZN7rocprim17ROCPRIM_400000_NS6detail17trampoline_kernelINS0_14default_configENS1_33run_length_encode_config_selectorIdjNS0_4plusIjEEEEZZNS1_33reduce_by_key_impl_wrapped_configILNS1_25lookback_scan_determinismE0ES3_S7_PKdNS0_17constant_iteratorIjlEEPdPlSF_S6_NS0_8equal_toIdEEEE10hipError_tPvRmT2_T3_mT4_T5_T6_T7_T8_P12ihipStream_tbENKUlT_T0_E_clISt17integral_constantIbLb0EESY_IbLb1EEEEDaSU_SV_EUlSU_E_NS1_11comp_targetILNS1_3genE10ELNS1_11target_archE1200ELNS1_3gpuE4ELNS1_3repE0EEENS1_30default_config_static_selectorELNS0_4arch9wavefront6targetE0EEEvT1_, .Lfunc_end337-_ZN7rocprim17ROCPRIM_400000_NS6detail17trampoline_kernelINS0_14default_configENS1_33run_length_encode_config_selectorIdjNS0_4plusIjEEEEZZNS1_33reduce_by_key_impl_wrapped_configILNS1_25lookback_scan_determinismE0ES3_S7_PKdNS0_17constant_iteratorIjlEEPdPlSF_S6_NS0_8equal_toIdEEEE10hipError_tPvRmT2_T3_mT4_T5_T6_T7_T8_P12ihipStream_tbENKUlT_T0_E_clISt17integral_constantIbLb0EESY_IbLb1EEEEDaSU_SV_EUlSU_E_NS1_11comp_targetILNS1_3genE10ELNS1_11target_archE1200ELNS1_3gpuE4ELNS1_3repE0EEENS1_30default_config_static_selectorELNS0_4arch9wavefront6targetE0EEEvT1_
                                        ; -- End function
	.set _ZN7rocprim17ROCPRIM_400000_NS6detail17trampoline_kernelINS0_14default_configENS1_33run_length_encode_config_selectorIdjNS0_4plusIjEEEEZZNS1_33reduce_by_key_impl_wrapped_configILNS1_25lookback_scan_determinismE0ES3_S7_PKdNS0_17constant_iteratorIjlEEPdPlSF_S6_NS0_8equal_toIdEEEE10hipError_tPvRmT2_T3_mT4_T5_T6_T7_T8_P12ihipStream_tbENKUlT_T0_E_clISt17integral_constantIbLb0EESY_IbLb1EEEEDaSU_SV_EUlSU_E_NS1_11comp_targetILNS1_3genE10ELNS1_11target_archE1200ELNS1_3gpuE4ELNS1_3repE0EEENS1_30default_config_static_selectorELNS0_4arch9wavefront6targetE0EEEvT1_.num_vgpr, 0
	.set _ZN7rocprim17ROCPRIM_400000_NS6detail17trampoline_kernelINS0_14default_configENS1_33run_length_encode_config_selectorIdjNS0_4plusIjEEEEZZNS1_33reduce_by_key_impl_wrapped_configILNS1_25lookback_scan_determinismE0ES3_S7_PKdNS0_17constant_iteratorIjlEEPdPlSF_S6_NS0_8equal_toIdEEEE10hipError_tPvRmT2_T3_mT4_T5_T6_T7_T8_P12ihipStream_tbENKUlT_T0_E_clISt17integral_constantIbLb0EESY_IbLb1EEEEDaSU_SV_EUlSU_E_NS1_11comp_targetILNS1_3genE10ELNS1_11target_archE1200ELNS1_3gpuE4ELNS1_3repE0EEENS1_30default_config_static_selectorELNS0_4arch9wavefront6targetE0EEEvT1_.num_agpr, 0
	.set _ZN7rocprim17ROCPRIM_400000_NS6detail17trampoline_kernelINS0_14default_configENS1_33run_length_encode_config_selectorIdjNS0_4plusIjEEEEZZNS1_33reduce_by_key_impl_wrapped_configILNS1_25lookback_scan_determinismE0ES3_S7_PKdNS0_17constant_iteratorIjlEEPdPlSF_S6_NS0_8equal_toIdEEEE10hipError_tPvRmT2_T3_mT4_T5_T6_T7_T8_P12ihipStream_tbENKUlT_T0_E_clISt17integral_constantIbLb0EESY_IbLb1EEEEDaSU_SV_EUlSU_E_NS1_11comp_targetILNS1_3genE10ELNS1_11target_archE1200ELNS1_3gpuE4ELNS1_3repE0EEENS1_30default_config_static_selectorELNS0_4arch9wavefront6targetE0EEEvT1_.numbered_sgpr, 0
	.set _ZN7rocprim17ROCPRIM_400000_NS6detail17trampoline_kernelINS0_14default_configENS1_33run_length_encode_config_selectorIdjNS0_4plusIjEEEEZZNS1_33reduce_by_key_impl_wrapped_configILNS1_25lookback_scan_determinismE0ES3_S7_PKdNS0_17constant_iteratorIjlEEPdPlSF_S6_NS0_8equal_toIdEEEE10hipError_tPvRmT2_T3_mT4_T5_T6_T7_T8_P12ihipStream_tbENKUlT_T0_E_clISt17integral_constantIbLb0EESY_IbLb1EEEEDaSU_SV_EUlSU_E_NS1_11comp_targetILNS1_3genE10ELNS1_11target_archE1200ELNS1_3gpuE4ELNS1_3repE0EEENS1_30default_config_static_selectorELNS0_4arch9wavefront6targetE0EEEvT1_.num_named_barrier, 0
	.set _ZN7rocprim17ROCPRIM_400000_NS6detail17trampoline_kernelINS0_14default_configENS1_33run_length_encode_config_selectorIdjNS0_4plusIjEEEEZZNS1_33reduce_by_key_impl_wrapped_configILNS1_25lookback_scan_determinismE0ES3_S7_PKdNS0_17constant_iteratorIjlEEPdPlSF_S6_NS0_8equal_toIdEEEE10hipError_tPvRmT2_T3_mT4_T5_T6_T7_T8_P12ihipStream_tbENKUlT_T0_E_clISt17integral_constantIbLb0EESY_IbLb1EEEEDaSU_SV_EUlSU_E_NS1_11comp_targetILNS1_3genE10ELNS1_11target_archE1200ELNS1_3gpuE4ELNS1_3repE0EEENS1_30default_config_static_selectorELNS0_4arch9wavefront6targetE0EEEvT1_.private_seg_size, 0
	.set _ZN7rocprim17ROCPRIM_400000_NS6detail17trampoline_kernelINS0_14default_configENS1_33run_length_encode_config_selectorIdjNS0_4plusIjEEEEZZNS1_33reduce_by_key_impl_wrapped_configILNS1_25lookback_scan_determinismE0ES3_S7_PKdNS0_17constant_iteratorIjlEEPdPlSF_S6_NS0_8equal_toIdEEEE10hipError_tPvRmT2_T3_mT4_T5_T6_T7_T8_P12ihipStream_tbENKUlT_T0_E_clISt17integral_constantIbLb0EESY_IbLb1EEEEDaSU_SV_EUlSU_E_NS1_11comp_targetILNS1_3genE10ELNS1_11target_archE1200ELNS1_3gpuE4ELNS1_3repE0EEENS1_30default_config_static_selectorELNS0_4arch9wavefront6targetE0EEEvT1_.uses_vcc, 0
	.set _ZN7rocprim17ROCPRIM_400000_NS6detail17trampoline_kernelINS0_14default_configENS1_33run_length_encode_config_selectorIdjNS0_4plusIjEEEEZZNS1_33reduce_by_key_impl_wrapped_configILNS1_25lookback_scan_determinismE0ES3_S7_PKdNS0_17constant_iteratorIjlEEPdPlSF_S6_NS0_8equal_toIdEEEE10hipError_tPvRmT2_T3_mT4_T5_T6_T7_T8_P12ihipStream_tbENKUlT_T0_E_clISt17integral_constantIbLb0EESY_IbLb1EEEEDaSU_SV_EUlSU_E_NS1_11comp_targetILNS1_3genE10ELNS1_11target_archE1200ELNS1_3gpuE4ELNS1_3repE0EEENS1_30default_config_static_selectorELNS0_4arch9wavefront6targetE0EEEvT1_.uses_flat_scratch, 0
	.set _ZN7rocprim17ROCPRIM_400000_NS6detail17trampoline_kernelINS0_14default_configENS1_33run_length_encode_config_selectorIdjNS0_4plusIjEEEEZZNS1_33reduce_by_key_impl_wrapped_configILNS1_25lookback_scan_determinismE0ES3_S7_PKdNS0_17constant_iteratorIjlEEPdPlSF_S6_NS0_8equal_toIdEEEE10hipError_tPvRmT2_T3_mT4_T5_T6_T7_T8_P12ihipStream_tbENKUlT_T0_E_clISt17integral_constantIbLb0EESY_IbLb1EEEEDaSU_SV_EUlSU_E_NS1_11comp_targetILNS1_3genE10ELNS1_11target_archE1200ELNS1_3gpuE4ELNS1_3repE0EEENS1_30default_config_static_selectorELNS0_4arch9wavefront6targetE0EEEvT1_.has_dyn_sized_stack, 0
	.set _ZN7rocprim17ROCPRIM_400000_NS6detail17trampoline_kernelINS0_14default_configENS1_33run_length_encode_config_selectorIdjNS0_4plusIjEEEEZZNS1_33reduce_by_key_impl_wrapped_configILNS1_25lookback_scan_determinismE0ES3_S7_PKdNS0_17constant_iteratorIjlEEPdPlSF_S6_NS0_8equal_toIdEEEE10hipError_tPvRmT2_T3_mT4_T5_T6_T7_T8_P12ihipStream_tbENKUlT_T0_E_clISt17integral_constantIbLb0EESY_IbLb1EEEEDaSU_SV_EUlSU_E_NS1_11comp_targetILNS1_3genE10ELNS1_11target_archE1200ELNS1_3gpuE4ELNS1_3repE0EEENS1_30default_config_static_selectorELNS0_4arch9wavefront6targetE0EEEvT1_.has_recursion, 0
	.set _ZN7rocprim17ROCPRIM_400000_NS6detail17trampoline_kernelINS0_14default_configENS1_33run_length_encode_config_selectorIdjNS0_4plusIjEEEEZZNS1_33reduce_by_key_impl_wrapped_configILNS1_25lookback_scan_determinismE0ES3_S7_PKdNS0_17constant_iteratorIjlEEPdPlSF_S6_NS0_8equal_toIdEEEE10hipError_tPvRmT2_T3_mT4_T5_T6_T7_T8_P12ihipStream_tbENKUlT_T0_E_clISt17integral_constantIbLb0EESY_IbLb1EEEEDaSU_SV_EUlSU_E_NS1_11comp_targetILNS1_3genE10ELNS1_11target_archE1200ELNS1_3gpuE4ELNS1_3repE0EEENS1_30default_config_static_selectorELNS0_4arch9wavefront6targetE0EEEvT1_.has_indirect_call, 0
	.section	.AMDGPU.csdata,"",@progbits
; Kernel info:
; codeLenInByte = 0
; TotalNumSgprs: 0
; NumVgprs: 0
; ScratchSize: 0
; MemoryBound: 0
; FloatMode: 240
; IeeeMode: 1
; LDSByteSize: 0 bytes/workgroup (compile time only)
; SGPRBlocks: 0
; VGPRBlocks: 0
; NumSGPRsForWavesPerEU: 1
; NumVGPRsForWavesPerEU: 1
; NamedBarCnt: 0
; Occupancy: 16
; WaveLimiterHint : 0
; COMPUTE_PGM_RSRC2:SCRATCH_EN: 0
; COMPUTE_PGM_RSRC2:USER_SGPR: 2
; COMPUTE_PGM_RSRC2:TRAP_HANDLER: 0
; COMPUTE_PGM_RSRC2:TGID_X_EN: 1
; COMPUTE_PGM_RSRC2:TGID_Y_EN: 0
; COMPUTE_PGM_RSRC2:TGID_Z_EN: 0
; COMPUTE_PGM_RSRC2:TIDIG_COMP_CNT: 0
	.section	.text._ZN7rocprim17ROCPRIM_400000_NS6detail17trampoline_kernelINS0_14default_configENS1_33run_length_encode_config_selectorIdjNS0_4plusIjEEEEZZNS1_33reduce_by_key_impl_wrapped_configILNS1_25lookback_scan_determinismE0ES3_S7_PKdNS0_17constant_iteratorIjlEEPdPlSF_S6_NS0_8equal_toIdEEEE10hipError_tPvRmT2_T3_mT4_T5_T6_T7_T8_P12ihipStream_tbENKUlT_T0_E_clISt17integral_constantIbLb0EESY_IbLb1EEEEDaSU_SV_EUlSU_E_NS1_11comp_targetILNS1_3genE9ELNS1_11target_archE1100ELNS1_3gpuE3ELNS1_3repE0EEENS1_30default_config_static_selectorELNS0_4arch9wavefront6targetE0EEEvT1_,"axG",@progbits,_ZN7rocprim17ROCPRIM_400000_NS6detail17trampoline_kernelINS0_14default_configENS1_33run_length_encode_config_selectorIdjNS0_4plusIjEEEEZZNS1_33reduce_by_key_impl_wrapped_configILNS1_25lookback_scan_determinismE0ES3_S7_PKdNS0_17constant_iteratorIjlEEPdPlSF_S6_NS0_8equal_toIdEEEE10hipError_tPvRmT2_T3_mT4_T5_T6_T7_T8_P12ihipStream_tbENKUlT_T0_E_clISt17integral_constantIbLb0EESY_IbLb1EEEEDaSU_SV_EUlSU_E_NS1_11comp_targetILNS1_3genE9ELNS1_11target_archE1100ELNS1_3gpuE3ELNS1_3repE0EEENS1_30default_config_static_selectorELNS0_4arch9wavefront6targetE0EEEvT1_,comdat
	.protected	_ZN7rocprim17ROCPRIM_400000_NS6detail17trampoline_kernelINS0_14default_configENS1_33run_length_encode_config_selectorIdjNS0_4plusIjEEEEZZNS1_33reduce_by_key_impl_wrapped_configILNS1_25lookback_scan_determinismE0ES3_S7_PKdNS0_17constant_iteratorIjlEEPdPlSF_S6_NS0_8equal_toIdEEEE10hipError_tPvRmT2_T3_mT4_T5_T6_T7_T8_P12ihipStream_tbENKUlT_T0_E_clISt17integral_constantIbLb0EESY_IbLb1EEEEDaSU_SV_EUlSU_E_NS1_11comp_targetILNS1_3genE9ELNS1_11target_archE1100ELNS1_3gpuE3ELNS1_3repE0EEENS1_30default_config_static_selectorELNS0_4arch9wavefront6targetE0EEEvT1_ ; -- Begin function _ZN7rocprim17ROCPRIM_400000_NS6detail17trampoline_kernelINS0_14default_configENS1_33run_length_encode_config_selectorIdjNS0_4plusIjEEEEZZNS1_33reduce_by_key_impl_wrapped_configILNS1_25lookback_scan_determinismE0ES3_S7_PKdNS0_17constant_iteratorIjlEEPdPlSF_S6_NS0_8equal_toIdEEEE10hipError_tPvRmT2_T3_mT4_T5_T6_T7_T8_P12ihipStream_tbENKUlT_T0_E_clISt17integral_constantIbLb0EESY_IbLb1EEEEDaSU_SV_EUlSU_E_NS1_11comp_targetILNS1_3genE9ELNS1_11target_archE1100ELNS1_3gpuE3ELNS1_3repE0EEENS1_30default_config_static_selectorELNS0_4arch9wavefront6targetE0EEEvT1_
	.globl	_ZN7rocprim17ROCPRIM_400000_NS6detail17trampoline_kernelINS0_14default_configENS1_33run_length_encode_config_selectorIdjNS0_4plusIjEEEEZZNS1_33reduce_by_key_impl_wrapped_configILNS1_25lookback_scan_determinismE0ES3_S7_PKdNS0_17constant_iteratorIjlEEPdPlSF_S6_NS0_8equal_toIdEEEE10hipError_tPvRmT2_T3_mT4_T5_T6_T7_T8_P12ihipStream_tbENKUlT_T0_E_clISt17integral_constantIbLb0EESY_IbLb1EEEEDaSU_SV_EUlSU_E_NS1_11comp_targetILNS1_3genE9ELNS1_11target_archE1100ELNS1_3gpuE3ELNS1_3repE0EEENS1_30default_config_static_selectorELNS0_4arch9wavefront6targetE0EEEvT1_
	.p2align	8
	.type	_ZN7rocprim17ROCPRIM_400000_NS6detail17trampoline_kernelINS0_14default_configENS1_33run_length_encode_config_selectorIdjNS0_4plusIjEEEEZZNS1_33reduce_by_key_impl_wrapped_configILNS1_25lookback_scan_determinismE0ES3_S7_PKdNS0_17constant_iteratorIjlEEPdPlSF_S6_NS0_8equal_toIdEEEE10hipError_tPvRmT2_T3_mT4_T5_T6_T7_T8_P12ihipStream_tbENKUlT_T0_E_clISt17integral_constantIbLb0EESY_IbLb1EEEEDaSU_SV_EUlSU_E_NS1_11comp_targetILNS1_3genE9ELNS1_11target_archE1100ELNS1_3gpuE3ELNS1_3repE0EEENS1_30default_config_static_selectorELNS0_4arch9wavefront6targetE0EEEvT1_,@function
_ZN7rocprim17ROCPRIM_400000_NS6detail17trampoline_kernelINS0_14default_configENS1_33run_length_encode_config_selectorIdjNS0_4plusIjEEEEZZNS1_33reduce_by_key_impl_wrapped_configILNS1_25lookback_scan_determinismE0ES3_S7_PKdNS0_17constant_iteratorIjlEEPdPlSF_S6_NS0_8equal_toIdEEEE10hipError_tPvRmT2_T3_mT4_T5_T6_T7_T8_P12ihipStream_tbENKUlT_T0_E_clISt17integral_constantIbLb0EESY_IbLb1EEEEDaSU_SV_EUlSU_E_NS1_11comp_targetILNS1_3genE9ELNS1_11target_archE1100ELNS1_3gpuE3ELNS1_3repE0EEENS1_30default_config_static_selectorELNS0_4arch9wavefront6targetE0EEEvT1_: ; @_ZN7rocprim17ROCPRIM_400000_NS6detail17trampoline_kernelINS0_14default_configENS1_33run_length_encode_config_selectorIdjNS0_4plusIjEEEEZZNS1_33reduce_by_key_impl_wrapped_configILNS1_25lookback_scan_determinismE0ES3_S7_PKdNS0_17constant_iteratorIjlEEPdPlSF_S6_NS0_8equal_toIdEEEE10hipError_tPvRmT2_T3_mT4_T5_T6_T7_T8_P12ihipStream_tbENKUlT_T0_E_clISt17integral_constantIbLb0EESY_IbLb1EEEEDaSU_SV_EUlSU_E_NS1_11comp_targetILNS1_3genE9ELNS1_11target_archE1100ELNS1_3gpuE3ELNS1_3repE0EEENS1_30default_config_static_selectorELNS0_4arch9wavefront6targetE0EEEvT1_
; %bb.0:
	.section	.rodata,"a",@progbits
	.p2align	6, 0x0
	.amdhsa_kernel _ZN7rocprim17ROCPRIM_400000_NS6detail17trampoline_kernelINS0_14default_configENS1_33run_length_encode_config_selectorIdjNS0_4plusIjEEEEZZNS1_33reduce_by_key_impl_wrapped_configILNS1_25lookback_scan_determinismE0ES3_S7_PKdNS0_17constant_iteratorIjlEEPdPlSF_S6_NS0_8equal_toIdEEEE10hipError_tPvRmT2_T3_mT4_T5_T6_T7_T8_P12ihipStream_tbENKUlT_T0_E_clISt17integral_constantIbLb0EESY_IbLb1EEEEDaSU_SV_EUlSU_E_NS1_11comp_targetILNS1_3genE9ELNS1_11target_archE1100ELNS1_3gpuE3ELNS1_3repE0EEENS1_30default_config_static_selectorELNS0_4arch9wavefront6targetE0EEEvT1_
		.amdhsa_group_segment_fixed_size 0
		.amdhsa_private_segment_fixed_size 0
		.amdhsa_kernarg_size 128
		.amdhsa_user_sgpr_count 2
		.amdhsa_user_sgpr_dispatch_ptr 0
		.amdhsa_user_sgpr_queue_ptr 0
		.amdhsa_user_sgpr_kernarg_segment_ptr 1
		.amdhsa_user_sgpr_dispatch_id 0
		.amdhsa_user_sgpr_kernarg_preload_length 0
		.amdhsa_user_sgpr_kernarg_preload_offset 0
		.amdhsa_user_sgpr_private_segment_size 0
		.amdhsa_wavefront_size32 1
		.amdhsa_uses_dynamic_stack 0
		.amdhsa_enable_private_segment 0
		.amdhsa_system_sgpr_workgroup_id_x 1
		.amdhsa_system_sgpr_workgroup_id_y 0
		.amdhsa_system_sgpr_workgroup_id_z 0
		.amdhsa_system_sgpr_workgroup_info 0
		.amdhsa_system_vgpr_workitem_id 0
		.amdhsa_next_free_vgpr 1
		.amdhsa_next_free_sgpr 1
		.amdhsa_named_barrier_count 0
		.amdhsa_reserve_vcc 0
		.amdhsa_float_round_mode_32 0
		.amdhsa_float_round_mode_16_64 0
		.amdhsa_float_denorm_mode_32 3
		.amdhsa_float_denorm_mode_16_64 3
		.amdhsa_fp16_overflow 0
		.amdhsa_memory_ordered 1
		.amdhsa_forward_progress 1
		.amdhsa_inst_pref_size 0
		.amdhsa_round_robin_scheduling 0
		.amdhsa_exception_fp_ieee_invalid_op 0
		.amdhsa_exception_fp_denorm_src 0
		.amdhsa_exception_fp_ieee_div_zero 0
		.amdhsa_exception_fp_ieee_overflow 0
		.amdhsa_exception_fp_ieee_underflow 0
		.amdhsa_exception_fp_ieee_inexact 0
		.amdhsa_exception_int_div_zero 0
	.end_amdhsa_kernel
	.section	.text._ZN7rocprim17ROCPRIM_400000_NS6detail17trampoline_kernelINS0_14default_configENS1_33run_length_encode_config_selectorIdjNS0_4plusIjEEEEZZNS1_33reduce_by_key_impl_wrapped_configILNS1_25lookback_scan_determinismE0ES3_S7_PKdNS0_17constant_iteratorIjlEEPdPlSF_S6_NS0_8equal_toIdEEEE10hipError_tPvRmT2_T3_mT4_T5_T6_T7_T8_P12ihipStream_tbENKUlT_T0_E_clISt17integral_constantIbLb0EESY_IbLb1EEEEDaSU_SV_EUlSU_E_NS1_11comp_targetILNS1_3genE9ELNS1_11target_archE1100ELNS1_3gpuE3ELNS1_3repE0EEENS1_30default_config_static_selectorELNS0_4arch9wavefront6targetE0EEEvT1_,"axG",@progbits,_ZN7rocprim17ROCPRIM_400000_NS6detail17trampoline_kernelINS0_14default_configENS1_33run_length_encode_config_selectorIdjNS0_4plusIjEEEEZZNS1_33reduce_by_key_impl_wrapped_configILNS1_25lookback_scan_determinismE0ES3_S7_PKdNS0_17constant_iteratorIjlEEPdPlSF_S6_NS0_8equal_toIdEEEE10hipError_tPvRmT2_T3_mT4_T5_T6_T7_T8_P12ihipStream_tbENKUlT_T0_E_clISt17integral_constantIbLb0EESY_IbLb1EEEEDaSU_SV_EUlSU_E_NS1_11comp_targetILNS1_3genE9ELNS1_11target_archE1100ELNS1_3gpuE3ELNS1_3repE0EEENS1_30default_config_static_selectorELNS0_4arch9wavefront6targetE0EEEvT1_,comdat
.Lfunc_end338:
	.size	_ZN7rocprim17ROCPRIM_400000_NS6detail17trampoline_kernelINS0_14default_configENS1_33run_length_encode_config_selectorIdjNS0_4plusIjEEEEZZNS1_33reduce_by_key_impl_wrapped_configILNS1_25lookback_scan_determinismE0ES3_S7_PKdNS0_17constant_iteratorIjlEEPdPlSF_S6_NS0_8equal_toIdEEEE10hipError_tPvRmT2_T3_mT4_T5_T6_T7_T8_P12ihipStream_tbENKUlT_T0_E_clISt17integral_constantIbLb0EESY_IbLb1EEEEDaSU_SV_EUlSU_E_NS1_11comp_targetILNS1_3genE9ELNS1_11target_archE1100ELNS1_3gpuE3ELNS1_3repE0EEENS1_30default_config_static_selectorELNS0_4arch9wavefront6targetE0EEEvT1_, .Lfunc_end338-_ZN7rocprim17ROCPRIM_400000_NS6detail17trampoline_kernelINS0_14default_configENS1_33run_length_encode_config_selectorIdjNS0_4plusIjEEEEZZNS1_33reduce_by_key_impl_wrapped_configILNS1_25lookback_scan_determinismE0ES3_S7_PKdNS0_17constant_iteratorIjlEEPdPlSF_S6_NS0_8equal_toIdEEEE10hipError_tPvRmT2_T3_mT4_T5_T6_T7_T8_P12ihipStream_tbENKUlT_T0_E_clISt17integral_constantIbLb0EESY_IbLb1EEEEDaSU_SV_EUlSU_E_NS1_11comp_targetILNS1_3genE9ELNS1_11target_archE1100ELNS1_3gpuE3ELNS1_3repE0EEENS1_30default_config_static_selectorELNS0_4arch9wavefront6targetE0EEEvT1_
                                        ; -- End function
	.set _ZN7rocprim17ROCPRIM_400000_NS6detail17trampoline_kernelINS0_14default_configENS1_33run_length_encode_config_selectorIdjNS0_4plusIjEEEEZZNS1_33reduce_by_key_impl_wrapped_configILNS1_25lookback_scan_determinismE0ES3_S7_PKdNS0_17constant_iteratorIjlEEPdPlSF_S6_NS0_8equal_toIdEEEE10hipError_tPvRmT2_T3_mT4_T5_T6_T7_T8_P12ihipStream_tbENKUlT_T0_E_clISt17integral_constantIbLb0EESY_IbLb1EEEEDaSU_SV_EUlSU_E_NS1_11comp_targetILNS1_3genE9ELNS1_11target_archE1100ELNS1_3gpuE3ELNS1_3repE0EEENS1_30default_config_static_selectorELNS0_4arch9wavefront6targetE0EEEvT1_.num_vgpr, 0
	.set _ZN7rocprim17ROCPRIM_400000_NS6detail17trampoline_kernelINS0_14default_configENS1_33run_length_encode_config_selectorIdjNS0_4plusIjEEEEZZNS1_33reduce_by_key_impl_wrapped_configILNS1_25lookback_scan_determinismE0ES3_S7_PKdNS0_17constant_iteratorIjlEEPdPlSF_S6_NS0_8equal_toIdEEEE10hipError_tPvRmT2_T3_mT4_T5_T6_T7_T8_P12ihipStream_tbENKUlT_T0_E_clISt17integral_constantIbLb0EESY_IbLb1EEEEDaSU_SV_EUlSU_E_NS1_11comp_targetILNS1_3genE9ELNS1_11target_archE1100ELNS1_3gpuE3ELNS1_3repE0EEENS1_30default_config_static_selectorELNS0_4arch9wavefront6targetE0EEEvT1_.num_agpr, 0
	.set _ZN7rocprim17ROCPRIM_400000_NS6detail17trampoline_kernelINS0_14default_configENS1_33run_length_encode_config_selectorIdjNS0_4plusIjEEEEZZNS1_33reduce_by_key_impl_wrapped_configILNS1_25lookback_scan_determinismE0ES3_S7_PKdNS0_17constant_iteratorIjlEEPdPlSF_S6_NS0_8equal_toIdEEEE10hipError_tPvRmT2_T3_mT4_T5_T6_T7_T8_P12ihipStream_tbENKUlT_T0_E_clISt17integral_constantIbLb0EESY_IbLb1EEEEDaSU_SV_EUlSU_E_NS1_11comp_targetILNS1_3genE9ELNS1_11target_archE1100ELNS1_3gpuE3ELNS1_3repE0EEENS1_30default_config_static_selectorELNS0_4arch9wavefront6targetE0EEEvT1_.numbered_sgpr, 0
	.set _ZN7rocprim17ROCPRIM_400000_NS6detail17trampoline_kernelINS0_14default_configENS1_33run_length_encode_config_selectorIdjNS0_4plusIjEEEEZZNS1_33reduce_by_key_impl_wrapped_configILNS1_25lookback_scan_determinismE0ES3_S7_PKdNS0_17constant_iteratorIjlEEPdPlSF_S6_NS0_8equal_toIdEEEE10hipError_tPvRmT2_T3_mT4_T5_T6_T7_T8_P12ihipStream_tbENKUlT_T0_E_clISt17integral_constantIbLb0EESY_IbLb1EEEEDaSU_SV_EUlSU_E_NS1_11comp_targetILNS1_3genE9ELNS1_11target_archE1100ELNS1_3gpuE3ELNS1_3repE0EEENS1_30default_config_static_selectorELNS0_4arch9wavefront6targetE0EEEvT1_.num_named_barrier, 0
	.set _ZN7rocprim17ROCPRIM_400000_NS6detail17trampoline_kernelINS0_14default_configENS1_33run_length_encode_config_selectorIdjNS0_4plusIjEEEEZZNS1_33reduce_by_key_impl_wrapped_configILNS1_25lookback_scan_determinismE0ES3_S7_PKdNS0_17constant_iteratorIjlEEPdPlSF_S6_NS0_8equal_toIdEEEE10hipError_tPvRmT2_T3_mT4_T5_T6_T7_T8_P12ihipStream_tbENKUlT_T0_E_clISt17integral_constantIbLb0EESY_IbLb1EEEEDaSU_SV_EUlSU_E_NS1_11comp_targetILNS1_3genE9ELNS1_11target_archE1100ELNS1_3gpuE3ELNS1_3repE0EEENS1_30default_config_static_selectorELNS0_4arch9wavefront6targetE0EEEvT1_.private_seg_size, 0
	.set _ZN7rocprim17ROCPRIM_400000_NS6detail17trampoline_kernelINS0_14default_configENS1_33run_length_encode_config_selectorIdjNS0_4plusIjEEEEZZNS1_33reduce_by_key_impl_wrapped_configILNS1_25lookback_scan_determinismE0ES3_S7_PKdNS0_17constant_iteratorIjlEEPdPlSF_S6_NS0_8equal_toIdEEEE10hipError_tPvRmT2_T3_mT4_T5_T6_T7_T8_P12ihipStream_tbENKUlT_T0_E_clISt17integral_constantIbLb0EESY_IbLb1EEEEDaSU_SV_EUlSU_E_NS1_11comp_targetILNS1_3genE9ELNS1_11target_archE1100ELNS1_3gpuE3ELNS1_3repE0EEENS1_30default_config_static_selectorELNS0_4arch9wavefront6targetE0EEEvT1_.uses_vcc, 0
	.set _ZN7rocprim17ROCPRIM_400000_NS6detail17trampoline_kernelINS0_14default_configENS1_33run_length_encode_config_selectorIdjNS0_4plusIjEEEEZZNS1_33reduce_by_key_impl_wrapped_configILNS1_25lookback_scan_determinismE0ES3_S7_PKdNS0_17constant_iteratorIjlEEPdPlSF_S6_NS0_8equal_toIdEEEE10hipError_tPvRmT2_T3_mT4_T5_T6_T7_T8_P12ihipStream_tbENKUlT_T0_E_clISt17integral_constantIbLb0EESY_IbLb1EEEEDaSU_SV_EUlSU_E_NS1_11comp_targetILNS1_3genE9ELNS1_11target_archE1100ELNS1_3gpuE3ELNS1_3repE0EEENS1_30default_config_static_selectorELNS0_4arch9wavefront6targetE0EEEvT1_.uses_flat_scratch, 0
	.set _ZN7rocprim17ROCPRIM_400000_NS6detail17trampoline_kernelINS0_14default_configENS1_33run_length_encode_config_selectorIdjNS0_4plusIjEEEEZZNS1_33reduce_by_key_impl_wrapped_configILNS1_25lookback_scan_determinismE0ES3_S7_PKdNS0_17constant_iteratorIjlEEPdPlSF_S6_NS0_8equal_toIdEEEE10hipError_tPvRmT2_T3_mT4_T5_T6_T7_T8_P12ihipStream_tbENKUlT_T0_E_clISt17integral_constantIbLb0EESY_IbLb1EEEEDaSU_SV_EUlSU_E_NS1_11comp_targetILNS1_3genE9ELNS1_11target_archE1100ELNS1_3gpuE3ELNS1_3repE0EEENS1_30default_config_static_selectorELNS0_4arch9wavefront6targetE0EEEvT1_.has_dyn_sized_stack, 0
	.set _ZN7rocprim17ROCPRIM_400000_NS6detail17trampoline_kernelINS0_14default_configENS1_33run_length_encode_config_selectorIdjNS0_4plusIjEEEEZZNS1_33reduce_by_key_impl_wrapped_configILNS1_25lookback_scan_determinismE0ES3_S7_PKdNS0_17constant_iteratorIjlEEPdPlSF_S6_NS0_8equal_toIdEEEE10hipError_tPvRmT2_T3_mT4_T5_T6_T7_T8_P12ihipStream_tbENKUlT_T0_E_clISt17integral_constantIbLb0EESY_IbLb1EEEEDaSU_SV_EUlSU_E_NS1_11comp_targetILNS1_3genE9ELNS1_11target_archE1100ELNS1_3gpuE3ELNS1_3repE0EEENS1_30default_config_static_selectorELNS0_4arch9wavefront6targetE0EEEvT1_.has_recursion, 0
	.set _ZN7rocprim17ROCPRIM_400000_NS6detail17trampoline_kernelINS0_14default_configENS1_33run_length_encode_config_selectorIdjNS0_4plusIjEEEEZZNS1_33reduce_by_key_impl_wrapped_configILNS1_25lookback_scan_determinismE0ES3_S7_PKdNS0_17constant_iteratorIjlEEPdPlSF_S6_NS0_8equal_toIdEEEE10hipError_tPvRmT2_T3_mT4_T5_T6_T7_T8_P12ihipStream_tbENKUlT_T0_E_clISt17integral_constantIbLb0EESY_IbLb1EEEEDaSU_SV_EUlSU_E_NS1_11comp_targetILNS1_3genE9ELNS1_11target_archE1100ELNS1_3gpuE3ELNS1_3repE0EEENS1_30default_config_static_selectorELNS0_4arch9wavefront6targetE0EEEvT1_.has_indirect_call, 0
	.section	.AMDGPU.csdata,"",@progbits
; Kernel info:
; codeLenInByte = 0
; TotalNumSgprs: 0
; NumVgprs: 0
; ScratchSize: 0
; MemoryBound: 0
; FloatMode: 240
; IeeeMode: 1
; LDSByteSize: 0 bytes/workgroup (compile time only)
; SGPRBlocks: 0
; VGPRBlocks: 0
; NumSGPRsForWavesPerEU: 1
; NumVGPRsForWavesPerEU: 1
; NamedBarCnt: 0
; Occupancy: 16
; WaveLimiterHint : 0
; COMPUTE_PGM_RSRC2:SCRATCH_EN: 0
; COMPUTE_PGM_RSRC2:USER_SGPR: 2
; COMPUTE_PGM_RSRC2:TRAP_HANDLER: 0
; COMPUTE_PGM_RSRC2:TGID_X_EN: 1
; COMPUTE_PGM_RSRC2:TGID_Y_EN: 0
; COMPUTE_PGM_RSRC2:TGID_Z_EN: 0
; COMPUTE_PGM_RSRC2:TIDIG_COMP_CNT: 0
	.section	.text._ZN7rocprim17ROCPRIM_400000_NS6detail17trampoline_kernelINS0_14default_configENS1_33run_length_encode_config_selectorIdjNS0_4plusIjEEEEZZNS1_33reduce_by_key_impl_wrapped_configILNS1_25lookback_scan_determinismE0ES3_S7_PKdNS0_17constant_iteratorIjlEEPdPlSF_S6_NS0_8equal_toIdEEEE10hipError_tPvRmT2_T3_mT4_T5_T6_T7_T8_P12ihipStream_tbENKUlT_T0_E_clISt17integral_constantIbLb0EESY_IbLb1EEEEDaSU_SV_EUlSU_E_NS1_11comp_targetILNS1_3genE8ELNS1_11target_archE1030ELNS1_3gpuE2ELNS1_3repE0EEENS1_30default_config_static_selectorELNS0_4arch9wavefront6targetE0EEEvT1_,"axG",@progbits,_ZN7rocprim17ROCPRIM_400000_NS6detail17trampoline_kernelINS0_14default_configENS1_33run_length_encode_config_selectorIdjNS0_4plusIjEEEEZZNS1_33reduce_by_key_impl_wrapped_configILNS1_25lookback_scan_determinismE0ES3_S7_PKdNS0_17constant_iteratorIjlEEPdPlSF_S6_NS0_8equal_toIdEEEE10hipError_tPvRmT2_T3_mT4_T5_T6_T7_T8_P12ihipStream_tbENKUlT_T0_E_clISt17integral_constantIbLb0EESY_IbLb1EEEEDaSU_SV_EUlSU_E_NS1_11comp_targetILNS1_3genE8ELNS1_11target_archE1030ELNS1_3gpuE2ELNS1_3repE0EEENS1_30default_config_static_selectorELNS0_4arch9wavefront6targetE0EEEvT1_,comdat
	.protected	_ZN7rocprim17ROCPRIM_400000_NS6detail17trampoline_kernelINS0_14default_configENS1_33run_length_encode_config_selectorIdjNS0_4plusIjEEEEZZNS1_33reduce_by_key_impl_wrapped_configILNS1_25lookback_scan_determinismE0ES3_S7_PKdNS0_17constant_iteratorIjlEEPdPlSF_S6_NS0_8equal_toIdEEEE10hipError_tPvRmT2_T3_mT4_T5_T6_T7_T8_P12ihipStream_tbENKUlT_T0_E_clISt17integral_constantIbLb0EESY_IbLb1EEEEDaSU_SV_EUlSU_E_NS1_11comp_targetILNS1_3genE8ELNS1_11target_archE1030ELNS1_3gpuE2ELNS1_3repE0EEENS1_30default_config_static_selectorELNS0_4arch9wavefront6targetE0EEEvT1_ ; -- Begin function _ZN7rocprim17ROCPRIM_400000_NS6detail17trampoline_kernelINS0_14default_configENS1_33run_length_encode_config_selectorIdjNS0_4plusIjEEEEZZNS1_33reduce_by_key_impl_wrapped_configILNS1_25lookback_scan_determinismE0ES3_S7_PKdNS0_17constant_iteratorIjlEEPdPlSF_S6_NS0_8equal_toIdEEEE10hipError_tPvRmT2_T3_mT4_T5_T6_T7_T8_P12ihipStream_tbENKUlT_T0_E_clISt17integral_constantIbLb0EESY_IbLb1EEEEDaSU_SV_EUlSU_E_NS1_11comp_targetILNS1_3genE8ELNS1_11target_archE1030ELNS1_3gpuE2ELNS1_3repE0EEENS1_30default_config_static_selectorELNS0_4arch9wavefront6targetE0EEEvT1_
	.globl	_ZN7rocprim17ROCPRIM_400000_NS6detail17trampoline_kernelINS0_14default_configENS1_33run_length_encode_config_selectorIdjNS0_4plusIjEEEEZZNS1_33reduce_by_key_impl_wrapped_configILNS1_25lookback_scan_determinismE0ES3_S7_PKdNS0_17constant_iteratorIjlEEPdPlSF_S6_NS0_8equal_toIdEEEE10hipError_tPvRmT2_T3_mT4_T5_T6_T7_T8_P12ihipStream_tbENKUlT_T0_E_clISt17integral_constantIbLb0EESY_IbLb1EEEEDaSU_SV_EUlSU_E_NS1_11comp_targetILNS1_3genE8ELNS1_11target_archE1030ELNS1_3gpuE2ELNS1_3repE0EEENS1_30default_config_static_selectorELNS0_4arch9wavefront6targetE0EEEvT1_
	.p2align	8
	.type	_ZN7rocprim17ROCPRIM_400000_NS6detail17trampoline_kernelINS0_14default_configENS1_33run_length_encode_config_selectorIdjNS0_4plusIjEEEEZZNS1_33reduce_by_key_impl_wrapped_configILNS1_25lookback_scan_determinismE0ES3_S7_PKdNS0_17constant_iteratorIjlEEPdPlSF_S6_NS0_8equal_toIdEEEE10hipError_tPvRmT2_T3_mT4_T5_T6_T7_T8_P12ihipStream_tbENKUlT_T0_E_clISt17integral_constantIbLb0EESY_IbLb1EEEEDaSU_SV_EUlSU_E_NS1_11comp_targetILNS1_3genE8ELNS1_11target_archE1030ELNS1_3gpuE2ELNS1_3repE0EEENS1_30default_config_static_selectorELNS0_4arch9wavefront6targetE0EEEvT1_,@function
_ZN7rocprim17ROCPRIM_400000_NS6detail17trampoline_kernelINS0_14default_configENS1_33run_length_encode_config_selectorIdjNS0_4plusIjEEEEZZNS1_33reduce_by_key_impl_wrapped_configILNS1_25lookback_scan_determinismE0ES3_S7_PKdNS0_17constant_iteratorIjlEEPdPlSF_S6_NS0_8equal_toIdEEEE10hipError_tPvRmT2_T3_mT4_T5_T6_T7_T8_P12ihipStream_tbENKUlT_T0_E_clISt17integral_constantIbLb0EESY_IbLb1EEEEDaSU_SV_EUlSU_E_NS1_11comp_targetILNS1_3genE8ELNS1_11target_archE1030ELNS1_3gpuE2ELNS1_3repE0EEENS1_30default_config_static_selectorELNS0_4arch9wavefront6targetE0EEEvT1_: ; @_ZN7rocprim17ROCPRIM_400000_NS6detail17trampoline_kernelINS0_14default_configENS1_33run_length_encode_config_selectorIdjNS0_4plusIjEEEEZZNS1_33reduce_by_key_impl_wrapped_configILNS1_25lookback_scan_determinismE0ES3_S7_PKdNS0_17constant_iteratorIjlEEPdPlSF_S6_NS0_8equal_toIdEEEE10hipError_tPvRmT2_T3_mT4_T5_T6_T7_T8_P12ihipStream_tbENKUlT_T0_E_clISt17integral_constantIbLb0EESY_IbLb1EEEEDaSU_SV_EUlSU_E_NS1_11comp_targetILNS1_3genE8ELNS1_11target_archE1030ELNS1_3gpuE2ELNS1_3repE0EEENS1_30default_config_static_selectorELNS0_4arch9wavefront6targetE0EEEvT1_
; %bb.0:
	.section	.rodata,"a",@progbits
	.p2align	6, 0x0
	.amdhsa_kernel _ZN7rocprim17ROCPRIM_400000_NS6detail17trampoline_kernelINS0_14default_configENS1_33run_length_encode_config_selectorIdjNS0_4plusIjEEEEZZNS1_33reduce_by_key_impl_wrapped_configILNS1_25lookback_scan_determinismE0ES3_S7_PKdNS0_17constant_iteratorIjlEEPdPlSF_S6_NS0_8equal_toIdEEEE10hipError_tPvRmT2_T3_mT4_T5_T6_T7_T8_P12ihipStream_tbENKUlT_T0_E_clISt17integral_constantIbLb0EESY_IbLb1EEEEDaSU_SV_EUlSU_E_NS1_11comp_targetILNS1_3genE8ELNS1_11target_archE1030ELNS1_3gpuE2ELNS1_3repE0EEENS1_30default_config_static_selectorELNS0_4arch9wavefront6targetE0EEEvT1_
		.amdhsa_group_segment_fixed_size 0
		.amdhsa_private_segment_fixed_size 0
		.amdhsa_kernarg_size 128
		.amdhsa_user_sgpr_count 2
		.amdhsa_user_sgpr_dispatch_ptr 0
		.amdhsa_user_sgpr_queue_ptr 0
		.amdhsa_user_sgpr_kernarg_segment_ptr 1
		.amdhsa_user_sgpr_dispatch_id 0
		.amdhsa_user_sgpr_kernarg_preload_length 0
		.amdhsa_user_sgpr_kernarg_preload_offset 0
		.amdhsa_user_sgpr_private_segment_size 0
		.amdhsa_wavefront_size32 1
		.amdhsa_uses_dynamic_stack 0
		.amdhsa_enable_private_segment 0
		.amdhsa_system_sgpr_workgroup_id_x 1
		.amdhsa_system_sgpr_workgroup_id_y 0
		.amdhsa_system_sgpr_workgroup_id_z 0
		.amdhsa_system_sgpr_workgroup_info 0
		.amdhsa_system_vgpr_workitem_id 0
		.amdhsa_next_free_vgpr 1
		.amdhsa_next_free_sgpr 1
		.amdhsa_named_barrier_count 0
		.amdhsa_reserve_vcc 0
		.amdhsa_float_round_mode_32 0
		.amdhsa_float_round_mode_16_64 0
		.amdhsa_float_denorm_mode_32 3
		.amdhsa_float_denorm_mode_16_64 3
		.amdhsa_fp16_overflow 0
		.amdhsa_memory_ordered 1
		.amdhsa_forward_progress 1
		.amdhsa_inst_pref_size 0
		.amdhsa_round_robin_scheduling 0
		.amdhsa_exception_fp_ieee_invalid_op 0
		.amdhsa_exception_fp_denorm_src 0
		.amdhsa_exception_fp_ieee_div_zero 0
		.amdhsa_exception_fp_ieee_overflow 0
		.amdhsa_exception_fp_ieee_underflow 0
		.amdhsa_exception_fp_ieee_inexact 0
		.amdhsa_exception_int_div_zero 0
	.end_amdhsa_kernel
	.section	.text._ZN7rocprim17ROCPRIM_400000_NS6detail17trampoline_kernelINS0_14default_configENS1_33run_length_encode_config_selectorIdjNS0_4plusIjEEEEZZNS1_33reduce_by_key_impl_wrapped_configILNS1_25lookback_scan_determinismE0ES3_S7_PKdNS0_17constant_iteratorIjlEEPdPlSF_S6_NS0_8equal_toIdEEEE10hipError_tPvRmT2_T3_mT4_T5_T6_T7_T8_P12ihipStream_tbENKUlT_T0_E_clISt17integral_constantIbLb0EESY_IbLb1EEEEDaSU_SV_EUlSU_E_NS1_11comp_targetILNS1_3genE8ELNS1_11target_archE1030ELNS1_3gpuE2ELNS1_3repE0EEENS1_30default_config_static_selectorELNS0_4arch9wavefront6targetE0EEEvT1_,"axG",@progbits,_ZN7rocprim17ROCPRIM_400000_NS6detail17trampoline_kernelINS0_14default_configENS1_33run_length_encode_config_selectorIdjNS0_4plusIjEEEEZZNS1_33reduce_by_key_impl_wrapped_configILNS1_25lookback_scan_determinismE0ES3_S7_PKdNS0_17constant_iteratorIjlEEPdPlSF_S6_NS0_8equal_toIdEEEE10hipError_tPvRmT2_T3_mT4_T5_T6_T7_T8_P12ihipStream_tbENKUlT_T0_E_clISt17integral_constantIbLb0EESY_IbLb1EEEEDaSU_SV_EUlSU_E_NS1_11comp_targetILNS1_3genE8ELNS1_11target_archE1030ELNS1_3gpuE2ELNS1_3repE0EEENS1_30default_config_static_selectorELNS0_4arch9wavefront6targetE0EEEvT1_,comdat
.Lfunc_end339:
	.size	_ZN7rocprim17ROCPRIM_400000_NS6detail17trampoline_kernelINS0_14default_configENS1_33run_length_encode_config_selectorIdjNS0_4plusIjEEEEZZNS1_33reduce_by_key_impl_wrapped_configILNS1_25lookback_scan_determinismE0ES3_S7_PKdNS0_17constant_iteratorIjlEEPdPlSF_S6_NS0_8equal_toIdEEEE10hipError_tPvRmT2_T3_mT4_T5_T6_T7_T8_P12ihipStream_tbENKUlT_T0_E_clISt17integral_constantIbLb0EESY_IbLb1EEEEDaSU_SV_EUlSU_E_NS1_11comp_targetILNS1_3genE8ELNS1_11target_archE1030ELNS1_3gpuE2ELNS1_3repE0EEENS1_30default_config_static_selectorELNS0_4arch9wavefront6targetE0EEEvT1_, .Lfunc_end339-_ZN7rocprim17ROCPRIM_400000_NS6detail17trampoline_kernelINS0_14default_configENS1_33run_length_encode_config_selectorIdjNS0_4plusIjEEEEZZNS1_33reduce_by_key_impl_wrapped_configILNS1_25lookback_scan_determinismE0ES3_S7_PKdNS0_17constant_iteratorIjlEEPdPlSF_S6_NS0_8equal_toIdEEEE10hipError_tPvRmT2_T3_mT4_T5_T6_T7_T8_P12ihipStream_tbENKUlT_T0_E_clISt17integral_constantIbLb0EESY_IbLb1EEEEDaSU_SV_EUlSU_E_NS1_11comp_targetILNS1_3genE8ELNS1_11target_archE1030ELNS1_3gpuE2ELNS1_3repE0EEENS1_30default_config_static_selectorELNS0_4arch9wavefront6targetE0EEEvT1_
                                        ; -- End function
	.set _ZN7rocprim17ROCPRIM_400000_NS6detail17trampoline_kernelINS0_14default_configENS1_33run_length_encode_config_selectorIdjNS0_4plusIjEEEEZZNS1_33reduce_by_key_impl_wrapped_configILNS1_25lookback_scan_determinismE0ES3_S7_PKdNS0_17constant_iteratorIjlEEPdPlSF_S6_NS0_8equal_toIdEEEE10hipError_tPvRmT2_T3_mT4_T5_T6_T7_T8_P12ihipStream_tbENKUlT_T0_E_clISt17integral_constantIbLb0EESY_IbLb1EEEEDaSU_SV_EUlSU_E_NS1_11comp_targetILNS1_3genE8ELNS1_11target_archE1030ELNS1_3gpuE2ELNS1_3repE0EEENS1_30default_config_static_selectorELNS0_4arch9wavefront6targetE0EEEvT1_.num_vgpr, 0
	.set _ZN7rocprim17ROCPRIM_400000_NS6detail17trampoline_kernelINS0_14default_configENS1_33run_length_encode_config_selectorIdjNS0_4plusIjEEEEZZNS1_33reduce_by_key_impl_wrapped_configILNS1_25lookback_scan_determinismE0ES3_S7_PKdNS0_17constant_iteratorIjlEEPdPlSF_S6_NS0_8equal_toIdEEEE10hipError_tPvRmT2_T3_mT4_T5_T6_T7_T8_P12ihipStream_tbENKUlT_T0_E_clISt17integral_constantIbLb0EESY_IbLb1EEEEDaSU_SV_EUlSU_E_NS1_11comp_targetILNS1_3genE8ELNS1_11target_archE1030ELNS1_3gpuE2ELNS1_3repE0EEENS1_30default_config_static_selectorELNS0_4arch9wavefront6targetE0EEEvT1_.num_agpr, 0
	.set _ZN7rocprim17ROCPRIM_400000_NS6detail17trampoline_kernelINS0_14default_configENS1_33run_length_encode_config_selectorIdjNS0_4plusIjEEEEZZNS1_33reduce_by_key_impl_wrapped_configILNS1_25lookback_scan_determinismE0ES3_S7_PKdNS0_17constant_iteratorIjlEEPdPlSF_S6_NS0_8equal_toIdEEEE10hipError_tPvRmT2_T3_mT4_T5_T6_T7_T8_P12ihipStream_tbENKUlT_T0_E_clISt17integral_constantIbLb0EESY_IbLb1EEEEDaSU_SV_EUlSU_E_NS1_11comp_targetILNS1_3genE8ELNS1_11target_archE1030ELNS1_3gpuE2ELNS1_3repE0EEENS1_30default_config_static_selectorELNS0_4arch9wavefront6targetE0EEEvT1_.numbered_sgpr, 0
	.set _ZN7rocprim17ROCPRIM_400000_NS6detail17trampoline_kernelINS0_14default_configENS1_33run_length_encode_config_selectorIdjNS0_4plusIjEEEEZZNS1_33reduce_by_key_impl_wrapped_configILNS1_25lookback_scan_determinismE0ES3_S7_PKdNS0_17constant_iteratorIjlEEPdPlSF_S6_NS0_8equal_toIdEEEE10hipError_tPvRmT2_T3_mT4_T5_T6_T7_T8_P12ihipStream_tbENKUlT_T0_E_clISt17integral_constantIbLb0EESY_IbLb1EEEEDaSU_SV_EUlSU_E_NS1_11comp_targetILNS1_3genE8ELNS1_11target_archE1030ELNS1_3gpuE2ELNS1_3repE0EEENS1_30default_config_static_selectorELNS0_4arch9wavefront6targetE0EEEvT1_.num_named_barrier, 0
	.set _ZN7rocprim17ROCPRIM_400000_NS6detail17trampoline_kernelINS0_14default_configENS1_33run_length_encode_config_selectorIdjNS0_4plusIjEEEEZZNS1_33reduce_by_key_impl_wrapped_configILNS1_25lookback_scan_determinismE0ES3_S7_PKdNS0_17constant_iteratorIjlEEPdPlSF_S6_NS0_8equal_toIdEEEE10hipError_tPvRmT2_T3_mT4_T5_T6_T7_T8_P12ihipStream_tbENKUlT_T0_E_clISt17integral_constantIbLb0EESY_IbLb1EEEEDaSU_SV_EUlSU_E_NS1_11comp_targetILNS1_3genE8ELNS1_11target_archE1030ELNS1_3gpuE2ELNS1_3repE0EEENS1_30default_config_static_selectorELNS0_4arch9wavefront6targetE0EEEvT1_.private_seg_size, 0
	.set _ZN7rocprim17ROCPRIM_400000_NS6detail17trampoline_kernelINS0_14default_configENS1_33run_length_encode_config_selectorIdjNS0_4plusIjEEEEZZNS1_33reduce_by_key_impl_wrapped_configILNS1_25lookback_scan_determinismE0ES3_S7_PKdNS0_17constant_iteratorIjlEEPdPlSF_S6_NS0_8equal_toIdEEEE10hipError_tPvRmT2_T3_mT4_T5_T6_T7_T8_P12ihipStream_tbENKUlT_T0_E_clISt17integral_constantIbLb0EESY_IbLb1EEEEDaSU_SV_EUlSU_E_NS1_11comp_targetILNS1_3genE8ELNS1_11target_archE1030ELNS1_3gpuE2ELNS1_3repE0EEENS1_30default_config_static_selectorELNS0_4arch9wavefront6targetE0EEEvT1_.uses_vcc, 0
	.set _ZN7rocprim17ROCPRIM_400000_NS6detail17trampoline_kernelINS0_14default_configENS1_33run_length_encode_config_selectorIdjNS0_4plusIjEEEEZZNS1_33reduce_by_key_impl_wrapped_configILNS1_25lookback_scan_determinismE0ES3_S7_PKdNS0_17constant_iteratorIjlEEPdPlSF_S6_NS0_8equal_toIdEEEE10hipError_tPvRmT2_T3_mT4_T5_T6_T7_T8_P12ihipStream_tbENKUlT_T0_E_clISt17integral_constantIbLb0EESY_IbLb1EEEEDaSU_SV_EUlSU_E_NS1_11comp_targetILNS1_3genE8ELNS1_11target_archE1030ELNS1_3gpuE2ELNS1_3repE0EEENS1_30default_config_static_selectorELNS0_4arch9wavefront6targetE0EEEvT1_.uses_flat_scratch, 0
	.set _ZN7rocprim17ROCPRIM_400000_NS6detail17trampoline_kernelINS0_14default_configENS1_33run_length_encode_config_selectorIdjNS0_4plusIjEEEEZZNS1_33reduce_by_key_impl_wrapped_configILNS1_25lookback_scan_determinismE0ES3_S7_PKdNS0_17constant_iteratorIjlEEPdPlSF_S6_NS0_8equal_toIdEEEE10hipError_tPvRmT2_T3_mT4_T5_T6_T7_T8_P12ihipStream_tbENKUlT_T0_E_clISt17integral_constantIbLb0EESY_IbLb1EEEEDaSU_SV_EUlSU_E_NS1_11comp_targetILNS1_3genE8ELNS1_11target_archE1030ELNS1_3gpuE2ELNS1_3repE0EEENS1_30default_config_static_selectorELNS0_4arch9wavefront6targetE0EEEvT1_.has_dyn_sized_stack, 0
	.set _ZN7rocprim17ROCPRIM_400000_NS6detail17trampoline_kernelINS0_14default_configENS1_33run_length_encode_config_selectorIdjNS0_4plusIjEEEEZZNS1_33reduce_by_key_impl_wrapped_configILNS1_25lookback_scan_determinismE0ES3_S7_PKdNS0_17constant_iteratorIjlEEPdPlSF_S6_NS0_8equal_toIdEEEE10hipError_tPvRmT2_T3_mT4_T5_T6_T7_T8_P12ihipStream_tbENKUlT_T0_E_clISt17integral_constantIbLb0EESY_IbLb1EEEEDaSU_SV_EUlSU_E_NS1_11comp_targetILNS1_3genE8ELNS1_11target_archE1030ELNS1_3gpuE2ELNS1_3repE0EEENS1_30default_config_static_selectorELNS0_4arch9wavefront6targetE0EEEvT1_.has_recursion, 0
	.set _ZN7rocprim17ROCPRIM_400000_NS6detail17trampoline_kernelINS0_14default_configENS1_33run_length_encode_config_selectorIdjNS0_4plusIjEEEEZZNS1_33reduce_by_key_impl_wrapped_configILNS1_25lookback_scan_determinismE0ES3_S7_PKdNS0_17constant_iteratorIjlEEPdPlSF_S6_NS0_8equal_toIdEEEE10hipError_tPvRmT2_T3_mT4_T5_T6_T7_T8_P12ihipStream_tbENKUlT_T0_E_clISt17integral_constantIbLb0EESY_IbLb1EEEEDaSU_SV_EUlSU_E_NS1_11comp_targetILNS1_3genE8ELNS1_11target_archE1030ELNS1_3gpuE2ELNS1_3repE0EEENS1_30default_config_static_selectorELNS0_4arch9wavefront6targetE0EEEvT1_.has_indirect_call, 0
	.section	.AMDGPU.csdata,"",@progbits
; Kernel info:
; codeLenInByte = 0
; TotalNumSgprs: 0
; NumVgprs: 0
; ScratchSize: 0
; MemoryBound: 0
; FloatMode: 240
; IeeeMode: 1
; LDSByteSize: 0 bytes/workgroup (compile time only)
; SGPRBlocks: 0
; VGPRBlocks: 0
; NumSGPRsForWavesPerEU: 1
; NumVGPRsForWavesPerEU: 1
; NamedBarCnt: 0
; Occupancy: 16
; WaveLimiterHint : 0
; COMPUTE_PGM_RSRC2:SCRATCH_EN: 0
; COMPUTE_PGM_RSRC2:USER_SGPR: 2
; COMPUTE_PGM_RSRC2:TRAP_HANDLER: 0
; COMPUTE_PGM_RSRC2:TGID_X_EN: 1
; COMPUTE_PGM_RSRC2:TGID_Y_EN: 0
; COMPUTE_PGM_RSRC2:TGID_Z_EN: 0
; COMPUTE_PGM_RSRC2:TIDIG_COMP_CNT: 0
	.section	.text._ZN2at6native8internal12_GLOBAL__N_126adjacent_difference_kernelIPKfEEvlT_Pi,"axG",@progbits,_ZN2at6native8internal12_GLOBAL__N_126adjacent_difference_kernelIPKfEEvlT_Pi,comdat
	.globl	_ZN2at6native8internal12_GLOBAL__N_126adjacent_difference_kernelIPKfEEvlT_Pi ; -- Begin function _ZN2at6native8internal12_GLOBAL__N_126adjacent_difference_kernelIPKfEEvlT_Pi
	.p2align	8
	.type	_ZN2at6native8internal12_GLOBAL__N_126adjacent_difference_kernelIPKfEEvlT_Pi,@function
_ZN2at6native8internal12_GLOBAL__N_126adjacent_difference_kernelIPKfEEvlT_Pi: ; @_ZN2at6native8internal12_GLOBAL__N_126adjacent_difference_kernelIPKfEEvlT_Pi
; %bb.0:
	s_clause 0x1
	s_load_b32 s2, s[0:1], 0x24
	s_load_b128 s[4:7], s[0:1], 0x0
	s_bfe_u32 s9, ttmp6, 0x4000c
	s_and_b32 s8, ttmp6, 15
	s_add_co_i32 s9, s9, 1
	s_getreg_b32 s10, hwreg(HW_REG_IB_STS2, 6, 4)
	s_mul_i32 s9, ttmp9, s9
	s_mov_b32 s3, 0
	s_add_co_i32 s8, s8, s9
	s_cmp_eq_u32 s10, 0
	v_mov_b32_e32 v1, 0
	s_mov_b32 s15, s3
	s_cselect_b32 s14, ttmp9, s8
	s_mov_b32 s13, s3
	s_wait_kmcnt 0x0
	s_and_b32 s12, s2, 0xffff
	s_mov_b32 s2, exec_lo
	s_mul_u64 s[8:9], s[12:13], s[14:15]
	s_delay_alu instid0(SALU_CYCLE_1) | instskip(NEXT) | instid1(VALU_DEP_1)
	v_add_nc_u64_e32 v[4:5], s[8:9], v[0:1]
	v_cmpx_gt_i64_e64 s[4:5], v[4:5]
	s_cbranch_execz .LBB340_5
; %bb.1:
	s_add_nc_u64 s[16:17], s[0:1], 24
	v_dual_mov_b32 v2, v1 :: v_dual_mov_b32 v3, v4
	s_load_b32 s2, s[16:17], 0x0
	s_load_b64 s[10:11], s[0:1], 0x10
	v_mov_b64_e32 v[4:5], v[0:1]
	s_mul_i32 s13, s14, s12
	s_wait_xcnt 0x0
	s_mov_b32 s0, s3
	s_wait_kmcnt 0x0
	s_mul_i32 s2, s2, s12
	s_mov_b32 s12, s3
	s_mov_b32 s1, s2
	s_branch .LBB340_3
.LBB340_2:                              ;   in Loop: Header=BB340_3 Depth=1
	s_or_b32 exec_lo, exec_lo, s14
	v_add_nc_u64_e32 v[4:5], s[2:3], v[4:5]
	v_ashrrev_i64 v[8:9], 30, v[2:3]
	v_add_nc_u64_e32 v[2:3], s[0:1], v[2:3]
	s_delay_alu instid0(VALU_DEP_3) | instskip(NEXT) | instid1(VALU_DEP_1)
	v_add_nc_u64_e32 v[6:7], s[8:9], v[4:5]
	v_cmp_le_i64_e32 vcc_lo, s[4:5], v[6:7]
	s_delay_alu instid0(VALU_DEP_4)
	v_add_nc_u64_e32 v[6:7], s[10:11], v[8:9]
	s_or_b32 s12, vcc_lo, s12
	global_store_b32 v[6:7], v0, off
	s_wait_xcnt 0x0
	s_and_not1_b32 exec_lo, exec_lo, s12
	s_cbranch_execz .LBB340_5
.LBB340_3:                              ; =>This Inner Loop Header: Depth=1
	v_dual_add_nc_u32 v6, s13, v4 :: v_dual_mov_b32 v0, 0
	s_mov_b32 s14, exec_lo
	s_delay_alu instid0(VALU_DEP_1)
	v_cmpx_lt_i32_e32 0, v6
	s_cbranch_execz .LBB340_2
; %bb.4:                                ;   in Loop: Header=BB340_3 Depth=1
	v_add_nc_u32_e32 v8, s8, v4
	s_delay_alu instid0(VALU_DEP_1) | instskip(NEXT) | instid1(VALU_DEP_1)
	v_and_b32_e32 v0, 0x7fffffff, v8
	v_lshl_add_u64 v[6:7], v[0:1], 2, s[6:7]
	v_add_nc_u32_e32 v0, -1, v8
	s_clause 0x1
	global_load_b32 v8, v[6:7], off
	global_load_b32 v9, v0, s[6:7] scale_offset
	s_wait_loadcnt 0x0
	v_cmp_neq_f32_e32 vcc_lo, v8, v9
	s_wait_xcnt 0x0
	v_cndmask_b32_e64 v0, 0, 1, vcc_lo
	s_branch .LBB340_2
.LBB340_5:
	s_endpgm
	.section	.rodata,"a",@progbits
	.p2align	6, 0x0
	.amdhsa_kernel _ZN2at6native8internal12_GLOBAL__N_126adjacent_difference_kernelIPKfEEvlT_Pi
		.amdhsa_group_segment_fixed_size 0
		.amdhsa_private_segment_fixed_size 0
		.amdhsa_kernarg_size 280
		.amdhsa_user_sgpr_count 2
		.amdhsa_user_sgpr_dispatch_ptr 0
		.amdhsa_user_sgpr_queue_ptr 0
		.amdhsa_user_sgpr_kernarg_segment_ptr 1
		.amdhsa_user_sgpr_dispatch_id 0
		.amdhsa_user_sgpr_kernarg_preload_length 0
		.amdhsa_user_sgpr_kernarg_preload_offset 0
		.amdhsa_user_sgpr_private_segment_size 0
		.amdhsa_wavefront_size32 1
		.amdhsa_uses_dynamic_stack 0
		.amdhsa_enable_private_segment 0
		.amdhsa_system_sgpr_workgroup_id_x 1
		.amdhsa_system_sgpr_workgroup_id_y 0
		.amdhsa_system_sgpr_workgroup_id_z 0
		.amdhsa_system_sgpr_workgroup_info 0
		.amdhsa_system_vgpr_workitem_id 0
		.amdhsa_next_free_vgpr 10
		.amdhsa_next_free_sgpr 18
		.amdhsa_named_barrier_count 0
		.amdhsa_reserve_vcc 1
		.amdhsa_float_round_mode_32 0
		.amdhsa_float_round_mode_16_64 0
		.amdhsa_float_denorm_mode_32 3
		.amdhsa_float_denorm_mode_16_64 3
		.amdhsa_fp16_overflow 0
		.amdhsa_memory_ordered 1
		.amdhsa_forward_progress 1
		.amdhsa_inst_pref_size 3
		.amdhsa_round_robin_scheduling 0
		.amdhsa_exception_fp_ieee_invalid_op 0
		.amdhsa_exception_fp_denorm_src 0
		.amdhsa_exception_fp_ieee_div_zero 0
		.amdhsa_exception_fp_ieee_overflow 0
		.amdhsa_exception_fp_ieee_underflow 0
		.amdhsa_exception_fp_ieee_inexact 0
		.amdhsa_exception_int_div_zero 0
	.end_amdhsa_kernel
	.section	.text._ZN2at6native8internal12_GLOBAL__N_126adjacent_difference_kernelIPKfEEvlT_Pi,"axG",@progbits,_ZN2at6native8internal12_GLOBAL__N_126adjacent_difference_kernelIPKfEEvlT_Pi,comdat
.Lfunc_end340:
	.size	_ZN2at6native8internal12_GLOBAL__N_126adjacent_difference_kernelIPKfEEvlT_Pi, .Lfunc_end340-_ZN2at6native8internal12_GLOBAL__N_126adjacent_difference_kernelIPKfEEvlT_Pi
                                        ; -- End function
	.set _ZN2at6native8internal12_GLOBAL__N_126adjacent_difference_kernelIPKfEEvlT_Pi.num_vgpr, 10
	.set _ZN2at6native8internal12_GLOBAL__N_126adjacent_difference_kernelIPKfEEvlT_Pi.num_agpr, 0
	.set _ZN2at6native8internal12_GLOBAL__N_126adjacent_difference_kernelIPKfEEvlT_Pi.numbered_sgpr, 18
	.set _ZN2at6native8internal12_GLOBAL__N_126adjacent_difference_kernelIPKfEEvlT_Pi.num_named_barrier, 0
	.set _ZN2at6native8internal12_GLOBAL__N_126adjacent_difference_kernelIPKfEEvlT_Pi.private_seg_size, 0
	.set _ZN2at6native8internal12_GLOBAL__N_126adjacent_difference_kernelIPKfEEvlT_Pi.uses_vcc, 1
	.set _ZN2at6native8internal12_GLOBAL__N_126adjacent_difference_kernelIPKfEEvlT_Pi.uses_flat_scratch, 0
	.set _ZN2at6native8internal12_GLOBAL__N_126adjacent_difference_kernelIPKfEEvlT_Pi.has_dyn_sized_stack, 0
	.set _ZN2at6native8internal12_GLOBAL__N_126adjacent_difference_kernelIPKfEEvlT_Pi.has_recursion, 0
	.set _ZN2at6native8internal12_GLOBAL__N_126adjacent_difference_kernelIPKfEEvlT_Pi.has_indirect_call, 0
	.section	.AMDGPU.csdata,"",@progbits
; Kernel info:
; codeLenInByte = 356
; TotalNumSgprs: 20
; NumVgprs: 10
; ScratchSize: 0
; MemoryBound: 0
; FloatMode: 240
; IeeeMode: 1
; LDSByteSize: 0 bytes/workgroup (compile time only)
; SGPRBlocks: 0
; VGPRBlocks: 0
; NumSGPRsForWavesPerEU: 20
; NumVGPRsForWavesPerEU: 10
; NamedBarCnt: 0
; Occupancy: 16
; WaveLimiterHint : 0
; COMPUTE_PGM_RSRC2:SCRATCH_EN: 0
; COMPUTE_PGM_RSRC2:USER_SGPR: 2
; COMPUTE_PGM_RSRC2:TRAP_HANDLER: 0
; COMPUTE_PGM_RSRC2:TGID_X_EN: 1
; COMPUTE_PGM_RSRC2:TGID_Y_EN: 0
; COMPUTE_PGM_RSRC2:TGID_Z_EN: 0
; COMPUTE_PGM_RSRC2:TIDIG_COMP_CNT: 0
	.section	.text._ZN7rocprim17ROCPRIM_400000_NS6detail17trampoline_kernelINS0_14default_configENS1_25partition_config_selectorILNS1_17partition_subalgoE8EfNS0_10empty_typeEbEEZZNS1_14partition_implILS5_8ELb0ES3_jPKfPS6_PKS6_NS0_5tupleIJPfS6_EEENSE_IJSB_SB_EEENS0_18inequality_wrapperIN6hipcub16HIPCUB_304000_NS8EqualityEEEPlJS6_EEE10hipError_tPvRmT3_T4_T5_T6_T7_T9_mT8_P12ihipStream_tbDpT10_ENKUlT_T0_E_clISt17integral_constantIbLb0EES17_EEDaS12_S13_EUlS12_E_NS1_11comp_targetILNS1_3genE0ELNS1_11target_archE4294967295ELNS1_3gpuE0ELNS1_3repE0EEENS1_30default_config_static_selectorELNS0_4arch9wavefront6targetE0EEEvT1_,"axG",@progbits,_ZN7rocprim17ROCPRIM_400000_NS6detail17trampoline_kernelINS0_14default_configENS1_25partition_config_selectorILNS1_17partition_subalgoE8EfNS0_10empty_typeEbEEZZNS1_14partition_implILS5_8ELb0ES3_jPKfPS6_PKS6_NS0_5tupleIJPfS6_EEENSE_IJSB_SB_EEENS0_18inequality_wrapperIN6hipcub16HIPCUB_304000_NS8EqualityEEEPlJS6_EEE10hipError_tPvRmT3_T4_T5_T6_T7_T9_mT8_P12ihipStream_tbDpT10_ENKUlT_T0_E_clISt17integral_constantIbLb0EES17_EEDaS12_S13_EUlS12_E_NS1_11comp_targetILNS1_3genE0ELNS1_11target_archE4294967295ELNS1_3gpuE0ELNS1_3repE0EEENS1_30default_config_static_selectorELNS0_4arch9wavefront6targetE0EEEvT1_,comdat
	.protected	_ZN7rocprim17ROCPRIM_400000_NS6detail17trampoline_kernelINS0_14default_configENS1_25partition_config_selectorILNS1_17partition_subalgoE8EfNS0_10empty_typeEbEEZZNS1_14partition_implILS5_8ELb0ES3_jPKfPS6_PKS6_NS0_5tupleIJPfS6_EEENSE_IJSB_SB_EEENS0_18inequality_wrapperIN6hipcub16HIPCUB_304000_NS8EqualityEEEPlJS6_EEE10hipError_tPvRmT3_T4_T5_T6_T7_T9_mT8_P12ihipStream_tbDpT10_ENKUlT_T0_E_clISt17integral_constantIbLb0EES17_EEDaS12_S13_EUlS12_E_NS1_11comp_targetILNS1_3genE0ELNS1_11target_archE4294967295ELNS1_3gpuE0ELNS1_3repE0EEENS1_30default_config_static_selectorELNS0_4arch9wavefront6targetE0EEEvT1_ ; -- Begin function _ZN7rocprim17ROCPRIM_400000_NS6detail17trampoline_kernelINS0_14default_configENS1_25partition_config_selectorILNS1_17partition_subalgoE8EfNS0_10empty_typeEbEEZZNS1_14partition_implILS5_8ELb0ES3_jPKfPS6_PKS6_NS0_5tupleIJPfS6_EEENSE_IJSB_SB_EEENS0_18inequality_wrapperIN6hipcub16HIPCUB_304000_NS8EqualityEEEPlJS6_EEE10hipError_tPvRmT3_T4_T5_T6_T7_T9_mT8_P12ihipStream_tbDpT10_ENKUlT_T0_E_clISt17integral_constantIbLb0EES17_EEDaS12_S13_EUlS12_E_NS1_11comp_targetILNS1_3genE0ELNS1_11target_archE4294967295ELNS1_3gpuE0ELNS1_3repE0EEENS1_30default_config_static_selectorELNS0_4arch9wavefront6targetE0EEEvT1_
	.globl	_ZN7rocprim17ROCPRIM_400000_NS6detail17trampoline_kernelINS0_14default_configENS1_25partition_config_selectorILNS1_17partition_subalgoE8EfNS0_10empty_typeEbEEZZNS1_14partition_implILS5_8ELb0ES3_jPKfPS6_PKS6_NS0_5tupleIJPfS6_EEENSE_IJSB_SB_EEENS0_18inequality_wrapperIN6hipcub16HIPCUB_304000_NS8EqualityEEEPlJS6_EEE10hipError_tPvRmT3_T4_T5_T6_T7_T9_mT8_P12ihipStream_tbDpT10_ENKUlT_T0_E_clISt17integral_constantIbLb0EES17_EEDaS12_S13_EUlS12_E_NS1_11comp_targetILNS1_3genE0ELNS1_11target_archE4294967295ELNS1_3gpuE0ELNS1_3repE0EEENS1_30default_config_static_selectorELNS0_4arch9wavefront6targetE0EEEvT1_
	.p2align	8
	.type	_ZN7rocprim17ROCPRIM_400000_NS6detail17trampoline_kernelINS0_14default_configENS1_25partition_config_selectorILNS1_17partition_subalgoE8EfNS0_10empty_typeEbEEZZNS1_14partition_implILS5_8ELb0ES3_jPKfPS6_PKS6_NS0_5tupleIJPfS6_EEENSE_IJSB_SB_EEENS0_18inequality_wrapperIN6hipcub16HIPCUB_304000_NS8EqualityEEEPlJS6_EEE10hipError_tPvRmT3_T4_T5_T6_T7_T9_mT8_P12ihipStream_tbDpT10_ENKUlT_T0_E_clISt17integral_constantIbLb0EES17_EEDaS12_S13_EUlS12_E_NS1_11comp_targetILNS1_3genE0ELNS1_11target_archE4294967295ELNS1_3gpuE0ELNS1_3repE0EEENS1_30default_config_static_selectorELNS0_4arch9wavefront6targetE0EEEvT1_,@function
_ZN7rocprim17ROCPRIM_400000_NS6detail17trampoline_kernelINS0_14default_configENS1_25partition_config_selectorILNS1_17partition_subalgoE8EfNS0_10empty_typeEbEEZZNS1_14partition_implILS5_8ELb0ES3_jPKfPS6_PKS6_NS0_5tupleIJPfS6_EEENSE_IJSB_SB_EEENS0_18inequality_wrapperIN6hipcub16HIPCUB_304000_NS8EqualityEEEPlJS6_EEE10hipError_tPvRmT3_T4_T5_T6_T7_T9_mT8_P12ihipStream_tbDpT10_ENKUlT_T0_E_clISt17integral_constantIbLb0EES17_EEDaS12_S13_EUlS12_E_NS1_11comp_targetILNS1_3genE0ELNS1_11target_archE4294967295ELNS1_3gpuE0ELNS1_3repE0EEENS1_30default_config_static_selectorELNS0_4arch9wavefront6targetE0EEEvT1_: ; @_ZN7rocprim17ROCPRIM_400000_NS6detail17trampoline_kernelINS0_14default_configENS1_25partition_config_selectorILNS1_17partition_subalgoE8EfNS0_10empty_typeEbEEZZNS1_14partition_implILS5_8ELb0ES3_jPKfPS6_PKS6_NS0_5tupleIJPfS6_EEENSE_IJSB_SB_EEENS0_18inequality_wrapperIN6hipcub16HIPCUB_304000_NS8EqualityEEEPlJS6_EEE10hipError_tPvRmT3_T4_T5_T6_T7_T9_mT8_P12ihipStream_tbDpT10_ENKUlT_T0_E_clISt17integral_constantIbLb0EES17_EEDaS12_S13_EUlS12_E_NS1_11comp_targetILNS1_3genE0ELNS1_11target_archE4294967295ELNS1_3gpuE0ELNS1_3repE0EEENS1_30default_config_static_selectorELNS0_4arch9wavefront6targetE0EEEvT1_
; %bb.0:
	s_clause 0x3
	s_load_b128 s[4:7], s[0:1], 0x8
	s_load_b128 s[20:23], s[0:1], 0x40
	s_load_b32 s12, s[0:1], 0x68
	s_load_b64 s[2:3], s[0:1], 0x50
	s_bfe_u32 s10, ttmp6, 0x4000c
	s_and_b32 s8, ttmp6, 15
	s_add_co_i32 s10, s10, 1
	s_mov_b32 s9, 0
	s_mul_i32 s10, ttmp9, s10
	s_getreg_b32 s13, hwreg(HW_REG_IB_STS2, 6, 4)
	s_add_co_i32 s14, s8, s10
	v_mov_b32_e32 v14, v0
	s_wait_kmcnt 0x0
	s_lshl_b64 s[10:11], s[6:7], 2
	s_load_b64 s[22:23], s[22:23], 0x0
	s_mul_i32 s8, s12, 0x1600
	s_cmp_eq_u32 s13, 0
	s_add_nc_u64 s[10:11], s[4:5], s[10:11]
	s_add_nc_u64 s[4:5], s[6:7], s[8:9]
	s_cselect_b32 s26, ttmp9, s14
	s_add_co_i32 s8, s8, s6
	v_cmp_le_u64_e64 s3, s[2:3], s[4:5]
	s_add_co_i32 s12, s12, -1
	s_sub_co_i32 s27, s2, s8
	s_cmp_eq_u32 s26, s12
	s_mul_i32 s8, s26, 0x1600
	s_cselect_b32 s24, -1, 0
	s_mov_b32 s4, -1
	s_and_b32 s28, s24, s3
	s_lshl_b64 s[2:3], s[8:9], 2
	s_xor_b32 s25, s28, -1
	s_add_nc_u64 s[2:3], s[10:11], s[2:3]
	s_and_b32 vcc_lo, exec_lo, s25
	s_cbranch_vccz .LBB341_2
; %bb.1:
	s_clause 0xa
	global_load_b32 v1, v0, s[2:3] scale_offset
	global_load_b32 v2, v0, s[2:3] offset:2048 scale_offset
	global_load_b32 v3, v0, s[2:3] offset:4096 scale_offset
	;; [unrolled: 1-line block ×10, first 2 shown]
	v_lshlrev_b32_e32 v12, 2, v0
	s_mov_b32 s4, 0
	s_wait_loadcnt 0x9
	ds_store_2addr_stride64_b32 v12, v1, v2 offset1:8
	s_wait_loadcnt 0x7
	ds_store_2addr_stride64_b32 v12, v3, v4 offset0:16 offset1:24
	s_wait_loadcnt 0x5
	ds_store_2addr_stride64_b32 v12, v5, v6 offset0:32 offset1:40
	;; [unrolled: 2-line block ×4, first 2 shown]
	s_wait_loadcnt 0x0
	ds_store_b32 v12, v11 offset:20480
	s_wait_dscnt 0x0
	s_barrier_signal -1
	s_barrier_wait -1
.LBB341_2:
	s_and_not1_b32 vcc_lo, exec_lo, s4
	s_addk_co_i32 s27, 0x1600
	s_cbranch_vccnz .LBB341_26
; %bb.3:
	v_mov_b32_e32 v2, 0
	s_mov_b32 s4, exec_lo
	s_delay_alu instid0(VALU_DEP_1)
	v_dual_mov_b32 v3, v2 :: v_dual_mov_b32 v4, v2
	v_dual_mov_b32 v5, v2 :: v_dual_mov_b32 v6, v2
	;; [unrolled: 1-line block ×5, first 2 shown]
	v_cmpx_gt_u32_e64 s27, v0
	s_cbranch_execz .LBB341_5
; %bb.4:
	global_load_b32 v16, v0, s[2:3] scale_offset
	v_dual_mov_b32 v17, v2 :: v_dual_mov_b32 v18, v2
	v_dual_mov_b32 v19, v2 :: v_dual_mov_b32 v20, v2
	;; [unrolled: 1-line block ×5, first 2 shown]
	s_wait_loadcnt 0x0
	v_dual_mov_b32 v2, v16 :: v_dual_mov_b32 v3, v17
	v_dual_mov_b32 v4, v18 :: v_dual_mov_b32 v5, v19
	;; [unrolled: 1-line block ×5, first 2 shown]
	v_mov_b32_e32 v12, v26
.LBB341_5:
	s_or_b32 exec_lo, exec_lo, s4
	v_or_b32_e32 v1, 0x200, v0
	s_mov_b32 s4, exec_lo
	s_delay_alu instid0(VALU_DEP_1)
	v_cmpx_gt_u32_e64 s27, v1
	s_cbranch_execz .LBB341_7
; %bb.6:
	global_load_b32 v3, v0, s[2:3] offset:2048 scale_offset
.LBB341_7:
	s_wait_xcnt 0x0
	s_or_b32 exec_lo, exec_lo, s4
	v_or_b32_e32 v1, 0x400, v0
	s_mov_b32 s4, exec_lo
	s_delay_alu instid0(VALU_DEP_1)
	v_cmpx_gt_u32_e64 s27, v1
	s_cbranch_execz .LBB341_9
; %bb.8:
	global_load_b32 v4, v0, s[2:3] offset:4096 scale_offset
.LBB341_9:
	s_wait_xcnt 0x0
	;; [unrolled: 10-line block ×10, first 2 shown]
	s_or_b32 exec_lo, exec_lo, s4
	v_lshlrev_b32_e32 v1, 2, v0
	s_wait_loadcnt 0x0
	ds_store_2addr_stride64_b32 v1, v2, v3 offset1:8
	ds_store_2addr_stride64_b32 v1, v4, v5 offset0:16 offset1:24
	ds_store_2addr_stride64_b32 v1, v6, v7 offset0:32 offset1:40
	;; [unrolled: 1-line block ×4, first 2 shown]
	ds_store_b32 v1, v12 offset:20480
	s_wait_dscnt 0x0
	s_barrier_signal -1
	s_barrier_wait -1
.LBB341_26:
	v_mul_u32_u24_e32 v6, 11, v0
	s_cmp_lg_u32 s26, 0
	s_mov_b32 s18, 0
	s_cselect_b32 s29, -1, 0
	s_delay_alu instid0(VALU_DEP_1)
	v_lshlrev_b32_e32 v1, 2, v6
	s_cmp_lg_u64 s[6:7], 0
	ds_load_2addr_b32 v[22:23], v1 offset0:2 offset1:3
	ds_load_2addr_b32 v[24:25], v1 offset1:1
	ds_load_2addr_b32 v[12:13], v1 offset0:3 offset1:4
	ds_load_2addr_b32 v[2:3], v1 offset0:1 offset1:2
	;; [unrolled: 1-line block ×5, first 2 shown]
	s_cselect_b32 s4, -1, 0
	s_wait_dscnt 0x0
	s_or_b32 s4, s29, s4
	s_barrier_signal -1
	s_and_b32 vcc_lo, exec_lo, s4
	s_barrier_wait -1
	s_cbranch_vccz .LBB341_31
; %bb.27:
	s_add_nc_u64 s[2:3], s[2:3], -4
	v_lshlrev_b32_e32 v10, 2, v0
	s_load_b32 s3, s[2:3], 0x0
	s_and_b32 vcc_lo, exec_lo, s25
	ds_store_b32 v10, v17
	s_cbranch_vccz .LBB341_33
; %bb.28:
	s_wait_kmcnt 0x0
	v_mov_b32_e32 v4, s3
	s_mov_b32 s4, 0
	s_mov_b32 s2, exec_lo
	s_wait_dscnt 0x0
	s_barrier_signal -1
	s_barrier_wait -1
	v_cmpx_ne_u32_e32 0, v0
; %bb.29:
	v_add_nc_u32_e32 v4, -4, v10
	ds_load_b32 v4, v4
; %bb.30:
	s_or_b32 exec_lo, exec_lo, s2
	v_cmp_neq_f32_e32 vcc_lo, v23, v22
	s_wait_dscnt 0x0
	v_cmp_neq_f32_e64 s2, v4, v24
	v_cndmask_b32_e64 v5, 0, 1, vcc_lo
	v_cmp_neq_f32_e32 vcc_lo, v20, v13
	s_delay_alu instid0(VALU_DEP_2) | instskip(SKIP_2) | instid1(VALU_DEP_2)
	v_lshlrev_b16 v5, 8, v5
	v_cndmask_b32_e64 v7, 0, 1, vcc_lo
	v_cmp_neq_f32_e32 vcc_lo, v25, v24
	v_lshlrev_b16 v7, 8, v7
	v_cndmask_b32_e64 v8, 0, 1, vcc_lo
	v_cmp_neq_f32_e32 vcc_lo, v18, v21
	s_delay_alu instid0(VALU_DEP_3) | instskip(NEXT) | instid1(VALU_DEP_3)
	v_dual_lshrrev_b32 v5, 8, v5 :: v_dual_lshrrev_b32 v11, 8, v7
	v_lshlrev_b16 v8, 8, v8
	v_cndmask_b32_e64 v9, 0, 1, vcc_lo
	v_cmp_neq_f32_e32 vcc_lo, v16, v17
	s_delay_alu instid0(VALU_DEP_4) | instskip(SKIP_1) | instid1(VALU_DEP_4)
	v_lshlrev_b16 v5, 8, v5
	v_lshlrev_b16 v11, 8, v11
	;; [unrolled: 1-line block ×3, first 2 shown]
	v_cndmask_b32_e64 v7, 0, 1, vcc_lo
	v_cmp_neq_f32_e32 vcc_lo, v25, v22
	s_delay_alu instid0(VALU_DEP_2) | instskip(SKIP_2) | instid1(VALU_DEP_2)
	v_lshlrev_b16 v28, 8, v7
	v_cndmask_b32_e64 v15, 0, 1, vcc_lo
	v_cmp_neq_f32_e32 vcc_lo, v23, v13
	v_dual_lshrrev_b32 v8, 8, v8 :: v_dual_bitop2_b32 v5, v15, v5 bitop3:0x54
	v_cndmask_b32_e64 v26, 0, 1, vcc_lo
	v_cmp_neq_f32_e32 vcc_lo, v20, v21
	s_delay_alu instid0(VALU_DEP_3) | instskip(NEXT) | instid1(VALU_DEP_3)
	v_lshlrev_b16 v8, 8, v8
	v_dual_lshlrev_b32 v5, 16, v5 :: v_dual_bitop2_b32 v11, v26, v11 bitop3:0x54
	v_cndmask_b32_e64 v27, 0, 1, vcc_lo
	v_cmp_neq_f32_e32 vcc_lo, v16, v19
	s_delay_alu instid0(VALU_DEP_4) | instskip(NEXT) | instid1(VALU_DEP_4)
	v_and_b32_e32 v26, 0xffff, v8
	v_and_b32_e32 v11, 0xffff, v11
	s_delay_alu instid0(VALU_DEP_4) | instskip(SKIP_3) | instid1(VALU_DEP_3)
	v_or_b32_e32 v9, v27, v9
	v_cndmask_b32_e64 v15, 0, 1, vcc_lo
	v_cmp_neq_f32_e32 vcc_lo, v18, v19
	v_or_b32_e32 v4, v26, v5
	v_dual_lshlrev_b32 v27, 16, v9 :: v_dual_bitop2_b32 v9, v15, v28 bitop3:0x54
	v_cndmask_b32_e64 v8, 0, 1, vcc_lo
	s_delay_alu instid0(VALU_DEP_2)
	v_or_b32_e32 v5, v11, v27
	s_and_b32 vcc_lo, exec_lo, s4
	s_cbranch_vccnz .LBB341_34
	s_branch .LBB341_37
.LBB341_31:
                                        ; implicit-def: $sgpr2
                                        ; implicit-def: $vgpr7
                                        ; implicit-def: $vgpr9
                                        ; implicit-def: $vgpr8
                                        ; implicit-def: $vgpr5
	s_branch .LBB341_38
.LBB341_32:
                                        ; implicit-def: $vgpr26
                                        ; implicit-def: $vgpr37
                                        ; implicit-def: $vgpr35
                                        ; implicit-def: $vgpr28
                                        ; implicit-def: $vgpr36
                                        ; implicit-def: $vgpr34
                                        ; implicit-def: $vgpr33
                                        ; implicit-def: $vgpr15
                                        ; implicit-def: $vgpr29
                                        ; implicit-def: $vgpr1
	s_branch .LBB341_46
.LBB341_33:
                                        ; implicit-def: $sgpr2
                                        ; implicit-def: $vgpr7
                                        ; implicit-def: $vgpr9
                                        ; implicit-def: $vgpr8
                                        ; implicit-def: $vgpr5
	s_cbranch_execz .LBB341_37
.LBB341_34:
	s_wait_kmcnt 0x0
	v_mov_b32_e32 v4, s3
	s_mov_b32 s2, exec_lo
	s_wait_dscnt 0x0
	s_barrier_signal -1
	s_barrier_wait -1
	v_cmpx_ne_u32_e32 0, v0
; %bb.35:
	v_add_nc_u32_e32 v4, -4, v10
	ds_load_b32 v4, v4
; %bb.36:
	s_or_b32 exec_lo, exec_lo, s2
	v_dual_add_nc_u32 v5, 10, v6 :: v_dual_add_nc_u32 v7, 9, v6
	v_add_nc_u32_e32 v8, 8, v6
	v_cmp_neq_f32_e64 s17, v23, v22
	v_cmp_neq_f32_e64 s11, v20, v13
	s_delay_alu instid0(VALU_DEP_4)
	v_cmp_gt_u32_e64 s2, s27, v5
	v_add_nc_u32_e32 v5, 7, v6
	v_cmp_gt_u32_e64 s3, s27, v7
	v_add_nc_u32_e32 v7, 5, v6
	;; [unrolled: 2-line block ×6, first 2 shown]
	v_cmp_gt_u32_e64 s13, s27, v5
	v_cmp_neq_f32_e64 s15, v25, v24
	v_cmp_gt_u32_e64 s14, s27, v7
	s_and_b32 s9, s9, s11
	v_add_nc_u32_e32 v5, 2, v6
	s_and_b32 s13, s13, s17
	v_cmp_gt_u32_e64 s16, s27, v8
	v_cndmask_b32_e64 v7, 0, 1, s13
	v_cndmask_b32_e64 v8, 0, 1, s9
	v_cmp_neq_f32_e32 vcc_lo, v16, v17
	v_cmp_neq_f32_e64 s8, v18, v21
	s_and_b32 s14, s14, s15
	v_cmp_gt_u32_e64 s19, s27, v5
	v_cmp_neq_f32_e64 s13, v25, v22
	v_lshlrev_b16 v7, 8, v7
	v_cndmask_b32_e64 v5, 0, 1, s14
	v_lshlrev_b16 v10, 8, v8
	v_cmp_neq_f32_e64 s18, v23, v13
	s_and_b32 s2, s2, vcc_lo
	v_cmp_neq_f32_e64 s12, v20, v21
	s_and_b32 s6, s6, s8
	v_dual_lshrrev_b32 v11, 8, v7 :: v_dual_lshrrev_b32 v10, 8, v10
	v_cndmask_b32_e64 v7, 0, 1, s2
	s_and_b32 s2, s19, s13
	v_lshlrev_b16 v5, 8, v5
	v_cndmask_b32_e64 v9, 0, 1, s6
	v_cndmask_b32_e64 v15, 0, 1, s2
	s_and_b32 s2, s16, s18
	v_lshlrev_b16 v11, 8, v11
	v_cndmask_b32_e64 v26, 0, 1, s2
	s_and_b32 s2, s10, s12
	v_lshlrev_b16 v9, 8, v9
	s_delay_alu instid0(VALU_DEP_3) | instskip(SKIP_3) | instid1(VALU_DEP_4)
	v_dual_lshrrev_b32 v5, 8, v5 :: v_dual_bitop2_b32 v11, v15, v11 bitop3:0x54
	v_lshlrev_b16 v10, 8, v10
	v_cndmask_b32_e64 v27, 0, 1, s2
	v_cmp_neq_f32_e64 s4, v16, v19
	v_lshlrev_b16 v5, 8, v5
	v_cmp_neq_f32_e64 s7, v18, v19
	v_dual_lshlrev_b32 v11, 16, v11 :: v_dual_bitop2_b32 v10, v26, v10 bitop3:0x54
	v_or_b32_e32 v9, v27, v9
	s_and_b32 s2, s3, s4
	v_lshlrev_b16 v28, 8, v7
	v_cndmask_b32_e64 v15, 0, 1, s2
	v_and_b32_e32 v5, 0xffff, v5
	v_and_b32_e32 v10, 0xffff, v10
	v_lshlrev_b32_e32 v26, 16, v9
	s_and_b32 s5, s5, s7
	v_cmp_gt_u32_e32 vcc_lo, s27, v6
	s_wait_dscnt 0x0
	v_cmp_neq_f32_e64 s2, v4, v24
	v_cndmask_b32_e64 v8, 0, 1, s5
	v_or_b32_e32 v9, v15, v28
	v_or_b32_e32 v4, v5, v11
	;; [unrolled: 1-line block ×3, first 2 shown]
	s_and_b32 s2, vcc_lo, s2
.LBB341_37:
	s_wait_kmcnt 0x0
	s_mov_b32 s18, -1
	s_cbranch_execnz .LBB341_32
.LBB341_38:
	v_mad_i32_i24 v10, 0xffffffd8, v0, v1
	v_cmp_neq_f32_e64 s2, v16, v17
	v_cmp_neq_f32_e64 s3, v18, v19
	;; [unrolled: 1-line block ×4, first 2 shown]
	s_and_b32 vcc_lo, exec_lo, s25
	ds_store_b32 v10, v17
	s_cbranch_vccz .LBB341_42
; %bb.39:
	v_cmp_neq_f32_e32 vcc_lo, v25, v22
	v_cndmask_b32_e64 v27, 0, 1, s5
	v_cndmask_b32_e64 v34, 0, 1, s4
	;; [unrolled: 1-line block ×4, first 2 shown]
	v_cndmask_b32_e64 v35, 0, 1, vcc_lo
	v_cmp_neq_f32_e32 vcc_lo, v25, v24
	v_lshlrev_b16 v29, 8, v27
	v_lshlrev_b16 v31, 8, v34
	;; [unrolled: 1-line block ×4, first 2 shown]
	v_cndmask_b32_e64 v28, 0, 1, vcc_lo
	v_cmp_neq_f32_e32 vcc_lo, v23, v22
	v_lshlrev_b16 v39, 8, v1
	v_mov_b32_e32 v26, 1
	s_mov_b32 s3, 0
	s_mov_b32 s4, exec_lo
	v_cndmask_b32_e64 v30, 0, 1, vcc_lo
	v_cmp_neq_f32_e32 vcc_lo, v20, v13
	s_wait_dscnt 0x0
	s_barrier_signal -1
	s_barrier_wait -1
	v_cndmask_b32_e64 v32, 0, 1, vcc_lo
	v_cmp_neq_f32_e32 vcc_lo, v18, v21
                                        ; implicit-def: $sgpr2
                                        ; implicit-def: $vgpr7
                                        ; implicit-def: $vgpr9
                                        ; implicit-def: $vgpr8
                                        ; implicit-def: $vgpr5
	v_cndmask_b32_e64 v38, 0, 1, vcc_lo
	v_cmp_neq_f32_e32 vcc_lo, v16, v19
	v_cndmask_b32_e64 v40, 0, 1, vcc_lo
	v_cmpx_ne_u32_e32 0, v0
	s_xor_b32 s4, exec_lo, s4
	s_cbranch_execz .LBB341_41
; %bb.40:
	s_delay_alu instid0(VALU_DEP_2) | instskip(SKIP_3) | instid1(VALU_DEP_4)
	v_lshlrev_b16 v5, 8, v40
	v_lshlrev_b16 v4, 8, v32
	;; [unrolled: 1-line block ×4, first 2 shown]
	v_dual_add_nc_u32 v9, -4, v10 :: v_dual_lshrrev_b32 v5, 8, v5
	s_delay_alu instid0(VALU_DEP_3)
	v_dual_lshrrev_b32 v4, 8, v4 :: v_dual_lshrrev_b32 v7, 8, v7
	v_lshlrev_b16 v36, 8, v38
	ds_load_b32 v9, v9
	v_lshlrev_b16 v5, 8, v5
	v_lshrrev_b32_e32 v8, 8, v8
	v_lshlrev_b16 v4, 8, v4
	v_lshlrev_b16 v7, 8, v7
	v_or_b32_e32 v36, v34, v36
	v_or_b32_e32 v5, v15, v5
	v_lshlrev_b16 v8, 8, v8
	s_or_b32 s18, s18, exec_lo
	s_delay_alu instid0(VALU_DEP_3) | instskip(SKIP_1) | instid1(VALU_DEP_3)
	v_dual_lshlrev_b32 v36, 16, v36 :: v_dual_bitop2_b32 v7, v35, v7 bitop3:0x54
	v_or_b32_e32 v4, v27, v4
	v_or_b32_e32 v8, 1, v8
	v_and_b32_e32 v5, 0xffff, v5
	s_delay_alu instid0(VALU_DEP_4) | instskip(NEXT) | instid1(VALU_DEP_4)
	v_lshlrev_b32_e32 v7, 16, v7
	v_and_b32_e32 v4, 0xffff, v4
	s_delay_alu instid0(VALU_DEP_4) | instskip(NEXT) | instid1(VALU_DEP_4)
	v_and_b32_e32 v37, 0xffff, v8
	v_lshl_or_b32 v8, v1, 16, v5
	s_wait_dscnt 0x0
	v_cmp_neq_f32_e64 s2, v9, v24
	v_or_b32_e32 v5, v4, v36
	s_delay_alu instid0(VALU_DEP_3)
	v_dual_lshrrev_b32 v9, 8, v8 :: v_dual_bitop2_b32 v4, v37, v7 bitop3:0x54
	v_lshrrev_b32_e32 v7, 16, v8
.LBB341_41:
	s_or_b32 exec_lo, exec_lo, s4
	v_or_b32_e32 v37, v28, v11
	v_or_b32_e32 v28, v30, v29
	;; [unrolled: 1-line block ×5, first 2 shown]
	s_and_b32 vcc_lo, exec_lo, s3
	s_cbranch_vccnz .LBB341_43
	s_branch .LBB341_46
.LBB341_42:
                                        ; implicit-def: $sgpr2
                                        ; implicit-def: $vgpr7
                                        ; implicit-def: $vgpr9
                                        ; implicit-def: $vgpr8
                                        ; implicit-def: $vgpr5
                                        ; implicit-def: $vgpr26
                                        ; implicit-def: $vgpr37
                                        ; implicit-def: $vgpr35
                                        ; implicit-def: $vgpr28
                                        ; implicit-def: $vgpr36
                                        ; implicit-def: $vgpr34
                                        ; implicit-def: $vgpr33
                                        ; implicit-def: $vgpr15
                                        ; implicit-def: $vgpr29
                                        ; implicit-def: $vgpr1
	s_cbranch_execz .LBB341_46
.LBB341_43:
	v_dual_add_nc_u32 v1, 10, v6 :: v_dual_add_nc_u32 v4, 9, v6
	v_add_nc_u32_e32 v5, 6, v6
	v_cmp_neq_f32_e64 s13, v23, v13
	v_cmp_neq_f32_e64 s11, v18, v19
	s_delay_alu instid0(VALU_DEP_4) | instskip(SKIP_4) | instid1(VALU_DEP_4)
	v_cmp_gt_u32_e64 s2, s27, v1
	v_add_nc_u32_e32 v1, 5, v6
	v_cmp_gt_u32_e64 s3, s27, v4
	v_dual_add_nc_u32 v4, 8, v6 :: v_dual_add_nc_u32 v7, 7, v6
	v_cmp_gt_u32_e64 s5, s27, v5
	v_cmp_gt_u32_e64 s6, s27, v1
	v_dual_add_nc_u32 v1, 4, v6 :: v_dual_add_nc_u32 v5, 3, v6
	s_delay_alu instid0(VALU_DEP_4) | instskip(SKIP_2) | instid1(VALU_DEP_4)
	v_cmp_gt_u32_e64 s7, s27, v4
	v_add_nc_u32_e32 v4, 2, v6
	v_cmp_neq_f32_e64 s9, v20, v21
	v_cmp_gt_u32_e64 s14, s27, v1
	v_cmp_gt_u32_e64 s8, s27, v7
	v_cmp_neq_f32_e64 s12, v21, v18
	v_add_nc_u32_e32 v1, 1, v6
	v_cmp_neq_f32_e64 s15, v25, v3
	s_and_b32 s13, s14, s13
	v_cmp_gt_u32_e64 s17, s27, v4
	v_cndmask_b32_e64 v4, 0, 1, s13
	v_cmp_neq_f32_e64 s13, v22, v12
	v_cmp_gt_u32_e64 s14, s27, v5
	s_and_b32 s7, s7, s11
	s_and_b32 s5, s5, s9
	v_cndmask_b32_e64 v35, 0, 1, s7
	s_and_b32 s15, s17, s15
	s_and_b32 s7, s14, s13
	v_cndmask_b32_e64 v36, 0, 1, s5
	s_and_b32 s5, s8, s12
	v_cndmask_b32_e64 v32, 0, 1, s15
	v_lshlrev_b16 v3, 8, v4
	v_cndmask_b32_e64 v38, 0, 1, s7
	v_lshlrev_b16 v5, 8, v35
	v_cndmask_b32_e64 v37, 0, 1, s5
	v_cmp_neq_f32_e32 vcc_lo, v16, v17
	v_cmp_neq_f32_e64 s16, v24, v2
	v_lshlrev_b16 v2, 8, v32
	v_cmp_neq_f32_e64 s10, v13, v20
	v_or_b32_e32 v33, v37, v5
	v_or_b32_e32 v28, v38, v3
	v_lshlrev_b16 v3, 8, v36
	v_cmp_neq_f32_e64 s4, v19, v16
	v_cmp_gt_u32_e64 s5, s27, v1
	s_and_b32 s2, s2, vcc_lo
	v_and_b32_e32 v5, 0xffff, v2
	v_dual_lshlrev_b32 v15, 16, v33 :: v_dual_lshlrev_b32 v11, 16, v28
	v_and_b32_e32 v7, 0xffff, v3
	v_cndmask_b32_e64 v1, 0, 1, s2
	s_and_b32 s2, s6, s10
	s_and_b32 s5, s5, s16
	v_cndmask_b32_e64 v27, 0, 1, s2
	s_and_b32 s2, s3, s4
	v_cndmask_b32_e64 v12, 0, 1, s5
	v_dual_mov_b32 v26, 1 :: v_dual_bitop2_b32 v30, v5, v11 bitop3:0x54
	v_or_b32_e32 v31, v7, v15
	v_lshlrev_b16 v29, 8, v1
	v_cndmask_b32_e64 v34, 0, 1, s2
	s_mov_b32 s3, exec_lo
	s_wait_dscnt 0x0
	s_barrier_signal -1
	s_barrier_wait -1
                                        ; implicit-def: $sgpr2
                                        ; implicit-def: $vgpr7
                                        ; implicit-def: $vgpr9
                                        ; implicit-def: $vgpr8
                                        ; implicit-def: $vgpr5
	v_cmpx_ne_u32_e32 0, v0
	s_cbranch_execz .LBB341_45
; %bb.44:
	v_lshlrev_b16 v5, 8, v34
	v_lshlrev_b16 v7, 8, v27
	;; [unrolled: 1-line block ×3, first 2 shown]
	v_add_nc_u32_e32 v9, -4, v10
	v_lshlrev_b16 v10, 8, v12
	s_delay_alu instid0(VALU_DEP_4) | instskip(NEXT) | instid1(VALU_DEP_4)
	v_dual_lshrrev_b32 v5, 8, v5 :: v_dual_lshrrev_b32 v7, 8, v7
	v_lshrrev_b32_e32 v8, 8, v8
	ds_load_b32 v9, v9
	v_lshlrev_b16 v37, 8, v37
	v_lshlrev_b16 v5, 8, v5
	v_lshrrev_b32_e32 v10, 8, v10
	v_lshlrev_b16 v7, 8, v7
	v_lshlrev_b16 v8, 8, v8
	v_cmp_gt_u32_e32 vcc_lo, s27, v6
	v_or_b32_e32 v5, v35, v5
	v_lshlrev_b16 v10, 8, v10
	v_or_b32_e32 v4, v4, v7
	v_or_b32_e32 v7, v32, v8
	;; [unrolled: 1-line block ×3, first 2 shown]
	v_and_b32_e32 v5, 0xffff, v5
	v_or_b32_e32 v8, 1, v10
	s_or_b32 s18, s18, exec_lo
	v_lshlrev_b32_e32 v7, 16, v7
	v_lshlrev_b32_e32 v10, 16, v35
	s_delay_alu instid0(VALU_DEP_3) | instskip(SKIP_3) | instid1(VALU_DEP_2)
	v_and_b32_e32 v32, 0xffff, v8
	v_lshl_or_b32 v8, v1, 16, v5
	s_wait_dscnt 0x0
	v_cmp_neq_f32_e64 s2, v9, v24
	v_lshrrev_b32_e32 v9, 8, v8
	v_and_b32_e32 v4, 0xffff, v4
	s_and_b32 s2, vcc_lo, s2
	s_delay_alu instid0(VALU_DEP_1)
	v_or_b32_e32 v5, v4, v10
	v_dual_lshrrev_b32 v7, 16, v8 :: v_dual_bitop2_b32 v4, v32, v7 bitop3:0x54
.LBB341_45:
	s_or_b32 exec_lo, exec_lo, s3
	v_dual_lshrrev_b32 v15, 24, v15 :: v_dual_bitop2_b32 v37, v12, v2 bitop3:0x54
	v_dual_lshrrev_b32 v35, 8, v30 :: v_dual_bitop2_b32 v36, v27, v3 bitop3:0x54
	;; [unrolled: 1-line block ×3, first 2 shown]
	v_lshrrev_b32_e32 v34, 8, v31
.LBB341_46:
	s_and_saveexec_b32 s3, s18
	s_cbranch_execz .LBB341_48
; %bb.47:
	v_lshrrev_b64 v[28:29], 24, v[4:5]
	v_dual_lshrrev_b32 v36, 8, v5 :: v_dual_lshrrev_b32 v34, 16, v5
	v_dual_lshrrev_b32 v33, 24, v5 :: v_dual_lshrrev_b32 v35, 16, v4
	v_dual_lshrrev_b32 v37, 8, v4 :: v_dual_mov_b32 v27, v5
	v_cndmask_b32_e64 v26, 0, 1, s2
	v_dual_mov_b32 v15, v8 :: v_dual_mov_b32 v29, v9
	v_mov_b32_e32 v1, v7
.LBB341_48:
	s_or_b32 exec_lo, exec_lo, s3
	s_load_b64 s[10:11], s[0:1], 0x60
	s_and_not1_b32 vcc_lo, exec_lo, s28
	s_cbranch_vccnz .LBB341_52
; %bb.49:
	v_perm_b32 v2, v26, v37, 0xc0c0004
	v_perm_b32 v3, v35, v28, 0xc0c0004
	v_cmp_gt_u32_e32 vcc_lo, s27, v6
	v_dual_add_nc_u32 v4, 1, v6 :: v_dual_add_nc_u32 v5, 2, v6
	v_perm_b32 v7, v27, v36, 0xc0c0004
	s_delay_alu instid0(VALU_DEP_4) | instskip(SKIP_2) | instid1(VALU_DEP_3)
	v_lshl_or_b32 v2, v3, 16, v2
	v_and_b32_e32 v1, 0xff, v1
	v_perm_b32 v9, v15, v29, 0xc0c0004
	v_cndmask_b32_e32 v3, 0, v2, vcc_lo
	v_cmp_gt_u32_e32 vcc_lo, s27, v4
	v_perm_b32 v4, v34, v33, 0xc0c0004
	s_delay_alu instid0(VALU_DEP_1) | instskip(NEXT) | instid1(VALU_DEP_4)
	v_dual_lshlrev_b32 v1, 16, v1 :: v_dual_lshlrev_b32 v4, 16, v4
	v_and_b32_e32 v3, 0xff, v3
	s_delay_alu instid0(VALU_DEP_2) | instskip(NEXT) | instid1(VALU_DEP_3)
	v_or_b32_e32 v9, v9, v1
	v_or_b32_e32 v8, v7, v4
	v_bitop3_b32 v4, v7, 0xffffff00, v4 bitop3:0xc8
	s_delay_alu instid0(VALU_DEP_4) | instskip(SKIP_2) | instid1(VALU_DEP_3)
	v_cndmask_b32_e32 v3, v3, v2, vcc_lo
	v_cmp_gt_u32_e32 vcc_lo, s27, v5
	v_dual_add_nc_u32 v5, 4, v6 :: v_dual_add_nc_u32 v7, 3, v6
	v_and_b32_e32 v3, 0xffff, v3
	s_delay_alu instid0(VALU_DEP_2) | instskip(SKIP_1) | instid1(VALU_DEP_3)
	v_cmp_gt_u32_e64 s2, s27, v7
	v_lshlrev_b16 v7, 8, v29
	v_cndmask_b32_e32 v3, v3, v2, vcc_lo
	v_cmp_gt_u32_e32 vcc_lo, s27, v5
	v_add_nc_u32_e32 v5, 5, v6
	s_delay_alu instid0(VALU_DEP_3) | instskip(SKIP_1) | instid1(VALU_DEP_1)
	v_and_b32_e32 v3, 0xffffff, v3
	v_cndmask_b32_e32 v4, v4, v8, vcc_lo
	v_and_b32_e32 v4, 0xffff00ff, v4
	s_delay_alu instid0(VALU_DEP_3) | instskip(NEXT) | instid1(VALU_DEP_1)
	v_cndmask_b32_e64 v3, v3, v2, s2
	v_cndmask_b32_e32 v3, v3, v2, vcc_lo
	v_cmp_gt_u32_e32 vcc_lo, s27, v5
	v_and_b32_e32 v5, 0xffff, v7
	v_dual_cndmask_b32 v4, v4, v8 :: v_dual_add_nc_u32 v7, 8, v6
	s_delay_alu instid0(VALU_DEP_2) | instskip(SKIP_1) | instid1(VALU_DEP_3)
	v_dual_add_nc_u32 v5, 6, v6 :: v_dual_bitop2_b32 v1, v5, v1 bitop3:0x54
	v_cndmask_b32_e32 v3, v3, v2, vcc_lo
	v_cmp_gt_u32_e32 vcc_lo, s27, v7
	s_delay_alu instid0(VALU_DEP_4) | instskip(SKIP_3) | instid1(VALU_DEP_3)
	v_and_b32_e32 v4, 0xff00ffff, v4
	v_add_nc_u32_e32 v7, 9, v6
	v_cmp_gt_u32_e64 s2, s27, v5
	v_dual_cndmask_b32 v1, v1, v9 :: v_dual_add_nc_u32 v10, 7, v6
	v_cmp_gt_u32_e64 s3, s27, v7
	s_delay_alu instid0(VALU_DEP_3) | instskip(NEXT) | instid1(VALU_DEP_3)
	v_cndmask_b32_e64 v4, v4, v8, s2
	v_cmp_gt_u32_e64 s4, s27, v10
	s_delay_alu instid0(VALU_DEP_4) | instskip(NEXT) | instid1(VALU_DEP_3)
	v_and_b32_e32 v1, 0xffff00ff, v1
	v_and_b32_e32 v4, 0xffffff, v4
	s_delay_alu instid0(VALU_DEP_2) | instskip(SKIP_1) | instid1(SALU_CYCLE_1)
	v_cndmask_b32_e64 v15, v1, v9, s3
	s_or_b32 s3, s3, vcc_lo
	s_or_b32 vcc_lo, s3, s4
	s_delay_alu instid0(VALU_DEP_2) | instskip(SKIP_2) | instid1(VALU_DEP_2)
	v_cndmask_b32_e32 v27, v4, v8, vcc_lo
	s_or_b32 vcc_lo, vcc_lo, s2
	v_dual_cndmask_b32 v26, v3, v2 :: v_dual_lshrrev_b32 v1, 16, v15
	v_dual_add_nc_u32 v2, 10, v6 :: v_dual_lshrrev_b32 v34, 16, v27
	v_dual_lshrrev_b32 v33, 24, v27 :: v_dual_lshrrev_b32 v36, 8, v27
	s_delay_alu instid0(VALU_DEP_3)
	v_lshrrev_b64 v[28:29], 24, v[26:27]
	v_dual_lshrrev_b32 v35, 16, v26 :: v_dual_lshrrev_b32 v37, 8, v26
	v_lshrrev_b32_e32 v29, 8, v15
	s_mov_b32 s2, exec_lo
	v_cmpx_le_u32_e64 s27, v2
; %bb.50:
	v_mov_b32_e32 v1, 0
; %bb.51:
	s_or_b32 exec_lo, exec_lo, s2
.LBB341_52:
	v_and_b32_e32 v38, 0xff, v26
	v_and_b32_e32 v39, 0xff, v37
	;; [unrolled: 1-line block ×7, first 2 shown]
	v_add3_u32 v2, v39, v38, v40
	v_and_b32_e32 v45, 0xff, v33
	v_mbcnt_lo_u32_b32 v48, -1, 0
	v_and_b32_e32 v46, 0xff, v15
	v_and_b32_e32 v47, 0xff, v29
	v_add3_u32 v2, v2, v41, v42
	v_and_b32_e32 v4, 0xff, v1
	v_and_b32_e32 v3, 15, v48
	v_dual_lshrrev_b32 v49, 5, v0 :: v_dual_bitop2_b32 v5, 31, v0 bitop3:0x54
	s_delay_alu instid0(VALU_DEP_4) | instskip(SKIP_1) | instid1(VALU_DEP_4)
	v_add3_u32 v2, v2, v43, v44
	v_and_b32_e32 v6, 16, v48
	v_cmp_eq_u32_e64 s5, 0, v3
	v_cmp_lt_u32_e64 s4, 1, v3
	v_cmp_lt_u32_e64 s3, 3, v3
	v_add3_u32 v2, v2, v45, v46
	v_cmp_lt_u32_e64 s2, 7, v3
	v_cmp_eq_u32_e64 s7, 0, v6
	v_cmp_eq_u32_e64 s6, v0, v5
	s_and_b32 vcc_lo, exec_lo, s29
	v_add3_u32 v50, v2, v47, v4
	s_mov_b32 s8, -1
	s_wait_dscnt 0x0
	s_barrier_signal -1
	s_barrier_wait -1
	s_cbranch_vccz .LBB341_74
; %bb.53:
	v_mov_b32_dpp v2, v50 row_shr:1 row_mask:0xf bank_mask:0xf
	s_delay_alu instid0(VALU_DEP_1) | instskip(NEXT) | instid1(VALU_DEP_1)
	v_cndmask_b32_e64 v2, v2, 0, s5
	v_add_nc_u32_e32 v2, v2, v50
	s_delay_alu instid0(VALU_DEP_1) | instskip(NEXT) | instid1(VALU_DEP_1)
	v_mov_b32_dpp v3, v2 row_shr:2 row_mask:0xf bank_mask:0xf
	v_cndmask_b32_e64 v3, 0, v3, s4
	s_delay_alu instid0(VALU_DEP_1) | instskip(NEXT) | instid1(VALU_DEP_1)
	v_add_nc_u32_e32 v2, v2, v3
	v_mov_b32_dpp v3, v2 row_shr:4 row_mask:0xf bank_mask:0xf
	s_delay_alu instid0(VALU_DEP_1) | instskip(NEXT) | instid1(VALU_DEP_1)
	v_cndmask_b32_e64 v3, 0, v3, s3
	v_add_nc_u32_e32 v2, v2, v3
	s_delay_alu instid0(VALU_DEP_1) | instskip(NEXT) | instid1(VALU_DEP_1)
	v_mov_b32_dpp v3, v2 row_shr:8 row_mask:0xf bank_mask:0xf
	v_cndmask_b32_e64 v3, 0, v3, s2
	s_delay_alu instid0(VALU_DEP_1) | instskip(SKIP_3) | instid1(VALU_DEP_1)
	v_add_nc_u32_e32 v2, v2, v3
	ds_swizzle_b32 v3, v2 offset:swizzle(BROADCAST,32,15)
	s_wait_dscnt 0x0
	v_cndmask_b32_e64 v3, v3, 0, s7
	v_add_nc_u32_e32 v2, v2, v3
	s_and_saveexec_b32 s8, s6
; %bb.54:
	v_lshlrev_b32_e32 v3, 2, v49
	ds_store_b32 v3, v2
; %bb.55:
	s_or_b32 exec_lo, exec_lo, s8
	s_delay_alu instid0(SALU_CYCLE_1)
	s_mov_b32 s8, exec_lo
	s_wait_dscnt 0x0
	s_barrier_signal -1
	s_barrier_wait -1
	v_cmpx_gt_u32_e32 16, v0
	s_cbranch_execz .LBB341_57
; %bb.56:
	v_lshlrev_b32_e32 v3, 2, v0
	ds_load_b32 v4, v3
	s_wait_dscnt 0x0
	v_mov_b32_dpp v5, v4 row_shr:1 row_mask:0xf bank_mask:0xf
	s_delay_alu instid0(VALU_DEP_1) | instskip(NEXT) | instid1(VALU_DEP_1)
	v_cndmask_b32_e64 v5, v5, 0, s5
	v_add_nc_u32_e32 v4, v5, v4
	s_delay_alu instid0(VALU_DEP_1) | instskip(NEXT) | instid1(VALU_DEP_1)
	v_mov_b32_dpp v5, v4 row_shr:2 row_mask:0xf bank_mask:0xf
	v_cndmask_b32_e64 v5, 0, v5, s4
	s_delay_alu instid0(VALU_DEP_1) | instskip(NEXT) | instid1(VALU_DEP_1)
	v_add_nc_u32_e32 v4, v4, v5
	v_mov_b32_dpp v5, v4 row_shr:4 row_mask:0xf bank_mask:0xf
	s_delay_alu instid0(VALU_DEP_1) | instskip(NEXT) | instid1(VALU_DEP_1)
	v_cndmask_b32_e64 v5, 0, v5, s3
	v_add_nc_u32_e32 v4, v4, v5
	s_delay_alu instid0(VALU_DEP_1) | instskip(NEXT) | instid1(VALU_DEP_1)
	v_mov_b32_dpp v5, v4 row_shr:8 row_mask:0xf bank_mask:0xf
	v_cndmask_b32_e64 v5, 0, v5, s2
	s_delay_alu instid0(VALU_DEP_1)
	v_add_nc_u32_e32 v4, v4, v5
	ds_store_b32 v3, v4
.LBB341_57:
	s_or_b32 exec_lo, exec_lo, s8
	s_delay_alu instid0(SALU_CYCLE_1)
	s_mov_b32 s9, exec_lo
	v_cmp_gt_u32_e32 vcc_lo, 32, v0
	s_wait_dscnt 0x0
	s_barrier_signal -1
	s_barrier_wait -1
                                        ; implicit-def: $vgpr10
	v_cmpx_lt_u32_e32 31, v0
	s_cbranch_execz .LBB341_59
; %bb.58:
	v_lshl_add_u32 v3, v49, 2, -4
	ds_load_b32 v10, v3
	s_wait_dscnt 0x0
	v_add_nc_u32_e32 v2, v10, v2
.LBB341_59:
	s_or_b32 exec_lo, exec_lo, s9
	v_sub_co_u32 v3, s8, v48, 1
	s_delay_alu instid0(VALU_DEP_1) | instskip(NEXT) | instid1(VALU_DEP_1)
	v_cmp_gt_i32_e64 s9, 0, v3
	v_cndmask_b32_e64 v3, v3, v48, s9
	s_delay_alu instid0(VALU_DEP_1)
	v_lshlrev_b32_e32 v3, 2, v3
	ds_bpermute_b32 v11, v3, v2
	s_and_saveexec_b32 s9, vcc_lo
	s_cbranch_execz .LBB341_79
; %bb.60:
	v_mov_b32_e32 v9, 0
	ds_load_b32 v2, v9 offset:60
	s_and_saveexec_b32 s12, s8
	s_cbranch_execz .LBB341_62
; %bb.61:
	s_add_co_i32 s13, s26, 32
	s_delay_alu instid0(SALU_CYCLE_1)
	v_dual_mov_b32 v3, 1 :: v_dual_mov_b32 v4, s13
	s_wait_xcnt 0x0
	s_wait_dscnt 0x0
	s_wait_kmcnt 0x0
	global_store_b64 v4, v[2:3], s[10:11] scale_offset scope:SCOPE_DEV
.LBB341_62:
	s_wait_xcnt 0x0
	s_or_b32 exec_lo, exec_lo, s12
	v_xad_u32 v4, v48, -1, s26
	s_mov_b32 s13, 0
	s_mov_b32 s12, exec_lo
	s_delay_alu instid0(VALU_DEP_1)
	v_add_nc_u32_e32 v8, 32, v4
	s_wait_kmcnt 0x0
	global_load_b64 v[6:7], v8, s[10:11] scale_offset scope:SCOPE_DEV
	s_wait_loadcnt 0x0
	v_and_b32_e32 v3, 0xff, v7
	s_wait_xcnt 0x0
	s_delay_alu instid0(VALU_DEP_1)
	v_cmpx_eq_u16_e32 0, v3
	s_cbranch_execz .LBB341_66
; %bb.63:
	v_lshl_add_u64 v[8:9], v[8:9], 3, s[10:11]
.LBB341_64:                             ; =>This Inner Loop Header: Depth=1
	global_load_b64 v[6:7], v[8:9], off scope:SCOPE_DEV
	s_wait_loadcnt 0x0
	v_and_b32_e32 v3, 0xff, v7
	s_delay_alu instid0(VALU_DEP_1)
	v_cmp_ne_u16_e32 vcc_lo, 0, v3
	s_or_b32 s13, vcc_lo, s13
	s_wait_xcnt 0x0
	s_and_not1_b32 exec_lo, exec_lo, s13
	s_cbranch_execnz .LBB341_64
; %bb.65:
	s_or_b32 exec_lo, exec_lo, s13
.LBB341_66:
	s_delay_alu instid0(SALU_CYCLE_1)
	s_or_b32 exec_lo, exec_lo, s12
	v_cmp_ne_u32_e32 vcc_lo, 31, v48
	v_lshlrev_b32_e64 v30, v48, -1
	v_lshl_or_b32 v55, v48, 2, 64
	v_dual_add_nc_u32 v32, 2, v48 :: v_dual_add_nc_u32 v52, 4, v48
	v_add_co_ci_u32_e64 v3, null, 0, v48, vcc_lo
	v_dual_add_nc_u32 v54, 8, v48 :: v_dual_add_nc_u32 v56, 16, v48
	s_delay_alu instid0(VALU_DEP_2)
	v_lshlrev_b32_e32 v12, 2, v3
	v_and_b32_e32 v3, 0xff, v7
	ds_bpermute_b32 v5, v12, v6
	v_cmp_eq_u16_e32 vcc_lo, 2, v3
	v_and_or_b32 v3, vcc_lo, v30, 0x80000000
	v_cmp_gt_u32_e32 vcc_lo, 30, v48
	s_delay_alu instid0(VALU_DEP_2) | instskip(SKIP_1) | instid1(VALU_DEP_2)
	v_ctz_i32_b32_e32 v3, v3
	v_cndmask_b32_e64 v8, 0, 2, vcc_lo
	v_cmp_lt_u32_e32 vcc_lo, v48, v3
	s_delay_alu instid0(VALU_DEP_2) | instskip(SKIP_3) | instid1(VALU_DEP_2)
	v_add_lshl_u32 v31, v8, v48, 2
	s_wait_dscnt 0x0
	v_cndmask_b32_e32 v5, 0, v5, vcc_lo
	v_cmp_gt_u32_e32 vcc_lo, 28, v48
	v_add_nc_u32_e32 v5, v5, v6
	v_cndmask_b32_e64 v8, 0, 4, vcc_lo
	v_cmp_le_u32_e32 vcc_lo, v32, v3
	ds_bpermute_b32 v6, v31, v5
	v_add_lshl_u32 v51, v8, v48, 2
	s_wait_dscnt 0x0
	v_cndmask_b32_e32 v6, 0, v6, vcc_lo
	v_cmp_gt_u32_e32 vcc_lo, 24, v48
	v_cndmask_b32_e64 v8, 0, 8, vcc_lo
	v_cmp_le_u32_e32 vcc_lo, v52, v3
	s_delay_alu instid0(VALU_DEP_4) | instskip(NEXT) | instid1(VALU_DEP_3)
	v_add_nc_u32_e32 v5, v5, v6
	v_add_lshl_u32 v53, v8, v48, 2
	ds_bpermute_b32 v6, v51, v5
	s_wait_dscnt 0x0
	v_cndmask_b32_e32 v6, 0, v6, vcc_lo
	v_cmp_le_u32_e32 vcc_lo, v54, v3
	s_delay_alu instid0(VALU_DEP_2) | instskip(SKIP_4) | instid1(VALU_DEP_2)
	v_add_nc_u32_e32 v5, v5, v6
	ds_bpermute_b32 v6, v53, v5
	s_wait_dscnt 0x0
	v_cndmask_b32_e32 v6, 0, v6, vcc_lo
	v_cmp_le_u32_e32 vcc_lo, v56, v3
	v_add_nc_u32_e32 v5, v5, v6
	ds_bpermute_b32 v6, v55, v5
	s_wait_dscnt 0x0
	v_cndmask_b32_e32 v3, 0, v6, vcc_lo
	s_delay_alu instid0(VALU_DEP_1)
	v_dual_mov_b32 v5, 0 :: v_dual_add_nc_u32 v6, v5, v3
	s_branch .LBB341_69
.LBB341_67:                             ;   in Loop: Header=BB341_69 Depth=1
	s_or_b32 exec_lo, exec_lo, s12
	v_and_b32_e32 v8, 0xff, v7
	ds_bpermute_b32 v9, v12, v6
	v_subrev_nc_u32_e32 v4, 32, v4
	s_mov_b32 s12, 0
	v_cmp_eq_u16_e32 vcc_lo, 2, v8
	v_and_or_b32 v8, vcc_lo, v30, 0x80000000
	s_delay_alu instid0(VALU_DEP_1) | instskip(NEXT) | instid1(VALU_DEP_1)
	v_ctz_i32_b32_e32 v8, v8
	v_cmp_lt_u32_e32 vcc_lo, v48, v8
	s_wait_dscnt 0x0
	v_cndmask_b32_e32 v9, 0, v9, vcc_lo
	v_cmp_le_u32_e32 vcc_lo, v32, v8
	s_delay_alu instid0(VALU_DEP_2) | instskip(SKIP_4) | instid1(VALU_DEP_2)
	v_add_nc_u32_e32 v6, v9, v6
	ds_bpermute_b32 v9, v31, v6
	s_wait_dscnt 0x0
	v_cndmask_b32_e32 v9, 0, v9, vcc_lo
	v_cmp_le_u32_e32 vcc_lo, v52, v8
	v_add_nc_u32_e32 v6, v6, v9
	ds_bpermute_b32 v9, v51, v6
	s_wait_dscnt 0x0
	v_cndmask_b32_e32 v9, 0, v9, vcc_lo
	v_cmp_le_u32_e32 vcc_lo, v54, v8
	s_delay_alu instid0(VALU_DEP_2) | instskip(SKIP_4) | instid1(VALU_DEP_2)
	v_add_nc_u32_e32 v6, v6, v9
	ds_bpermute_b32 v9, v53, v6
	s_wait_dscnt 0x0
	v_cndmask_b32_e32 v9, 0, v9, vcc_lo
	v_cmp_le_u32_e32 vcc_lo, v56, v8
	v_add_nc_u32_e32 v6, v6, v9
	ds_bpermute_b32 v9, v55, v6
	s_wait_dscnt 0x0
	v_cndmask_b32_e32 v8, 0, v9, vcc_lo
	s_delay_alu instid0(VALU_DEP_1)
	v_add3_u32 v6, v8, v3, v6
.LBB341_68:                             ;   in Loop: Header=BB341_69 Depth=1
	s_and_b32 vcc_lo, exec_lo, s12
	s_cbranch_vccnz .LBB341_75
.LBB341_69:                             ; =>This Loop Header: Depth=1
                                        ;     Child Loop BB341_72 Depth 2
	v_and_b32_e32 v3, 0xff, v7
	s_mov_b32 s12, -1
                                        ; implicit-def: $vgpr7
	s_delay_alu instid0(VALU_DEP_1)
	v_cmp_ne_u16_e32 vcc_lo, 2, v3
	v_mov_b32_e32 v3, v6
                                        ; implicit-def: $vgpr6
	s_cmp_lg_u32 vcc_lo, exec_lo
	s_cbranch_scc1 .LBB341_68
; %bb.70:                               ;   in Loop: Header=BB341_69 Depth=1
	global_load_b64 v[6:7], v4, s[10:11] scale_offset scope:SCOPE_DEV
	s_mov_b32 s12, exec_lo
	s_wait_loadcnt 0x0
	v_and_b32_e32 v8, 0xff, v7
	s_wait_xcnt 0x0
	s_delay_alu instid0(VALU_DEP_1)
	v_cmpx_eq_u16_e32 0, v8
	s_cbranch_execz .LBB341_67
; %bb.71:                               ;   in Loop: Header=BB341_69 Depth=1
	v_lshl_add_u64 v[8:9], v[4:5], 3, s[10:11]
	s_mov_b32 s13, 0
.LBB341_72:                             ;   Parent Loop BB341_69 Depth=1
                                        ; =>  This Inner Loop Header: Depth=2
	global_load_b64 v[6:7], v[8:9], off scope:SCOPE_DEV
	s_wait_loadcnt 0x0
	v_and_b32_e32 v57, 0xff, v7
	s_delay_alu instid0(VALU_DEP_1)
	v_cmp_ne_u16_e32 vcc_lo, 0, v57
	s_or_b32 s13, vcc_lo, s13
	s_wait_xcnt 0x0
	s_and_not1_b32 exec_lo, exec_lo, s13
	s_cbranch_execnz .LBB341_72
; %bb.73:                               ;   in Loop: Header=BB341_69 Depth=1
	s_or_b32 exec_lo, exec_lo, s13
	s_branch .LBB341_67
.LBB341_74:
                                        ; implicit-def: $vgpr32
                                        ; implicit-def: $vgpr30
                                        ; implicit-def: $vgpr2_vgpr3_vgpr4_vgpr5_vgpr6_vgpr7_vgpr8_vgpr9_vgpr10_vgpr11_vgpr12
	s_and_b32 vcc_lo, exec_lo, s8
	s_cbranch_vccnz .LBB341_80
	s_branch .LBB341_89
.LBB341_75:
	s_and_saveexec_b32 s12, s8
	s_cbranch_execz .LBB341_77
; %bb.76:
	s_add_co_i32 s13, s26, 32
	v_dual_mov_b32 v5, 2 :: v_dual_add_nc_u32 v4, v3, v2
	v_dual_mov_b32 v6, s13 :: v_dual_mov_b32 v7, 0
	global_store_b64 v6, v[4:5], s[10:11] scale_offset scope:SCOPE_DEV
	ds_store_b64 v7, v[2:3] offset:22528
.LBB341_77:
	s_wait_xcnt 0x0
	s_or_b32 exec_lo, exec_lo, s12
	v_cmp_eq_u32_e32 vcc_lo, 0, v0
	s_and_b32 exec_lo, exec_lo, vcc_lo
; %bb.78:
	v_mov_b32_e32 v2, 0
	ds_store_b32 v2, v3 offset:60
.LBB341_79:
	s_or_b32 exec_lo, exec_lo, s9
	s_wait_dscnt 0x0
	v_dual_mov_b32 v9, 0 :: v_dual_cndmask_b32 v3, v11, v10, s8
	s_wait_storecnt 0x0
	s_barrier_signal -1
	s_barrier_wait -1
	ds_load_b32 v2, v9 offset:60
	v_cmp_ne_u32_e32 vcc_lo, 0, v0
	s_wait_dscnt 0x0
	s_barrier_signal -1
	s_barrier_wait -1
	v_cndmask_b32_e32 v3, 0, v3, vcc_lo
	ds_load_b64 v[30:31], v9 offset:22528
	v_add_nc_u32_e32 v2, v2, v3
	s_wait_dscnt 0x0
	s_delay_alu instid0(VALU_DEP_1) | instskip(NEXT) | instid1(VALU_DEP_1)
	v_dual_mov_b32 v32, v31 :: v_dual_add_nc_u32 v3, v2, v38
	v_add_nc_u32_e32 v4, v3, v39
	s_delay_alu instid0(VALU_DEP_1) | instskip(NEXT) | instid1(VALU_DEP_1)
	v_add_nc_u32_e32 v5, v4, v40
	v_add_nc_u32_e32 v6, v5, v41
	s_delay_alu instid0(VALU_DEP_1) | instskip(NEXT) | instid1(VALU_DEP_1)
	v_add_nc_u32_e32 v7, v6, v42
	;; [unrolled: 3-line block ×4, first 2 shown]
	v_add_nc_u32_e32 v12, v11, v47
	s_branch .LBB341_89
.LBB341_80:
	v_mov_b32_dpp v2, v50 row_shr:1 row_mask:0xf bank_mask:0xf
	s_delay_alu instid0(VALU_DEP_1) | instskip(NEXT) | instid1(VALU_DEP_1)
	v_cndmask_b32_e64 v2, v2, 0, s5
	v_add_nc_u32_e32 v2, v2, v50
	s_delay_alu instid0(VALU_DEP_1) | instskip(NEXT) | instid1(VALU_DEP_1)
	v_mov_b32_dpp v3, v2 row_shr:2 row_mask:0xf bank_mask:0xf
	v_cndmask_b32_e64 v3, 0, v3, s4
	s_delay_alu instid0(VALU_DEP_1) | instskip(NEXT) | instid1(VALU_DEP_1)
	v_add_nc_u32_e32 v2, v2, v3
	v_mov_b32_dpp v3, v2 row_shr:4 row_mask:0xf bank_mask:0xf
	s_delay_alu instid0(VALU_DEP_1) | instskip(NEXT) | instid1(VALU_DEP_1)
	v_cndmask_b32_e64 v3, 0, v3, s3
	v_add_nc_u32_e32 v2, v2, v3
	s_delay_alu instid0(VALU_DEP_1) | instskip(NEXT) | instid1(VALU_DEP_1)
	v_mov_b32_dpp v3, v2 row_shr:8 row_mask:0xf bank_mask:0xf
	v_cndmask_b32_e64 v3, 0, v3, s2
	s_delay_alu instid0(VALU_DEP_1) | instskip(SKIP_3) | instid1(VALU_DEP_1)
	v_add_nc_u32_e32 v2, v2, v3
	ds_swizzle_b32 v3, v2 offset:swizzle(BROADCAST,32,15)
	s_wait_dscnt 0x0
	v_cndmask_b32_e64 v3, v3, 0, s7
	v_add_nc_u32_e32 v2, v2, v3
	s_and_saveexec_b32 s7, s6
; %bb.81:
	v_lshlrev_b32_e32 v3, 2, v49
	ds_store_b32 v3, v2
; %bb.82:
	s_or_b32 exec_lo, exec_lo, s7
	s_delay_alu instid0(SALU_CYCLE_1)
	s_mov_b32 s6, exec_lo
	s_wait_dscnt 0x0
	s_barrier_signal -1
	s_barrier_wait -1
	v_cmpx_gt_u32_e32 16, v0
	s_cbranch_execz .LBB341_84
; %bb.83:
	v_lshlrev_b32_e32 v3, 2, v0
	ds_load_b32 v4, v3
	s_wait_dscnt 0x0
	v_mov_b32_dpp v5, v4 row_shr:1 row_mask:0xf bank_mask:0xf
	s_delay_alu instid0(VALU_DEP_1) | instskip(NEXT) | instid1(VALU_DEP_1)
	v_cndmask_b32_e64 v5, v5, 0, s5
	v_add_nc_u32_e32 v4, v5, v4
	s_delay_alu instid0(VALU_DEP_1) | instskip(NEXT) | instid1(VALU_DEP_1)
	v_mov_b32_dpp v5, v4 row_shr:2 row_mask:0xf bank_mask:0xf
	v_cndmask_b32_e64 v5, 0, v5, s4
	s_delay_alu instid0(VALU_DEP_1) | instskip(NEXT) | instid1(VALU_DEP_1)
	v_add_nc_u32_e32 v4, v4, v5
	v_mov_b32_dpp v5, v4 row_shr:4 row_mask:0xf bank_mask:0xf
	s_delay_alu instid0(VALU_DEP_1) | instskip(NEXT) | instid1(VALU_DEP_1)
	v_cndmask_b32_e64 v5, 0, v5, s3
	v_add_nc_u32_e32 v4, v4, v5
	s_delay_alu instid0(VALU_DEP_1) | instskip(NEXT) | instid1(VALU_DEP_1)
	v_mov_b32_dpp v5, v4 row_shr:8 row_mask:0xf bank_mask:0xf
	v_cndmask_b32_e64 v5, 0, v5, s2
	s_delay_alu instid0(VALU_DEP_1)
	v_add_nc_u32_e32 v4, v4, v5
	ds_store_b32 v3, v4
.LBB341_84:
	s_or_b32 exec_lo, exec_lo, s6
	v_dual_mov_b32 v4, 0 :: v_dual_mov_b32 v3, 0
	s_mov_b32 s2, exec_lo
	s_wait_dscnt 0x0
	s_barrier_signal -1
	s_barrier_wait -1
	v_cmpx_lt_u32_e32 31, v0
; %bb.85:
	v_lshl_add_u32 v3, v49, 2, -4
	ds_load_b32 v3, v3
; %bb.86:
	s_or_b32 exec_lo, exec_lo, s2
	v_sub_co_u32 v5, vcc_lo, v48, 1
	ds_load_b32 v30, v4 offset:60
	s_wait_dscnt 0x1
	v_add_nc_u32_e32 v2, v3, v2
	v_cmp_gt_i32_e64 s2, 0, v5
	s_delay_alu instid0(VALU_DEP_1) | instskip(SKIP_1) | instid1(VALU_DEP_2)
	v_cndmask_b32_e64 v5, v5, v48, s2
	v_cmp_eq_u32_e64 s2, 0, v0
	v_lshlrev_b32_e32 v5, 2, v5
	ds_bpermute_b32 v2, v5, v2
	s_and_saveexec_b32 s3, s2
	s_cbranch_execz .LBB341_88
; %bb.87:
	v_dual_mov_b32 v4, 0 :: v_dual_mov_b32 v31, 2
	s_wait_xcnt 0x0
	s_wait_dscnt 0x1
	s_wait_kmcnt 0x0
	global_store_b64 v4, v[30:31], s[10:11] offset:256 scope:SCOPE_DEV
.LBB341_88:
	s_wait_xcnt 0x0
	s_or_b32 exec_lo, exec_lo, s3
	s_wait_dscnt 0x0
	v_cndmask_b32_e32 v2, v2, v3, vcc_lo
	s_wait_storecnt 0x0
	s_barrier_signal -1
	s_barrier_wait -1
	s_delay_alu instid0(VALU_DEP_1) | instskip(NEXT) | instid1(VALU_DEP_1)
	v_cndmask_b32_e64 v2, v2, 0, s2
	v_dual_mov_b32 v32, 0 :: v_dual_add_nc_u32 v3, v2, v38
	s_delay_alu instid0(VALU_DEP_1) | instskip(NEXT) | instid1(VALU_DEP_1)
	v_add_nc_u32_e32 v4, v3, v39
	v_add_nc_u32_e32 v5, v4, v40
	s_delay_alu instid0(VALU_DEP_1) | instskip(NEXT) | instid1(VALU_DEP_1)
	v_add_nc_u32_e32 v6, v5, v41
	v_add_nc_u32_e32 v7, v6, v42
	;; [unrolled: 3-line block ×4, first 2 shown]
	s_delay_alu instid0(VALU_DEP_1)
	v_add_nc_u32_e32 v12, v11, v47
.LBB341_89:
	s_load_b64 s[2:3], s[0:1], 0x28
	v_and_b32_e32 v26, 1, v26
	v_cmp_gt_u32_e32 vcc_lo, 0x201, v30
	s_wait_xcnt 0x0
	s_mov_b32 s1, -1
	s_delay_alu instid0(VALU_DEP_2)
	v_cmp_eq_u32_e64 s0, 1, v26
	s_cbranch_vccnz .LBB341_93
; %bb.90:
	s_and_b32 vcc_lo, exec_lo, s1
	s_cbranch_vccnz .LBB341_116
.LBB341_91:
	v_cmp_eq_u32_e32 vcc_lo, 0, v0
	s_and_b32 s0, vcc_lo, s24
	s_delay_alu instid0(SALU_CYCLE_1)
	s_and_saveexec_b32 s1, s0
	s_cbranch_execnz .LBB341_151
.LBB341_92:
	s_endpgm
.LBB341_93:
	v_add_nc_u32_e32 v31, v32, v30
	s_wait_kmcnt 0x0
	s_lshl_b64 s[4:5], s[22:23], 2
	s_delay_alu instid0(SALU_CYCLE_1) | instskip(NEXT) | instid1(VALU_DEP_1)
	s_add_nc_u64 s[4:5], s[2:3], s[4:5]
	v_cmp_lt_u32_e32 vcc_lo, v2, v31
	s_or_b32 s1, s25, vcc_lo
	s_delay_alu instid0(SALU_CYCLE_1) | instskip(NEXT) | instid1(SALU_CYCLE_1)
	s_and_b32 s1, s1, s0
	s_and_saveexec_b32 s0, s1
	s_cbranch_execz .LBB341_95
; %bb.94:
	global_store_b32 v2, v24, s[4:5] scale_offset
.LBB341_95:
	s_wait_xcnt 0x0
	s_or_b32 exec_lo, exec_lo, s0
	v_and_b32_e32 v38, 1, v37
	v_cmp_lt_u32_e32 vcc_lo, v3, v31
	s_delay_alu instid0(VALU_DEP_2) | instskip(SKIP_1) | instid1(SALU_CYCLE_1)
	v_cmp_eq_u32_e64 s0, 1, v38
	s_or_b32 s1, s25, vcc_lo
	s_and_b32 s1, s1, s0
	s_delay_alu instid0(SALU_CYCLE_1)
	s_and_saveexec_b32 s0, s1
	s_cbranch_execz .LBB341_97
; %bb.96:
	global_store_b32 v3, v25, s[4:5] scale_offset
.LBB341_97:
	s_wait_xcnt 0x0
	s_or_b32 exec_lo, exec_lo, s0
	v_and_b32_e32 v38, 1, v35
	v_cmp_lt_u32_e32 vcc_lo, v4, v31
	s_delay_alu instid0(VALU_DEP_2) | instskip(SKIP_1) | instid1(SALU_CYCLE_1)
	v_cmp_eq_u32_e64 s0, 1, v38
	s_or_b32 s1, s25, vcc_lo
	s_and_b32 s1, s1, s0
	s_delay_alu instid0(SALU_CYCLE_1)
	;; [unrolled: 14-line block ×10, first 2 shown]
	s_and_saveexec_b32 s0, s1
	s_cbranch_execz .LBB341_115
; %bb.114:
	global_store_b32 v12, v17, s[4:5] scale_offset
.LBB341_115:
	s_wait_xcnt 0x0
	s_or_b32 exec_lo, exec_lo, s0
	s_branch .LBB341_91
.LBB341_116:
	s_mov_b32 s0, exec_lo
	v_cmpx_eq_u32_e32 1, v26
; %bb.117:
	v_sub_nc_u32_e32 v2, v2, v32
	s_delay_alu instid0(VALU_DEP_1)
	v_lshlrev_b32_e32 v2, 2, v2
	ds_store_b32 v2, v24
; %bb.118:
	s_or_b32 exec_lo, exec_lo, s0
	v_and_b32_e32 v2, 1, v37
	s_mov_b32 s0, exec_lo
	s_delay_alu instid0(VALU_DEP_1)
	v_cmpx_eq_u32_e32 1, v2
; %bb.119:
	v_sub_nc_u32_e32 v2, v3, v32
	s_delay_alu instid0(VALU_DEP_1)
	v_lshlrev_b32_e32 v2, 2, v2
	ds_store_b32 v2, v25
; %bb.120:
	s_or_b32 exec_lo, exec_lo, s0
	v_and_b32_e32 v2, 1, v35
	s_mov_b32 s0, exec_lo
	s_delay_alu instid0(VALU_DEP_1)
	;; [unrolled: 11-line block ×10, first 2 shown]
	v_cmpx_eq_u32_e32 1, v1
; %bb.137:
	v_sub_nc_u32_e32 v1, v12, v32
	s_delay_alu instid0(VALU_DEP_1)
	v_lshlrev_b32_e32 v1, 2, v1
	ds_store_b32 v1, v17
; %bb.138:
	s_or_b32 exec_lo, exec_lo, s0
	v_or_b32_e32 v1, 0x200, v0
	v_mov_b32_e32 v33, 0
	s_mov_b32 s1, -1
	s_mov_b32 s0, exec_lo
	s_wait_storecnt_dscnt 0x0
	v_max_u32_e32 v2, v30, v1
	s_barrier_signal -1
	s_barrier_wait -1
	s_delay_alu instid0(VALU_DEP_1) | instskip(SKIP_1) | instid1(VALU_DEP_2)
	v_xad_u32 v4, v0, -1, v2
	v_lshlrev_b64_e32 v[2:3], 2, v[32:33]
	v_cmpx_lt_u32_e32 0x1ff, v4
	s_cbranch_execz .LBB341_147
; %bb.139:
	v_lshrrev_b32_e32 v10, 9, v4
	s_wait_kmcnt 0x0
	s_lshl_b64 s[4:5], s[22:23], 2
	v_lshlrev_b32_e32 v11, 2, v0
	s_add_nc_u64 s[4:5], s[2:3], s[4:5]
	v_add_nc_u32_e32 v6, -1, v10
	v_add_nc_u64_e32 v[4:5], s[4:5], v[2:3]
	s_delay_alu instid0(VALU_DEP_2) | instskip(SKIP_1) | instid1(VALU_DEP_2)
	v_lshrrev_b32_e32 v7, 1, v6
	v_cmp_lt_u32_e32 vcc_lo, 13, v6
	v_add_nc_u32_e32 v12, 1, v7
	v_mov_b64_e32 v[6:7], v[0:1]
	s_and_saveexec_b32 s1, vcc_lo
	s_cbranch_execz .LBB341_143
; %bb.140:
	v_mov_b64_e32 v[6:7], v[0:1]
	v_dual_mov_b32 v9, 0 :: v_dual_bitop2_b32 v13, -8, v12 bitop3:0x40
	v_mov_b32_e32 v14, v11
	s_mov_b32 s4, 0
	s_mov_b32 s5, 0
.LBB341_141:                            ; =>This Inner Loop Header: Depth=1
	s_delay_alu instid0(VALU_DEP_2)
	v_dual_mov_b32 v8, v6 :: v_dual_mov_b32 v19, v9
	ds_load_2addr_stride64_b32 v[16:17], v14 offset1:8
	v_add_nc_u32_e32 v13, -8, v13
	ds_load_2addr_stride64_b32 v[20:21], v14 offset0:16 offset1:24
	v_lshl_add_u64 v[50:51], v[8:9], 2, v[4:5]
	v_mov_b32_e32 v8, v7
	ds_load_2addr_stride64_b32 v[24:25], v14 offset0:32 offset1:40
	ds_load_2addr_stride64_b32 v[28:29], v14 offset0:48 offset1:56
	v_dual_mov_b32 v23, v9 :: v_dual_add_nc_u32 v18, 0x400, v7
	v_lshl_add_u64 v[52:53], v[8:9], 2, v[4:5]
	v_add_nc_u32_e32 v8, 0x400, v6
	ds_load_2addr_stride64_b32 v[36:37], v14 offset0:64 offset1:72
	v_lshl_add_u64 v[18:19], v[18:19], 2, v[4:5]
	ds_load_2addr_stride64_b32 v[40:41], v14 offset0:80 offset1:88
	ds_load_2addr_stride64_b32 v[44:45], v14 offset0:96 offset1:104
	v_lshl_add_u64 v[54:55], v[8:9], 2, v[4:5]
	v_add_nc_u32_e32 v8, 0x800, v6
	ds_load_2addr_stride64_b32 v[48:49], v14 offset0:112 offset1:120
	s_wait_dscnt 0x7
	s_clause 0x1
	global_store_b32 v[50:51], v16, off
	global_store_b32 v[52:53], v17, off
	s_wait_dscnt 0x6
	s_clause 0x1
	global_store_b32 v[54:55], v20, off
	global_store_b32 v[18:19], v21, off
	v_lshl_add_u64 v[56:57], v[8:9], 2, v[4:5]
	v_add_nc_u32_e32 v8, 0xc00, v6
	v_dual_mov_b32 v27, v9 :: v_dual_add_nc_u32 v22, 0x800, v7
	v_dual_mov_b32 v35, v9 :: v_dual_add_nc_u32 v26, 0xc00, v7
	s_wait_xcnt 0x2
	s_delay_alu instid0(VALU_DEP_3)
	v_lshl_add_u64 v[16:17], v[8:9], 2, v[4:5]
	v_add_nc_u32_e32 v8, 0x1000, v6
	v_lshl_add_u64 v[22:23], v[22:23], 2, v[4:5]
	v_dual_mov_b32 v39, v9 :: v_dual_add_nc_u32 v34, 0x1000, v7
	v_lshl_add_u64 v[26:27], v[26:27], 2, v[4:5]
	s_wait_xcnt 0x0
	v_lshl_add_u64 v[18:19], v[8:9], 2, v[4:5]
	v_add_nc_u32_e32 v8, 0x1400, v6
	s_wait_dscnt 0x5
	s_clause 0x1
	global_store_b32 v[56:57], v24, off
	global_store_b32 v[22:23], v25, off
	s_wait_dscnt 0x4
	global_store_b32 v[16:17], v28, off
	v_dual_mov_b32 v43, v9 :: v_dual_add_nc_u32 v38, 0x1400, v7
	s_wait_xcnt 0x0
	v_lshl_add_u64 v[16:17], v[8:9], 2, v[4:5]
	v_add_nc_u32_e32 v8, 0x1800, v6
	v_dual_mov_b32 v47, v9 :: v_dual_add_nc_u32 v42, 0x1800, v7
	v_lshl_add_u64 v[34:35], v[34:35], 2, v[4:5]
	global_store_b32 v[26:27], v29, off
	s_wait_dscnt 0x3
	global_store_b32 v[18:19], v36, off
	s_wait_xcnt 0x0
	v_lshl_add_u64 v[18:19], v[8:9], 2, v[4:5]
	v_add_nc_u32_e32 v8, 0x1c00, v6
	s_add_co_i32 s5, s5, 16
	s_delay_alu instid0(SALU_CYCLE_1)
	v_dual_mov_b32 v33, s5 :: v_dual_add_nc_u32 v46, 0x1c00, v7
	v_cmp_eq_u32_e32 vcc_lo, 0, v13
	v_lshl_add_u64 v[38:39], v[38:39], 2, v[4:5]
	v_add_nc_u32_e32 v14, 0x8000, v14
	v_add_nc_u32_e32 v7, 0x2000, v7
	;; [unrolled: 1-line block ×3, first 2 shown]
	v_lshl_add_u64 v[42:43], v[42:43], 2, v[4:5]
	global_store_b32 v[34:35], v37, off
	s_wait_dscnt 0x2
	s_clause 0x1
	global_store_b32 v[16:17], v40, off
	global_store_b32 v[38:39], v41, off
	s_wait_xcnt 0x1
	v_lshl_add_u64 v[16:17], v[8:9], 2, v[4:5]
	v_lshl_add_u64 v[46:47], v[46:47], 2, v[4:5]
	s_or_b32 s4, vcc_lo, s4
	s_wait_dscnt 0x1
	s_clause 0x1
	global_store_b32 v[18:19], v44, off
	global_store_b32 v[42:43], v45, off
	s_wait_dscnt 0x0
	s_clause 0x1
	global_store_b32 v[16:17], v48, off
	global_store_b32 v[46:47], v49, off
	s_wait_xcnt 0x0
	s_and_not1_b32 exec_lo, exec_lo, s4
	s_cbranch_execnz .LBB341_141
; %bb.142:
	s_or_b32 exec_lo, exec_lo, s4
.LBB341_143:
	s_delay_alu instid0(SALU_CYCLE_1) | instskip(SKIP_3) | instid1(VALU_DEP_1)
	s_or_b32 exec_lo, exec_lo, s1
	v_and_b32_e32 v1, 7, v12
	s_mov_b32 s4, 0
	s_mov_b32 s1, exec_lo
	v_cmpx_ne_u32_e32 0, v1
	s_cbranch_execz .LBB341_146
; %bb.144:
	v_lshl_or_b32 v11, v33, 11, v11
	v_mov_b32_e32 v9, 0
.LBB341_145:                            ; =>This Inner Loop Header: Depth=1
	ds_load_2addr_stride64_b32 v[12:13], v11 offset1:8
	v_dual_mov_b32 v8, v6 :: v_dual_add_nc_u32 v1, -1, v1
	v_add_nc_u32_e32 v6, 0x400, v6
	v_add_nc_u32_e32 v11, 0x1000, v11
	s_delay_alu instid0(VALU_DEP_3) | instskip(SKIP_3) | instid1(VALU_DEP_3)
	v_lshl_add_u64 v[14:15], v[8:9], 2, v[4:5]
	v_mov_b32_e32 v8, v7
	v_cmp_eq_u32_e32 vcc_lo, 0, v1
	v_add_nc_u32_e32 v7, 0x400, v7
	v_lshl_add_u64 v[16:17], v[8:9], 2, v[4:5]
	s_or_b32 s4, vcc_lo, s4
	s_wait_dscnt 0x0
	s_clause 0x1
	global_store_b32 v[14:15], v12, off
	global_store_b32 v[16:17], v13, off
	s_wait_xcnt 0x0
	s_and_not1_b32 exec_lo, exec_lo, s4
	s_cbranch_execnz .LBB341_145
.LBB341_146:
	s_or_b32 exec_lo, exec_lo, s1
	v_add_nc_u32_e32 v1, 1, v10
	s_delay_alu instid0(VALU_DEP_1) | instskip(NEXT) | instid1(VALU_DEP_1)
	v_and_b32_e32 v4, 0xfffffe, v1
	v_cmp_ne_u32_e32 vcc_lo, v1, v4
	v_lshl_or_b32 v14, v4, 9, v0
	s_or_not1_b32 s1, vcc_lo, exec_lo
.LBB341_147:
	s_or_b32 exec_lo, exec_lo, s0
	s_and_saveexec_b32 s0, s1
	s_cbranch_execz .LBB341_150
; %bb.148:
	s_wait_kmcnt 0x0
	s_lshl_b64 s[4:5], s[22:23], 2
	v_dual_mov_b32 v15, 0 :: v_dual_lshlrev_b32 v1, 2, v14
	v_add_nc_u64_e32 v[2:3], s[4:5], v[2:3]
	s_mov_b32 s1, 0
	s_delay_alu instid0(VALU_DEP_1) | instskip(NEXT) | instid1(VALU_DEP_1)
	v_add_nc_u64_e32 v[2:3], s[2:3], v[2:3]
	v_lshl_add_u64 v[2:3], v[14:15], 2, v[2:3]
.LBB341_149:                            ; =>This Inner Loop Header: Depth=1
	ds_load_b32 v4, v1
	v_add_nc_u32_e32 v14, 0x200, v14
	v_add_nc_u32_e32 v1, 0x800, v1
	s_delay_alu instid0(VALU_DEP_2)
	v_cmp_ge_u32_e32 vcc_lo, v14, v30
	s_or_b32 s1, vcc_lo, s1
	s_wait_dscnt 0x0
	global_store_b32 v[2:3], v4, off
	s_wait_xcnt 0x0
	v_add_nc_u64_e32 v[2:3], 0x800, v[2:3]
	s_and_not1_b32 exec_lo, exec_lo, s1
	s_cbranch_execnz .LBB341_149
.LBB341_150:
	s_or_b32 exec_lo, exec_lo, s0
	v_cmp_eq_u32_e32 vcc_lo, 0, v0
	s_and_b32 s0, vcc_lo, s24
	s_delay_alu instid0(SALU_CYCLE_1)
	s_and_saveexec_b32 s1, s0
	s_cbranch_execz .LBB341_92
.LBB341_151:
	v_mov_b32_e32 v31, 0
	s_wait_kmcnt 0x0
	s_delay_alu instid0(VALU_DEP_1) | instskip(SKIP_1) | instid1(VALU_DEP_1)
	v_add_nc_u64_e32 v[0:1], s[22:23], v[30:31]
	v_mov_b32_e32 v33, v31
	v_add_nc_u64_e32 v[0:1], v[0:1], v[32:33]
	global_store_b64 v31, v[0:1], s[20:21]
	s_endpgm
	.section	.rodata,"a",@progbits
	.p2align	6, 0x0
	.amdhsa_kernel _ZN7rocprim17ROCPRIM_400000_NS6detail17trampoline_kernelINS0_14default_configENS1_25partition_config_selectorILNS1_17partition_subalgoE8EfNS0_10empty_typeEbEEZZNS1_14partition_implILS5_8ELb0ES3_jPKfPS6_PKS6_NS0_5tupleIJPfS6_EEENSE_IJSB_SB_EEENS0_18inequality_wrapperIN6hipcub16HIPCUB_304000_NS8EqualityEEEPlJS6_EEE10hipError_tPvRmT3_T4_T5_T6_T7_T9_mT8_P12ihipStream_tbDpT10_ENKUlT_T0_E_clISt17integral_constantIbLb0EES17_EEDaS12_S13_EUlS12_E_NS1_11comp_targetILNS1_3genE0ELNS1_11target_archE4294967295ELNS1_3gpuE0ELNS1_3repE0EEENS1_30default_config_static_selectorELNS0_4arch9wavefront6targetE0EEEvT1_
		.amdhsa_group_segment_fixed_size 22536
		.amdhsa_private_segment_fixed_size 0
		.amdhsa_kernarg_size 112
		.amdhsa_user_sgpr_count 2
		.amdhsa_user_sgpr_dispatch_ptr 0
		.amdhsa_user_sgpr_queue_ptr 0
		.amdhsa_user_sgpr_kernarg_segment_ptr 1
		.amdhsa_user_sgpr_dispatch_id 0
		.amdhsa_user_sgpr_kernarg_preload_length 0
		.amdhsa_user_sgpr_kernarg_preload_offset 0
		.amdhsa_user_sgpr_private_segment_size 0
		.amdhsa_wavefront_size32 1
		.amdhsa_uses_dynamic_stack 0
		.amdhsa_enable_private_segment 0
		.amdhsa_system_sgpr_workgroup_id_x 1
		.amdhsa_system_sgpr_workgroup_id_y 0
		.amdhsa_system_sgpr_workgroup_id_z 0
		.amdhsa_system_sgpr_workgroup_info 0
		.amdhsa_system_vgpr_workitem_id 0
		.amdhsa_next_free_vgpr 58
		.amdhsa_next_free_sgpr 30
		.amdhsa_named_barrier_count 0
		.amdhsa_reserve_vcc 1
		.amdhsa_float_round_mode_32 0
		.amdhsa_float_round_mode_16_64 0
		.amdhsa_float_denorm_mode_32 3
		.amdhsa_float_denorm_mode_16_64 3
		.amdhsa_fp16_overflow 0
		.amdhsa_memory_ordered 1
		.amdhsa_forward_progress 1
		.amdhsa_inst_pref_size 68
		.amdhsa_round_robin_scheduling 0
		.amdhsa_exception_fp_ieee_invalid_op 0
		.amdhsa_exception_fp_denorm_src 0
		.amdhsa_exception_fp_ieee_div_zero 0
		.amdhsa_exception_fp_ieee_overflow 0
		.amdhsa_exception_fp_ieee_underflow 0
		.amdhsa_exception_fp_ieee_inexact 0
		.amdhsa_exception_int_div_zero 0
	.end_amdhsa_kernel
	.section	.text._ZN7rocprim17ROCPRIM_400000_NS6detail17trampoline_kernelINS0_14default_configENS1_25partition_config_selectorILNS1_17partition_subalgoE8EfNS0_10empty_typeEbEEZZNS1_14partition_implILS5_8ELb0ES3_jPKfPS6_PKS6_NS0_5tupleIJPfS6_EEENSE_IJSB_SB_EEENS0_18inequality_wrapperIN6hipcub16HIPCUB_304000_NS8EqualityEEEPlJS6_EEE10hipError_tPvRmT3_T4_T5_T6_T7_T9_mT8_P12ihipStream_tbDpT10_ENKUlT_T0_E_clISt17integral_constantIbLb0EES17_EEDaS12_S13_EUlS12_E_NS1_11comp_targetILNS1_3genE0ELNS1_11target_archE4294967295ELNS1_3gpuE0ELNS1_3repE0EEENS1_30default_config_static_selectorELNS0_4arch9wavefront6targetE0EEEvT1_,"axG",@progbits,_ZN7rocprim17ROCPRIM_400000_NS6detail17trampoline_kernelINS0_14default_configENS1_25partition_config_selectorILNS1_17partition_subalgoE8EfNS0_10empty_typeEbEEZZNS1_14partition_implILS5_8ELb0ES3_jPKfPS6_PKS6_NS0_5tupleIJPfS6_EEENSE_IJSB_SB_EEENS0_18inequality_wrapperIN6hipcub16HIPCUB_304000_NS8EqualityEEEPlJS6_EEE10hipError_tPvRmT3_T4_T5_T6_T7_T9_mT8_P12ihipStream_tbDpT10_ENKUlT_T0_E_clISt17integral_constantIbLb0EES17_EEDaS12_S13_EUlS12_E_NS1_11comp_targetILNS1_3genE0ELNS1_11target_archE4294967295ELNS1_3gpuE0ELNS1_3repE0EEENS1_30default_config_static_selectorELNS0_4arch9wavefront6targetE0EEEvT1_,comdat
.Lfunc_end341:
	.size	_ZN7rocprim17ROCPRIM_400000_NS6detail17trampoline_kernelINS0_14default_configENS1_25partition_config_selectorILNS1_17partition_subalgoE8EfNS0_10empty_typeEbEEZZNS1_14partition_implILS5_8ELb0ES3_jPKfPS6_PKS6_NS0_5tupleIJPfS6_EEENSE_IJSB_SB_EEENS0_18inequality_wrapperIN6hipcub16HIPCUB_304000_NS8EqualityEEEPlJS6_EEE10hipError_tPvRmT3_T4_T5_T6_T7_T9_mT8_P12ihipStream_tbDpT10_ENKUlT_T0_E_clISt17integral_constantIbLb0EES17_EEDaS12_S13_EUlS12_E_NS1_11comp_targetILNS1_3genE0ELNS1_11target_archE4294967295ELNS1_3gpuE0ELNS1_3repE0EEENS1_30default_config_static_selectorELNS0_4arch9wavefront6targetE0EEEvT1_, .Lfunc_end341-_ZN7rocprim17ROCPRIM_400000_NS6detail17trampoline_kernelINS0_14default_configENS1_25partition_config_selectorILNS1_17partition_subalgoE8EfNS0_10empty_typeEbEEZZNS1_14partition_implILS5_8ELb0ES3_jPKfPS6_PKS6_NS0_5tupleIJPfS6_EEENSE_IJSB_SB_EEENS0_18inequality_wrapperIN6hipcub16HIPCUB_304000_NS8EqualityEEEPlJS6_EEE10hipError_tPvRmT3_T4_T5_T6_T7_T9_mT8_P12ihipStream_tbDpT10_ENKUlT_T0_E_clISt17integral_constantIbLb0EES17_EEDaS12_S13_EUlS12_E_NS1_11comp_targetILNS1_3genE0ELNS1_11target_archE4294967295ELNS1_3gpuE0ELNS1_3repE0EEENS1_30default_config_static_selectorELNS0_4arch9wavefront6targetE0EEEvT1_
                                        ; -- End function
	.set _ZN7rocprim17ROCPRIM_400000_NS6detail17trampoline_kernelINS0_14default_configENS1_25partition_config_selectorILNS1_17partition_subalgoE8EfNS0_10empty_typeEbEEZZNS1_14partition_implILS5_8ELb0ES3_jPKfPS6_PKS6_NS0_5tupleIJPfS6_EEENSE_IJSB_SB_EEENS0_18inequality_wrapperIN6hipcub16HIPCUB_304000_NS8EqualityEEEPlJS6_EEE10hipError_tPvRmT3_T4_T5_T6_T7_T9_mT8_P12ihipStream_tbDpT10_ENKUlT_T0_E_clISt17integral_constantIbLb0EES17_EEDaS12_S13_EUlS12_E_NS1_11comp_targetILNS1_3genE0ELNS1_11target_archE4294967295ELNS1_3gpuE0ELNS1_3repE0EEENS1_30default_config_static_selectorELNS0_4arch9wavefront6targetE0EEEvT1_.num_vgpr, 58
	.set _ZN7rocprim17ROCPRIM_400000_NS6detail17trampoline_kernelINS0_14default_configENS1_25partition_config_selectorILNS1_17partition_subalgoE8EfNS0_10empty_typeEbEEZZNS1_14partition_implILS5_8ELb0ES3_jPKfPS6_PKS6_NS0_5tupleIJPfS6_EEENSE_IJSB_SB_EEENS0_18inequality_wrapperIN6hipcub16HIPCUB_304000_NS8EqualityEEEPlJS6_EEE10hipError_tPvRmT3_T4_T5_T6_T7_T9_mT8_P12ihipStream_tbDpT10_ENKUlT_T0_E_clISt17integral_constantIbLb0EES17_EEDaS12_S13_EUlS12_E_NS1_11comp_targetILNS1_3genE0ELNS1_11target_archE4294967295ELNS1_3gpuE0ELNS1_3repE0EEENS1_30default_config_static_selectorELNS0_4arch9wavefront6targetE0EEEvT1_.num_agpr, 0
	.set _ZN7rocprim17ROCPRIM_400000_NS6detail17trampoline_kernelINS0_14default_configENS1_25partition_config_selectorILNS1_17partition_subalgoE8EfNS0_10empty_typeEbEEZZNS1_14partition_implILS5_8ELb0ES3_jPKfPS6_PKS6_NS0_5tupleIJPfS6_EEENSE_IJSB_SB_EEENS0_18inequality_wrapperIN6hipcub16HIPCUB_304000_NS8EqualityEEEPlJS6_EEE10hipError_tPvRmT3_T4_T5_T6_T7_T9_mT8_P12ihipStream_tbDpT10_ENKUlT_T0_E_clISt17integral_constantIbLb0EES17_EEDaS12_S13_EUlS12_E_NS1_11comp_targetILNS1_3genE0ELNS1_11target_archE4294967295ELNS1_3gpuE0ELNS1_3repE0EEENS1_30default_config_static_selectorELNS0_4arch9wavefront6targetE0EEEvT1_.numbered_sgpr, 30
	.set _ZN7rocprim17ROCPRIM_400000_NS6detail17trampoline_kernelINS0_14default_configENS1_25partition_config_selectorILNS1_17partition_subalgoE8EfNS0_10empty_typeEbEEZZNS1_14partition_implILS5_8ELb0ES3_jPKfPS6_PKS6_NS0_5tupleIJPfS6_EEENSE_IJSB_SB_EEENS0_18inequality_wrapperIN6hipcub16HIPCUB_304000_NS8EqualityEEEPlJS6_EEE10hipError_tPvRmT3_T4_T5_T6_T7_T9_mT8_P12ihipStream_tbDpT10_ENKUlT_T0_E_clISt17integral_constantIbLb0EES17_EEDaS12_S13_EUlS12_E_NS1_11comp_targetILNS1_3genE0ELNS1_11target_archE4294967295ELNS1_3gpuE0ELNS1_3repE0EEENS1_30default_config_static_selectorELNS0_4arch9wavefront6targetE0EEEvT1_.num_named_barrier, 0
	.set _ZN7rocprim17ROCPRIM_400000_NS6detail17trampoline_kernelINS0_14default_configENS1_25partition_config_selectorILNS1_17partition_subalgoE8EfNS0_10empty_typeEbEEZZNS1_14partition_implILS5_8ELb0ES3_jPKfPS6_PKS6_NS0_5tupleIJPfS6_EEENSE_IJSB_SB_EEENS0_18inequality_wrapperIN6hipcub16HIPCUB_304000_NS8EqualityEEEPlJS6_EEE10hipError_tPvRmT3_T4_T5_T6_T7_T9_mT8_P12ihipStream_tbDpT10_ENKUlT_T0_E_clISt17integral_constantIbLb0EES17_EEDaS12_S13_EUlS12_E_NS1_11comp_targetILNS1_3genE0ELNS1_11target_archE4294967295ELNS1_3gpuE0ELNS1_3repE0EEENS1_30default_config_static_selectorELNS0_4arch9wavefront6targetE0EEEvT1_.private_seg_size, 0
	.set _ZN7rocprim17ROCPRIM_400000_NS6detail17trampoline_kernelINS0_14default_configENS1_25partition_config_selectorILNS1_17partition_subalgoE8EfNS0_10empty_typeEbEEZZNS1_14partition_implILS5_8ELb0ES3_jPKfPS6_PKS6_NS0_5tupleIJPfS6_EEENSE_IJSB_SB_EEENS0_18inequality_wrapperIN6hipcub16HIPCUB_304000_NS8EqualityEEEPlJS6_EEE10hipError_tPvRmT3_T4_T5_T6_T7_T9_mT8_P12ihipStream_tbDpT10_ENKUlT_T0_E_clISt17integral_constantIbLb0EES17_EEDaS12_S13_EUlS12_E_NS1_11comp_targetILNS1_3genE0ELNS1_11target_archE4294967295ELNS1_3gpuE0ELNS1_3repE0EEENS1_30default_config_static_selectorELNS0_4arch9wavefront6targetE0EEEvT1_.uses_vcc, 1
	.set _ZN7rocprim17ROCPRIM_400000_NS6detail17trampoline_kernelINS0_14default_configENS1_25partition_config_selectorILNS1_17partition_subalgoE8EfNS0_10empty_typeEbEEZZNS1_14partition_implILS5_8ELb0ES3_jPKfPS6_PKS6_NS0_5tupleIJPfS6_EEENSE_IJSB_SB_EEENS0_18inequality_wrapperIN6hipcub16HIPCUB_304000_NS8EqualityEEEPlJS6_EEE10hipError_tPvRmT3_T4_T5_T6_T7_T9_mT8_P12ihipStream_tbDpT10_ENKUlT_T0_E_clISt17integral_constantIbLb0EES17_EEDaS12_S13_EUlS12_E_NS1_11comp_targetILNS1_3genE0ELNS1_11target_archE4294967295ELNS1_3gpuE0ELNS1_3repE0EEENS1_30default_config_static_selectorELNS0_4arch9wavefront6targetE0EEEvT1_.uses_flat_scratch, 0
	.set _ZN7rocprim17ROCPRIM_400000_NS6detail17trampoline_kernelINS0_14default_configENS1_25partition_config_selectorILNS1_17partition_subalgoE8EfNS0_10empty_typeEbEEZZNS1_14partition_implILS5_8ELb0ES3_jPKfPS6_PKS6_NS0_5tupleIJPfS6_EEENSE_IJSB_SB_EEENS0_18inequality_wrapperIN6hipcub16HIPCUB_304000_NS8EqualityEEEPlJS6_EEE10hipError_tPvRmT3_T4_T5_T6_T7_T9_mT8_P12ihipStream_tbDpT10_ENKUlT_T0_E_clISt17integral_constantIbLb0EES17_EEDaS12_S13_EUlS12_E_NS1_11comp_targetILNS1_3genE0ELNS1_11target_archE4294967295ELNS1_3gpuE0ELNS1_3repE0EEENS1_30default_config_static_selectorELNS0_4arch9wavefront6targetE0EEEvT1_.has_dyn_sized_stack, 0
	.set _ZN7rocprim17ROCPRIM_400000_NS6detail17trampoline_kernelINS0_14default_configENS1_25partition_config_selectorILNS1_17partition_subalgoE8EfNS0_10empty_typeEbEEZZNS1_14partition_implILS5_8ELb0ES3_jPKfPS6_PKS6_NS0_5tupleIJPfS6_EEENSE_IJSB_SB_EEENS0_18inequality_wrapperIN6hipcub16HIPCUB_304000_NS8EqualityEEEPlJS6_EEE10hipError_tPvRmT3_T4_T5_T6_T7_T9_mT8_P12ihipStream_tbDpT10_ENKUlT_T0_E_clISt17integral_constantIbLb0EES17_EEDaS12_S13_EUlS12_E_NS1_11comp_targetILNS1_3genE0ELNS1_11target_archE4294967295ELNS1_3gpuE0ELNS1_3repE0EEENS1_30default_config_static_selectorELNS0_4arch9wavefront6targetE0EEEvT1_.has_recursion, 0
	.set _ZN7rocprim17ROCPRIM_400000_NS6detail17trampoline_kernelINS0_14default_configENS1_25partition_config_selectorILNS1_17partition_subalgoE8EfNS0_10empty_typeEbEEZZNS1_14partition_implILS5_8ELb0ES3_jPKfPS6_PKS6_NS0_5tupleIJPfS6_EEENSE_IJSB_SB_EEENS0_18inequality_wrapperIN6hipcub16HIPCUB_304000_NS8EqualityEEEPlJS6_EEE10hipError_tPvRmT3_T4_T5_T6_T7_T9_mT8_P12ihipStream_tbDpT10_ENKUlT_T0_E_clISt17integral_constantIbLb0EES17_EEDaS12_S13_EUlS12_E_NS1_11comp_targetILNS1_3genE0ELNS1_11target_archE4294967295ELNS1_3gpuE0ELNS1_3repE0EEENS1_30default_config_static_selectorELNS0_4arch9wavefront6targetE0EEEvT1_.has_indirect_call, 0
	.section	.AMDGPU.csdata,"",@progbits
; Kernel info:
; codeLenInByte = 8676
; TotalNumSgprs: 32
; NumVgprs: 58
; ScratchSize: 0
; MemoryBound: 0
; FloatMode: 240
; IeeeMode: 1
; LDSByteSize: 22536 bytes/workgroup (compile time only)
; SGPRBlocks: 0
; VGPRBlocks: 3
; NumSGPRsForWavesPerEU: 32
; NumVGPRsForWavesPerEU: 58
; NamedBarCnt: 0
; Occupancy: 16
; WaveLimiterHint : 1
; COMPUTE_PGM_RSRC2:SCRATCH_EN: 0
; COMPUTE_PGM_RSRC2:USER_SGPR: 2
; COMPUTE_PGM_RSRC2:TRAP_HANDLER: 0
; COMPUTE_PGM_RSRC2:TGID_X_EN: 1
; COMPUTE_PGM_RSRC2:TGID_Y_EN: 0
; COMPUTE_PGM_RSRC2:TGID_Z_EN: 0
; COMPUTE_PGM_RSRC2:TIDIG_COMP_CNT: 0
	.section	.text._ZN7rocprim17ROCPRIM_400000_NS6detail17trampoline_kernelINS0_14default_configENS1_25partition_config_selectorILNS1_17partition_subalgoE8EfNS0_10empty_typeEbEEZZNS1_14partition_implILS5_8ELb0ES3_jPKfPS6_PKS6_NS0_5tupleIJPfS6_EEENSE_IJSB_SB_EEENS0_18inequality_wrapperIN6hipcub16HIPCUB_304000_NS8EqualityEEEPlJS6_EEE10hipError_tPvRmT3_T4_T5_T6_T7_T9_mT8_P12ihipStream_tbDpT10_ENKUlT_T0_E_clISt17integral_constantIbLb0EES17_EEDaS12_S13_EUlS12_E_NS1_11comp_targetILNS1_3genE5ELNS1_11target_archE942ELNS1_3gpuE9ELNS1_3repE0EEENS1_30default_config_static_selectorELNS0_4arch9wavefront6targetE0EEEvT1_,"axG",@progbits,_ZN7rocprim17ROCPRIM_400000_NS6detail17trampoline_kernelINS0_14default_configENS1_25partition_config_selectorILNS1_17partition_subalgoE8EfNS0_10empty_typeEbEEZZNS1_14partition_implILS5_8ELb0ES3_jPKfPS6_PKS6_NS0_5tupleIJPfS6_EEENSE_IJSB_SB_EEENS0_18inequality_wrapperIN6hipcub16HIPCUB_304000_NS8EqualityEEEPlJS6_EEE10hipError_tPvRmT3_T4_T5_T6_T7_T9_mT8_P12ihipStream_tbDpT10_ENKUlT_T0_E_clISt17integral_constantIbLb0EES17_EEDaS12_S13_EUlS12_E_NS1_11comp_targetILNS1_3genE5ELNS1_11target_archE942ELNS1_3gpuE9ELNS1_3repE0EEENS1_30default_config_static_selectorELNS0_4arch9wavefront6targetE0EEEvT1_,comdat
	.protected	_ZN7rocprim17ROCPRIM_400000_NS6detail17trampoline_kernelINS0_14default_configENS1_25partition_config_selectorILNS1_17partition_subalgoE8EfNS0_10empty_typeEbEEZZNS1_14partition_implILS5_8ELb0ES3_jPKfPS6_PKS6_NS0_5tupleIJPfS6_EEENSE_IJSB_SB_EEENS0_18inequality_wrapperIN6hipcub16HIPCUB_304000_NS8EqualityEEEPlJS6_EEE10hipError_tPvRmT3_T4_T5_T6_T7_T9_mT8_P12ihipStream_tbDpT10_ENKUlT_T0_E_clISt17integral_constantIbLb0EES17_EEDaS12_S13_EUlS12_E_NS1_11comp_targetILNS1_3genE5ELNS1_11target_archE942ELNS1_3gpuE9ELNS1_3repE0EEENS1_30default_config_static_selectorELNS0_4arch9wavefront6targetE0EEEvT1_ ; -- Begin function _ZN7rocprim17ROCPRIM_400000_NS6detail17trampoline_kernelINS0_14default_configENS1_25partition_config_selectorILNS1_17partition_subalgoE8EfNS0_10empty_typeEbEEZZNS1_14partition_implILS5_8ELb0ES3_jPKfPS6_PKS6_NS0_5tupleIJPfS6_EEENSE_IJSB_SB_EEENS0_18inequality_wrapperIN6hipcub16HIPCUB_304000_NS8EqualityEEEPlJS6_EEE10hipError_tPvRmT3_T4_T5_T6_T7_T9_mT8_P12ihipStream_tbDpT10_ENKUlT_T0_E_clISt17integral_constantIbLb0EES17_EEDaS12_S13_EUlS12_E_NS1_11comp_targetILNS1_3genE5ELNS1_11target_archE942ELNS1_3gpuE9ELNS1_3repE0EEENS1_30default_config_static_selectorELNS0_4arch9wavefront6targetE0EEEvT1_
	.globl	_ZN7rocprim17ROCPRIM_400000_NS6detail17trampoline_kernelINS0_14default_configENS1_25partition_config_selectorILNS1_17partition_subalgoE8EfNS0_10empty_typeEbEEZZNS1_14partition_implILS5_8ELb0ES3_jPKfPS6_PKS6_NS0_5tupleIJPfS6_EEENSE_IJSB_SB_EEENS0_18inequality_wrapperIN6hipcub16HIPCUB_304000_NS8EqualityEEEPlJS6_EEE10hipError_tPvRmT3_T4_T5_T6_T7_T9_mT8_P12ihipStream_tbDpT10_ENKUlT_T0_E_clISt17integral_constantIbLb0EES17_EEDaS12_S13_EUlS12_E_NS1_11comp_targetILNS1_3genE5ELNS1_11target_archE942ELNS1_3gpuE9ELNS1_3repE0EEENS1_30default_config_static_selectorELNS0_4arch9wavefront6targetE0EEEvT1_
	.p2align	8
	.type	_ZN7rocprim17ROCPRIM_400000_NS6detail17trampoline_kernelINS0_14default_configENS1_25partition_config_selectorILNS1_17partition_subalgoE8EfNS0_10empty_typeEbEEZZNS1_14partition_implILS5_8ELb0ES3_jPKfPS6_PKS6_NS0_5tupleIJPfS6_EEENSE_IJSB_SB_EEENS0_18inequality_wrapperIN6hipcub16HIPCUB_304000_NS8EqualityEEEPlJS6_EEE10hipError_tPvRmT3_T4_T5_T6_T7_T9_mT8_P12ihipStream_tbDpT10_ENKUlT_T0_E_clISt17integral_constantIbLb0EES17_EEDaS12_S13_EUlS12_E_NS1_11comp_targetILNS1_3genE5ELNS1_11target_archE942ELNS1_3gpuE9ELNS1_3repE0EEENS1_30default_config_static_selectorELNS0_4arch9wavefront6targetE0EEEvT1_,@function
_ZN7rocprim17ROCPRIM_400000_NS6detail17trampoline_kernelINS0_14default_configENS1_25partition_config_selectorILNS1_17partition_subalgoE8EfNS0_10empty_typeEbEEZZNS1_14partition_implILS5_8ELb0ES3_jPKfPS6_PKS6_NS0_5tupleIJPfS6_EEENSE_IJSB_SB_EEENS0_18inequality_wrapperIN6hipcub16HIPCUB_304000_NS8EqualityEEEPlJS6_EEE10hipError_tPvRmT3_T4_T5_T6_T7_T9_mT8_P12ihipStream_tbDpT10_ENKUlT_T0_E_clISt17integral_constantIbLb0EES17_EEDaS12_S13_EUlS12_E_NS1_11comp_targetILNS1_3genE5ELNS1_11target_archE942ELNS1_3gpuE9ELNS1_3repE0EEENS1_30default_config_static_selectorELNS0_4arch9wavefront6targetE0EEEvT1_: ; @_ZN7rocprim17ROCPRIM_400000_NS6detail17trampoline_kernelINS0_14default_configENS1_25partition_config_selectorILNS1_17partition_subalgoE8EfNS0_10empty_typeEbEEZZNS1_14partition_implILS5_8ELb0ES3_jPKfPS6_PKS6_NS0_5tupleIJPfS6_EEENSE_IJSB_SB_EEENS0_18inequality_wrapperIN6hipcub16HIPCUB_304000_NS8EqualityEEEPlJS6_EEE10hipError_tPvRmT3_T4_T5_T6_T7_T9_mT8_P12ihipStream_tbDpT10_ENKUlT_T0_E_clISt17integral_constantIbLb0EES17_EEDaS12_S13_EUlS12_E_NS1_11comp_targetILNS1_3genE5ELNS1_11target_archE942ELNS1_3gpuE9ELNS1_3repE0EEENS1_30default_config_static_selectorELNS0_4arch9wavefront6targetE0EEEvT1_
; %bb.0:
	.section	.rodata,"a",@progbits
	.p2align	6, 0x0
	.amdhsa_kernel _ZN7rocprim17ROCPRIM_400000_NS6detail17trampoline_kernelINS0_14default_configENS1_25partition_config_selectorILNS1_17partition_subalgoE8EfNS0_10empty_typeEbEEZZNS1_14partition_implILS5_8ELb0ES3_jPKfPS6_PKS6_NS0_5tupleIJPfS6_EEENSE_IJSB_SB_EEENS0_18inequality_wrapperIN6hipcub16HIPCUB_304000_NS8EqualityEEEPlJS6_EEE10hipError_tPvRmT3_T4_T5_T6_T7_T9_mT8_P12ihipStream_tbDpT10_ENKUlT_T0_E_clISt17integral_constantIbLb0EES17_EEDaS12_S13_EUlS12_E_NS1_11comp_targetILNS1_3genE5ELNS1_11target_archE942ELNS1_3gpuE9ELNS1_3repE0EEENS1_30default_config_static_selectorELNS0_4arch9wavefront6targetE0EEEvT1_
		.amdhsa_group_segment_fixed_size 0
		.amdhsa_private_segment_fixed_size 0
		.amdhsa_kernarg_size 112
		.amdhsa_user_sgpr_count 2
		.amdhsa_user_sgpr_dispatch_ptr 0
		.amdhsa_user_sgpr_queue_ptr 0
		.amdhsa_user_sgpr_kernarg_segment_ptr 1
		.amdhsa_user_sgpr_dispatch_id 0
		.amdhsa_user_sgpr_kernarg_preload_length 0
		.amdhsa_user_sgpr_kernarg_preload_offset 0
		.amdhsa_user_sgpr_private_segment_size 0
		.amdhsa_wavefront_size32 1
		.amdhsa_uses_dynamic_stack 0
		.amdhsa_enable_private_segment 0
		.amdhsa_system_sgpr_workgroup_id_x 1
		.amdhsa_system_sgpr_workgroup_id_y 0
		.amdhsa_system_sgpr_workgroup_id_z 0
		.amdhsa_system_sgpr_workgroup_info 0
		.amdhsa_system_vgpr_workitem_id 0
		.amdhsa_next_free_vgpr 1
		.amdhsa_next_free_sgpr 1
		.amdhsa_named_barrier_count 0
		.amdhsa_reserve_vcc 0
		.amdhsa_float_round_mode_32 0
		.amdhsa_float_round_mode_16_64 0
		.amdhsa_float_denorm_mode_32 3
		.amdhsa_float_denorm_mode_16_64 3
		.amdhsa_fp16_overflow 0
		.amdhsa_memory_ordered 1
		.amdhsa_forward_progress 1
		.amdhsa_inst_pref_size 0
		.amdhsa_round_robin_scheduling 0
		.amdhsa_exception_fp_ieee_invalid_op 0
		.amdhsa_exception_fp_denorm_src 0
		.amdhsa_exception_fp_ieee_div_zero 0
		.amdhsa_exception_fp_ieee_overflow 0
		.amdhsa_exception_fp_ieee_underflow 0
		.amdhsa_exception_fp_ieee_inexact 0
		.amdhsa_exception_int_div_zero 0
	.end_amdhsa_kernel
	.section	.text._ZN7rocprim17ROCPRIM_400000_NS6detail17trampoline_kernelINS0_14default_configENS1_25partition_config_selectorILNS1_17partition_subalgoE8EfNS0_10empty_typeEbEEZZNS1_14partition_implILS5_8ELb0ES3_jPKfPS6_PKS6_NS0_5tupleIJPfS6_EEENSE_IJSB_SB_EEENS0_18inequality_wrapperIN6hipcub16HIPCUB_304000_NS8EqualityEEEPlJS6_EEE10hipError_tPvRmT3_T4_T5_T6_T7_T9_mT8_P12ihipStream_tbDpT10_ENKUlT_T0_E_clISt17integral_constantIbLb0EES17_EEDaS12_S13_EUlS12_E_NS1_11comp_targetILNS1_3genE5ELNS1_11target_archE942ELNS1_3gpuE9ELNS1_3repE0EEENS1_30default_config_static_selectorELNS0_4arch9wavefront6targetE0EEEvT1_,"axG",@progbits,_ZN7rocprim17ROCPRIM_400000_NS6detail17trampoline_kernelINS0_14default_configENS1_25partition_config_selectorILNS1_17partition_subalgoE8EfNS0_10empty_typeEbEEZZNS1_14partition_implILS5_8ELb0ES3_jPKfPS6_PKS6_NS0_5tupleIJPfS6_EEENSE_IJSB_SB_EEENS0_18inequality_wrapperIN6hipcub16HIPCUB_304000_NS8EqualityEEEPlJS6_EEE10hipError_tPvRmT3_T4_T5_T6_T7_T9_mT8_P12ihipStream_tbDpT10_ENKUlT_T0_E_clISt17integral_constantIbLb0EES17_EEDaS12_S13_EUlS12_E_NS1_11comp_targetILNS1_3genE5ELNS1_11target_archE942ELNS1_3gpuE9ELNS1_3repE0EEENS1_30default_config_static_selectorELNS0_4arch9wavefront6targetE0EEEvT1_,comdat
.Lfunc_end342:
	.size	_ZN7rocprim17ROCPRIM_400000_NS6detail17trampoline_kernelINS0_14default_configENS1_25partition_config_selectorILNS1_17partition_subalgoE8EfNS0_10empty_typeEbEEZZNS1_14partition_implILS5_8ELb0ES3_jPKfPS6_PKS6_NS0_5tupleIJPfS6_EEENSE_IJSB_SB_EEENS0_18inequality_wrapperIN6hipcub16HIPCUB_304000_NS8EqualityEEEPlJS6_EEE10hipError_tPvRmT3_T4_T5_T6_T7_T9_mT8_P12ihipStream_tbDpT10_ENKUlT_T0_E_clISt17integral_constantIbLb0EES17_EEDaS12_S13_EUlS12_E_NS1_11comp_targetILNS1_3genE5ELNS1_11target_archE942ELNS1_3gpuE9ELNS1_3repE0EEENS1_30default_config_static_selectorELNS0_4arch9wavefront6targetE0EEEvT1_, .Lfunc_end342-_ZN7rocprim17ROCPRIM_400000_NS6detail17trampoline_kernelINS0_14default_configENS1_25partition_config_selectorILNS1_17partition_subalgoE8EfNS0_10empty_typeEbEEZZNS1_14partition_implILS5_8ELb0ES3_jPKfPS6_PKS6_NS0_5tupleIJPfS6_EEENSE_IJSB_SB_EEENS0_18inequality_wrapperIN6hipcub16HIPCUB_304000_NS8EqualityEEEPlJS6_EEE10hipError_tPvRmT3_T4_T5_T6_T7_T9_mT8_P12ihipStream_tbDpT10_ENKUlT_T0_E_clISt17integral_constantIbLb0EES17_EEDaS12_S13_EUlS12_E_NS1_11comp_targetILNS1_3genE5ELNS1_11target_archE942ELNS1_3gpuE9ELNS1_3repE0EEENS1_30default_config_static_selectorELNS0_4arch9wavefront6targetE0EEEvT1_
                                        ; -- End function
	.set _ZN7rocprim17ROCPRIM_400000_NS6detail17trampoline_kernelINS0_14default_configENS1_25partition_config_selectorILNS1_17partition_subalgoE8EfNS0_10empty_typeEbEEZZNS1_14partition_implILS5_8ELb0ES3_jPKfPS6_PKS6_NS0_5tupleIJPfS6_EEENSE_IJSB_SB_EEENS0_18inequality_wrapperIN6hipcub16HIPCUB_304000_NS8EqualityEEEPlJS6_EEE10hipError_tPvRmT3_T4_T5_T6_T7_T9_mT8_P12ihipStream_tbDpT10_ENKUlT_T0_E_clISt17integral_constantIbLb0EES17_EEDaS12_S13_EUlS12_E_NS1_11comp_targetILNS1_3genE5ELNS1_11target_archE942ELNS1_3gpuE9ELNS1_3repE0EEENS1_30default_config_static_selectorELNS0_4arch9wavefront6targetE0EEEvT1_.num_vgpr, 0
	.set _ZN7rocprim17ROCPRIM_400000_NS6detail17trampoline_kernelINS0_14default_configENS1_25partition_config_selectorILNS1_17partition_subalgoE8EfNS0_10empty_typeEbEEZZNS1_14partition_implILS5_8ELb0ES3_jPKfPS6_PKS6_NS0_5tupleIJPfS6_EEENSE_IJSB_SB_EEENS0_18inequality_wrapperIN6hipcub16HIPCUB_304000_NS8EqualityEEEPlJS6_EEE10hipError_tPvRmT3_T4_T5_T6_T7_T9_mT8_P12ihipStream_tbDpT10_ENKUlT_T0_E_clISt17integral_constantIbLb0EES17_EEDaS12_S13_EUlS12_E_NS1_11comp_targetILNS1_3genE5ELNS1_11target_archE942ELNS1_3gpuE9ELNS1_3repE0EEENS1_30default_config_static_selectorELNS0_4arch9wavefront6targetE0EEEvT1_.num_agpr, 0
	.set _ZN7rocprim17ROCPRIM_400000_NS6detail17trampoline_kernelINS0_14default_configENS1_25partition_config_selectorILNS1_17partition_subalgoE8EfNS0_10empty_typeEbEEZZNS1_14partition_implILS5_8ELb0ES3_jPKfPS6_PKS6_NS0_5tupleIJPfS6_EEENSE_IJSB_SB_EEENS0_18inequality_wrapperIN6hipcub16HIPCUB_304000_NS8EqualityEEEPlJS6_EEE10hipError_tPvRmT3_T4_T5_T6_T7_T9_mT8_P12ihipStream_tbDpT10_ENKUlT_T0_E_clISt17integral_constantIbLb0EES17_EEDaS12_S13_EUlS12_E_NS1_11comp_targetILNS1_3genE5ELNS1_11target_archE942ELNS1_3gpuE9ELNS1_3repE0EEENS1_30default_config_static_selectorELNS0_4arch9wavefront6targetE0EEEvT1_.numbered_sgpr, 0
	.set _ZN7rocprim17ROCPRIM_400000_NS6detail17trampoline_kernelINS0_14default_configENS1_25partition_config_selectorILNS1_17partition_subalgoE8EfNS0_10empty_typeEbEEZZNS1_14partition_implILS5_8ELb0ES3_jPKfPS6_PKS6_NS0_5tupleIJPfS6_EEENSE_IJSB_SB_EEENS0_18inequality_wrapperIN6hipcub16HIPCUB_304000_NS8EqualityEEEPlJS6_EEE10hipError_tPvRmT3_T4_T5_T6_T7_T9_mT8_P12ihipStream_tbDpT10_ENKUlT_T0_E_clISt17integral_constantIbLb0EES17_EEDaS12_S13_EUlS12_E_NS1_11comp_targetILNS1_3genE5ELNS1_11target_archE942ELNS1_3gpuE9ELNS1_3repE0EEENS1_30default_config_static_selectorELNS0_4arch9wavefront6targetE0EEEvT1_.num_named_barrier, 0
	.set _ZN7rocprim17ROCPRIM_400000_NS6detail17trampoline_kernelINS0_14default_configENS1_25partition_config_selectorILNS1_17partition_subalgoE8EfNS0_10empty_typeEbEEZZNS1_14partition_implILS5_8ELb0ES3_jPKfPS6_PKS6_NS0_5tupleIJPfS6_EEENSE_IJSB_SB_EEENS0_18inequality_wrapperIN6hipcub16HIPCUB_304000_NS8EqualityEEEPlJS6_EEE10hipError_tPvRmT3_T4_T5_T6_T7_T9_mT8_P12ihipStream_tbDpT10_ENKUlT_T0_E_clISt17integral_constantIbLb0EES17_EEDaS12_S13_EUlS12_E_NS1_11comp_targetILNS1_3genE5ELNS1_11target_archE942ELNS1_3gpuE9ELNS1_3repE0EEENS1_30default_config_static_selectorELNS0_4arch9wavefront6targetE0EEEvT1_.private_seg_size, 0
	.set _ZN7rocprim17ROCPRIM_400000_NS6detail17trampoline_kernelINS0_14default_configENS1_25partition_config_selectorILNS1_17partition_subalgoE8EfNS0_10empty_typeEbEEZZNS1_14partition_implILS5_8ELb0ES3_jPKfPS6_PKS6_NS0_5tupleIJPfS6_EEENSE_IJSB_SB_EEENS0_18inequality_wrapperIN6hipcub16HIPCUB_304000_NS8EqualityEEEPlJS6_EEE10hipError_tPvRmT3_T4_T5_T6_T7_T9_mT8_P12ihipStream_tbDpT10_ENKUlT_T0_E_clISt17integral_constantIbLb0EES17_EEDaS12_S13_EUlS12_E_NS1_11comp_targetILNS1_3genE5ELNS1_11target_archE942ELNS1_3gpuE9ELNS1_3repE0EEENS1_30default_config_static_selectorELNS0_4arch9wavefront6targetE0EEEvT1_.uses_vcc, 0
	.set _ZN7rocprim17ROCPRIM_400000_NS6detail17trampoline_kernelINS0_14default_configENS1_25partition_config_selectorILNS1_17partition_subalgoE8EfNS0_10empty_typeEbEEZZNS1_14partition_implILS5_8ELb0ES3_jPKfPS6_PKS6_NS0_5tupleIJPfS6_EEENSE_IJSB_SB_EEENS0_18inequality_wrapperIN6hipcub16HIPCUB_304000_NS8EqualityEEEPlJS6_EEE10hipError_tPvRmT3_T4_T5_T6_T7_T9_mT8_P12ihipStream_tbDpT10_ENKUlT_T0_E_clISt17integral_constantIbLb0EES17_EEDaS12_S13_EUlS12_E_NS1_11comp_targetILNS1_3genE5ELNS1_11target_archE942ELNS1_3gpuE9ELNS1_3repE0EEENS1_30default_config_static_selectorELNS0_4arch9wavefront6targetE0EEEvT1_.uses_flat_scratch, 0
	.set _ZN7rocprim17ROCPRIM_400000_NS6detail17trampoline_kernelINS0_14default_configENS1_25partition_config_selectorILNS1_17partition_subalgoE8EfNS0_10empty_typeEbEEZZNS1_14partition_implILS5_8ELb0ES3_jPKfPS6_PKS6_NS0_5tupleIJPfS6_EEENSE_IJSB_SB_EEENS0_18inequality_wrapperIN6hipcub16HIPCUB_304000_NS8EqualityEEEPlJS6_EEE10hipError_tPvRmT3_T4_T5_T6_T7_T9_mT8_P12ihipStream_tbDpT10_ENKUlT_T0_E_clISt17integral_constantIbLb0EES17_EEDaS12_S13_EUlS12_E_NS1_11comp_targetILNS1_3genE5ELNS1_11target_archE942ELNS1_3gpuE9ELNS1_3repE0EEENS1_30default_config_static_selectorELNS0_4arch9wavefront6targetE0EEEvT1_.has_dyn_sized_stack, 0
	.set _ZN7rocprim17ROCPRIM_400000_NS6detail17trampoline_kernelINS0_14default_configENS1_25partition_config_selectorILNS1_17partition_subalgoE8EfNS0_10empty_typeEbEEZZNS1_14partition_implILS5_8ELb0ES3_jPKfPS6_PKS6_NS0_5tupleIJPfS6_EEENSE_IJSB_SB_EEENS0_18inequality_wrapperIN6hipcub16HIPCUB_304000_NS8EqualityEEEPlJS6_EEE10hipError_tPvRmT3_T4_T5_T6_T7_T9_mT8_P12ihipStream_tbDpT10_ENKUlT_T0_E_clISt17integral_constantIbLb0EES17_EEDaS12_S13_EUlS12_E_NS1_11comp_targetILNS1_3genE5ELNS1_11target_archE942ELNS1_3gpuE9ELNS1_3repE0EEENS1_30default_config_static_selectorELNS0_4arch9wavefront6targetE0EEEvT1_.has_recursion, 0
	.set _ZN7rocprim17ROCPRIM_400000_NS6detail17trampoline_kernelINS0_14default_configENS1_25partition_config_selectorILNS1_17partition_subalgoE8EfNS0_10empty_typeEbEEZZNS1_14partition_implILS5_8ELb0ES3_jPKfPS6_PKS6_NS0_5tupleIJPfS6_EEENSE_IJSB_SB_EEENS0_18inequality_wrapperIN6hipcub16HIPCUB_304000_NS8EqualityEEEPlJS6_EEE10hipError_tPvRmT3_T4_T5_T6_T7_T9_mT8_P12ihipStream_tbDpT10_ENKUlT_T0_E_clISt17integral_constantIbLb0EES17_EEDaS12_S13_EUlS12_E_NS1_11comp_targetILNS1_3genE5ELNS1_11target_archE942ELNS1_3gpuE9ELNS1_3repE0EEENS1_30default_config_static_selectorELNS0_4arch9wavefront6targetE0EEEvT1_.has_indirect_call, 0
	.section	.AMDGPU.csdata,"",@progbits
; Kernel info:
; codeLenInByte = 0
; TotalNumSgprs: 0
; NumVgprs: 0
; ScratchSize: 0
; MemoryBound: 0
; FloatMode: 240
; IeeeMode: 1
; LDSByteSize: 0 bytes/workgroup (compile time only)
; SGPRBlocks: 0
; VGPRBlocks: 0
; NumSGPRsForWavesPerEU: 1
; NumVGPRsForWavesPerEU: 1
; NamedBarCnt: 0
; Occupancy: 16
; WaveLimiterHint : 0
; COMPUTE_PGM_RSRC2:SCRATCH_EN: 0
; COMPUTE_PGM_RSRC2:USER_SGPR: 2
; COMPUTE_PGM_RSRC2:TRAP_HANDLER: 0
; COMPUTE_PGM_RSRC2:TGID_X_EN: 1
; COMPUTE_PGM_RSRC2:TGID_Y_EN: 0
; COMPUTE_PGM_RSRC2:TGID_Z_EN: 0
; COMPUTE_PGM_RSRC2:TIDIG_COMP_CNT: 0
	.section	.text._ZN7rocprim17ROCPRIM_400000_NS6detail17trampoline_kernelINS0_14default_configENS1_25partition_config_selectorILNS1_17partition_subalgoE8EfNS0_10empty_typeEbEEZZNS1_14partition_implILS5_8ELb0ES3_jPKfPS6_PKS6_NS0_5tupleIJPfS6_EEENSE_IJSB_SB_EEENS0_18inequality_wrapperIN6hipcub16HIPCUB_304000_NS8EqualityEEEPlJS6_EEE10hipError_tPvRmT3_T4_T5_T6_T7_T9_mT8_P12ihipStream_tbDpT10_ENKUlT_T0_E_clISt17integral_constantIbLb0EES17_EEDaS12_S13_EUlS12_E_NS1_11comp_targetILNS1_3genE4ELNS1_11target_archE910ELNS1_3gpuE8ELNS1_3repE0EEENS1_30default_config_static_selectorELNS0_4arch9wavefront6targetE0EEEvT1_,"axG",@progbits,_ZN7rocprim17ROCPRIM_400000_NS6detail17trampoline_kernelINS0_14default_configENS1_25partition_config_selectorILNS1_17partition_subalgoE8EfNS0_10empty_typeEbEEZZNS1_14partition_implILS5_8ELb0ES3_jPKfPS6_PKS6_NS0_5tupleIJPfS6_EEENSE_IJSB_SB_EEENS0_18inequality_wrapperIN6hipcub16HIPCUB_304000_NS8EqualityEEEPlJS6_EEE10hipError_tPvRmT3_T4_T5_T6_T7_T9_mT8_P12ihipStream_tbDpT10_ENKUlT_T0_E_clISt17integral_constantIbLb0EES17_EEDaS12_S13_EUlS12_E_NS1_11comp_targetILNS1_3genE4ELNS1_11target_archE910ELNS1_3gpuE8ELNS1_3repE0EEENS1_30default_config_static_selectorELNS0_4arch9wavefront6targetE0EEEvT1_,comdat
	.protected	_ZN7rocprim17ROCPRIM_400000_NS6detail17trampoline_kernelINS0_14default_configENS1_25partition_config_selectorILNS1_17partition_subalgoE8EfNS0_10empty_typeEbEEZZNS1_14partition_implILS5_8ELb0ES3_jPKfPS6_PKS6_NS0_5tupleIJPfS6_EEENSE_IJSB_SB_EEENS0_18inequality_wrapperIN6hipcub16HIPCUB_304000_NS8EqualityEEEPlJS6_EEE10hipError_tPvRmT3_T4_T5_T6_T7_T9_mT8_P12ihipStream_tbDpT10_ENKUlT_T0_E_clISt17integral_constantIbLb0EES17_EEDaS12_S13_EUlS12_E_NS1_11comp_targetILNS1_3genE4ELNS1_11target_archE910ELNS1_3gpuE8ELNS1_3repE0EEENS1_30default_config_static_selectorELNS0_4arch9wavefront6targetE0EEEvT1_ ; -- Begin function _ZN7rocprim17ROCPRIM_400000_NS6detail17trampoline_kernelINS0_14default_configENS1_25partition_config_selectorILNS1_17partition_subalgoE8EfNS0_10empty_typeEbEEZZNS1_14partition_implILS5_8ELb0ES3_jPKfPS6_PKS6_NS0_5tupleIJPfS6_EEENSE_IJSB_SB_EEENS0_18inequality_wrapperIN6hipcub16HIPCUB_304000_NS8EqualityEEEPlJS6_EEE10hipError_tPvRmT3_T4_T5_T6_T7_T9_mT8_P12ihipStream_tbDpT10_ENKUlT_T0_E_clISt17integral_constantIbLb0EES17_EEDaS12_S13_EUlS12_E_NS1_11comp_targetILNS1_3genE4ELNS1_11target_archE910ELNS1_3gpuE8ELNS1_3repE0EEENS1_30default_config_static_selectorELNS0_4arch9wavefront6targetE0EEEvT1_
	.globl	_ZN7rocprim17ROCPRIM_400000_NS6detail17trampoline_kernelINS0_14default_configENS1_25partition_config_selectorILNS1_17partition_subalgoE8EfNS0_10empty_typeEbEEZZNS1_14partition_implILS5_8ELb0ES3_jPKfPS6_PKS6_NS0_5tupleIJPfS6_EEENSE_IJSB_SB_EEENS0_18inequality_wrapperIN6hipcub16HIPCUB_304000_NS8EqualityEEEPlJS6_EEE10hipError_tPvRmT3_T4_T5_T6_T7_T9_mT8_P12ihipStream_tbDpT10_ENKUlT_T0_E_clISt17integral_constantIbLb0EES17_EEDaS12_S13_EUlS12_E_NS1_11comp_targetILNS1_3genE4ELNS1_11target_archE910ELNS1_3gpuE8ELNS1_3repE0EEENS1_30default_config_static_selectorELNS0_4arch9wavefront6targetE0EEEvT1_
	.p2align	8
	.type	_ZN7rocprim17ROCPRIM_400000_NS6detail17trampoline_kernelINS0_14default_configENS1_25partition_config_selectorILNS1_17partition_subalgoE8EfNS0_10empty_typeEbEEZZNS1_14partition_implILS5_8ELb0ES3_jPKfPS6_PKS6_NS0_5tupleIJPfS6_EEENSE_IJSB_SB_EEENS0_18inequality_wrapperIN6hipcub16HIPCUB_304000_NS8EqualityEEEPlJS6_EEE10hipError_tPvRmT3_T4_T5_T6_T7_T9_mT8_P12ihipStream_tbDpT10_ENKUlT_T0_E_clISt17integral_constantIbLb0EES17_EEDaS12_S13_EUlS12_E_NS1_11comp_targetILNS1_3genE4ELNS1_11target_archE910ELNS1_3gpuE8ELNS1_3repE0EEENS1_30default_config_static_selectorELNS0_4arch9wavefront6targetE0EEEvT1_,@function
_ZN7rocprim17ROCPRIM_400000_NS6detail17trampoline_kernelINS0_14default_configENS1_25partition_config_selectorILNS1_17partition_subalgoE8EfNS0_10empty_typeEbEEZZNS1_14partition_implILS5_8ELb0ES3_jPKfPS6_PKS6_NS0_5tupleIJPfS6_EEENSE_IJSB_SB_EEENS0_18inequality_wrapperIN6hipcub16HIPCUB_304000_NS8EqualityEEEPlJS6_EEE10hipError_tPvRmT3_T4_T5_T6_T7_T9_mT8_P12ihipStream_tbDpT10_ENKUlT_T0_E_clISt17integral_constantIbLb0EES17_EEDaS12_S13_EUlS12_E_NS1_11comp_targetILNS1_3genE4ELNS1_11target_archE910ELNS1_3gpuE8ELNS1_3repE0EEENS1_30default_config_static_selectorELNS0_4arch9wavefront6targetE0EEEvT1_: ; @_ZN7rocprim17ROCPRIM_400000_NS6detail17trampoline_kernelINS0_14default_configENS1_25partition_config_selectorILNS1_17partition_subalgoE8EfNS0_10empty_typeEbEEZZNS1_14partition_implILS5_8ELb0ES3_jPKfPS6_PKS6_NS0_5tupleIJPfS6_EEENSE_IJSB_SB_EEENS0_18inequality_wrapperIN6hipcub16HIPCUB_304000_NS8EqualityEEEPlJS6_EEE10hipError_tPvRmT3_T4_T5_T6_T7_T9_mT8_P12ihipStream_tbDpT10_ENKUlT_T0_E_clISt17integral_constantIbLb0EES17_EEDaS12_S13_EUlS12_E_NS1_11comp_targetILNS1_3genE4ELNS1_11target_archE910ELNS1_3gpuE8ELNS1_3repE0EEENS1_30default_config_static_selectorELNS0_4arch9wavefront6targetE0EEEvT1_
; %bb.0:
	.section	.rodata,"a",@progbits
	.p2align	6, 0x0
	.amdhsa_kernel _ZN7rocprim17ROCPRIM_400000_NS6detail17trampoline_kernelINS0_14default_configENS1_25partition_config_selectorILNS1_17partition_subalgoE8EfNS0_10empty_typeEbEEZZNS1_14partition_implILS5_8ELb0ES3_jPKfPS6_PKS6_NS0_5tupleIJPfS6_EEENSE_IJSB_SB_EEENS0_18inequality_wrapperIN6hipcub16HIPCUB_304000_NS8EqualityEEEPlJS6_EEE10hipError_tPvRmT3_T4_T5_T6_T7_T9_mT8_P12ihipStream_tbDpT10_ENKUlT_T0_E_clISt17integral_constantIbLb0EES17_EEDaS12_S13_EUlS12_E_NS1_11comp_targetILNS1_3genE4ELNS1_11target_archE910ELNS1_3gpuE8ELNS1_3repE0EEENS1_30default_config_static_selectorELNS0_4arch9wavefront6targetE0EEEvT1_
		.amdhsa_group_segment_fixed_size 0
		.amdhsa_private_segment_fixed_size 0
		.amdhsa_kernarg_size 112
		.amdhsa_user_sgpr_count 2
		.amdhsa_user_sgpr_dispatch_ptr 0
		.amdhsa_user_sgpr_queue_ptr 0
		.amdhsa_user_sgpr_kernarg_segment_ptr 1
		.amdhsa_user_sgpr_dispatch_id 0
		.amdhsa_user_sgpr_kernarg_preload_length 0
		.amdhsa_user_sgpr_kernarg_preload_offset 0
		.amdhsa_user_sgpr_private_segment_size 0
		.amdhsa_wavefront_size32 1
		.amdhsa_uses_dynamic_stack 0
		.amdhsa_enable_private_segment 0
		.amdhsa_system_sgpr_workgroup_id_x 1
		.amdhsa_system_sgpr_workgroup_id_y 0
		.amdhsa_system_sgpr_workgroup_id_z 0
		.amdhsa_system_sgpr_workgroup_info 0
		.amdhsa_system_vgpr_workitem_id 0
		.amdhsa_next_free_vgpr 1
		.amdhsa_next_free_sgpr 1
		.amdhsa_named_barrier_count 0
		.amdhsa_reserve_vcc 0
		.amdhsa_float_round_mode_32 0
		.amdhsa_float_round_mode_16_64 0
		.amdhsa_float_denorm_mode_32 3
		.amdhsa_float_denorm_mode_16_64 3
		.amdhsa_fp16_overflow 0
		.amdhsa_memory_ordered 1
		.amdhsa_forward_progress 1
		.amdhsa_inst_pref_size 0
		.amdhsa_round_robin_scheduling 0
		.amdhsa_exception_fp_ieee_invalid_op 0
		.amdhsa_exception_fp_denorm_src 0
		.amdhsa_exception_fp_ieee_div_zero 0
		.amdhsa_exception_fp_ieee_overflow 0
		.amdhsa_exception_fp_ieee_underflow 0
		.amdhsa_exception_fp_ieee_inexact 0
		.amdhsa_exception_int_div_zero 0
	.end_amdhsa_kernel
	.section	.text._ZN7rocprim17ROCPRIM_400000_NS6detail17trampoline_kernelINS0_14default_configENS1_25partition_config_selectorILNS1_17partition_subalgoE8EfNS0_10empty_typeEbEEZZNS1_14partition_implILS5_8ELb0ES3_jPKfPS6_PKS6_NS0_5tupleIJPfS6_EEENSE_IJSB_SB_EEENS0_18inequality_wrapperIN6hipcub16HIPCUB_304000_NS8EqualityEEEPlJS6_EEE10hipError_tPvRmT3_T4_T5_T6_T7_T9_mT8_P12ihipStream_tbDpT10_ENKUlT_T0_E_clISt17integral_constantIbLb0EES17_EEDaS12_S13_EUlS12_E_NS1_11comp_targetILNS1_3genE4ELNS1_11target_archE910ELNS1_3gpuE8ELNS1_3repE0EEENS1_30default_config_static_selectorELNS0_4arch9wavefront6targetE0EEEvT1_,"axG",@progbits,_ZN7rocprim17ROCPRIM_400000_NS6detail17trampoline_kernelINS0_14default_configENS1_25partition_config_selectorILNS1_17partition_subalgoE8EfNS0_10empty_typeEbEEZZNS1_14partition_implILS5_8ELb0ES3_jPKfPS6_PKS6_NS0_5tupleIJPfS6_EEENSE_IJSB_SB_EEENS0_18inequality_wrapperIN6hipcub16HIPCUB_304000_NS8EqualityEEEPlJS6_EEE10hipError_tPvRmT3_T4_T5_T6_T7_T9_mT8_P12ihipStream_tbDpT10_ENKUlT_T0_E_clISt17integral_constantIbLb0EES17_EEDaS12_S13_EUlS12_E_NS1_11comp_targetILNS1_3genE4ELNS1_11target_archE910ELNS1_3gpuE8ELNS1_3repE0EEENS1_30default_config_static_selectorELNS0_4arch9wavefront6targetE0EEEvT1_,comdat
.Lfunc_end343:
	.size	_ZN7rocprim17ROCPRIM_400000_NS6detail17trampoline_kernelINS0_14default_configENS1_25partition_config_selectorILNS1_17partition_subalgoE8EfNS0_10empty_typeEbEEZZNS1_14partition_implILS5_8ELb0ES3_jPKfPS6_PKS6_NS0_5tupleIJPfS6_EEENSE_IJSB_SB_EEENS0_18inequality_wrapperIN6hipcub16HIPCUB_304000_NS8EqualityEEEPlJS6_EEE10hipError_tPvRmT3_T4_T5_T6_T7_T9_mT8_P12ihipStream_tbDpT10_ENKUlT_T0_E_clISt17integral_constantIbLb0EES17_EEDaS12_S13_EUlS12_E_NS1_11comp_targetILNS1_3genE4ELNS1_11target_archE910ELNS1_3gpuE8ELNS1_3repE0EEENS1_30default_config_static_selectorELNS0_4arch9wavefront6targetE0EEEvT1_, .Lfunc_end343-_ZN7rocprim17ROCPRIM_400000_NS6detail17trampoline_kernelINS0_14default_configENS1_25partition_config_selectorILNS1_17partition_subalgoE8EfNS0_10empty_typeEbEEZZNS1_14partition_implILS5_8ELb0ES3_jPKfPS6_PKS6_NS0_5tupleIJPfS6_EEENSE_IJSB_SB_EEENS0_18inequality_wrapperIN6hipcub16HIPCUB_304000_NS8EqualityEEEPlJS6_EEE10hipError_tPvRmT3_T4_T5_T6_T7_T9_mT8_P12ihipStream_tbDpT10_ENKUlT_T0_E_clISt17integral_constantIbLb0EES17_EEDaS12_S13_EUlS12_E_NS1_11comp_targetILNS1_3genE4ELNS1_11target_archE910ELNS1_3gpuE8ELNS1_3repE0EEENS1_30default_config_static_selectorELNS0_4arch9wavefront6targetE0EEEvT1_
                                        ; -- End function
	.set _ZN7rocprim17ROCPRIM_400000_NS6detail17trampoline_kernelINS0_14default_configENS1_25partition_config_selectorILNS1_17partition_subalgoE8EfNS0_10empty_typeEbEEZZNS1_14partition_implILS5_8ELb0ES3_jPKfPS6_PKS6_NS0_5tupleIJPfS6_EEENSE_IJSB_SB_EEENS0_18inequality_wrapperIN6hipcub16HIPCUB_304000_NS8EqualityEEEPlJS6_EEE10hipError_tPvRmT3_T4_T5_T6_T7_T9_mT8_P12ihipStream_tbDpT10_ENKUlT_T0_E_clISt17integral_constantIbLb0EES17_EEDaS12_S13_EUlS12_E_NS1_11comp_targetILNS1_3genE4ELNS1_11target_archE910ELNS1_3gpuE8ELNS1_3repE0EEENS1_30default_config_static_selectorELNS0_4arch9wavefront6targetE0EEEvT1_.num_vgpr, 0
	.set _ZN7rocprim17ROCPRIM_400000_NS6detail17trampoline_kernelINS0_14default_configENS1_25partition_config_selectorILNS1_17partition_subalgoE8EfNS0_10empty_typeEbEEZZNS1_14partition_implILS5_8ELb0ES3_jPKfPS6_PKS6_NS0_5tupleIJPfS6_EEENSE_IJSB_SB_EEENS0_18inequality_wrapperIN6hipcub16HIPCUB_304000_NS8EqualityEEEPlJS6_EEE10hipError_tPvRmT3_T4_T5_T6_T7_T9_mT8_P12ihipStream_tbDpT10_ENKUlT_T0_E_clISt17integral_constantIbLb0EES17_EEDaS12_S13_EUlS12_E_NS1_11comp_targetILNS1_3genE4ELNS1_11target_archE910ELNS1_3gpuE8ELNS1_3repE0EEENS1_30default_config_static_selectorELNS0_4arch9wavefront6targetE0EEEvT1_.num_agpr, 0
	.set _ZN7rocprim17ROCPRIM_400000_NS6detail17trampoline_kernelINS0_14default_configENS1_25partition_config_selectorILNS1_17partition_subalgoE8EfNS0_10empty_typeEbEEZZNS1_14partition_implILS5_8ELb0ES3_jPKfPS6_PKS6_NS0_5tupleIJPfS6_EEENSE_IJSB_SB_EEENS0_18inequality_wrapperIN6hipcub16HIPCUB_304000_NS8EqualityEEEPlJS6_EEE10hipError_tPvRmT3_T4_T5_T6_T7_T9_mT8_P12ihipStream_tbDpT10_ENKUlT_T0_E_clISt17integral_constantIbLb0EES17_EEDaS12_S13_EUlS12_E_NS1_11comp_targetILNS1_3genE4ELNS1_11target_archE910ELNS1_3gpuE8ELNS1_3repE0EEENS1_30default_config_static_selectorELNS0_4arch9wavefront6targetE0EEEvT1_.numbered_sgpr, 0
	.set _ZN7rocprim17ROCPRIM_400000_NS6detail17trampoline_kernelINS0_14default_configENS1_25partition_config_selectorILNS1_17partition_subalgoE8EfNS0_10empty_typeEbEEZZNS1_14partition_implILS5_8ELb0ES3_jPKfPS6_PKS6_NS0_5tupleIJPfS6_EEENSE_IJSB_SB_EEENS0_18inequality_wrapperIN6hipcub16HIPCUB_304000_NS8EqualityEEEPlJS6_EEE10hipError_tPvRmT3_T4_T5_T6_T7_T9_mT8_P12ihipStream_tbDpT10_ENKUlT_T0_E_clISt17integral_constantIbLb0EES17_EEDaS12_S13_EUlS12_E_NS1_11comp_targetILNS1_3genE4ELNS1_11target_archE910ELNS1_3gpuE8ELNS1_3repE0EEENS1_30default_config_static_selectorELNS0_4arch9wavefront6targetE0EEEvT1_.num_named_barrier, 0
	.set _ZN7rocprim17ROCPRIM_400000_NS6detail17trampoline_kernelINS0_14default_configENS1_25partition_config_selectorILNS1_17partition_subalgoE8EfNS0_10empty_typeEbEEZZNS1_14partition_implILS5_8ELb0ES3_jPKfPS6_PKS6_NS0_5tupleIJPfS6_EEENSE_IJSB_SB_EEENS0_18inequality_wrapperIN6hipcub16HIPCUB_304000_NS8EqualityEEEPlJS6_EEE10hipError_tPvRmT3_T4_T5_T6_T7_T9_mT8_P12ihipStream_tbDpT10_ENKUlT_T0_E_clISt17integral_constantIbLb0EES17_EEDaS12_S13_EUlS12_E_NS1_11comp_targetILNS1_3genE4ELNS1_11target_archE910ELNS1_3gpuE8ELNS1_3repE0EEENS1_30default_config_static_selectorELNS0_4arch9wavefront6targetE0EEEvT1_.private_seg_size, 0
	.set _ZN7rocprim17ROCPRIM_400000_NS6detail17trampoline_kernelINS0_14default_configENS1_25partition_config_selectorILNS1_17partition_subalgoE8EfNS0_10empty_typeEbEEZZNS1_14partition_implILS5_8ELb0ES3_jPKfPS6_PKS6_NS0_5tupleIJPfS6_EEENSE_IJSB_SB_EEENS0_18inequality_wrapperIN6hipcub16HIPCUB_304000_NS8EqualityEEEPlJS6_EEE10hipError_tPvRmT3_T4_T5_T6_T7_T9_mT8_P12ihipStream_tbDpT10_ENKUlT_T0_E_clISt17integral_constantIbLb0EES17_EEDaS12_S13_EUlS12_E_NS1_11comp_targetILNS1_3genE4ELNS1_11target_archE910ELNS1_3gpuE8ELNS1_3repE0EEENS1_30default_config_static_selectorELNS0_4arch9wavefront6targetE0EEEvT1_.uses_vcc, 0
	.set _ZN7rocprim17ROCPRIM_400000_NS6detail17trampoline_kernelINS0_14default_configENS1_25partition_config_selectorILNS1_17partition_subalgoE8EfNS0_10empty_typeEbEEZZNS1_14partition_implILS5_8ELb0ES3_jPKfPS6_PKS6_NS0_5tupleIJPfS6_EEENSE_IJSB_SB_EEENS0_18inequality_wrapperIN6hipcub16HIPCUB_304000_NS8EqualityEEEPlJS6_EEE10hipError_tPvRmT3_T4_T5_T6_T7_T9_mT8_P12ihipStream_tbDpT10_ENKUlT_T0_E_clISt17integral_constantIbLb0EES17_EEDaS12_S13_EUlS12_E_NS1_11comp_targetILNS1_3genE4ELNS1_11target_archE910ELNS1_3gpuE8ELNS1_3repE0EEENS1_30default_config_static_selectorELNS0_4arch9wavefront6targetE0EEEvT1_.uses_flat_scratch, 0
	.set _ZN7rocprim17ROCPRIM_400000_NS6detail17trampoline_kernelINS0_14default_configENS1_25partition_config_selectorILNS1_17partition_subalgoE8EfNS0_10empty_typeEbEEZZNS1_14partition_implILS5_8ELb0ES3_jPKfPS6_PKS6_NS0_5tupleIJPfS6_EEENSE_IJSB_SB_EEENS0_18inequality_wrapperIN6hipcub16HIPCUB_304000_NS8EqualityEEEPlJS6_EEE10hipError_tPvRmT3_T4_T5_T6_T7_T9_mT8_P12ihipStream_tbDpT10_ENKUlT_T0_E_clISt17integral_constantIbLb0EES17_EEDaS12_S13_EUlS12_E_NS1_11comp_targetILNS1_3genE4ELNS1_11target_archE910ELNS1_3gpuE8ELNS1_3repE0EEENS1_30default_config_static_selectorELNS0_4arch9wavefront6targetE0EEEvT1_.has_dyn_sized_stack, 0
	.set _ZN7rocprim17ROCPRIM_400000_NS6detail17trampoline_kernelINS0_14default_configENS1_25partition_config_selectorILNS1_17partition_subalgoE8EfNS0_10empty_typeEbEEZZNS1_14partition_implILS5_8ELb0ES3_jPKfPS6_PKS6_NS0_5tupleIJPfS6_EEENSE_IJSB_SB_EEENS0_18inequality_wrapperIN6hipcub16HIPCUB_304000_NS8EqualityEEEPlJS6_EEE10hipError_tPvRmT3_T4_T5_T6_T7_T9_mT8_P12ihipStream_tbDpT10_ENKUlT_T0_E_clISt17integral_constantIbLb0EES17_EEDaS12_S13_EUlS12_E_NS1_11comp_targetILNS1_3genE4ELNS1_11target_archE910ELNS1_3gpuE8ELNS1_3repE0EEENS1_30default_config_static_selectorELNS0_4arch9wavefront6targetE0EEEvT1_.has_recursion, 0
	.set _ZN7rocprim17ROCPRIM_400000_NS6detail17trampoline_kernelINS0_14default_configENS1_25partition_config_selectorILNS1_17partition_subalgoE8EfNS0_10empty_typeEbEEZZNS1_14partition_implILS5_8ELb0ES3_jPKfPS6_PKS6_NS0_5tupleIJPfS6_EEENSE_IJSB_SB_EEENS0_18inequality_wrapperIN6hipcub16HIPCUB_304000_NS8EqualityEEEPlJS6_EEE10hipError_tPvRmT3_T4_T5_T6_T7_T9_mT8_P12ihipStream_tbDpT10_ENKUlT_T0_E_clISt17integral_constantIbLb0EES17_EEDaS12_S13_EUlS12_E_NS1_11comp_targetILNS1_3genE4ELNS1_11target_archE910ELNS1_3gpuE8ELNS1_3repE0EEENS1_30default_config_static_selectorELNS0_4arch9wavefront6targetE0EEEvT1_.has_indirect_call, 0
	.section	.AMDGPU.csdata,"",@progbits
; Kernel info:
; codeLenInByte = 0
; TotalNumSgprs: 0
; NumVgprs: 0
; ScratchSize: 0
; MemoryBound: 0
; FloatMode: 240
; IeeeMode: 1
; LDSByteSize: 0 bytes/workgroup (compile time only)
; SGPRBlocks: 0
; VGPRBlocks: 0
; NumSGPRsForWavesPerEU: 1
; NumVGPRsForWavesPerEU: 1
; NamedBarCnt: 0
; Occupancy: 16
; WaveLimiterHint : 0
; COMPUTE_PGM_RSRC2:SCRATCH_EN: 0
; COMPUTE_PGM_RSRC2:USER_SGPR: 2
; COMPUTE_PGM_RSRC2:TRAP_HANDLER: 0
; COMPUTE_PGM_RSRC2:TGID_X_EN: 1
; COMPUTE_PGM_RSRC2:TGID_Y_EN: 0
; COMPUTE_PGM_RSRC2:TGID_Z_EN: 0
; COMPUTE_PGM_RSRC2:TIDIG_COMP_CNT: 0
	.section	.text._ZN7rocprim17ROCPRIM_400000_NS6detail17trampoline_kernelINS0_14default_configENS1_25partition_config_selectorILNS1_17partition_subalgoE8EfNS0_10empty_typeEbEEZZNS1_14partition_implILS5_8ELb0ES3_jPKfPS6_PKS6_NS0_5tupleIJPfS6_EEENSE_IJSB_SB_EEENS0_18inequality_wrapperIN6hipcub16HIPCUB_304000_NS8EqualityEEEPlJS6_EEE10hipError_tPvRmT3_T4_T5_T6_T7_T9_mT8_P12ihipStream_tbDpT10_ENKUlT_T0_E_clISt17integral_constantIbLb0EES17_EEDaS12_S13_EUlS12_E_NS1_11comp_targetILNS1_3genE3ELNS1_11target_archE908ELNS1_3gpuE7ELNS1_3repE0EEENS1_30default_config_static_selectorELNS0_4arch9wavefront6targetE0EEEvT1_,"axG",@progbits,_ZN7rocprim17ROCPRIM_400000_NS6detail17trampoline_kernelINS0_14default_configENS1_25partition_config_selectorILNS1_17partition_subalgoE8EfNS0_10empty_typeEbEEZZNS1_14partition_implILS5_8ELb0ES3_jPKfPS6_PKS6_NS0_5tupleIJPfS6_EEENSE_IJSB_SB_EEENS0_18inequality_wrapperIN6hipcub16HIPCUB_304000_NS8EqualityEEEPlJS6_EEE10hipError_tPvRmT3_T4_T5_T6_T7_T9_mT8_P12ihipStream_tbDpT10_ENKUlT_T0_E_clISt17integral_constantIbLb0EES17_EEDaS12_S13_EUlS12_E_NS1_11comp_targetILNS1_3genE3ELNS1_11target_archE908ELNS1_3gpuE7ELNS1_3repE0EEENS1_30default_config_static_selectorELNS0_4arch9wavefront6targetE0EEEvT1_,comdat
	.protected	_ZN7rocprim17ROCPRIM_400000_NS6detail17trampoline_kernelINS0_14default_configENS1_25partition_config_selectorILNS1_17partition_subalgoE8EfNS0_10empty_typeEbEEZZNS1_14partition_implILS5_8ELb0ES3_jPKfPS6_PKS6_NS0_5tupleIJPfS6_EEENSE_IJSB_SB_EEENS0_18inequality_wrapperIN6hipcub16HIPCUB_304000_NS8EqualityEEEPlJS6_EEE10hipError_tPvRmT3_T4_T5_T6_T7_T9_mT8_P12ihipStream_tbDpT10_ENKUlT_T0_E_clISt17integral_constantIbLb0EES17_EEDaS12_S13_EUlS12_E_NS1_11comp_targetILNS1_3genE3ELNS1_11target_archE908ELNS1_3gpuE7ELNS1_3repE0EEENS1_30default_config_static_selectorELNS0_4arch9wavefront6targetE0EEEvT1_ ; -- Begin function _ZN7rocprim17ROCPRIM_400000_NS6detail17trampoline_kernelINS0_14default_configENS1_25partition_config_selectorILNS1_17partition_subalgoE8EfNS0_10empty_typeEbEEZZNS1_14partition_implILS5_8ELb0ES3_jPKfPS6_PKS6_NS0_5tupleIJPfS6_EEENSE_IJSB_SB_EEENS0_18inequality_wrapperIN6hipcub16HIPCUB_304000_NS8EqualityEEEPlJS6_EEE10hipError_tPvRmT3_T4_T5_T6_T7_T9_mT8_P12ihipStream_tbDpT10_ENKUlT_T0_E_clISt17integral_constantIbLb0EES17_EEDaS12_S13_EUlS12_E_NS1_11comp_targetILNS1_3genE3ELNS1_11target_archE908ELNS1_3gpuE7ELNS1_3repE0EEENS1_30default_config_static_selectorELNS0_4arch9wavefront6targetE0EEEvT1_
	.globl	_ZN7rocprim17ROCPRIM_400000_NS6detail17trampoline_kernelINS0_14default_configENS1_25partition_config_selectorILNS1_17partition_subalgoE8EfNS0_10empty_typeEbEEZZNS1_14partition_implILS5_8ELb0ES3_jPKfPS6_PKS6_NS0_5tupleIJPfS6_EEENSE_IJSB_SB_EEENS0_18inequality_wrapperIN6hipcub16HIPCUB_304000_NS8EqualityEEEPlJS6_EEE10hipError_tPvRmT3_T4_T5_T6_T7_T9_mT8_P12ihipStream_tbDpT10_ENKUlT_T0_E_clISt17integral_constantIbLb0EES17_EEDaS12_S13_EUlS12_E_NS1_11comp_targetILNS1_3genE3ELNS1_11target_archE908ELNS1_3gpuE7ELNS1_3repE0EEENS1_30default_config_static_selectorELNS0_4arch9wavefront6targetE0EEEvT1_
	.p2align	8
	.type	_ZN7rocprim17ROCPRIM_400000_NS6detail17trampoline_kernelINS0_14default_configENS1_25partition_config_selectorILNS1_17partition_subalgoE8EfNS0_10empty_typeEbEEZZNS1_14partition_implILS5_8ELb0ES3_jPKfPS6_PKS6_NS0_5tupleIJPfS6_EEENSE_IJSB_SB_EEENS0_18inequality_wrapperIN6hipcub16HIPCUB_304000_NS8EqualityEEEPlJS6_EEE10hipError_tPvRmT3_T4_T5_T6_T7_T9_mT8_P12ihipStream_tbDpT10_ENKUlT_T0_E_clISt17integral_constantIbLb0EES17_EEDaS12_S13_EUlS12_E_NS1_11comp_targetILNS1_3genE3ELNS1_11target_archE908ELNS1_3gpuE7ELNS1_3repE0EEENS1_30default_config_static_selectorELNS0_4arch9wavefront6targetE0EEEvT1_,@function
_ZN7rocprim17ROCPRIM_400000_NS6detail17trampoline_kernelINS0_14default_configENS1_25partition_config_selectorILNS1_17partition_subalgoE8EfNS0_10empty_typeEbEEZZNS1_14partition_implILS5_8ELb0ES3_jPKfPS6_PKS6_NS0_5tupleIJPfS6_EEENSE_IJSB_SB_EEENS0_18inequality_wrapperIN6hipcub16HIPCUB_304000_NS8EqualityEEEPlJS6_EEE10hipError_tPvRmT3_T4_T5_T6_T7_T9_mT8_P12ihipStream_tbDpT10_ENKUlT_T0_E_clISt17integral_constantIbLb0EES17_EEDaS12_S13_EUlS12_E_NS1_11comp_targetILNS1_3genE3ELNS1_11target_archE908ELNS1_3gpuE7ELNS1_3repE0EEENS1_30default_config_static_selectorELNS0_4arch9wavefront6targetE0EEEvT1_: ; @_ZN7rocprim17ROCPRIM_400000_NS6detail17trampoline_kernelINS0_14default_configENS1_25partition_config_selectorILNS1_17partition_subalgoE8EfNS0_10empty_typeEbEEZZNS1_14partition_implILS5_8ELb0ES3_jPKfPS6_PKS6_NS0_5tupleIJPfS6_EEENSE_IJSB_SB_EEENS0_18inequality_wrapperIN6hipcub16HIPCUB_304000_NS8EqualityEEEPlJS6_EEE10hipError_tPvRmT3_T4_T5_T6_T7_T9_mT8_P12ihipStream_tbDpT10_ENKUlT_T0_E_clISt17integral_constantIbLb0EES17_EEDaS12_S13_EUlS12_E_NS1_11comp_targetILNS1_3genE3ELNS1_11target_archE908ELNS1_3gpuE7ELNS1_3repE0EEENS1_30default_config_static_selectorELNS0_4arch9wavefront6targetE0EEEvT1_
; %bb.0:
	.section	.rodata,"a",@progbits
	.p2align	6, 0x0
	.amdhsa_kernel _ZN7rocprim17ROCPRIM_400000_NS6detail17trampoline_kernelINS0_14default_configENS1_25partition_config_selectorILNS1_17partition_subalgoE8EfNS0_10empty_typeEbEEZZNS1_14partition_implILS5_8ELb0ES3_jPKfPS6_PKS6_NS0_5tupleIJPfS6_EEENSE_IJSB_SB_EEENS0_18inequality_wrapperIN6hipcub16HIPCUB_304000_NS8EqualityEEEPlJS6_EEE10hipError_tPvRmT3_T4_T5_T6_T7_T9_mT8_P12ihipStream_tbDpT10_ENKUlT_T0_E_clISt17integral_constantIbLb0EES17_EEDaS12_S13_EUlS12_E_NS1_11comp_targetILNS1_3genE3ELNS1_11target_archE908ELNS1_3gpuE7ELNS1_3repE0EEENS1_30default_config_static_selectorELNS0_4arch9wavefront6targetE0EEEvT1_
		.amdhsa_group_segment_fixed_size 0
		.amdhsa_private_segment_fixed_size 0
		.amdhsa_kernarg_size 112
		.amdhsa_user_sgpr_count 2
		.amdhsa_user_sgpr_dispatch_ptr 0
		.amdhsa_user_sgpr_queue_ptr 0
		.amdhsa_user_sgpr_kernarg_segment_ptr 1
		.amdhsa_user_sgpr_dispatch_id 0
		.amdhsa_user_sgpr_kernarg_preload_length 0
		.amdhsa_user_sgpr_kernarg_preload_offset 0
		.amdhsa_user_sgpr_private_segment_size 0
		.amdhsa_wavefront_size32 1
		.amdhsa_uses_dynamic_stack 0
		.amdhsa_enable_private_segment 0
		.amdhsa_system_sgpr_workgroup_id_x 1
		.amdhsa_system_sgpr_workgroup_id_y 0
		.amdhsa_system_sgpr_workgroup_id_z 0
		.amdhsa_system_sgpr_workgroup_info 0
		.amdhsa_system_vgpr_workitem_id 0
		.amdhsa_next_free_vgpr 1
		.amdhsa_next_free_sgpr 1
		.amdhsa_named_barrier_count 0
		.amdhsa_reserve_vcc 0
		.amdhsa_float_round_mode_32 0
		.amdhsa_float_round_mode_16_64 0
		.amdhsa_float_denorm_mode_32 3
		.amdhsa_float_denorm_mode_16_64 3
		.amdhsa_fp16_overflow 0
		.amdhsa_memory_ordered 1
		.amdhsa_forward_progress 1
		.amdhsa_inst_pref_size 0
		.amdhsa_round_robin_scheduling 0
		.amdhsa_exception_fp_ieee_invalid_op 0
		.amdhsa_exception_fp_denorm_src 0
		.amdhsa_exception_fp_ieee_div_zero 0
		.amdhsa_exception_fp_ieee_overflow 0
		.amdhsa_exception_fp_ieee_underflow 0
		.amdhsa_exception_fp_ieee_inexact 0
		.amdhsa_exception_int_div_zero 0
	.end_amdhsa_kernel
	.section	.text._ZN7rocprim17ROCPRIM_400000_NS6detail17trampoline_kernelINS0_14default_configENS1_25partition_config_selectorILNS1_17partition_subalgoE8EfNS0_10empty_typeEbEEZZNS1_14partition_implILS5_8ELb0ES3_jPKfPS6_PKS6_NS0_5tupleIJPfS6_EEENSE_IJSB_SB_EEENS0_18inequality_wrapperIN6hipcub16HIPCUB_304000_NS8EqualityEEEPlJS6_EEE10hipError_tPvRmT3_T4_T5_T6_T7_T9_mT8_P12ihipStream_tbDpT10_ENKUlT_T0_E_clISt17integral_constantIbLb0EES17_EEDaS12_S13_EUlS12_E_NS1_11comp_targetILNS1_3genE3ELNS1_11target_archE908ELNS1_3gpuE7ELNS1_3repE0EEENS1_30default_config_static_selectorELNS0_4arch9wavefront6targetE0EEEvT1_,"axG",@progbits,_ZN7rocprim17ROCPRIM_400000_NS6detail17trampoline_kernelINS0_14default_configENS1_25partition_config_selectorILNS1_17partition_subalgoE8EfNS0_10empty_typeEbEEZZNS1_14partition_implILS5_8ELb0ES3_jPKfPS6_PKS6_NS0_5tupleIJPfS6_EEENSE_IJSB_SB_EEENS0_18inequality_wrapperIN6hipcub16HIPCUB_304000_NS8EqualityEEEPlJS6_EEE10hipError_tPvRmT3_T4_T5_T6_T7_T9_mT8_P12ihipStream_tbDpT10_ENKUlT_T0_E_clISt17integral_constantIbLb0EES17_EEDaS12_S13_EUlS12_E_NS1_11comp_targetILNS1_3genE3ELNS1_11target_archE908ELNS1_3gpuE7ELNS1_3repE0EEENS1_30default_config_static_selectorELNS0_4arch9wavefront6targetE0EEEvT1_,comdat
.Lfunc_end344:
	.size	_ZN7rocprim17ROCPRIM_400000_NS6detail17trampoline_kernelINS0_14default_configENS1_25partition_config_selectorILNS1_17partition_subalgoE8EfNS0_10empty_typeEbEEZZNS1_14partition_implILS5_8ELb0ES3_jPKfPS6_PKS6_NS0_5tupleIJPfS6_EEENSE_IJSB_SB_EEENS0_18inequality_wrapperIN6hipcub16HIPCUB_304000_NS8EqualityEEEPlJS6_EEE10hipError_tPvRmT3_T4_T5_T6_T7_T9_mT8_P12ihipStream_tbDpT10_ENKUlT_T0_E_clISt17integral_constantIbLb0EES17_EEDaS12_S13_EUlS12_E_NS1_11comp_targetILNS1_3genE3ELNS1_11target_archE908ELNS1_3gpuE7ELNS1_3repE0EEENS1_30default_config_static_selectorELNS0_4arch9wavefront6targetE0EEEvT1_, .Lfunc_end344-_ZN7rocprim17ROCPRIM_400000_NS6detail17trampoline_kernelINS0_14default_configENS1_25partition_config_selectorILNS1_17partition_subalgoE8EfNS0_10empty_typeEbEEZZNS1_14partition_implILS5_8ELb0ES3_jPKfPS6_PKS6_NS0_5tupleIJPfS6_EEENSE_IJSB_SB_EEENS0_18inequality_wrapperIN6hipcub16HIPCUB_304000_NS8EqualityEEEPlJS6_EEE10hipError_tPvRmT3_T4_T5_T6_T7_T9_mT8_P12ihipStream_tbDpT10_ENKUlT_T0_E_clISt17integral_constantIbLb0EES17_EEDaS12_S13_EUlS12_E_NS1_11comp_targetILNS1_3genE3ELNS1_11target_archE908ELNS1_3gpuE7ELNS1_3repE0EEENS1_30default_config_static_selectorELNS0_4arch9wavefront6targetE0EEEvT1_
                                        ; -- End function
	.set _ZN7rocprim17ROCPRIM_400000_NS6detail17trampoline_kernelINS0_14default_configENS1_25partition_config_selectorILNS1_17partition_subalgoE8EfNS0_10empty_typeEbEEZZNS1_14partition_implILS5_8ELb0ES3_jPKfPS6_PKS6_NS0_5tupleIJPfS6_EEENSE_IJSB_SB_EEENS0_18inequality_wrapperIN6hipcub16HIPCUB_304000_NS8EqualityEEEPlJS6_EEE10hipError_tPvRmT3_T4_T5_T6_T7_T9_mT8_P12ihipStream_tbDpT10_ENKUlT_T0_E_clISt17integral_constantIbLb0EES17_EEDaS12_S13_EUlS12_E_NS1_11comp_targetILNS1_3genE3ELNS1_11target_archE908ELNS1_3gpuE7ELNS1_3repE0EEENS1_30default_config_static_selectorELNS0_4arch9wavefront6targetE0EEEvT1_.num_vgpr, 0
	.set _ZN7rocprim17ROCPRIM_400000_NS6detail17trampoline_kernelINS0_14default_configENS1_25partition_config_selectorILNS1_17partition_subalgoE8EfNS0_10empty_typeEbEEZZNS1_14partition_implILS5_8ELb0ES3_jPKfPS6_PKS6_NS0_5tupleIJPfS6_EEENSE_IJSB_SB_EEENS0_18inequality_wrapperIN6hipcub16HIPCUB_304000_NS8EqualityEEEPlJS6_EEE10hipError_tPvRmT3_T4_T5_T6_T7_T9_mT8_P12ihipStream_tbDpT10_ENKUlT_T0_E_clISt17integral_constantIbLb0EES17_EEDaS12_S13_EUlS12_E_NS1_11comp_targetILNS1_3genE3ELNS1_11target_archE908ELNS1_3gpuE7ELNS1_3repE0EEENS1_30default_config_static_selectorELNS0_4arch9wavefront6targetE0EEEvT1_.num_agpr, 0
	.set _ZN7rocprim17ROCPRIM_400000_NS6detail17trampoline_kernelINS0_14default_configENS1_25partition_config_selectorILNS1_17partition_subalgoE8EfNS0_10empty_typeEbEEZZNS1_14partition_implILS5_8ELb0ES3_jPKfPS6_PKS6_NS0_5tupleIJPfS6_EEENSE_IJSB_SB_EEENS0_18inequality_wrapperIN6hipcub16HIPCUB_304000_NS8EqualityEEEPlJS6_EEE10hipError_tPvRmT3_T4_T5_T6_T7_T9_mT8_P12ihipStream_tbDpT10_ENKUlT_T0_E_clISt17integral_constantIbLb0EES17_EEDaS12_S13_EUlS12_E_NS1_11comp_targetILNS1_3genE3ELNS1_11target_archE908ELNS1_3gpuE7ELNS1_3repE0EEENS1_30default_config_static_selectorELNS0_4arch9wavefront6targetE0EEEvT1_.numbered_sgpr, 0
	.set _ZN7rocprim17ROCPRIM_400000_NS6detail17trampoline_kernelINS0_14default_configENS1_25partition_config_selectorILNS1_17partition_subalgoE8EfNS0_10empty_typeEbEEZZNS1_14partition_implILS5_8ELb0ES3_jPKfPS6_PKS6_NS0_5tupleIJPfS6_EEENSE_IJSB_SB_EEENS0_18inequality_wrapperIN6hipcub16HIPCUB_304000_NS8EqualityEEEPlJS6_EEE10hipError_tPvRmT3_T4_T5_T6_T7_T9_mT8_P12ihipStream_tbDpT10_ENKUlT_T0_E_clISt17integral_constantIbLb0EES17_EEDaS12_S13_EUlS12_E_NS1_11comp_targetILNS1_3genE3ELNS1_11target_archE908ELNS1_3gpuE7ELNS1_3repE0EEENS1_30default_config_static_selectorELNS0_4arch9wavefront6targetE0EEEvT1_.num_named_barrier, 0
	.set _ZN7rocprim17ROCPRIM_400000_NS6detail17trampoline_kernelINS0_14default_configENS1_25partition_config_selectorILNS1_17partition_subalgoE8EfNS0_10empty_typeEbEEZZNS1_14partition_implILS5_8ELb0ES3_jPKfPS6_PKS6_NS0_5tupleIJPfS6_EEENSE_IJSB_SB_EEENS0_18inequality_wrapperIN6hipcub16HIPCUB_304000_NS8EqualityEEEPlJS6_EEE10hipError_tPvRmT3_T4_T5_T6_T7_T9_mT8_P12ihipStream_tbDpT10_ENKUlT_T0_E_clISt17integral_constantIbLb0EES17_EEDaS12_S13_EUlS12_E_NS1_11comp_targetILNS1_3genE3ELNS1_11target_archE908ELNS1_3gpuE7ELNS1_3repE0EEENS1_30default_config_static_selectorELNS0_4arch9wavefront6targetE0EEEvT1_.private_seg_size, 0
	.set _ZN7rocprim17ROCPRIM_400000_NS6detail17trampoline_kernelINS0_14default_configENS1_25partition_config_selectorILNS1_17partition_subalgoE8EfNS0_10empty_typeEbEEZZNS1_14partition_implILS5_8ELb0ES3_jPKfPS6_PKS6_NS0_5tupleIJPfS6_EEENSE_IJSB_SB_EEENS0_18inequality_wrapperIN6hipcub16HIPCUB_304000_NS8EqualityEEEPlJS6_EEE10hipError_tPvRmT3_T4_T5_T6_T7_T9_mT8_P12ihipStream_tbDpT10_ENKUlT_T0_E_clISt17integral_constantIbLb0EES17_EEDaS12_S13_EUlS12_E_NS1_11comp_targetILNS1_3genE3ELNS1_11target_archE908ELNS1_3gpuE7ELNS1_3repE0EEENS1_30default_config_static_selectorELNS0_4arch9wavefront6targetE0EEEvT1_.uses_vcc, 0
	.set _ZN7rocprim17ROCPRIM_400000_NS6detail17trampoline_kernelINS0_14default_configENS1_25partition_config_selectorILNS1_17partition_subalgoE8EfNS0_10empty_typeEbEEZZNS1_14partition_implILS5_8ELb0ES3_jPKfPS6_PKS6_NS0_5tupleIJPfS6_EEENSE_IJSB_SB_EEENS0_18inequality_wrapperIN6hipcub16HIPCUB_304000_NS8EqualityEEEPlJS6_EEE10hipError_tPvRmT3_T4_T5_T6_T7_T9_mT8_P12ihipStream_tbDpT10_ENKUlT_T0_E_clISt17integral_constantIbLb0EES17_EEDaS12_S13_EUlS12_E_NS1_11comp_targetILNS1_3genE3ELNS1_11target_archE908ELNS1_3gpuE7ELNS1_3repE0EEENS1_30default_config_static_selectorELNS0_4arch9wavefront6targetE0EEEvT1_.uses_flat_scratch, 0
	.set _ZN7rocprim17ROCPRIM_400000_NS6detail17trampoline_kernelINS0_14default_configENS1_25partition_config_selectorILNS1_17partition_subalgoE8EfNS0_10empty_typeEbEEZZNS1_14partition_implILS5_8ELb0ES3_jPKfPS6_PKS6_NS0_5tupleIJPfS6_EEENSE_IJSB_SB_EEENS0_18inequality_wrapperIN6hipcub16HIPCUB_304000_NS8EqualityEEEPlJS6_EEE10hipError_tPvRmT3_T4_T5_T6_T7_T9_mT8_P12ihipStream_tbDpT10_ENKUlT_T0_E_clISt17integral_constantIbLb0EES17_EEDaS12_S13_EUlS12_E_NS1_11comp_targetILNS1_3genE3ELNS1_11target_archE908ELNS1_3gpuE7ELNS1_3repE0EEENS1_30default_config_static_selectorELNS0_4arch9wavefront6targetE0EEEvT1_.has_dyn_sized_stack, 0
	.set _ZN7rocprim17ROCPRIM_400000_NS6detail17trampoline_kernelINS0_14default_configENS1_25partition_config_selectorILNS1_17partition_subalgoE8EfNS0_10empty_typeEbEEZZNS1_14partition_implILS5_8ELb0ES3_jPKfPS6_PKS6_NS0_5tupleIJPfS6_EEENSE_IJSB_SB_EEENS0_18inequality_wrapperIN6hipcub16HIPCUB_304000_NS8EqualityEEEPlJS6_EEE10hipError_tPvRmT3_T4_T5_T6_T7_T9_mT8_P12ihipStream_tbDpT10_ENKUlT_T0_E_clISt17integral_constantIbLb0EES17_EEDaS12_S13_EUlS12_E_NS1_11comp_targetILNS1_3genE3ELNS1_11target_archE908ELNS1_3gpuE7ELNS1_3repE0EEENS1_30default_config_static_selectorELNS0_4arch9wavefront6targetE0EEEvT1_.has_recursion, 0
	.set _ZN7rocprim17ROCPRIM_400000_NS6detail17trampoline_kernelINS0_14default_configENS1_25partition_config_selectorILNS1_17partition_subalgoE8EfNS0_10empty_typeEbEEZZNS1_14partition_implILS5_8ELb0ES3_jPKfPS6_PKS6_NS0_5tupleIJPfS6_EEENSE_IJSB_SB_EEENS0_18inequality_wrapperIN6hipcub16HIPCUB_304000_NS8EqualityEEEPlJS6_EEE10hipError_tPvRmT3_T4_T5_T6_T7_T9_mT8_P12ihipStream_tbDpT10_ENKUlT_T0_E_clISt17integral_constantIbLb0EES17_EEDaS12_S13_EUlS12_E_NS1_11comp_targetILNS1_3genE3ELNS1_11target_archE908ELNS1_3gpuE7ELNS1_3repE0EEENS1_30default_config_static_selectorELNS0_4arch9wavefront6targetE0EEEvT1_.has_indirect_call, 0
	.section	.AMDGPU.csdata,"",@progbits
; Kernel info:
; codeLenInByte = 0
; TotalNumSgprs: 0
; NumVgprs: 0
; ScratchSize: 0
; MemoryBound: 0
; FloatMode: 240
; IeeeMode: 1
; LDSByteSize: 0 bytes/workgroup (compile time only)
; SGPRBlocks: 0
; VGPRBlocks: 0
; NumSGPRsForWavesPerEU: 1
; NumVGPRsForWavesPerEU: 1
; NamedBarCnt: 0
; Occupancy: 16
; WaveLimiterHint : 0
; COMPUTE_PGM_RSRC2:SCRATCH_EN: 0
; COMPUTE_PGM_RSRC2:USER_SGPR: 2
; COMPUTE_PGM_RSRC2:TRAP_HANDLER: 0
; COMPUTE_PGM_RSRC2:TGID_X_EN: 1
; COMPUTE_PGM_RSRC2:TGID_Y_EN: 0
; COMPUTE_PGM_RSRC2:TGID_Z_EN: 0
; COMPUTE_PGM_RSRC2:TIDIG_COMP_CNT: 0
	.section	.text._ZN7rocprim17ROCPRIM_400000_NS6detail17trampoline_kernelINS0_14default_configENS1_25partition_config_selectorILNS1_17partition_subalgoE8EfNS0_10empty_typeEbEEZZNS1_14partition_implILS5_8ELb0ES3_jPKfPS6_PKS6_NS0_5tupleIJPfS6_EEENSE_IJSB_SB_EEENS0_18inequality_wrapperIN6hipcub16HIPCUB_304000_NS8EqualityEEEPlJS6_EEE10hipError_tPvRmT3_T4_T5_T6_T7_T9_mT8_P12ihipStream_tbDpT10_ENKUlT_T0_E_clISt17integral_constantIbLb0EES17_EEDaS12_S13_EUlS12_E_NS1_11comp_targetILNS1_3genE2ELNS1_11target_archE906ELNS1_3gpuE6ELNS1_3repE0EEENS1_30default_config_static_selectorELNS0_4arch9wavefront6targetE0EEEvT1_,"axG",@progbits,_ZN7rocprim17ROCPRIM_400000_NS6detail17trampoline_kernelINS0_14default_configENS1_25partition_config_selectorILNS1_17partition_subalgoE8EfNS0_10empty_typeEbEEZZNS1_14partition_implILS5_8ELb0ES3_jPKfPS6_PKS6_NS0_5tupleIJPfS6_EEENSE_IJSB_SB_EEENS0_18inequality_wrapperIN6hipcub16HIPCUB_304000_NS8EqualityEEEPlJS6_EEE10hipError_tPvRmT3_T4_T5_T6_T7_T9_mT8_P12ihipStream_tbDpT10_ENKUlT_T0_E_clISt17integral_constantIbLb0EES17_EEDaS12_S13_EUlS12_E_NS1_11comp_targetILNS1_3genE2ELNS1_11target_archE906ELNS1_3gpuE6ELNS1_3repE0EEENS1_30default_config_static_selectorELNS0_4arch9wavefront6targetE0EEEvT1_,comdat
	.protected	_ZN7rocprim17ROCPRIM_400000_NS6detail17trampoline_kernelINS0_14default_configENS1_25partition_config_selectorILNS1_17partition_subalgoE8EfNS0_10empty_typeEbEEZZNS1_14partition_implILS5_8ELb0ES3_jPKfPS6_PKS6_NS0_5tupleIJPfS6_EEENSE_IJSB_SB_EEENS0_18inequality_wrapperIN6hipcub16HIPCUB_304000_NS8EqualityEEEPlJS6_EEE10hipError_tPvRmT3_T4_T5_T6_T7_T9_mT8_P12ihipStream_tbDpT10_ENKUlT_T0_E_clISt17integral_constantIbLb0EES17_EEDaS12_S13_EUlS12_E_NS1_11comp_targetILNS1_3genE2ELNS1_11target_archE906ELNS1_3gpuE6ELNS1_3repE0EEENS1_30default_config_static_selectorELNS0_4arch9wavefront6targetE0EEEvT1_ ; -- Begin function _ZN7rocprim17ROCPRIM_400000_NS6detail17trampoline_kernelINS0_14default_configENS1_25partition_config_selectorILNS1_17partition_subalgoE8EfNS0_10empty_typeEbEEZZNS1_14partition_implILS5_8ELb0ES3_jPKfPS6_PKS6_NS0_5tupleIJPfS6_EEENSE_IJSB_SB_EEENS0_18inequality_wrapperIN6hipcub16HIPCUB_304000_NS8EqualityEEEPlJS6_EEE10hipError_tPvRmT3_T4_T5_T6_T7_T9_mT8_P12ihipStream_tbDpT10_ENKUlT_T0_E_clISt17integral_constantIbLb0EES17_EEDaS12_S13_EUlS12_E_NS1_11comp_targetILNS1_3genE2ELNS1_11target_archE906ELNS1_3gpuE6ELNS1_3repE0EEENS1_30default_config_static_selectorELNS0_4arch9wavefront6targetE0EEEvT1_
	.globl	_ZN7rocprim17ROCPRIM_400000_NS6detail17trampoline_kernelINS0_14default_configENS1_25partition_config_selectorILNS1_17partition_subalgoE8EfNS0_10empty_typeEbEEZZNS1_14partition_implILS5_8ELb0ES3_jPKfPS6_PKS6_NS0_5tupleIJPfS6_EEENSE_IJSB_SB_EEENS0_18inequality_wrapperIN6hipcub16HIPCUB_304000_NS8EqualityEEEPlJS6_EEE10hipError_tPvRmT3_T4_T5_T6_T7_T9_mT8_P12ihipStream_tbDpT10_ENKUlT_T0_E_clISt17integral_constantIbLb0EES17_EEDaS12_S13_EUlS12_E_NS1_11comp_targetILNS1_3genE2ELNS1_11target_archE906ELNS1_3gpuE6ELNS1_3repE0EEENS1_30default_config_static_selectorELNS0_4arch9wavefront6targetE0EEEvT1_
	.p2align	8
	.type	_ZN7rocprim17ROCPRIM_400000_NS6detail17trampoline_kernelINS0_14default_configENS1_25partition_config_selectorILNS1_17partition_subalgoE8EfNS0_10empty_typeEbEEZZNS1_14partition_implILS5_8ELb0ES3_jPKfPS6_PKS6_NS0_5tupleIJPfS6_EEENSE_IJSB_SB_EEENS0_18inequality_wrapperIN6hipcub16HIPCUB_304000_NS8EqualityEEEPlJS6_EEE10hipError_tPvRmT3_T4_T5_T6_T7_T9_mT8_P12ihipStream_tbDpT10_ENKUlT_T0_E_clISt17integral_constantIbLb0EES17_EEDaS12_S13_EUlS12_E_NS1_11comp_targetILNS1_3genE2ELNS1_11target_archE906ELNS1_3gpuE6ELNS1_3repE0EEENS1_30default_config_static_selectorELNS0_4arch9wavefront6targetE0EEEvT1_,@function
_ZN7rocprim17ROCPRIM_400000_NS6detail17trampoline_kernelINS0_14default_configENS1_25partition_config_selectorILNS1_17partition_subalgoE8EfNS0_10empty_typeEbEEZZNS1_14partition_implILS5_8ELb0ES3_jPKfPS6_PKS6_NS0_5tupleIJPfS6_EEENSE_IJSB_SB_EEENS0_18inequality_wrapperIN6hipcub16HIPCUB_304000_NS8EqualityEEEPlJS6_EEE10hipError_tPvRmT3_T4_T5_T6_T7_T9_mT8_P12ihipStream_tbDpT10_ENKUlT_T0_E_clISt17integral_constantIbLb0EES17_EEDaS12_S13_EUlS12_E_NS1_11comp_targetILNS1_3genE2ELNS1_11target_archE906ELNS1_3gpuE6ELNS1_3repE0EEENS1_30default_config_static_selectorELNS0_4arch9wavefront6targetE0EEEvT1_: ; @_ZN7rocprim17ROCPRIM_400000_NS6detail17trampoline_kernelINS0_14default_configENS1_25partition_config_selectorILNS1_17partition_subalgoE8EfNS0_10empty_typeEbEEZZNS1_14partition_implILS5_8ELb0ES3_jPKfPS6_PKS6_NS0_5tupleIJPfS6_EEENSE_IJSB_SB_EEENS0_18inequality_wrapperIN6hipcub16HIPCUB_304000_NS8EqualityEEEPlJS6_EEE10hipError_tPvRmT3_T4_T5_T6_T7_T9_mT8_P12ihipStream_tbDpT10_ENKUlT_T0_E_clISt17integral_constantIbLb0EES17_EEDaS12_S13_EUlS12_E_NS1_11comp_targetILNS1_3genE2ELNS1_11target_archE906ELNS1_3gpuE6ELNS1_3repE0EEENS1_30default_config_static_selectorELNS0_4arch9wavefront6targetE0EEEvT1_
; %bb.0:
	.section	.rodata,"a",@progbits
	.p2align	6, 0x0
	.amdhsa_kernel _ZN7rocprim17ROCPRIM_400000_NS6detail17trampoline_kernelINS0_14default_configENS1_25partition_config_selectorILNS1_17partition_subalgoE8EfNS0_10empty_typeEbEEZZNS1_14partition_implILS5_8ELb0ES3_jPKfPS6_PKS6_NS0_5tupleIJPfS6_EEENSE_IJSB_SB_EEENS0_18inequality_wrapperIN6hipcub16HIPCUB_304000_NS8EqualityEEEPlJS6_EEE10hipError_tPvRmT3_T4_T5_T6_T7_T9_mT8_P12ihipStream_tbDpT10_ENKUlT_T0_E_clISt17integral_constantIbLb0EES17_EEDaS12_S13_EUlS12_E_NS1_11comp_targetILNS1_3genE2ELNS1_11target_archE906ELNS1_3gpuE6ELNS1_3repE0EEENS1_30default_config_static_selectorELNS0_4arch9wavefront6targetE0EEEvT1_
		.amdhsa_group_segment_fixed_size 0
		.amdhsa_private_segment_fixed_size 0
		.amdhsa_kernarg_size 112
		.amdhsa_user_sgpr_count 2
		.amdhsa_user_sgpr_dispatch_ptr 0
		.amdhsa_user_sgpr_queue_ptr 0
		.amdhsa_user_sgpr_kernarg_segment_ptr 1
		.amdhsa_user_sgpr_dispatch_id 0
		.amdhsa_user_sgpr_kernarg_preload_length 0
		.amdhsa_user_sgpr_kernarg_preload_offset 0
		.amdhsa_user_sgpr_private_segment_size 0
		.amdhsa_wavefront_size32 1
		.amdhsa_uses_dynamic_stack 0
		.amdhsa_enable_private_segment 0
		.amdhsa_system_sgpr_workgroup_id_x 1
		.amdhsa_system_sgpr_workgroup_id_y 0
		.amdhsa_system_sgpr_workgroup_id_z 0
		.amdhsa_system_sgpr_workgroup_info 0
		.amdhsa_system_vgpr_workitem_id 0
		.amdhsa_next_free_vgpr 1
		.amdhsa_next_free_sgpr 1
		.amdhsa_named_barrier_count 0
		.amdhsa_reserve_vcc 0
		.amdhsa_float_round_mode_32 0
		.amdhsa_float_round_mode_16_64 0
		.amdhsa_float_denorm_mode_32 3
		.amdhsa_float_denorm_mode_16_64 3
		.amdhsa_fp16_overflow 0
		.amdhsa_memory_ordered 1
		.amdhsa_forward_progress 1
		.amdhsa_inst_pref_size 0
		.amdhsa_round_robin_scheduling 0
		.amdhsa_exception_fp_ieee_invalid_op 0
		.amdhsa_exception_fp_denorm_src 0
		.amdhsa_exception_fp_ieee_div_zero 0
		.amdhsa_exception_fp_ieee_overflow 0
		.amdhsa_exception_fp_ieee_underflow 0
		.amdhsa_exception_fp_ieee_inexact 0
		.amdhsa_exception_int_div_zero 0
	.end_amdhsa_kernel
	.section	.text._ZN7rocprim17ROCPRIM_400000_NS6detail17trampoline_kernelINS0_14default_configENS1_25partition_config_selectorILNS1_17partition_subalgoE8EfNS0_10empty_typeEbEEZZNS1_14partition_implILS5_8ELb0ES3_jPKfPS6_PKS6_NS0_5tupleIJPfS6_EEENSE_IJSB_SB_EEENS0_18inequality_wrapperIN6hipcub16HIPCUB_304000_NS8EqualityEEEPlJS6_EEE10hipError_tPvRmT3_T4_T5_T6_T7_T9_mT8_P12ihipStream_tbDpT10_ENKUlT_T0_E_clISt17integral_constantIbLb0EES17_EEDaS12_S13_EUlS12_E_NS1_11comp_targetILNS1_3genE2ELNS1_11target_archE906ELNS1_3gpuE6ELNS1_3repE0EEENS1_30default_config_static_selectorELNS0_4arch9wavefront6targetE0EEEvT1_,"axG",@progbits,_ZN7rocprim17ROCPRIM_400000_NS6detail17trampoline_kernelINS0_14default_configENS1_25partition_config_selectorILNS1_17partition_subalgoE8EfNS0_10empty_typeEbEEZZNS1_14partition_implILS5_8ELb0ES3_jPKfPS6_PKS6_NS0_5tupleIJPfS6_EEENSE_IJSB_SB_EEENS0_18inequality_wrapperIN6hipcub16HIPCUB_304000_NS8EqualityEEEPlJS6_EEE10hipError_tPvRmT3_T4_T5_T6_T7_T9_mT8_P12ihipStream_tbDpT10_ENKUlT_T0_E_clISt17integral_constantIbLb0EES17_EEDaS12_S13_EUlS12_E_NS1_11comp_targetILNS1_3genE2ELNS1_11target_archE906ELNS1_3gpuE6ELNS1_3repE0EEENS1_30default_config_static_selectorELNS0_4arch9wavefront6targetE0EEEvT1_,comdat
.Lfunc_end345:
	.size	_ZN7rocprim17ROCPRIM_400000_NS6detail17trampoline_kernelINS0_14default_configENS1_25partition_config_selectorILNS1_17partition_subalgoE8EfNS0_10empty_typeEbEEZZNS1_14partition_implILS5_8ELb0ES3_jPKfPS6_PKS6_NS0_5tupleIJPfS6_EEENSE_IJSB_SB_EEENS0_18inequality_wrapperIN6hipcub16HIPCUB_304000_NS8EqualityEEEPlJS6_EEE10hipError_tPvRmT3_T4_T5_T6_T7_T9_mT8_P12ihipStream_tbDpT10_ENKUlT_T0_E_clISt17integral_constantIbLb0EES17_EEDaS12_S13_EUlS12_E_NS1_11comp_targetILNS1_3genE2ELNS1_11target_archE906ELNS1_3gpuE6ELNS1_3repE0EEENS1_30default_config_static_selectorELNS0_4arch9wavefront6targetE0EEEvT1_, .Lfunc_end345-_ZN7rocprim17ROCPRIM_400000_NS6detail17trampoline_kernelINS0_14default_configENS1_25partition_config_selectorILNS1_17partition_subalgoE8EfNS0_10empty_typeEbEEZZNS1_14partition_implILS5_8ELb0ES3_jPKfPS6_PKS6_NS0_5tupleIJPfS6_EEENSE_IJSB_SB_EEENS0_18inequality_wrapperIN6hipcub16HIPCUB_304000_NS8EqualityEEEPlJS6_EEE10hipError_tPvRmT3_T4_T5_T6_T7_T9_mT8_P12ihipStream_tbDpT10_ENKUlT_T0_E_clISt17integral_constantIbLb0EES17_EEDaS12_S13_EUlS12_E_NS1_11comp_targetILNS1_3genE2ELNS1_11target_archE906ELNS1_3gpuE6ELNS1_3repE0EEENS1_30default_config_static_selectorELNS0_4arch9wavefront6targetE0EEEvT1_
                                        ; -- End function
	.set _ZN7rocprim17ROCPRIM_400000_NS6detail17trampoline_kernelINS0_14default_configENS1_25partition_config_selectorILNS1_17partition_subalgoE8EfNS0_10empty_typeEbEEZZNS1_14partition_implILS5_8ELb0ES3_jPKfPS6_PKS6_NS0_5tupleIJPfS6_EEENSE_IJSB_SB_EEENS0_18inequality_wrapperIN6hipcub16HIPCUB_304000_NS8EqualityEEEPlJS6_EEE10hipError_tPvRmT3_T4_T5_T6_T7_T9_mT8_P12ihipStream_tbDpT10_ENKUlT_T0_E_clISt17integral_constantIbLb0EES17_EEDaS12_S13_EUlS12_E_NS1_11comp_targetILNS1_3genE2ELNS1_11target_archE906ELNS1_3gpuE6ELNS1_3repE0EEENS1_30default_config_static_selectorELNS0_4arch9wavefront6targetE0EEEvT1_.num_vgpr, 0
	.set _ZN7rocprim17ROCPRIM_400000_NS6detail17trampoline_kernelINS0_14default_configENS1_25partition_config_selectorILNS1_17partition_subalgoE8EfNS0_10empty_typeEbEEZZNS1_14partition_implILS5_8ELb0ES3_jPKfPS6_PKS6_NS0_5tupleIJPfS6_EEENSE_IJSB_SB_EEENS0_18inequality_wrapperIN6hipcub16HIPCUB_304000_NS8EqualityEEEPlJS6_EEE10hipError_tPvRmT3_T4_T5_T6_T7_T9_mT8_P12ihipStream_tbDpT10_ENKUlT_T0_E_clISt17integral_constantIbLb0EES17_EEDaS12_S13_EUlS12_E_NS1_11comp_targetILNS1_3genE2ELNS1_11target_archE906ELNS1_3gpuE6ELNS1_3repE0EEENS1_30default_config_static_selectorELNS0_4arch9wavefront6targetE0EEEvT1_.num_agpr, 0
	.set _ZN7rocprim17ROCPRIM_400000_NS6detail17trampoline_kernelINS0_14default_configENS1_25partition_config_selectorILNS1_17partition_subalgoE8EfNS0_10empty_typeEbEEZZNS1_14partition_implILS5_8ELb0ES3_jPKfPS6_PKS6_NS0_5tupleIJPfS6_EEENSE_IJSB_SB_EEENS0_18inequality_wrapperIN6hipcub16HIPCUB_304000_NS8EqualityEEEPlJS6_EEE10hipError_tPvRmT3_T4_T5_T6_T7_T9_mT8_P12ihipStream_tbDpT10_ENKUlT_T0_E_clISt17integral_constantIbLb0EES17_EEDaS12_S13_EUlS12_E_NS1_11comp_targetILNS1_3genE2ELNS1_11target_archE906ELNS1_3gpuE6ELNS1_3repE0EEENS1_30default_config_static_selectorELNS0_4arch9wavefront6targetE0EEEvT1_.numbered_sgpr, 0
	.set _ZN7rocprim17ROCPRIM_400000_NS6detail17trampoline_kernelINS0_14default_configENS1_25partition_config_selectorILNS1_17partition_subalgoE8EfNS0_10empty_typeEbEEZZNS1_14partition_implILS5_8ELb0ES3_jPKfPS6_PKS6_NS0_5tupleIJPfS6_EEENSE_IJSB_SB_EEENS0_18inequality_wrapperIN6hipcub16HIPCUB_304000_NS8EqualityEEEPlJS6_EEE10hipError_tPvRmT3_T4_T5_T6_T7_T9_mT8_P12ihipStream_tbDpT10_ENKUlT_T0_E_clISt17integral_constantIbLb0EES17_EEDaS12_S13_EUlS12_E_NS1_11comp_targetILNS1_3genE2ELNS1_11target_archE906ELNS1_3gpuE6ELNS1_3repE0EEENS1_30default_config_static_selectorELNS0_4arch9wavefront6targetE0EEEvT1_.num_named_barrier, 0
	.set _ZN7rocprim17ROCPRIM_400000_NS6detail17trampoline_kernelINS0_14default_configENS1_25partition_config_selectorILNS1_17partition_subalgoE8EfNS0_10empty_typeEbEEZZNS1_14partition_implILS5_8ELb0ES3_jPKfPS6_PKS6_NS0_5tupleIJPfS6_EEENSE_IJSB_SB_EEENS0_18inequality_wrapperIN6hipcub16HIPCUB_304000_NS8EqualityEEEPlJS6_EEE10hipError_tPvRmT3_T4_T5_T6_T7_T9_mT8_P12ihipStream_tbDpT10_ENKUlT_T0_E_clISt17integral_constantIbLb0EES17_EEDaS12_S13_EUlS12_E_NS1_11comp_targetILNS1_3genE2ELNS1_11target_archE906ELNS1_3gpuE6ELNS1_3repE0EEENS1_30default_config_static_selectorELNS0_4arch9wavefront6targetE0EEEvT1_.private_seg_size, 0
	.set _ZN7rocprim17ROCPRIM_400000_NS6detail17trampoline_kernelINS0_14default_configENS1_25partition_config_selectorILNS1_17partition_subalgoE8EfNS0_10empty_typeEbEEZZNS1_14partition_implILS5_8ELb0ES3_jPKfPS6_PKS6_NS0_5tupleIJPfS6_EEENSE_IJSB_SB_EEENS0_18inequality_wrapperIN6hipcub16HIPCUB_304000_NS8EqualityEEEPlJS6_EEE10hipError_tPvRmT3_T4_T5_T6_T7_T9_mT8_P12ihipStream_tbDpT10_ENKUlT_T0_E_clISt17integral_constantIbLb0EES17_EEDaS12_S13_EUlS12_E_NS1_11comp_targetILNS1_3genE2ELNS1_11target_archE906ELNS1_3gpuE6ELNS1_3repE0EEENS1_30default_config_static_selectorELNS0_4arch9wavefront6targetE0EEEvT1_.uses_vcc, 0
	.set _ZN7rocprim17ROCPRIM_400000_NS6detail17trampoline_kernelINS0_14default_configENS1_25partition_config_selectorILNS1_17partition_subalgoE8EfNS0_10empty_typeEbEEZZNS1_14partition_implILS5_8ELb0ES3_jPKfPS6_PKS6_NS0_5tupleIJPfS6_EEENSE_IJSB_SB_EEENS0_18inequality_wrapperIN6hipcub16HIPCUB_304000_NS8EqualityEEEPlJS6_EEE10hipError_tPvRmT3_T4_T5_T6_T7_T9_mT8_P12ihipStream_tbDpT10_ENKUlT_T0_E_clISt17integral_constantIbLb0EES17_EEDaS12_S13_EUlS12_E_NS1_11comp_targetILNS1_3genE2ELNS1_11target_archE906ELNS1_3gpuE6ELNS1_3repE0EEENS1_30default_config_static_selectorELNS0_4arch9wavefront6targetE0EEEvT1_.uses_flat_scratch, 0
	.set _ZN7rocprim17ROCPRIM_400000_NS6detail17trampoline_kernelINS0_14default_configENS1_25partition_config_selectorILNS1_17partition_subalgoE8EfNS0_10empty_typeEbEEZZNS1_14partition_implILS5_8ELb0ES3_jPKfPS6_PKS6_NS0_5tupleIJPfS6_EEENSE_IJSB_SB_EEENS0_18inequality_wrapperIN6hipcub16HIPCUB_304000_NS8EqualityEEEPlJS6_EEE10hipError_tPvRmT3_T4_T5_T6_T7_T9_mT8_P12ihipStream_tbDpT10_ENKUlT_T0_E_clISt17integral_constantIbLb0EES17_EEDaS12_S13_EUlS12_E_NS1_11comp_targetILNS1_3genE2ELNS1_11target_archE906ELNS1_3gpuE6ELNS1_3repE0EEENS1_30default_config_static_selectorELNS0_4arch9wavefront6targetE0EEEvT1_.has_dyn_sized_stack, 0
	.set _ZN7rocprim17ROCPRIM_400000_NS6detail17trampoline_kernelINS0_14default_configENS1_25partition_config_selectorILNS1_17partition_subalgoE8EfNS0_10empty_typeEbEEZZNS1_14partition_implILS5_8ELb0ES3_jPKfPS6_PKS6_NS0_5tupleIJPfS6_EEENSE_IJSB_SB_EEENS0_18inequality_wrapperIN6hipcub16HIPCUB_304000_NS8EqualityEEEPlJS6_EEE10hipError_tPvRmT3_T4_T5_T6_T7_T9_mT8_P12ihipStream_tbDpT10_ENKUlT_T0_E_clISt17integral_constantIbLb0EES17_EEDaS12_S13_EUlS12_E_NS1_11comp_targetILNS1_3genE2ELNS1_11target_archE906ELNS1_3gpuE6ELNS1_3repE0EEENS1_30default_config_static_selectorELNS0_4arch9wavefront6targetE0EEEvT1_.has_recursion, 0
	.set _ZN7rocprim17ROCPRIM_400000_NS6detail17trampoline_kernelINS0_14default_configENS1_25partition_config_selectorILNS1_17partition_subalgoE8EfNS0_10empty_typeEbEEZZNS1_14partition_implILS5_8ELb0ES3_jPKfPS6_PKS6_NS0_5tupleIJPfS6_EEENSE_IJSB_SB_EEENS0_18inequality_wrapperIN6hipcub16HIPCUB_304000_NS8EqualityEEEPlJS6_EEE10hipError_tPvRmT3_T4_T5_T6_T7_T9_mT8_P12ihipStream_tbDpT10_ENKUlT_T0_E_clISt17integral_constantIbLb0EES17_EEDaS12_S13_EUlS12_E_NS1_11comp_targetILNS1_3genE2ELNS1_11target_archE906ELNS1_3gpuE6ELNS1_3repE0EEENS1_30default_config_static_selectorELNS0_4arch9wavefront6targetE0EEEvT1_.has_indirect_call, 0
	.section	.AMDGPU.csdata,"",@progbits
; Kernel info:
; codeLenInByte = 0
; TotalNumSgprs: 0
; NumVgprs: 0
; ScratchSize: 0
; MemoryBound: 0
; FloatMode: 240
; IeeeMode: 1
; LDSByteSize: 0 bytes/workgroup (compile time only)
; SGPRBlocks: 0
; VGPRBlocks: 0
; NumSGPRsForWavesPerEU: 1
; NumVGPRsForWavesPerEU: 1
; NamedBarCnt: 0
; Occupancy: 16
; WaveLimiterHint : 0
; COMPUTE_PGM_RSRC2:SCRATCH_EN: 0
; COMPUTE_PGM_RSRC2:USER_SGPR: 2
; COMPUTE_PGM_RSRC2:TRAP_HANDLER: 0
; COMPUTE_PGM_RSRC2:TGID_X_EN: 1
; COMPUTE_PGM_RSRC2:TGID_Y_EN: 0
; COMPUTE_PGM_RSRC2:TGID_Z_EN: 0
; COMPUTE_PGM_RSRC2:TIDIG_COMP_CNT: 0
	.section	.text._ZN7rocprim17ROCPRIM_400000_NS6detail17trampoline_kernelINS0_14default_configENS1_25partition_config_selectorILNS1_17partition_subalgoE8EfNS0_10empty_typeEbEEZZNS1_14partition_implILS5_8ELb0ES3_jPKfPS6_PKS6_NS0_5tupleIJPfS6_EEENSE_IJSB_SB_EEENS0_18inequality_wrapperIN6hipcub16HIPCUB_304000_NS8EqualityEEEPlJS6_EEE10hipError_tPvRmT3_T4_T5_T6_T7_T9_mT8_P12ihipStream_tbDpT10_ENKUlT_T0_E_clISt17integral_constantIbLb0EES17_EEDaS12_S13_EUlS12_E_NS1_11comp_targetILNS1_3genE10ELNS1_11target_archE1200ELNS1_3gpuE4ELNS1_3repE0EEENS1_30default_config_static_selectorELNS0_4arch9wavefront6targetE0EEEvT1_,"axG",@progbits,_ZN7rocprim17ROCPRIM_400000_NS6detail17trampoline_kernelINS0_14default_configENS1_25partition_config_selectorILNS1_17partition_subalgoE8EfNS0_10empty_typeEbEEZZNS1_14partition_implILS5_8ELb0ES3_jPKfPS6_PKS6_NS0_5tupleIJPfS6_EEENSE_IJSB_SB_EEENS0_18inequality_wrapperIN6hipcub16HIPCUB_304000_NS8EqualityEEEPlJS6_EEE10hipError_tPvRmT3_T4_T5_T6_T7_T9_mT8_P12ihipStream_tbDpT10_ENKUlT_T0_E_clISt17integral_constantIbLb0EES17_EEDaS12_S13_EUlS12_E_NS1_11comp_targetILNS1_3genE10ELNS1_11target_archE1200ELNS1_3gpuE4ELNS1_3repE0EEENS1_30default_config_static_selectorELNS0_4arch9wavefront6targetE0EEEvT1_,comdat
	.protected	_ZN7rocprim17ROCPRIM_400000_NS6detail17trampoline_kernelINS0_14default_configENS1_25partition_config_selectorILNS1_17partition_subalgoE8EfNS0_10empty_typeEbEEZZNS1_14partition_implILS5_8ELb0ES3_jPKfPS6_PKS6_NS0_5tupleIJPfS6_EEENSE_IJSB_SB_EEENS0_18inequality_wrapperIN6hipcub16HIPCUB_304000_NS8EqualityEEEPlJS6_EEE10hipError_tPvRmT3_T4_T5_T6_T7_T9_mT8_P12ihipStream_tbDpT10_ENKUlT_T0_E_clISt17integral_constantIbLb0EES17_EEDaS12_S13_EUlS12_E_NS1_11comp_targetILNS1_3genE10ELNS1_11target_archE1200ELNS1_3gpuE4ELNS1_3repE0EEENS1_30default_config_static_selectorELNS0_4arch9wavefront6targetE0EEEvT1_ ; -- Begin function _ZN7rocprim17ROCPRIM_400000_NS6detail17trampoline_kernelINS0_14default_configENS1_25partition_config_selectorILNS1_17partition_subalgoE8EfNS0_10empty_typeEbEEZZNS1_14partition_implILS5_8ELb0ES3_jPKfPS6_PKS6_NS0_5tupleIJPfS6_EEENSE_IJSB_SB_EEENS0_18inequality_wrapperIN6hipcub16HIPCUB_304000_NS8EqualityEEEPlJS6_EEE10hipError_tPvRmT3_T4_T5_T6_T7_T9_mT8_P12ihipStream_tbDpT10_ENKUlT_T0_E_clISt17integral_constantIbLb0EES17_EEDaS12_S13_EUlS12_E_NS1_11comp_targetILNS1_3genE10ELNS1_11target_archE1200ELNS1_3gpuE4ELNS1_3repE0EEENS1_30default_config_static_selectorELNS0_4arch9wavefront6targetE0EEEvT1_
	.globl	_ZN7rocprim17ROCPRIM_400000_NS6detail17trampoline_kernelINS0_14default_configENS1_25partition_config_selectorILNS1_17partition_subalgoE8EfNS0_10empty_typeEbEEZZNS1_14partition_implILS5_8ELb0ES3_jPKfPS6_PKS6_NS0_5tupleIJPfS6_EEENSE_IJSB_SB_EEENS0_18inequality_wrapperIN6hipcub16HIPCUB_304000_NS8EqualityEEEPlJS6_EEE10hipError_tPvRmT3_T4_T5_T6_T7_T9_mT8_P12ihipStream_tbDpT10_ENKUlT_T0_E_clISt17integral_constantIbLb0EES17_EEDaS12_S13_EUlS12_E_NS1_11comp_targetILNS1_3genE10ELNS1_11target_archE1200ELNS1_3gpuE4ELNS1_3repE0EEENS1_30default_config_static_selectorELNS0_4arch9wavefront6targetE0EEEvT1_
	.p2align	8
	.type	_ZN7rocprim17ROCPRIM_400000_NS6detail17trampoline_kernelINS0_14default_configENS1_25partition_config_selectorILNS1_17partition_subalgoE8EfNS0_10empty_typeEbEEZZNS1_14partition_implILS5_8ELb0ES3_jPKfPS6_PKS6_NS0_5tupleIJPfS6_EEENSE_IJSB_SB_EEENS0_18inequality_wrapperIN6hipcub16HIPCUB_304000_NS8EqualityEEEPlJS6_EEE10hipError_tPvRmT3_T4_T5_T6_T7_T9_mT8_P12ihipStream_tbDpT10_ENKUlT_T0_E_clISt17integral_constantIbLb0EES17_EEDaS12_S13_EUlS12_E_NS1_11comp_targetILNS1_3genE10ELNS1_11target_archE1200ELNS1_3gpuE4ELNS1_3repE0EEENS1_30default_config_static_selectorELNS0_4arch9wavefront6targetE0EEEvT1_,@function
_ZN7rocprim17ROCPRIM_400000_NS6detail17trampoline_kernelINS0_14default_configENS1_25partition_config_selectorILNS1_17partition_subalgoE8EfNS0_10empty_typeEbEEZZNS1_14partition_implILS5_8ELb0ES3_jPKfPS6_PKS6_NS0_5tupleIJPfS6_EEENSE_IJSB_SB_EEENS0_18inequality_wrapperIN6hipcub16HIPCUB_304000_NS8EqualityEEEPlJS6_EEE10hipError_tPvRmT3_T4_T5_T6_T7_T9_mT8_P12ihipStream_tbDpT10_ENKUlT_T0_E_clISt17integral_constantIbLb0EES17_EEDaS12_S13_EUlS12_E_NS1_11comp_targetILNS1_3genE10ELNS1_11target_archE1200ELNS1_3gpuE4ELNS1_3repE0EEENS1_30default_config_static_selectorELNS0_4arch9wavefront6targetE0EEEvT1_: ; @_ZN7rocprim17ROCPRIM_400000_NS6detail17trampoline_kernelINS0_14default_configENS1_25partition_config_selectorILNS1_17partition_subalgoE8EfNS0_10empty_typeEbEEZZNS1_14partition_implILS5_8ELb0ES3_jPKfPS6_PKS6_NS0_5tupleIJPfS6_EEENSE_IJSB_SB_EEENS0_18inequality_wrapperIN6hipcub16HIPCUB_304000_NS8EqualityEEEPlJS6_EEE10hipError_tPvRmT3_T4_T5_T6_T7_T9_mT8_P12ihipStream_tbDpT10_ENKUlT_T0_E_clISt17integral_constantIbLb0EES17_EEDaS12_S13_EUlS12_E_NS1_11comp_targetILNS1_3genE10ELNS1_11target_archE1200ELNS1_3gpuE4ELNS1_3repE0EEENS1_30default_config_static_selectorELNS0_4arch9wavefront6targetE0EEEvT1_
; %bb.0:
	.section	.rodata,"a",@progbits
	.p2align	6, 0x0
	.amdhsa_kernel _ZN7rocprim17ROCPRIM_400000_NS6detail17trampoline_kernelINS0_14default_configENS1_25partition_config_selectorILNS1_17partition_subalgoE8EfNS0_10empty_typeEbEEZZNS1_14partition_implILS5_8ELb0ES3_jPKfPS6_PKS6_NS0_5tupleIJPfS6_EEENSE_IJSB_SB_EEENS0_18inequality_wrapperIN6hipcub16HIPCUB_304000_NS8EqualityEEEPlJS6_EEE10hipError_tPvRmT3_T4_T5_T6_T7_T9_mT8_P12ihipStream_tbDpT10_ENKUlT_T0_E_clISt17integral_constantIbLb0EES17_EEDaS12_S13_EUlS12_E_NS1_11comp_targetILNS1_3genE10ELNS1_11target_archE1200ELNS1_3gpuE4ELNS1_3repE0EEENS1_30default_config_static_selectorELNS0_4arch9wavefront6targetE0EEEvT1_
		.amdhsa_group_segment_fixed_size 0
		.amdhsa_private_segment_fixed_size 0
		.amdhsa_kernarg_size 112
		.amdhsa_user_sgpr_count 2
		.amdhsa_user_sgpr_dispatch_ptr 0
		.amdhsa_user_sgpr_queue_ptr 0
		.amdhsa_user_sgpr_kernarg_segment_ptr 1
		.amdhsa_user_sgpr_dispatch_id 0
		.amdhsa_user_sgpr_kernarg_preload_length 0
		.amdhsa_user_sgpr_kernarg_preload_offset 0
		.amdhsa_user_sgpr_private_segment_size 0
		.amdhsa_wavefront_size32 1
		.amdhsa_uses_dynamic_stack 0
		.amdhsa_enable_private_segment 0
		.amdhsa_system_sgpr_workgroup_id_x 1
		.amdhsa_system_sgpr_workgroup_id_y 0
		.amdhsa_system_sgpr_workgroup_id_z 0
		.amdhsa_system_sgpr_workgroup_info 0
		.amdhsa_system_vgpr_workitem_id 0
		.amdhsa_next_free_vgpr 1
		.amdhsa_next_free_sgpr 1
		.amdhsa_named_barrier_count 0
		.amdhsa_reserve_vcc 0
		.amdhsa_float_round_mode_32 0
		.amdhsa_float_round_mode_16_64 0
		.amdhsa_float_denorm_mode_32 3
		.amdhsa_float_denorm_mode_16_64 3
		.amdhsa_fp16_overflow 0
		.amdhsa_memory_ordered 1
		.amdhsa_forward_progress 1
		.amdhsa_inst_pref_size 0
		.amdhsa_round_robin_scheduling 0
		.amdhsa_exception_fp_ieee_invalid_op 0
		.amdhsa_exception_fp_denorm_src 0
		.amdhsa_exception_fp_ieee_div_zero 0
		.amdhsa_exception_fp_ieee_overflow 0
		.amdhsa_exception_fp_ieee_underflow 0
		.amdhsa_exception_fp_ieee_inexact 0
		.amdhsa_exception_int_div_zero 0
	.end_amdhsa_kernel
	.section	.text._ZN7rocprim17ROCPRIM_400000_NS6detail17trampoline_kernelINS0_14default_configENS1_25partition_config_selectorILNS1_17partition_subalgoE8EfNS0_10empty_typeEbEEZZNS1_14partition_implILS5_8ELb0ES3_jPKfPS6_PKS6_NS0_5tupleIJPfS6_EEENSE_IJSB_SB_EEENS0_18inequality_wrapperIN6hipcub16HIPCUB_304000_NS8EqualityEEEPlJS6_EEE10hipError_tPvRmT3_T4_T5_T6_T7_T9_mT8_P12ihipStream_tbDpT10_ENKUlT_T0_E_clISt17integral_constantIbLb0EES17_EEDaS12_S13_EUlS12_E_NS1_11comp_targetILNS1_3genE10ELNS1_11target_archE1200ELNS1_3gpuE4ELNS1_3repE0EEENS1_30default_config_static_selectorELNS0_4arch9wavefront6targetE0EEEvT1_,"axG",@progbits,_ZN7rocprim17ROCPRIM_400000_NS6detail17trampoline_kernelINS0_14default_configENS1_25partition_config_selectorILNS1_17partition_subalgoE8EfNS0_10empty_typeEbEEZZNS1_14partition_implILS5_8ELb0ES3_jPKfPS6_PKS6_NS0_5tupleIJPfS6_EEENSE_IJSB_SB_EEENS0_18inequality_wrapperIN6hipcub16HIPCUB_304000_NS8EqualityEEEPlJS6_EEE10hipError_tPvRmT3_T4_T5_T6_T7_T9_mT8_P12ihipStream_tbDpT10_ENKUlT_T0_E_clISt17integral_constantIbLb0EES17_EEDaS12_S13_EUlS12_E_NS1_11comp_targetILNS1_3genE10ELNS1_11target_archE1200ELNS1_3gpuE4ELNS1_3repE0EEENS1_30default_config_static_selectorELNS0_4arch9wavefront6targetE0EEEvT1_,comdat
.Lfunc_end346:
	.size	_ZN7rocprim17ROCPRIM_400000_NS6detail17trampoline_kernelINS0_14default_configENS1_25partition_config_selectorILNS1_17partition_subalgoE8EfNS0_10empty_typeEbEEZZNS1_14partition_implILS5_8ELb0ES3_jPKfPS6_PKS6_NS0_5tupleIJPfS6_EEENSE_IJSB_SB_EEENS0_18inequality_wrapperIN6hipcub16HIPCUB_304000_NS8EqualityEEEPlJS6_EEE10hipError_tPvRmT3_T4_T5_T6_T7_T9_mT8_P12ihipStream_tbDpT10_ENKUlT_T0_E_clISt17integral_constantIbLb0EES17_EEDaS12_S13_EUlS12_E_NS1_11comp_targetILNS1_3genE10ELNS1_11target_archE1200ELNS1_3gpuE4ELNS1_3repE0EEENS1_30default_config_static_selectorELNS0_4arch9wavefront6targetE0EEEvT1_, .Lfunc_end346-_ZN7rocprim17ROCPRIM_400000_NS6detail17trampoline_kernelINS0_14default_configENS1_25partition_config_selectorILNS1_17partition_subalgoE8EfNS0_10empty_typeEbEEZZNS1_14partition_implILS5_8ELb0ES3_jPKfPS6_PKS6_NS0_5tupleIJPfS6_EEENSE_IJSB_SB_EEENS0_18inequality_wrapperIN6hipcub16HIPCUB_304000_NS8EqualityEEEPlJS6_EEE10hipError_tPvRmT3_T4_T5_T6_T7_T9_mT8_P12ihipStream_tbDpT10_ENKUlT_T0_E_clISt17integral_constantIbLb0EES17_EEDaS12_S13_EUlS12_E_NS1_11comp_targetILNS1_3genE10ELNS1_11target_archE1200ELNS1_3gpuE4ELNS1_3repE0EEENS1_30default_config_static_selectorELNS0_4arch9wavefront6targetE0EEEvT1_
                                        ; -- End function
	.set _ZN7rocprim17ROCPRIM_400000_NS6detail17trampoline_kernelINS0_14default_configENS1_25partition_config_selectorILNS1_17partition_subalgoE8EfNS0_10empty_typeEbEEZZNS1_14partition_implILS5_8ELb0ES3_jPKfPS6_PKS6_NS0_5tupleIJPfS6_EEENSE_IJSB_SB_EEENS0_18inequality_wrapperIN6hipcub16HIPCUB_304000_NS8EqualityEEEPlJS6_EEE10hipError_tPvRmT3_T4_T5_T6_T7_T9_mT8_P12ihipStream_tbDpT10_ENKUlT_T0_E_clISt17integral_constantIbLb0EES17_EEDaS12_S13_EUlS12_E_NS1_11comp_targetILNS1_3genE10ELNS1_11target_archE1200ELNS1_3gpuE4ELNS1_3repE0EEENS1_30default_config_static_selectorELNS0_4arch9wavefront6targetE0EEEvT1_.num_vgpr, 0
	.set _ZN7rocprim17ROCPRIM_400000_NS6detail17trampoline_kernelINS0_14default_configENS1_25partition_config_selectorILNS1_17partition_subalgoE8EfNS0_10empty_typeEbEEZZNS1_14partition_implILS5_8ELb0ES3_jPKfPS6_PKS6_NS0_5tupleIJPfS6_EEENSE_IJSB_SB_EEENS0_18inequality_wrapperIN6hipcub16HIPCUB_304000_NS8EqualityEEEPlJS6_EEE10hipError_tPvRmT3_T4_T5_T6_T7_T9_mT8_P12ihipStream_tbDpT10_ENKUlT_T0_E_clISt17integral_constantIbLb0EES17_EEDaS12_S13_EUlS12_E_NS1_11comp_targetILNS1_3genE10ELNS1_11target_archE1200ELNS1_3gpuE4ELNS1_3repE0EEENS1_30default_config_static_selectorELNS0_4arch9wavefront6targetE0EEEvT1_.num_agpr, 0
	.set _ZN7rocprim17ROCPRIM_400000_NS6detail17trampoline_kernelINS0_14default_configENS1_25partition_config_selectorILNS1_17partition_subalgoE8EfNS0_10empty_typeEbEEZZNS1_14partition_implILS5_8ELb0ES3_jPKfPS6_PKS6_NS0_5tupleIJPfS6_EEENSE_IJSB_SB_EEENS0_18inequality_wrapperIN6hipcub16HIPCUB_304000_NS8EqualityEEEPlJS6_EEE10hipError_tPvRmT3_T4_T5_T6_T7_T9_mT8_P12ihipStream_tbDpT10_ENKUlT_T0_E_clISt17integral_constantIbLb0EES17_EEDaS12_S13_EUlS12_E_NS1_11comp_targetILNS1_3genE10ELNS1_11target_archE1200ELNS1_3gpuE4ELNS1_3repE0EEENS1_30default_config_static_selectorELNS0_4arch9wavefront6targetE0EEEvT1_.numbered_sgpr, 0
	.set _ZN7rocprim17ROCPRIM_400000_NS6detail17trampoline_kernelINS0_14default_configENS1_25partition_config_selectorILNS1_17partition_subalgoE8EfNS0_10empty_typeEbEEZZNS1_14partition_implILS5_8ELb0ES3_jPKfPS6_PKS6_NS0_5tupleIJPfS6_EEENSE_IJSB_SB_EEENS0_18inequality_wrapperIN6hipcub16HIPCUB_304000_NS8EqualityEEEPlJS6_EEE10hipError_tPvRmT3_T4_T5_T6_T7_T9_mT8_P12ihipStream_tbDpT10_ENKUlT_T0_E_clISt17integral_constantIbLb0EES17_EEDaS12_S13_EUlS12_E_NS1_11comp_targetILNS1_3genE10ELNS1_11target_archE1200ELNS1_3gpuE4ELNS1_3repE0EEENS1_30default_config_static_selectorELNS0_4arch9wavefront6targetE0EEEvT1_.num_named_barrier, 0
	.set _ZN7rocprim17ROCPRIM_400000_NS6detail17trampoline_kernelINS0_14default_configENS1_25partition_config_selectorILNS1_17partition_subalgoE8EfNS0_10empty_typeEbEEZZNS1_14partition_implILS5_8ELb0ES3_jPKfPS6_PKS6_NS0_5tupleIJPfS6_EEENSE_IJSB_SB_EEENS0_18inequality_wrapperIN6hipcub16HIPCUB_304000_NS8EqualityEEEPlJS6_EEE10hipError_tPvRmT3_T4_T5_T6_T7_T9_mT8_P12ihipStream_tbDpT10_ENKUlT_T0_E_clISt17integral_constantIbLb0EES17_EEDaS12_S13_EUlS12_E_NS1_11comp_targetILNS1_3genE10ELNS1_11target_archE1200ELNS1_3gpuE4ELNS1_3repE0EEENS1_30default_config_static_selectorELNS0_4arch9wavefront6targetE0EEEvT1_.private_seg_size, 0
	.set _ZN7rocprim17ROCPRIM_400000_NS6detail17trampoline_kernelINS0_14default_configENS1_25partition_config_selectorILNS1_17partition_subalgoE8EfNS0_10empty_typeEbEEZZNS1_14partition_implILS5_8ELb0ES3_jPKfPS6_PKS6_NS0_5tupleIJPfS6_EEENSE_IJSB_SB_EEENS0_18inequality_wrapperIN6hipcub16HIPCUB_304000_NS8EqualityEEEPlJS6_EEE10hipError_tPvRmT3_T4_T5_T6_T7_T9_mT8_P12ihipStream_tbDpT10_ENKUlT_T0_E_clISt17integral_constantIbLb0EES17_EEDaS12_S13_EUlS12_E_NS1_11comp_targetILNS1_3genE10ELNS1_11target_archE1200ELNS1_3gpuE4ELNS1_3repE0EEENS1_30default_config_static_selectorELNS0_4arch9wavefront6targetE0EEEvT1_.uses_vcc, 0
	.set _ZN7rocprim17ROCPRIM_400000_NS6detail17trampoline_kernelINS0_14default_configENS1_25partition_config_selectorILNS1_17partition_subalgoE8EfNS0_10empty_typeEbEEZZNS1_14partition_implILS5_8ELb0ES3_jPKfPS6_PKS6_NS0_5tupleIJPfS6_EEENSE_IJSB_SB_EEENS0_18inequality_wrapperIN6hipcub16HIPCUB_304000_NS8EqualityEEEPlJS6_EEE10hipError_tPvRmT3_T4_T5_T6_T7_T9_mT8_P12ihipStream_tbDpT10_ENKUlT_T0_E_clISt17integral_constantIbLb0EES17_EEDaS12_S13_EUlS12_E_NS1_11comp_targetILNS1_3genE10ELNS1_11target_archE1200ELNS1_3gpuE4ELNS1_3repE0EEENS1_30default_config_static_selectorELNS0_4arch9wavefront6targetE0EEEvT1_.uses_flat_scratch, 0
	.set _ZN7rocprim17ROCPRIM_400000_NS6detail17trampoline_kernelINS0_14default_configENS1_25partition_config_selectorILNS1_17partition_subalgoE8EfNS0_10empty_typeEbEEZZNS1_14partition_implILS5_8ELb0ES3_jPKfPS6_PKS6_NS0_5tupleIJPfS6_EEENSE_IJSB_SB_EEENS0_18inequality_wrapperIN6hipcub16HIPCUB_304000_NS8EqualityEEEPlJS6_EEE10hipError_tPvRmT3_T4_T5_T6_T7_T9_mT8_P12ihipStream_tbDpT10_ENKUlT_T0_E_clISt17integral_constantIbLb0EES17_EEDaS12_S13_EUlS12_E_NS1_11comp_targetILNS1_3genE10ELNS1_11target_archE1200ELNS1_3gpuE4ELNS1_3repE0EEENS1_30default_config_static_selectorELNS0_4arch9wavefront6targetE0EEEvT1_.has_dyn_sized_stack, 0
	.set _ZN7rocprim17ROCPRIM_400000_NS6detail17trampoline_kernelINS0_14default_configENS1_25partition_config_selectorILNS1_17partition_subalgoE8EfNS0_10empty_typeEbEEZZNS1_14partition_implILS5_8ELb0ES3_jPKfPS6_PKS6_NS0_5tupleIJPfS6_EEENSE_IJSB_SB_EEENS0_18inequality_wrapperIN6hipcub16HIPCUB_304000_NS8EqualityEEEPlJS6_EEE10hipError_tPvRmT3_T4_T5_T6_T7_T9_mT8_P12ihipStream_tbDpT10_ENKUlT_T0_E_clISt17integral_constantIbLb0EES17_EEDaS12_S13_EUlS12_E_NS1_11comp_targetILNS1_3genE10ELNS1_11target_archE1200ELNS1_3gpuE4ELNS1_3repE0EEENS1_30default_config_static_selectorELNS0_4arch9wavefront6targetE0EEEvT1_.has_recursion, 0
	.set _ZN7rocprim17ROCPRIM_400000_NS6detail17trampoline_kernelINS0_14default_configENS1_25partition_config_selectorILNS1_17partition_subalgoE8EfNS0_10empty_typeEbEEZZNS1_14partition_implILS5_8ELb0ES3_jPKfPS6_PKS6_NS0_5tupleIJPfS6_EEENSE_IJSB_SB_EEENS0_18inequality_wrapperIN6hipcub16HIPCUB_304000_NS8EqualityEEEPlJS6_EEE10hipError_tPvRmT3_T4_T5_T6_T7_T9_mT8_P12ihipStream_tbDpT10_ENKUlT_T0_E_clISt17integral_constantIbLb0EES17_EEDaS12_S13_EUlS12_E_NS1_11comp_targetILNS1_3genE10ELNS1_11target_archE1200ELNS1_3gpuE4ELNS1_3repE0EEENS1_30default_config_static_selectorELNS0_4arch9wavefront6targetE0EEEvT1_.has_indirect_call, 0
	.section	.AMDGPU.csdata,"",@progbits
; Kernel info:
; codeLenInByte = 0
; TotalNumSgprs: 0
; NumVgprs: 0
; ScratchSize: 0
; MemoryBound: 0
; FloatMode: 240
; IeeeMode: 1
; LDSByteSize: 0 bytes/workgroup (compile time only)
; SGPRBlocks: 0
; VGPRBlocks: 0
; NumSGPRsForWavesPerEU: 1
; NumVGPRsForWavesPerEU: 1
; NamedBarCnt: 0
; Occupancy: 16
; WaveLimiterHint : 0
; COMPUTE_PGM_RSRC2:SCRATCH_EN: 0
; COMPUTE_PGM_RSRC2:USER_SGPR: 2
; COMPUTE_PGM_RSRC2:TRAP_HANDLER: 0
; COMPUTE_PGM_RSRC2:TGID_X_EN: 1
; COMPUTE_PGM_RSRC2:TGID_Y_EN: 0
; COMPUTE_PGM_RSRC2:TGID_Z_EN: 0
; COMPUTE_PGM_RSRC2:TIDIG_COMP_CNT: 0
	.section	.text._ZN7rocprim17ROCPRIM_400000_NS6detail17trampoline_kernelINS0_14default_configENS1_25partition_config_selectorILNS1_17partition_subalgoE8EfNS0_10empty_typeEbEEZZNS1_14partition_implILS5_8ELb0ES3_jPKfPS6_PKS6_NS0_5tupleIJPfS6_EEENSE_IJSB_SB_EEENS0_18inequality_wrapperIN6hipcub16HIPCUB_304000_NS8EqualityEEEPlJS6_EEE10hipError_tPvRmT3_T4_T5_T6_T7_T9_mT8_P12ihipStream_tbDpT10_ENKUlT_T0_E_clISt17integral_constantIbLb0EES17_EEDaS12_S13_EUlS12_E_NS1_11comp_targetILNS1_3genE9ELNS1_11target_archE1100ELNS1_3gpuE3ELNS1_3repE0EEENS1_30default_config_static_selectorELNS0_4arch9wavefront6targetE0EEEvT1_,"axG",@progbits,_ZN7rocprim17ROCPRIM_400000_NS6detail17trampoline_kernelINS0_14default_configENS1_25partition_config_selectorILNS1_17partition_subalgoE8EfNS0_10empty_typeEbEEZZNS1_14partition_implILS5_8ELb0ES3_jPKfPS6_PKS6_NS0_5tupleIJPfS6_EEENSE_IJSB_SB_EEENS0_18inequality_wrapperIN6hipcub16HIPCUB_304000_NS8EqualityEEEPlJS6_EEE10hipError_tPvRmT3_T4_T5_T6_T7_T9_mT8_P12ihipStream_tbDpT10_ENKUlT_T0_E_clISt17integral_constantIbLb0EES17_EEDaS12_S13_EUlS12_E_NS1_11comp_targetILNS1_3genE9ELNS1_11target_archE1100ELNS1_3gpuE3ELNS1_3repE0EEENS1_30default_config_static_selectorELNS0_4arch9wavefront6targetE0EEEvT1_,comdat
	.protected	_ZN7rocprim17ROCPRIM_400000_NS6detail17trampoline_kernelINS0_14default_configENS1_25partition_config_selectorILNS1_17partition_subalgoE8EfNS0_10empty_typeEbEEZZNS1_14partition_implILS5_8ELb0ES3_jPKfPS6_PKS6_NS0_5tupleIJPfS6_EEENSE_IJSB_SB_EEENS0_18inequality_wrapperIN6hipcub16HIPCUB_304000_NS8EqualityEEEPlJS6_EEE10hipError_tPvRmT3_T4_T5_T6_T7_T9_mT8_P12ihipStream_tbDpT10_ENKUlT_T0_E_clISt17integral_constantIbLb0EES17_EEDaS12_S13_EUlS12_E_NS1_11comp_targetILNS1_3genE9ELNS1_11target_archE1100ELNS1_3gpuE3ELNS1_3repE0EEENS1_30default_config_static_selectorELNS0_4arch9wavefront6targetE0EEEvT1_ ; -- Begin function _ZN7rocprim17ROCPRIM_400000_NS6detail17trampoline_kernelINS0_14default_configENS1_25partition_config_selectorILNS1_17partition_subalgoE8EfNS0_10empty_typeEbEEZZNS1_14partition_implILS5_8ELb0ES3_jPKfPS6_PKS6_NS0_5tupleIJPfS6_EEENSE_IJSB_SB_EEENS0_18inequality_wrapperIN6hipcub16HIPCUB_304000_NS8EqualityEEEPlJS6_EEE10hipError_tPvRmT3_T4_T5_T6_T7_T9_mT8_P12ihipStream_tbDpT10_ENKUlT_T0_E_clISt17integral_constantIbLb0EES17_EEDaS12_S13_EUlS12_E_NS1_11comp_targetILNS1_3genE9ELNS1_11target_archE1100ELNS1_3gpuE3ELNS1_3repE0EEENS1_30default_config_static_selectorELNS0_4arch9wavefront6targetE0EEEvT1_
	.globl	_ZN7rocprim17ROCPRIM_400000_NS6detail17trampoline_kernelINS0_14default_configENS1_25partition_config_selectorILNS1_17partition_subalgoE8EfNS0_10empty_typeEbEEZZNS1_14partition_implILS5_8ELb0ES3_jPKfPS6_PKS6_NS0_5tupleIJPfS6_EEENSE_IJSB_SB_EEENS0_18inequality_wrapperIN6hipcub16HIPCUB_304000_NS8EqualityEEEPlJS6_EEE10hipError_tPvRmT3_T4_T5_T6_T7_T9_mT8_P12ihipStream_tbDpT10_ENKUlT_T0_E_clISt17integral_constantIbLb0EES17_EEDaS12_S13_EUlS12_E_NS1_11comp_targetILNS1_3genE9ELNS1_11target_archE1100ELNS1_3gpuE3ELNS1_3repE0EEENS1_30default_config_static_selectorELNS0_4arch9wavefront6targetE0EEEvT1_
	.p2align	8
	.type	_ZN7rocprim17ROCPRIM_400000_NS6detail17trampoline_kernelINS0_14default_configENS1_25partition_config_selectorILNS1_17partition_subalgoE8EfNS0_10empty_typeEbEEZZNS1_14partition_implILS5_8ELb0ES3_jPKfPS6_PKS6_NS0_5tupleIJPfS6_EEENSE_IJSB_SB_EEENS0_18inequality_wrapperIN6hipcub16HIPCUB_304000_NS8EqualityEEEPlJS6_EEE10hipError_tPvRmT3_T4_T5_T6_T7_T9_mT8_P12ihipStream_tbDpT10_ENKUlT_T0_E_clISt17integral_constantIbLb0EES17_EEDaS12_S13_EUlS12_E_NS1_11comp_targetILNS1_3genE9ELNS1_11target_archE1100ELNS1_3gpuE3ELNS1_3repE0EEENS1_30default_config_static_selectorELNS0_4arch9wavefront6targetE0EEEvT1_,@function
_ZN7rocprim17ROCPRIM_400000_NS6detail17trampoline_kernelINS0_14default_configENS1_25partition_config_selectorILNS1_17partition_subalgoE8EfNS0_10empty_typeEbEEZZNS1_14partition_implILS5_8ELb0ES3_jPKfPS6_PKS6_NS0_5tupleIJPfS6_EEENSE_IJSB_SB_EEENS0_18inequality_wrapperIN6hipcub16HIPCUB_304000_NS8EqualityEEEPlJS6_EEE10hipError_tPvRmT3_T4_T5_T6_T7_T9_mT8_P12ihipStream_tbDpT10_ENKUlT_T0_E_clISt17integral_constantIbLb0EES17_EEDaS12_S13_EUlS12_E_NS1_11comp_targetILNS1_3genE9ELNS1_11target_archE1100ELNS1_3gpuE3ELNS1_3repE0EEENS1_30default_config_static_selectorELNS0_4arch9wavefront6targetE0EEEvT1_: ; @_ZN7rocprim17ROCPRIM_400000_NS6detail17trampoline_kernelINS0_14default_configENS1_25partition_config_selectorILNS1_17partition_subalgoE8EfNS0_10empty_typeEbEEZZNS1_14partition_implILS5_8ELb0ES3_jPKfPS6_PKS6_NS0_5tupleIJPfS6_EEENSE_IJSB_SB_EEENS0_18inequality_wrapperIN6hipcub16HIPCUB_304000_NS8EqualityEEEPlJS6_EEE10hipError_tPvRmT3_T4_T5_T6_T7_T9_mT8_P12ihipStream_tbDpT10_ENKUlT_T0_E_clISt17integral_constantIbLb0EES17_EEDaS12_S13_EUlS12_E_NS1_11comp_targetILNS1_3genE9ELNS1_11target_archE1100ELNS1_3gpuE3ELNS1_3repE0EEENS1_30default_config_static_selectorELNS0_4arch9wavefront6targetE0EEEvT1_
; %bb.0:
	.section	.rodata,"a",@progbits
	.p2align	6, 0x0
	.amdhsa_kernel _ZN7rocprim17ROCPRIM_400000_NS6detail17trampoline_kernelINS0_14default_configENS1_25partition_config_selectorILNS1_17partition_subalgoE8EfNS0_10empty_typeEbEEZZNS1_14partition_implILS5_8ELb0ES3_jPKfPS6_PKS6_NS0_5tupleIJPfS6_EEENSE_IJSB_SB_EEENS0_18inequality_wrapperIN6hipcub16HIPCUB_304000_NS8EqualityEEEPlJS6_EEE10hipError_tPvRmT3_T4_T5_T6_T7_T9_mT8_P12ihipStream_tbDpT10_ENKUlT_T0_E_clISt17integral_constantIbLb0EES17_EEDaS12_S13_EUlS12_E_NS1_11comp_targetILNS1_3genE9ELNS1_11target_archE1100ELNS1_3gpuE3ELNS1_3repE0EEENS1_30default_config_static_selectorELNS0_4arch9wavefront6targetE0EEEvT1_
		.amdhsa_group_segment_fixed_size 0
		.amdhsa_private_segment_fixed_size 0
		.amdhsa_kernarg_size 112
		.amdhsa_user_sgpr_count 2
		.amdhsa_user_sgpr_dispatch_ptr 0
		.amdhsa_user_sgpr_queue_ptr 0
		.amdhsa_user_sgpr_kernarg_segment_ptr 1
		.amdhsa_user_sgpr_dispatch_id 0
		.amdhsa_user_sgpr_kernarg_preload_length 0
		.amdhsa_user_sgpr_kernarg_preload_offset 0
		.amdhsa_user_sgpr_private_segment_size 0
		.amdhsa_wavefront_size32 1
		.amdhsa_uses_dynamic_stack 0
		.amdhsa_enable_private_segment 0
		.amdhsa_system_sgpr_workgroup_id_x 1
		.amdhsa_system_sgpr_workgroup_id_y 0
		.amdhsa_system_sgpr_workgroup_id_z 0
		.amdhsa_system_sgpr_workgroup_info 0
		.amdhsa_system_vgpr_workitem_id 0
		.amdhsa_next_free_vgpr 1
		.amdhsa_next_free_sgpr 1
		.amdhsa_named_barrier_count 0
		.amdhsa_reserve_vcc 0
		.amdhsa_float_round_mode_32 0
		.amdhsa_float_round_mode_16_64 0
		.amdhsa_float_denorm_mode_32 3
		.amdhsa_float_denorm_mode_16_64 3
		.amdhsa_fp16_overflow 0
		.amdhsa_memory_ordered 1
		.amdhsa_forward_progress 1
		.amdhsa_inst_pref_size 0
		.amdhsa_round_robin_scheduling 0
		.amdhsa_exception_fp_ieee_invalid_op 0
		.amdhsa_exception_fp_denorm_src 0
		.amdhsa_exception_fp_ieee_div_zero 0
		.amdhsa_exception_fp_ieee_overflow 0
		.amdhsa_exception_fp_ieee_underflow 0
		.amdhsa_exception_fp_ieee_inexact 0
		.amdhsa_exception_int_div_zero 0
	.end_amdhsa_kernel
	.section	.text._ZN7rocprim17ROCPRIM_400000_NS6detail17trampoline_kernelINS0_14default_configENS1_25partition_config_selectorILNS1_17partition_subalgoE8EfNS0_10empty_typeEbEEZZNS1_14partition_implILS5_8ELb0ES3_jPKfPS6_PKS6_NS0_5tupleIJPfS6_EEENSE_IJSB_SB_EEENS0_18inequality_wrapperIN6hipcub16HIPCUB_304000_NS8EqualityEEEPlJS6_EEE10hipError_tPvRmT3_T4_T5_T6_T7_T9_mT8_P12ihipStream_tbDpT10_ENKUlT_T0_E_clISt17integral_constantIbLb0EES17_EEDaS12_S13_EUlS12_E_NS1_11comp_targetILNS1_3genE9ELNS1_11target_archE1100ELNS1_3gpuE3ELNS1_3repE0EEENS1_30default_config_static_selectorELNS0_4arch9wavefront6targetE0EEEvT1_,"axG",@progbits,_ZN7rocprim17ROCPRIM_400000_NS6detail17trampoline_kernelINS0_14default_configENS1_25partition_config_selectorILNS1_17partition_subalgoE8EfNS0_10empty_typeEbEEZZNS1_14partition_implILS5_8ELb0ES3_jPKfPS6_PKS6_NS0_5tupleIJPfS6_EEENSE_IJSB_SB_EEENS0_18inequality_wrapperIN6hipcub16HIPCUB_304000_NS8EqualityEEEPlJS6_EEE10hipError_tPvRmT3_T4_T5_T6_T7_T9_mT8_P12ihipStream_tbDpT10_ENKUlT_T0_E_clISt17integral_constantIbLb0EES17_EEDaS12_S13_EUlS12_E_NS1_11comp_targetILNS1_3genE9ELNS1_11target_archE1100ELNS1_3gpuE3ELNS1_3repE0EEENS1_30default_config_static_selectorELNS0_4arch9wavefront6targetE0EEEvT1_,comdat
.Lfunc_end347:
	.size	_ZN7rocprim17ROCPRIM_400000_NS6detail17trampoline_kernelINS0_14default_configENS1_25partition_config_selectorILNS1_17partition_subalgoE8EfNS0_10empty_typeEbEEZZNS1_14partition_implILS5_8ELb0ES3_jPKfPS6_PKS6_NS0_5tupleIJPfS6_EEENSE_IJSB_SB_EEENS0_18inequality_wrapperIN6hipcub16HIPCUB_304000_NS8EqualityEEEPlJS6_EEE10hipError_tPvRmT3_T4_T5_T6_T7_T9_mT8_P12ihipStream_tbDpT10_ENKUlT_T0_E_clISt17integral_constantIbLb0EES17_EEDaS12_S13_EUlS12_E_NS1_11comp_targetILNS1_3genE9ELNS1_11target_archE1100ELNS1_3gpuE3ELNS1_3repE0EEENS1_30default_config_static_selectorELNS0_4arch9wavefront6targetE0EEEvT1_, .Lfunc_end347-_ZN7rocprim17ROCPRIM_400000_NS6detail17trampoline_kernelINS0_14default_configENS1_25partition_config_selectorILNS1_17partition_subalgoE8EfNS0_10empty_typeEbEEZZNS1_14partition_implILS5_8ELb0ES3_jPKfPS6_PKS6_NS0_5tupleIJPfS6_EEENSE_IJSB_SB_EEENS0_18inequality_wrapperIN6hipcub16HIPCUB_304000_NS8EqualityEEEPlJS6_EEE10hipError_tPvRmT3_T4_T5_T6_T7_T9_mT8_P12ihipStream_tbDpT10_ENKUlT_T0_E_clISt17integral_constantIbLb0EES17_EEDaS12_S13_EUlS12_E_NS1_11comp_targetILNS1_3genE9ELNS1_11target_archE1100ELNS1_3gpuE3ELNS1_3repE0EEENS1_30default_config_static_selectorELNS0_4arch9wavefront6targetE0EEEvT1_
                                        ; -- End function
	.set _ZN7rocprim17ROCPRIM_400000_NS6detail17trampoline_kernelINS0_14default_configENS1_25partition_config_selectorILNS1_17partition_subalgoE8EfNS0_10empty_typeEbEEZZNS1_14partition_implILS5_8ELb0ES3_jPKfPS6_PKS6_NS0_5tupleIJPfS6_EEENSE_IJSB_SB_EEENS0_18inequality_wrapperIN6hipcub16HIPCUB_304000_NS8EqualityEEEPlJS6_EEE10hipError_tPvRmT3_T4_T5_T6_T7_T9_mT8_P12ihipStream_tbDpT10_ENKUlT_T0_E_clISt17integral_constantIbLb0EES17_EEDaS12_S13_EUlS12_E_NS1_11comp_targetILNS1_3genE9ELNS1_11target_archE1100ELNS1_3gpuE3ELNS1_3repE0EEENS1_30default_config_static_selectorELNS0_4arch9wavefront6targetE0EEEvT1_.num_vgpr, 0
	.set _ZN7rocprim17ROCPRIM_400000_NS6detail17trampoline_kernelINS0_14default_configENS1_25partition_config_selectorILNS1_17partition_subalgoE8EfNS0_10empty_typeEbEEZZNS1_14partition_implILS5_8ELb0ES3_jPKfPS6_PKS6_NS0_5tupleIJPfS6_EEENSE_IJSB_SB_EEENS0_18inequality_wrapperIN6hipcub16HIPCUB_304000_NS8EqualityEEEPlJS6_EEE10hipError_tPvRmT3_T4_T5_T6_T7_T9_mT8_P12ihipStream_tbDpT10_ENKUlT_T0_E_clISt17integral_constantIbLb0EES17_EEDaS12_S13_EUlS12_E_NS1_11comp_targetILNS1_3genE9ELNS1_11target_archE1100ELNS1_3gpuE3ELNS1_3repE0EEENS1_30default_config_static_selectorELNS0_4arch9wavefront6targetE0EEEvT1_.num_agpr, 0
	.set _ZN7rocprim17ROCPRIM_400000_NS6detail17trampoline_kernelINS0_14default_configENS1_25partition_config_selectorILNS1_17partition_subalgoE8EfNS0_10empty_typeEbEEZZNS1_14partition_implILS5_8ELb0ES3_jPKfPS6_PKS6_NS0_5tupleIJPfS6_EEENSE_IJSB_SB_EEENS0_18inequality_wrapperIN6hipcub16HIPCUB_304000_NS8EqualityEEEPlJS6_EEE10hipError_tPvRmT3_T4_T5_T6_T7_T9_mT8_P12ihipStream_tbDpT10_ENKUlT_T0_E_clISt17integral_constantIbLb0EES17_EEDaS12_S13_EUlS12_E_NS1_11comp_targetILNS1_3genE9ELNS1_11target_archE1100ELNS1_3gpuE3ELNS1_3repE0EEENS1_30default_config_static_selectorELNS0_4arch9wavefront6targetE0EEEvT1_.numbered_sgpr, 0
	.set _ZN7rocprim17ROCPRIM_400000_NS6detail17trampoline_kernelINS0_14default_configENS1_25partition_config_selectorILNS1_17partition_subalgoE8EfNS0_10empty_typeEbEEZZNS1_14partition_implILS5_8ELb0ES3_jPKfPS6_PKS6_NS0_5tupleIJPfS6_EEENSE_IJSB_SB_EEENS0_18inequality_wrapperIN6hipcub16HIPCUB_304000_NS8EqualityEEEPlJS6_EEE10hipError_tPvRmT3_T4_T5_T6_T7_T9_mT8_P12ihipStream_tbDpT10_ENKUlT_T0_E_clISt17integral_constantIbLb0EES17_EEDaS12_S13_EUlS12_E_NS1_11comp_targetILNS1_3genE9ELNS1_11target_archE1100ELNS1_3gpuE3ELNS1_3repE0EEENS1_30default_config_static_selectorELNS0_4arch9wavefront6targetE0EEEvT1_.num_named_barrier, 0
	.set _ZN7rocprim17ROCPRIM_400000_NS6detail17trampoline_kernelINS0_14default_configENS1_25partition_config_selectorILNS1_17partition_subalgoE8EfNS0_10empty_typeEbEEZZNS1_14partition_implILS5_8ELb0ES3_jPKfPS6_PKS6_NS0_5tupleIJPfS6_EEENSE_IJSB_SB_EEENS0_18inequality_wrapperIN6hipcub16HIPCUB_304000_NS8EqualityEEEPlJS6_EEE10hipError_tPvRmT3_T4_T5_T6_T7_T9_mT8_P12ihipStream_tbDpT10_ENKUlT_T0_E_clISt17integral_constantIbLb0EES17_EEDaS12_S13_EUlS12_E_NS1_11comp_targetILNS1_3genE9ELNS1_11target_archE1100ELNS1_3gpuE3ELNS1_3repE0EEENS1_30default_config_static_selectorELNS0_4arch9wavefront6targetE0EEEvT1_.private_seg_size, 0
	.set _ZN7rocprim17ROCPRIM_400000_NS6detail17trampoline_kernelINS0_14default_configENS1_25partition_config_selectorILNS1_17partition_subalgoE8EfNS0_10empty_typeEbEEZZNS1_14partition_implILS5_8ELb0ES3_jPKfPS6_PKS6_NS0_5tupleIJPfS6_EEENSE_IJSB_SB_EEENS0_18inequality_wrapperIN6hipcub16HIPCUB_304000_NS8EqualityEEEPlJS6_EEE10hipError_tPvRmT3_T4_T5_T6_T7_T9_mT8_P12ihipStream_tbDpT10_ENKUlT_T0_E_clISt17integral_constantIbLb0EES17_EEDaS12_S13_EUlS12_E_NS1_11comp_targetILNS1_3genE9ELNS1_11target_archE1100ELNS1_3gpuE3ELNS1_3repE0EEENS1_30default_config_static_selectorELNS0_4arch9wavefront6targetE0EEEvT1_.uses_vcc, 0
	.set _ZN7rocprim17ROCPRIM_400000_NS6detail17trampoline_kernelINS0_14default_configENS1_25partition_config_selectorILNS1_17partition_subalgoE8EfNS0_10empty_typeEbEEZZNS1_14partition_implILS5_8ELb0ES3_jPKfPS6_PKS6_NS0_5tupleIJPfS6_EEENSE_IJSB_SB_EEENS0_18inequality_wrapperIN6hipcub16HIPCUB_304000_NS8EqualityEEEPlJS6_EEE10hipError_tPvRmT3_T4_T5_T6_T7_T9_mT8_P12ihipStream_tbDpT10_ENKUlT_T0_E_clISt17integral_constantIbLb0EES17_EEDaS12_S13_EUlS12_E_NS1_11comp_targetILNS1_3genE9ELNS1_11target_archE1100ELNS1_3gpuE3ELNS1_3repE0EEENS1_30default_config_static_selectorELNS0_4arch9wavefront6targetE0EEEvT1_.uses_flat_scratch, 0
	.set _ZN7rocprim17ROCPRIM_400000_NS6detail17trampoline_kernelINS0_14default_configENS1_25partition_config_selectorILNS1_17partition_subalgoE8EfNS0_10empty_typeEbEEZZNS1_14partition_implILS5_8ELb0ES3_jPKfPS6_PKS6_NS0_5tupleIJPfS6_EEENSE_IJSB_SB_EEENS0_18inequality_wrapperIN6hipcub16HIPCUB_304000_NS8EqualityEEEPlJS6_EEE10hipError_tPvRmT3_T4_T5_T6_T7_T9_mT8_P12ihipStream_tbDpT10_ENKUlT_T0_E_clISt17integral_constantIbLb0EES17_EEDaS12_S13_EUlS12_E_NS1_11comp_targetILNS1_3genE9ELNS1_11target_archE1100ELNS1_3gpuE3ELNS1_3repE0EEENS1_30default_config_static_selectorELNS0_4arch9wavefront6targetE0EEEvT1_.has_dyn_sized_stack, 0
	.set _ZN7rocprim17ROCPRIM_400000_NS6detail17trampoline_kernelINS0_14default_configENS1_25partition_config_selectorILNS1_17partition_subalgoE8EfNS0_10empty_typeEbEEZZNS1_14partition_implILS5_8ELb0ES3_jPKfPS6_PKS6_NS0_5tupleIJPfS6_EEENSE_IJSB_SB_EEENS0_18inequality_wrapperIN6hipcub16HIPCUB_304000_NS8EqualityEEEPlJS6_EEE10hipError_tPvRmT3_T4_T5_T6_T7_T9_mT8_P12ihipStream_tbDpT10_ENKUlT_T0_E_clISt17integral_constantIbLb0EES17_EEDaS12_S13_EUlS12_E_NS1_11comp_targetILNS1_3genE9ELNS1_11target_archE1100ELNS1_3gpuE3ELNS1_3repE0EEENS1_30default_config_static_selectorELNS0_4arch9wavefront6targetE0EEEvT1_.has_recursion, 0
	.set _ZN7rocprim17ROCPRIM_400000_NS6detail17trampoline_kernelINS0_14default_configENS1_25partition_config_selectorILNS1_17partition_subalgoE8EfNS0_10empty_typeEbEEZZNS1_14partition_implILS5_8ELb0ES3_jPKfPS6_PKS6_NS0_5tupleIJPfS6_EEENSE_IJSB_SB_EEENS0_18inequality_wrapperIN6hipcub16HIPCUB_304000_NS8EqualityEEEPlJS6_EEE10hipError_tPvRmT3_T4_T5_T6_T7_T9_mT8_P12ihipStream_tbDpT10_ENKUlT_T0_E_clISt17integral_constantIbLb0EES17_EEDaS12_S13_EUlS12_E_NS1_11comp_targetILNS1_3genE9ELNS1_11target_archE1100ELNS1_3gpuE3ELNS1_3repE0EEENS1_30default_config_static_selectorELNS0_4arch9wavefront6targetE0EEEvT1_.has_indirect_call, 0
	.section	.AMDGPU.csdata,"",@progbits
; Kernel info:
; codeLenInByte = 0
; TotalNumSgprs: 0
; NumVgprs: 0
; ScratchSize: 0
; MemoryBound: 0
; FloatMode: 240
; IeeeMode: 1
; LDSByteSize: 0 bytes/workgroup (compile time only)
; SGPRBlocks: 0
; VGPRBlocks: 0
; NumSGPRsForWavesPerEU: 1
; NumVGPRsForWavesPerEU: 1
; NamedBarCnt: 0
; Occupancy: 16
; WaveLimiterHint : 0
; COMPUTE_PGM_RSRC2:SCRATCH_EN: 0
; COMPUTE_PGM_RSRC2:USER_SGPR: 2
; COMPUTE_PGM_RSRC2:TRAP_HANDLER: 0
; COMPUTE_PGM_RSRC2:TGID_X_EN: 1
; COMPUTE_PGM_RSRC2:TGID_Y_EN: 0
; COMPUTE_PGM_RSRC2:TGID_Z_EN: 0
; COMPUTE_PGM_RSRC2:TIDIG_COMP_CNT: 0
	.section	.text._ZN7rocprim17ROCPRIM_400000_NS6detail17trampoline_kernelINS0_14default_configENS1_25partition_config_selectorILNS1_17partition_subalgoE8EfNS0_10empty_typeEbEEZZNS1_14partition_implILS5_8ELb0ES3_jPKfPS6_PKS6_NS0_5tupleIJPfS6_EEENSE_IJSB_SB_EEENS0_18inequality_wrapperIN6hipcub16HIPCUB_304000_NS8EqualityEEEPlJS6_EEE10hipError_tPvRmT3_T4_T5_T6_T7_T9_mT8_P12ihipStream_tbDpT10_ENKUlT_T0_E_clISt17integral_constantIbLb0EES17_EEDaS12_S13_EUlS12_E_NS1_11comp_targetILNS1_3genE8ELNS1_11target_archE1030ELNS1_3gpuE2ELNS1_3repE0EEENS1_30default_config_static_selectorELNS0_4arch9wavefront6targetE0EEEvT1_,"axG",@progbits,_ZN7rocprim17ROCPRIM_400000_NS6detail17trampoline_kernelINS0_14default_configENS1_25partition_config_selectorILNS1_17partition_subalgoE8EfNS0_10empty_typeEbEEZZNS1_14partition_implILS5_8ELb0ES3_jPKfPS6_PKS6_NS0_5tupleIJPfS6_EEENSE_IJSB_SB_EEENS0_18inequality_wrapperIN6hipcub16HIPCUB_304000_NS8EqualityEEEPlJS6_EEE10hipError_tPvRmT3_T4_T5_T6_T7_T9_mT8_P12ihipStream_tbDpT10_ENKUlT_T0_E_clISt17integral_constantIbLb0EES17_EEDaS12_S13_EUlS12_E_NS1_11comp_targetILNS1_3genE8ELNS1_11target_archE1030ELNS1_3gpuE2ELNS1_3repE0EEENS1_30default_config_static_selectorELNS0_4arch9wavefront6targetE0EEEvT1_,comdat
	.protected	_ZN7rocprim17ROCPRIM_400000_NS6detail17trampoline_kernelINS0_14default_configENS1_25partition_config_selectorILNS1_17partition_subalgoE8EfNS0_10empty_typeEbEEZZNS1_14partition_implILS5_8ELb0ES3_jPKfPS6_PKS6_NS0_5tupleIJPfS6_EEENSE_IJSB_SB_EEENS0_18inequality_wrapperIN6hipcub16HIPCUB_304000_NS8EqualityEEEPlJS6_EEE10hipError_tPvRmT3_T4_T5_T6_T7_T9_mT8_P12ihipStream_tbDpT10_ENKUlT_T0_E_clISt17integral_constantIbLb0EES17_EEDaS12_S13_EUlS12_E_NS1_11comp_targetILNS1_3genE8ELNS1_11target_archE1030ELNS1_3gpuE2ELNS1_3repE0EEENS1_30default_config_static_selectorELNS0_4arch9wavefront6targetE0EEEvT1_ ; -- Begin function _ZN7rocprim17ROCPRIM_400000_NS6detail17trampoline_kernelINS0_14default_configENS1_25partition_config_selectorILNS1_17partition_subalgoE8EfNS0_10empty_typeEbEEZZNS1_14partition_implILS5_8ELb0ES3_jPKfPS6_PKS6_NS0_5tupleIJPfS6_EEENSE_IJSB_SB_EEENS0_18inequality_wrapperIN6hipcub16HIPCUB_304000_NS8EqualityEEEPlJS6_EEE10hipError_tPvRmT3_T4_T5_T6_T7_T9_mT8_P12ihipStream_tbDpT10_ENKUlT_T0_E_clISt17integral_constantIbLb0EES17_EEDaS12_S13_EUlS12_E_NS1_11comp_targetILNS1_3genE8ELNS1_11target_archE1030ELNS1_3gpuE2ELNS1_3repE0EEENS1_30default_config_static_selectorELNS0_4arch9wavefront6targetE0EEEvT1_
	.globl	_ZN7rocprim17ROCPRIM_400000_NS6detail17trampoline_kernelINS0_14default_configENS1_25partition_config_selectorILNS1_17partition_subalgoE8EfNS0_10empty_typeEbEEZZNS1_14partition_implILS5_8ELb0ES3_jPKfPS6_PKS6_NS0_5tupleIJPfS6_EEENSE_IJSB_SB_EEENS0_18inequality_wrapperIN6hipcub16HIPCUB_304000_NS8EqualityEEEPlJS6_EEE10hipError_tPvRmT3_T4_T5_T6_T7_T9_mT8_P12ihipStream_tbDpT10_ENKUlT_T0_E_clISt17integral_constantIbLb0EES17_EEDaS12_S13_EUlS12_E_NS1_11comp_targetILNS1_3genE8ELNS1_11target_archE1030ELNS1_3gpuE2ELNS1_3repE0EEENS1_30default_config_static_selectorELNS0_4arch9wavefront6targetE0EEEvT1_
	.p2align	8
	.type	_ZN7rocprim17ROCPRIM_400000_NS6detail17trampoline_kernelINS0_14default_configENS1_25partition_config_selectorILNS1_17partition_subalgoE8EfNS0_10empty_typeEbEEZZNS1_14partition_implILS5_8ELb0ES3_jPKfPS6_PKS6_NS0_5tupleIJPfS6_EEENSE_IJSB_SB_EEENS0_18inequality_wrapperIN6hipcub16HIPCUB_304000_NS8EqualityEEEPlJS6_EEE10hipError_tPvRmT3_T4_T5_T6_T7_T9_mT8_P12ihipStream_tbDpT10_ENKUlT_T0_E_clISt17integral_constantIbLb0EES17_EEDaS12_S13_EUlS12_E_NS1_11comp_targetILNS1_3genE8ELNS1_11target_archE1030ELNS1_3gpuE2ELNS1_3repE0EEENS1_30default_config_static_selectorELNS0_4arch9wavefront6targetE0EEEvT1_,@function
_ZN7rocprim17ROCPRIM_400000_NS6detail17trampoline_kernelINS0_14default_configENS1_25partition_config_selectorILNS1_17partition_subalgoE8EfNS0_10empty_typeEbEEZZNS1_14partition_implILS5_8ELb0ES3_jPKfPS6_PKS6_NS0_5tupleIJPfS6_EEENSE_IJSB_SB_EEENS0_18inequality_wrapperIN6hipcub16HIPCUB_304000_NS8EqualityEEEPlJS6_EEE10hipError_tPvRmT3_T4_T5_T6_T7_T9_mT8_P12ihipStream_tbDpT10_ENKUlT_T0_E_clISt17integral_constantIbLb0EES17_EEDaS12_S13_EUlS12_E_NS1_11comp_targetILNS1_3genE8ELNS1_11target_archE1030ELNS1_3gpuE2ELNS1_3repE0EEENS1_30default_config_static_selectorELNS0_4arch9wavefront6targetE0EEEvT1_: ; @_ZN7rocprim17ROCPRIM_400000_NS6detail17trampoline_kernelINS0_14default_configENS1_25partition_config_selectorILNS1_17partition_subalgoE8EfNS0_10empty_typeEbEEZZNS1_14partition_implILS5_8ELb0ES3_jPKfPS6_PKS6_NS0_5tupleIJPfS6_EEENSE_IJSB_SB_EEENS0_18inequality_wrapperIN6hipcub16HIPCUB_304000_NS8EqualityEEEPlJS6_EEE10hipError_tPvRmT3_T4_T5_T6_T7_T9_mT8_P12ihipStream_tbDpT10_ENKUlT_T0_E_clISt17integral_constantIbLb0EES17_EEDaS12_S13_EUlS12_E_NS1_11comp_targetILNS1_3genE8ELNS1_11target_archE1030ELNS1_3gpuE2ELNS1_3repE0EEENS1_30default_config_static_selectorELNS0_4arch9wavefront6targetE0EEEvT1_
; %bb.0:
	.section	.rodata,"a",@progbits
	.p2align	6, 0x0
	.amdhsa_kernel _ZN7rocprim17ROCPRIM_400000_NS6detail17trampoline_kernelINS0_14default_configENS1_25partition_config_selectorILNS1_17partition_subalgoE8EfNS0_10empty_typeEbEEZZNS1_14partition_implILS5_8ELb0ES3_jPKfPS6_PKS6_NS0_5tupleIJPfS6_EEENSE_IJSB_SB_EEENS0_18inequality_wrapperIN6hipcub16HIPCUB_304000_NS8EqualityEEEPlJS6_EEE10hipError_tPvRmT3_T4_T5_T6_T7_T9_mT8_P12ihipStream_tbDpT10_ENKUlT_T0_E_clISt17integral_constantIbLb0EES17_EEDaS12_S13_EUlS12_E_NS1_11comp_targetILNS1_3genE8ELNS1_11target_archE1030ELNS1_3gpuE2ELNS1_3repE0EEENS1_30default_config_static_selectorELNS0_4arch9wavefront6targetE0EEEvT1_
		.amdhsa_group_segment_fixed_size 0
		.amdhsa_private_segment_fixed_size 0
		.amdhsa_kernarg_size 112
		.amdhsa_user_sgpr_count 2
		.amdhsa_user_sgpr_dispatch_ptr 0
		.amdhsa_user_sgpr_queue_ptr 0
		.amdhsa_user_sgpr_kernarg_segment_ptr 1
		.amdhsa_user_sgpr_dispatch_id 0
		.amdhsa_user_sgpr_kernarg_preload_length 0
		.amdhsa_user_sgpr_kernarg_preload_offset 0
		.amdhsa_user_sgpr_private_segment_size 0
		.amdhsa_wavefront_size32 1
		.amdhsa_uses_dynamic_stack 0
		.amdhsa_enable_private_segment 0
		.amdhsa_system_sgpr_workgroup_id_x 1
		.amdhsa_system_sgpr_workgroup_id_y 0
		.amdhsa_system_sgpr_workgroup_id_z 0
		.amdhsa_system_sgpr_workgroup_info 0
		.amdhsa_system_vgpr_workitem_id 0
		.amdhsa_next_free_vgpr 1
		.amdhsa_next_free_sgpr 1
		.amdhsa_named_barrier_count 0
		.amdhsa_reserve_vcc 0
		.amdhsa_float_round_mode_32 0
		.amdhsa_float_round_mode_16_64 0
		.amdhsa_float_denorm_mode_32 3
		.amdhsa_float_denorm_mode_16_64 3
		.amdhsa_fp16_overflow 0
		.amdhsa_memory_ordered 1
		.amdhsa_forward_progress 1
		.amdhsa_inst_pref_size 0
		.amdhsa_round_robin_scheduling 0
		.amdhsa_exception_fp_ieee_invalid_op 0
		.amdhsa_exception_fp_denorm_src 0
		.amdhsa_exception_fp_ieee_div_zero 0
		.amdhsa_exception_fp_ieee_overflow 0
		.amdhsa_exception_fp_ieee_underflow 0
		.amdhsa_exception_fp_ieee_inexact 0
		.amdhsa_exception_int_div_zero 0
	.end_amdhsa_kernel
	.section	.text._ZN7rocprim17ROCPRIM_400000_NS6detail17trampoline_kernelINS0_14default_configENS1_25partition_config_selectorILNS1_17partition_subalgoE8EfNS0_10empty_typeEbEEZZNS1_14partition_implILS5_8ELb0ES3_jPKfPS6_PKS6_NS0_5tupleIJPfS6_EEENSE_IJSB_SB_EEENS0_18inequality_wrapperIN6hipcub16HIPCUB_304000_NS8EqualityEEEPlJS6_EEE10hipError_tPvRmT3_T4_T5_T6_T7_T9_mT8_P12ihipStream_tbDpT10_ENKUlT_T0_E_clISt17integral_constantIbLb0EES17_EEDaS12_S13_EUlS12_E_NS1_11comp_targetILNS1_3genE8ELNS1_11target_archE1030ELNS1_3gpuE2ELNS1_3repE0EEENS1_30default_config_static_selectorELNS0_4arch9wavefront6targetE0EEEvT1_,"axG",@progbits,_ZN7rocprim17ROCPRIM_400000_NS6detail17trampoline_kernelINS0_14default_configENS1_25partition_config_selectorILNS1_17partition_subalgoE8EfNS0_10empty_typeEbEEZZNS1_14partition_implILS5_8ELb0ES3_jPKfPS6_PKS6_NS0_5tupleIJPfS6_EEENSE_IJSB_SB_EEENS0_18inequality_wrapperIN6hipcub16HIPCUB_304000_NS8EqualityEEEPlJS6_EEE10hipError_tPvRmT3_T4_T5_T6_T7_T9_mT8_P12ihipStream_tbDpT10_ENKUlT_T0_E_clISt17integral_constantIbLb0EES17_EEDaS12_S13_EUlS12_E_NS1_11comp_targetILNS1_3genE8ELNS1_11target_archE1030ELNS1_3gpuE2ELNS1_3repE0EEENS1_30default_config_static_selectorELNS0_4arch9wavefront6targetE0EEEvT1_,comdat
.Lfunc_end348:
	.size	_ZN7rocprim17ROCPRIM_400000_NS6detail17trampoline_kernelINS0_14default_configENS1_25partition_config_selectorILNS1_17partition_subalgoE8EfNS0_10empty_typeEbEEZZNS1_14partition_implILS5_8ELb0ES3_jPKfPS6_PKS6_NS0_5tupleIJPfS6_EEENSE_IJSB_SB_EEENS0_18inequality_wrapperIN6hipcub16HIPCUB_304000_NS8EqualityEEEPlJS6_EEE10hipError_tPvRmT3_T4_T5_T6_T7_T9_mT8_P12ihipStream_tbDpT10_ENKUlT_T0_E_clISt17integral_constantIbLb0EES17_EEDaS12_S13_EUlS12_E_NS1_11comp_targetILNS1_3genE8ELNS1_11target_archE1030ELNS1_3gpuE2ELNS1_3repE0EEENS1_30default_config_static_selectorELNS0_4arch9wavefront6targetE0EEEvT1_, .Lfunc_end348-_ZN7rocprim17ROCPRIM_400000_NS6detail17trampoline_kernelINS0_14default_configENS1_25partition_config_selectorILNS1_17partition_subalgoE8EfNS0_10empty_typeEbEEZZNS1_14partition_implILS5_8ELb0ES3_jPKfPS6_PKS6_NS0_5tupleIJPfS6_EEENSE_IJSB_SB_EEENS0_18inequality_wrapperIN6hipcub16HIPCUB_304000_NS8EqualityEEEPlJS6_EEE10hipError_tPvRmT3_T4_T5_T6_T7_T9_mT8_P12ihipStream_tbDpT10_ENKUlT_T0_E_clISt17integral_constantIbLb0EES17_EEDaS12_S13_EUlS12_E_NS1_11comp_targetILNS1_3genE8ELNS1_11target_archE1030ELNS1_3gpuE2ELNS1_3repE0EEENS1_30default_config_static_selectorELNS0_4arch9wavefront6targetE0EEEvT1_
                                        ; -- End function
	.set _ZN7rocprim17ROCPRIM_400000_NS6detail17trampoline_kernelINS0_14default_configENS1_25partition_config_selectorILNS1_17partition_subalgoE8EfNS0_10empty_typeEbEEZZNS1_14partition_implILS5_8ELb0ES3_jPKfPS6_PKS6_NS0_5tupleIJPfS6_EEENSE_IJSB_SB_EEENS0_18inequality_wrapperIN6hipcub16HIPCUB_304000_NS8EqualityEEEPlJS6_EEE10hipError_tPvRmT3_T4_T5_T6_T7_T9_mT8_P12ihipStream_tbDpT10_ENKUlT_T0_E_clISt17integral_constantIbLb0EES17_EEDaS12_S13_EUlS12_E_NS1_11comp_targetILNS1_3genE8ELNS1_11target_archE1030ELNS1_3gpuE2ELNS1_3repE0EEENS1_30default_config_static_selectorELNS0_4arch9wavefront6targetE0EEEvT1_.num_vgpr, 0
	.set _ZN7rocprim17ROCPRIM_400000_NS6detail17trampoline_kernelINS0_14default_configENS1_25partition_config_selectorILNS1_17partition_subalgoE8EfNS0_10empty_typeEbEEZZNS1_14partition_implILS5_8ELb0ES3_jPKfPS6_PKS6_NS0_5tupleIJPfS6_EEENSE_IJSB_SB_EEENS0_18inequality_wrapperIN6hipcub16HIPCUB_304000_NS8EqualityEEEPlJS6_EEE10hipError_tPvRmT3_T4_T5_T6_T7_T9_mT8_P12ihipStream_tbDpT10_ENKUlT_T0_E_clISt17integral_constantIbLb0EES17_EEDaS12_S13_EUlS12_E_NS1_11comp_targetILNS1_3genE8ELNS1_11target_archE1030ELNS1_3gpuE2ELNS1_3repE0EEENS1_30default_config_static_selectorELNS0_4arch9wavefront6targetE0EEEvT1_.num_agpr, 0
	.set _ZN7rocprim17ROCPRIM_400000_NS6detail17trampoline_kernelINS0_14default_configENS1_25partition_config_selectorILNS1_17partition_subalgoE8EfNS0_10empty_typeEbEEZZNS1_14partition_implILS5_8ELb0ES3_jPKfPS6_PKS6_NS0_5tupleIJPfS6_EEENSE_IJSB_SB_EEENS0_18inequality_wrapperIN6hipcub16HIPCUB_304000_NS8EqualityEEEPlJS6_EEE10hipError_tPvRmT3_T4_T5_T6_T7_T9_mT8_P12ihipStream_tbDpT10_ENKUlT_T0_E_clISt17integral_constantIbLb0EES17_EEDaS12_S13_EUlS12_E_NS1_11comp_targetILNS1_3genE8ELNS1_11target_archE1030ELNS1_3gpuE2ELNS1_3repE0EEENS1_30default_config_static_selectorELNS0_4arch9wavefront6targetE0EEEvT1_.numbered_sgpr, 0
	.set _ZN7rocprim17ROCPRIM_400000_NS6detail17trampoline_kernelINS0_14default_configENS1_25partition_config_selectorILNS1_17partition_subalgoE8EfNS0_10empty_typeEbEEZZNS1_14partition_implILS5_8ELb0ES3_jPKfPS6_PKS6_NS0_5tupleIJPfS6_EEENSE_IJSB_SB_EEENS0_18inequality_wrapperIN6hipcub16HIPCUB_304000_NS8EqualityEEEPlJS6_EEE10hipError_tPvRmT3_T4_T5_T6_T7_T9_mT8_P12ihipStream_tbDpT10_ENKUlT_T0_E_clISt17integral_constantIbLb0EES17_EEDaS12_S13_EUlS12_E_NS1_11comp_targetILNS1_3genE8ELNS1_11target_archE1030ELNS1_3gpuE2ELNS1_3repE0EEENS1_30default_config_static_selectorELNS0_4arch9wavefront6targetE0EEEvT1_.num_named_barrier, 0
	.set _ZN7rocprim17ROCPRIM_400000_NS6detail17trampoline_kernelINS0_14default_configENS1_25partition_config_selectorILNS1_17partition_subalgoE8EfNS0_10empty_typeEbEEZZNS1_14partition_implILS5_8ELb0ES3_jPKfPS6_PKS6_NS0_5tupleIJPfS6_EEENSE_IJSB_SB_EEENS0_18inequality_wrapperIN6hipcub16HIPCUB_304000_NS8EqualityEEEPlJS6_EEE10hipError_tPvRmT3_T4_T5_T6_T7_T9_mT8_P12ihipStream_tbDpT10_ENKUlT_T0_E_clISt17integral_constantIbLb0EES17_EEDaS12_S13_EUlS12_E_NS1_11comp_targetILNS1_3genE8ELNS1_11target_archE1030ELNS1_3gpuE2ELNS1_3repE0EEENS1_30default_config_static_selectorELNS0_4arch9wavefront6targetE0EEEvT1_.private_seg_size, 0
	.set _ZN7rocprim17ROCPRIM_400000_NS6detail17trampoline_kernelINS0_14default_configENS1_25partition_config_selectorILNS1_17partition_subalgoE8EfNS0_10empty_typeEbEEZZNS1_14partition_implILS5_8ELb0ES3_jPKfPS6_PKS6_NS0_5tupleIJPfS6_EEENSE_IJSB_SB_EEENS0_18inequality_wrapperIN6hipcub16HIPCUB_304000_NS8EqualityEEEPlJS6_EEE10hipError_tPvRmT3_T4_T5_T6_T7_T9_mT8_P12ihipStream_tbDpT10_ENKUlT_T0_E_clISt17integral_constantIbLb0EES17_EEDaS12_S13_EUlS12_E_NS1_11comp_targetILNS1_3genE8ELNS1_11target_archE1030ELNS1_3gpuE2ELNS1_3repE0EEENS1_30default_config_static_selectorELNS0_4arch9wavefront6targetE0EEEvT1_.uses_vcc, 0
	.set _ZN7rocprim17ROCPRIM_400000_NS6detail17trampoline_kernelINS0_14default_configENS1_25partition_config_selectorILNS1_17partition_subalgoE8EfNS0_10empty_typeEbEEZZNS1_14partition_implILS5_8ELb0ES3_jPKfPS6_PKS6_NS0_5tupleIJPfS6_EEENSE_IJSB_SB_EEENS0_18inequality_wrapperIN6hipcub16HIPCUB_304000_NS8EqualityEEEPlJS6_EEE10hipError_tPvRmT3_T4_T5_T6_T7_T9_mT8_P12ihipStream_tbDpT10_ENKUlT_T0_E_clISt17integral_constantIbLb0EES17_EEDaS12_S13_EUlS12_E_NS1_11comp_targetILNS1_3genE8ELNS1_11target_archE1030ELNS1_3gpuE2ELNS1_3repE0EEENS1_30default_config_static_selectorELNS0_4arch9wavefront6targetE0EEEvT1_.uses_flat_scratch, 0
	.set _ZN7rocprim17ROCPRIM_400000_NS6detail17trampoline_kernelINS0_14default_configENS1_25partition_config_selectorILNS1_17partition_subalgoE8EfNS0_10empty_typeEbEEZZNS1_14partition_implILS5_8ELb0ES3_jPKfPS6_PKS6_NS0_5tupleIJPfS6_EEENSE_IJSB_SB_EEENS0_18inequality_wrapperIN6hipcub16HIPCUB_304000_NS8EqualityEEEPlJS6_EEE10hipError_tPvRmT3_T4_T5_T6_T7_T9_mT8_P12ihipStream_tbDpT10_ENKUlT_T0_E_clISt17integral_constantIbLb0EES17_EEDaS12_S13_EUlS12_E_NS1_11comp_targetILNS1_3genE8ELNS1_11target_archE1030ELNS1_3gpuE2ELNS1_3repE0EEENS1_30default_config_static_selectorELNS0_4arch9wavefront6targetE0EEEvT1_.has_dyn_sized_stack, 0
	.set _ZN7rocprim17ROCPRIM_400000_NS6detail17trampoline_kernelINS0_14default_configENS1_25partition_config_selectorILNS1_17partition_subalgoE8EfNS0_10empty_typeEbEEZZNS1_14partition_implILS5_8ELb0ES3_jPKfPS6_PKS6_NS0_5tupleIJPfS6_EEENSE_IJSB_SB_EEENS0_18inequality_wrapperIN6hipcub16HIPCUB_304000_NS8EqualityEEEPlJS6_EEE10hipError_tPvRmT3_T4_T5_T6_T7_T9_mT8_P12ihipStream_tbDpT10_ENKUlT_T0_E_clISt17integral_constantIbLb0EES17_EEDaS12_S13_EUlS12_E_NS1_11comp_targetILNS1_3genE8ELNS1_11target_archE1030ELNS1_3gpuE2ELNS1_3repE0EEENS1_30default_config_static_selectorELNS0_4arch9wavefront6targetE0EEEvT1_.has_recursion, 0
	.set _ZN7rocprim17ROCPRIM_400000_NS6detail17trampoline_kernelINS0_14default_configENS1_25partition_config_selectorILNS1_17partition_subalgoE8EfNS0_10empty_typeEbEEZZNS1_14partition_implILS5_8ELb0ES3_jPKfPS6_PKS6_NS0_5tupleIJPfS6_EEENSE_IJSB_SB_EEENS0_18inequality_wrapperIN6hipcub16HIPCUB_304000_NS8EqualityEEEPlJS6_EEE10hipError_tPvRmT3_T4_T5_T6_T7_T9_mT8_P12ihipStream_tbDpT10_ENKUlT_T0_E_clISt17integral_constantIbLb0EES17_EEDaS12_S13_EUlS12_E_NS1_11comp_targetILNS1_3genE8ELNS1_11target_archE1030ELNS1_3gpuE2ELNS1_3repE0EEENS1_30default_config_static_selectorELNS0_4arch9wavefront6targetE0EEEvT1_.has_indirect_call, 0
	.section	.AMDGPU.csdata,"",@progbits
; Kernel info:
; codeLenInByte = 0
; TotalNumSgprs: 0
; NumVgprs: 0
; ScratchSize: 0
; MemoryBound: 0
; FloatMode: 240
; IeeeMode: 1
; LDSByteSize: 0 bytes/workgroup (compile time only)
; SGPRBlocks: 0
; VGPRBlocks: 0
; NumSGPRsForWavesPerEU: 1
; NumVGPRsForWavesPerEU: 1
; NamedBarCnt: 0
; Occupancy: 16
; WaveLimiterHint : 0
; COMPUTE_PGM_RSRC2:SCRATCH_EN: 0
; COMPUTE_PGM_RSRC2:USER_SGPR: 2
; COMPUTE_PGM_RSRC2:TRAP_HANDLER: 0
; COMPUTE_PGM_RSRC2:TGID_X_EN: 1
; COMPUTE_PGM_RSRC2:TGID_Y_EN: 0
; COMPUTE_PGM_RSRC2:TGID_Z_EN: 0
; COMPUTE_PGM_RSRC2:TIDIG_COMP_CNT: 0
	.section	.text._ZN7rocprim17ROCPRIM_400000_NS6detail17trampoline_kernelINS0_14default_configENS1_25partition_config_selectorILNS1_17partition_subalgoE8EfNS0_10empty_typeEbEEZZNS1_14partition_implILS5_8ELb0ES3_jPKfPS6_PKS6_NS0_5tupleIJPfS6_EEENSE_IJSB_SB_EEENS0_18inequality_wrapperIN6hipcub16HIPCUB_304000_NS8EqualityEEEPlJS6_EEE10hipError_tPvRmT3_T4_T5_T6_T7_T9_mT8_P12ihipStream_tbDpT10_ENKUlT_T0_E_clISt17integral_constantIbLb1EES17_EEDaS12_S13_EUlS12_E_NS1_11comp_targetILNS1_3genE0ELNS1_11target_archE4294967295ELNS1_3gpuE0ELNS1_3repE0EEENS1_30default_config_static_selectorELNS0_4arch9wavefront6targetE0EEEvT1_,"axG",@progbits,_ZN7rocprim17ROCPRIM_400000_NS6detail17trampoline_kernelINS0_14default_configENS1_25partition_config_selectorILNS1_17partition_subalgoE8EfNS0_10empty_typeEbEEZZNS1_14partition_implILS5_8ELb0ES3_jPKfPS6_PKS6_NS0_5tupleIJPfS6_EEENSE_IJSB_SB_EEENS0_18inequality_wrapperIN6hipcub16HIPCUB_304000_NS8EqualityEEEPlJS6_EEE10hipError_tPvRmT3_T4_T5_T6_T7_T9_mT8_P12ihipStream_tbDpT10_ENKUlT_T0_E_clISt17integral_constantIbLb1EES17_EEDaS12_S13_EUlS12_E_NS1_11comp_targetILNS1_3genE0ELNS1_11target_archE4294967295ELNS1_3gpuE0ELNS1_3repE0EEENS1_30default_config_static_selectorELNS0_4arch9wavefront6targetE0EEEvT1_,comdat
	.protected	_ZN7rocprim17ROCPRIM_400000_NS6detail17trampoline_kernelINS0_14default_configENS1_25partition_config_selectorILNS1_17partition_subalgoE8EfNS0_10empty_typeEbEEZZNS1_14partition_implILS5_8ELb0ES3_jPKfPS6_PKS6_NS0_5tupleIJPfS6_EEENSE_IJSB_SB_EEENS0_18inequality_wrapperIN6hipcub16HIPCUB_304000_NS8EqualityEEEPlJS6_EEE10hipError_tPvRmT3_T4_T5_T6_T7_T9_mT8_P12ihipStream_tbDpT10_ENKUlT_T0_E_clISt17integral_constantIbLb1EES17_EEDaS12_S13_EUlS12_E_NS1_11comp_targetILNS1_3genE0ELNS1_11target_archE4294967295ELNS1_3gpuE0ELNS1_3repE0EEENS1_30default_config_static_selectorELNS0_4arch9wavefront6targetE0EEEvT1_ ; -- Begin function _ZN7rocprim17ROCPRIM_400000_NS6detail17trampoline_kernelINS0_14default_configENS1_25partition_config_selectorILNS1_17partition_subalgoE8EfNS0_10empty_typeEbEEZZNS1_14partition_implILS5_8ELb0ES3_jPKfPS6_PKS6_NS0_5tupleIJPfS6_EEENSE_IJSB_SB_EEENS0_18inequality_wrapperIN6hipcub16HIPCUB_304000_NS8EqualityEEEPlJS6_EEE10hipError_tPvRmT3_T4_T5_T6_T7_T9_mT8_P12ihipStream_tbDpT10_ENKUlT_T0_E_clISt17integral_constantIbLb1EES17_EEDaS12_S13_EUlS12_E_NS1_11comp_targetILNS1_3genE0ELNS1_11target_archE4294967295ELNS1_3gpuE0ELNS1_3repE0EEENS1_30default_config_static_selectorELNS0_4arch9wavefront6targetE0EEEvT1_
	.globl	_ZN7rocprim17ROCPRIM_400000_NS6detail17trampoline_kernelINS0_14default_configENS1_25partition_config_selectorILNS1_17partition_subalgoE8EfNS0_10empty_typeEbEEZZNS1_14partition_implILS5_8ELb0ES3_jPKfPS6_PKS6_NS0_5tupleIJPfS6_EEENSE_IJSB_SB_EEENS0_18inequality_wrapperIN6hipcub16HIPCUB_304000_NS8EqualityEEEPlJS6_EEE10hipError_tPvRmT3_T4_T5_T6_T7_T9_mT8_P12ihipStream_tbDpT10_ENKUlT_T0_E_clISt17integral_constantIbLb1EES17_EEDaS12_S13_EUlS12_E_NS1_11comp_targetILNS1_3genE0ELNS1_11target_archE4294967295ELNS1_3gpuE0ELNS1_3repE0EEENS1_30default_config_static_selectorELNS0_4arch9wavefront6targetE0EEEvT1_
	.p2align	8
	.type	_ZN7rocprim17ROCPRIM_400000_NS6detail17trampoline_kernelINS0_14default_configENS1_25partition_config_selectorILNS1_17partition_subalgoE8EfNS0_10empty_typeEbEEZZNS1_14partition_implILS5_8ELb0ES3_jPKfPS6_PKS6_NS0_5tupleIJPfS6_EEENSE_IJSB_SB_EEENS0_18inequality_wrapperIN6hipcub16HIPCUB_304000_NS8EqualityEEEPlJS6_EEE10hipError_tPvRmT3_T4_T5_T6_T7_T9_mT8_P12ihipStream_tbDpT10_ENKUlT_T0_E_clISt17integral_constantIbLb1EES17_EEDaS12_S13_EUlS12_E_NS1_11comp_targetILNS1_3genE0ELNS1_11target_archE4294967295ELNS1_3gpuE0ELNS1_3repE0EEENS1_30default_config_static_selectorELNS0_4arch9wavefront6targetE0EEEvT1_,@function
_ZN7rocprim17ROCPRIM_400000_NS6detail17trampoline_kernelINS0_14default_configENS1_25partition_config_selectorILNS1_17partition_subalgoE8EfNS0_10empty_typeEbEEZZNS1_14partition_implILS5_8ELb0ES3_jPKfPS6_PKS6_NS0_5tupleIJPfS6_EEENSE_IJSB_SB_EEENS0_18inequality_wrapperIN6hipcub16HIPCUB_304000_NS8EqualityEEEPlJS6_EEE10hipError_tPvRmT3_T4_T5_T6_T7_T9_mT8_P12ihipStream_tbDpT10_ENKUlT_T0_E_clISt17integral_constantIbLb1EES17_EEDaS12_S13_EUlS12_E_NS1_11comp_targetILNS1_3genE0ELNS1_11target_archE4294967295ELNS1_3gpuE0ELNS1_3repE0EEENS1_30default_config_static_selectorELNS0_4arch9wavefront6targetE0EEEvT1_: ; @_ZN7rocprim17ROCPRIM_400000_NS6detail17trampoline_kernelINS0_14default_configENS1_25partition_config_selectorILNS1_17partition_subalgoE8EfNS0_10empty_typeEbEEZZNS1_14partition_implILS5_8ELb0ES3_jPKfPS6_PKS6_NS0_5tupleIJPfS6_EEENSE_IJSB_SB_EEENS0_18inequality_wrapperIN6hipcub16HIPCUB_304000_NS8EqualityEEEPlJS6_EEE10hipError_tPvRmT3_T4_T5_T6_T7_T9_mT8_P12ihipStream_tbDpT10_ENKUlT_T0_E_clISt17integral_constantIbLb1EES17_EEDaS12_S13_EUlS12_E_NS1_11comp_targetILNS1_3genE0ELNS1_11target_archE4294967295ELNS1_3gpuE0ELNS1_3repE0EEENS1_30default_config_static_selectorELNS0_4arch9wavefront6targetE0EEEvT1_
; %bb.0:
	s_endpgm
	.section	.rodata,"a",@progbits
	.p2align	6, 0x0
	.amdhsa_kernel _ZN7rocprim17ROCPRIM_400000_NS6detail17trampoline_kernelINS0_14default_configENS1_25partition_config_selectorILNS1_17partition_subalgoE8EfNS0_10empty_typeEbEEZZNS1_14partition_implILS5_8ELb0ES3_jPKfPS6_PKS6_NS0_5tupleIJPfS6_EEENSE_IJSB_SB_EEENS0_18inequality_wrapperIN6hipcub16HIPCUB_304000_NS8EqualityEEEPlJS6_EEE10hipError_tPvRmT3_T4_T5_T6_T7_T9_mT8_P12ihipStream_tbDpT10_ENKUlT_T0_E_clISt17integral_constantIbLb1EES17_EEDaS12_S13_EUlS12_E_NS1_11comp_targetILNS1_3genE0ELNS1_11target_archE4294967295ELNS1_3gpuE0ELNS1_3repE0EEENS1_30default_config_static_selectorELNS0_4arch9wavefront6targetE0EEEvT1_
		.amdhsa_group_segment_fixed_size 0
		.amdhsa_private_segment_fixed_size 0
		.amdhsa_kernarg_size 128
		.amdhsa_user_sgpr_count 2
		.amdhsa_user_sgpr_dispatch_ptr 0
		.amdhsa_user_sgpr_queue_ptr 0
		.amdhsa_user_sgpr_kernarg_segment_ptr 1
		.amdhsa_user_sgpr_dispatch_id 0
		.amdhsa_user_sgpr_kernarg_preload_length 0
		.amdhsa_user_sgpr_kernarg_preload_offset 0
		.amdhsa_user_sgpr_private_segment_size 0
		.amdhsa_wavefront_size32 1
		.amdhsa_uses_dynamic_stack 0
		.amdhsa_enable_private_segment 0
		.amdhsa_system_sgpr_workgroup_id_x 1
		.amdhsa_system_sgpr_workgroup_id_y 0
		.amdhsa_system_sgpr_workgroup_id_z 0
		.amdhsa_system_sgpr_workgroup_info 0
		.amdhsa_system_vgpr_workitem_id 0
		.amdhsa_next_free_vgpr 1
		.amdhsa_next_free_sgpr 1
		.amdhsa_named_barrier_count 0
		.amdhsa_reserve_vcc 0
		.amdhsa_float_round_mode_32 0
		.amdhsa_float_round_mode_16_64 0
		.amdhsa_float_denorm_mode_32 3
		.amdhsa_float_denorm_mode_16_64 3
		.amdhsa_fp16_overflow 0
		.amdhsa_memory_ordered 1
		.amdhsa_forward_progress 1
		.amdhsa_inst_pref_size 1
		.amdhsa_round_robin_scheduling 0
		.amdhsa_exception_fp_ieee_invalid_op 0
		.amdhsa_exception_fp_denorm_src 0
		.amdhsa_exception_fp_ieee_div_zero 0
		.amdhsa_exception_fp_ieee_overflow 0
		.amdhsa_exception_fp_ieee_underflow 0
		.amdhsa_exception_fp_ieee_inexact 0
		.amdhsa_exception_int_div_zero 0
	.end_amdhsa_kernel
	.section	.text._ZN7rocprim17ROCPRIM_400000_NS6detail17trampoline_kernelINS0_14default_configENS1_25partition_config_selectorILNS1_17partition_subalgoE8EfNS0_10empty_typeEbEEZZNS1_14partition_implILS5_8ELb0ES3_jPKfPS6_PKS6_NS0_5tupleIJPfS6_EEENSE_IJSB_SB_EEENS0_18inequality_wrapperIN6hipcub16HIPCUB_304000_NS8EqualityEEEPlJS6_EEE10hipError_tPvRmT3_T4_T5_T6_T7_T9_mT8_P12ihipStream_tbDpT10_ENKUlT_T0_E_clISt17integral_constantIbLb1EES17_EEDaS12_S13_EUlS12_E_NS1_11comp_targetILNS1_3genE0ELNS1_11target_archE4294967295ELNS1_3gpuE0ELNS1_3repE0EEENS1_30default_config_static_selectorELNS0_4arch9wavefront6targetE0EEEvT1_,"axG",@progbits,_ZN7rocprim17ROCPRIM_400000_NS6detail17trampoline_kernelINS0_14default_configENS1_25partition_config_selectorILNS1_17partition_subalgoE8EfNS0_10empty_typeEbEEZZNS1_14partition_implILS5_8ELb0ES3_jPKfPS6_PKS6_NS0_5tupleIJPfS6_EEENSE_IJSB_SB_EEENS0_18inequality_wrapperIN6hipcub16HIPCUB_304000_NS8EqualityEEEPlJS6_EEE10hipError_tPvRmT3_T4_T5_T6_T7_T9_mT8_P12ihipStream_tbDpT10_ENKUlT_T0_E_clISt17integral_constantIbLb1EES17_EEDaS12_S13_EUlS12_E_NS1_11comp_targetILNS1_3genE0ELNS1_11target_archE4294967295ELNS1_3gpuE0ELNS1_3repE0EEENS1_30default_config_static_selectorELNS0_4arch9wavefront6targetE0EEEvT1_,comdat
.Lfunc_end349:
	.size	_ZN7rocprim17ROCPRIM_400000_NS6detail17trampoline_kernelINS0_14default_configENS1_25partition_config_selectorILNS1_17partition_subalgoE8EfNS0_10empty_typeEbEEZZNS1_14partition_implILS5_8ELb0ES3_jPKfPS6_PKS6_NS0_5tupleIJPfS6_EEENSE_IJSB_SB_EEENS0_18inequality_wrapperIN6hipcub16HIPCUB_304000_NS8EqualityEEEPlJS6_EEE10hipError_tPvRmT3_T4_T5_T6_T7_T9_mT8_P12ihipStream_tbDpT10_ENKUlT_T0_E_clISt17integral_constantIbLb1EES17_EEDaS12_S13_EUlS12_E_NS1_11comp_targetILNS1_3genE0ELNS1_11target_archE4294967295ELNS1_3gpuE0ELNS1_3repE0EEENS1_30default_config_static_selectorELNS0_4arch9wavefront6targetE0EEEvT1_, .Lfunc_end349-_ZN7rocprim17ROCPRIM_400000_NS6detail17trampoline_kernelINS0_14default_configENS1_25partition_config_selectorILNS1_17partition_subalgoE8EfNS0_10empty_typeEbEEZZNS1_14partition_implILS5_8ELb0ES3_jPKfPS6_PKS6_NS0_5tupleIJPfS6_EEENSE_IJSB_SB_EEENS0_18inequality_wrapperIN6hipcub16HIPCUB_304000_NS8EqualityEEEPlJS6_EEE10hipError_tPvRmT3_T4_T5_T6_T7_T9_mT8_P12ihipStream_tbDpT10_ENKUlT_T0_E_clISt17integral_constantIbLb1EES17_EEDaS12_S13_EUlS12_E_NS1_11comp_targetILNS1_3genE0ELNS1_11target_archE4294967295ELNS1_3gpuE0ELNS1_3repE0EEENS1_30default_config_static_selectorELNS0_4arch9wavefront6targetE0EEEvT1_
                                        ; -- End function
	.set _ZN7rocprim17ROCPRIM_400000_NS6detail17trampoline_kernelINS0_14default_configENS1_25partition_config_selectorILNS1_17partition_subalgoE8EfNS0_10empty_typeEbEEZZNS1_14partition_implILS5_8ELb0ES3_jPKfPS6_PKS6_NS0_5tupleIJPfS6_EEENSE_IJSB_SB_EEENS0_18inequality_wrapperIN6hipcub16HIPCUB_304000_NS8EqualityEEEPlJS6_EEE10hipError_tPvRmT3_T4_T5_T6_T7_T9_mT8_P12ihipStream_tbDpT10_ENKUlT_T0_E_clISt17integral_constantIbLb1EES17_EEDaS12_S13_EUlS12_E_NS1_11comp_targetILNS1_3genE0ELNS1_11target_archE4294967295ELNS1_3gpuE0ELNS1_3repE0EEENS1_30default_config_static_selectorELNS0_4arch9wavefront6targetE0EEEvT1_.num_vgpr, 0
	.set _ZN7rocprim17ROCPRIM_400000_NS6detail17trampoline_kernelINS0_14default_configENS1_25partition_config_selectorILNS1_17partition_subalgoE8EfNS0_10empty_typeEbEEZZNS1_14partition_implILS5_8ELb0ES3_jPKfPS6_PKS6_NS0_5tupleIJPfS6_EEENSE_IJSB_SB_EEENS0_18inequality_wrapperIN6hipcub16HIPCUB_304000_NS8EqualityEEEPlJS6_EEE10hipError_tPvRmT3_T4_T5_T6_T7_T9_mT8_P12ihipStream_tbDpT10_ENKUlT_T0_E_clISt17integral_constantIbLb1EES17_EEDaS12_S13_EUlS12_E_NS1_11comp_targetILNS1_3genE0ELNS1_11target_archE4294967295ELNS1_3gpuE0ELNS1_3repE0EEENS1_30default_config_static_selectorELNS0_4arch9wavefront6targetE0EEEvT1_.num_agpr, 0
	.set _ZN7rocprim17ROCPRIM_400000_NS6detail17trampoline_kernelINS0_14default_configENS1_25partition_config_selectorILNS1_17partition_subalgoE8EfNS0_10empty_typeEbEEZZNS1_14partition_implILS5_8ELb0ES3_jPKfPS6_PKS6_NS0_5tupleIJPfS6_EEENSE_IJSB_SB_EEENS0_18inequality_wrapperIN6hipcub16HIPCUB_304000_NS8EqualityEEEPlJS6_EEE10hipError_tPvRmT3_T4_T5_T6_T7_T9_mT8_P12ihipStream_tbDpT10_ENKUlT_T0_E_clISt17integral_constantIbLb1EES17_EEDaS12_S13_EUlS12_E_NS1_11comp_targetILNS1_3genE0ELNS1_11target_archE4294967295ELNS1_3gpuE0ELNS1_3repE0EEENS1_30default_config_static_selectorELNS0_4arch9wavefront6targetE0EEEvT1_.numbered_sgpr, 0
	.set _ZN7rocprim17ROCPRIM_400000_NS6detail17trampoline_kernelINS0_14default_configENS1_25partition_config_selectorILNS1_17partition_subalgoE8EfNS0_10empty_typeEbEEZZNS1_14partition_implILS5_8ELb0ES3_jPKfPS6_PKS6_NS0_5tupleIJPfS6_EEENSE_IJSB_SB_EEENS0_18inequality_wrapperIN6hipcub16HIPCUB_304000_NS8EqualityEEEPlJS6_EEE10hipError_tPvRmT3_T4_T5_T6_T7_T9_mT8_P12ihipStream_tbDpT10_ENKUlT_T0_E_clISt17integral_constantIbLb1EES17_EEDaS12_S13_EUlS12_E_NS1_11comp_targetILNS1_3genE0ELNS1_11target_archE4294967295ELNS1_3gpuE0ELNS1_3repE0EEENS1_30default_config_static_selectorELNS0_4arch9wavefront6targetE0EEEvT1_.num_named_barrier, 0
	.set _ZN7rocprim17ROCPRIM_400000_NS6detail17trampoline_kernelINS0_14default_configENS1_25partition_config_selectorILNS1_17partition_subalgoE8EfNS0_10empty_typeEbEEZZNS1_14partition_implILS5_8ELb0ES3_jPKfPS6_PKS6_NS0_5tupleIJPfS6_EEENSE_IJSB_SB_EEENS0_18inequality_wrapperIN6hipcub16HIPCUB_304000_NS8EqualityEEEPlJS6_EEE10hipError_tPvRmT3_T4_T5_T6_T7_T9_mT8_P12ihipStream_tbDpT10_ENKUlT_T0_E_clISt17integral_constantIbLb1EES17_EEDaS12_S13_EUlS12_E_NS1_11comp_targetILNS1_3genE0ELNS1_11target_archE4294967295ELNS1_3gpuE0ELNS1_3repE0EEENS1_30default_config_static_selectorELNS0_4arch9wavefront6targetE0EEEvT1_.private_seg_size, 0
	.set _ZN7rocprim17ROCPRIM_400000_NS6detail17trampoline_kernelINS0_14default_configENS1_25partition_config_selectorILNS1_17partition_subalgoE8EfNS0_10empty_typeEbEEZZNS1_14partition_implILS5_8ELb0ES3_jPKfPS6_PKS6_NS0_5tupleIJPfS6_EEENSE_IJSB_SB_EEENS0_18inequality_wrapperIN6hipcub16HIPCUB_304000_NS8EqualityEEEPlJS6_EEE10hipError_tPvRmT3_T4_T5_T6_T7_T9_mT8_P12ihipStream_tbDpT10_ENKUlT_T0_E_clISt17integral_constantIbLb1EES17_EEDaS12_S13_EUlS12_E_NS1_11comp_targetILNS1_3genE0ELNS1_11target_archE4294967295ELNS1_3gpuE0ELNS1_3repE0EEENS1_30default_config_static_selectorELNS0_4arch9wavefront6targetE0EEEvT1_.uses_vcc, 0
	.set _ZN7rocprim17ROCPRIM_400000_NS6detail17trampoline_kernelINS0_14default_configENS1_25partition_config_selectorILNS1_17partition_subalgoE8EfNS0_10empty_typeEbEEZZNS1_14partition_implILS5_8ELb0ES3_jPKfPS6_PKS6_NS0_5tupleIJPfS6_EEENSE_IJSB_SB_EEENS0_18inequality_wrapperIN6hipcub16HIPCUB_304000_NS8EqualityEEEPlJS6_EEE10hipError_tPvRmT3_T4_T5_T6_T7_T9_mT8_P12ihipStream_tbDpT10_ENKUlT_T0_E_clISt17integral_constantIbLb1EES17_EEDaS12_S13_EUlS12_E_NS1_11comp_targetILNS1_3genE0ELNS1_11target_archE4294967295ELNS1_3gpuE0ELNS1_3repE0EEENS1_30default_config_static_selectorELNS0_4arch9wavefront6targetE0EEEvT1_.uses_flat_scratch, 0
	.set _ZN7rocprim17ROCPRIM_400000_NS6detail17trampoline_kernelINS0_14default_configENS1_25partition_config_selectorILNS1_17partition_subalgoE8EfNS0_10empty_typeEbEEZZNS1_14partition_implILS5_8ELb0ES3_jPKfPS6_PKS6_NS0_5tupleIJPfS6_EEENSE_IJSB_SB_EEENS0_18inequality_wrapperIN6hipcub16HIPCUB_304000_NS8EqualityEEEPlJS6_EEE10hipError_tPvRmT3_T4_T5_T6_T7_T9_mT8_P12ihipStream_tbDpT10_ENKUlT_T0_E_clISt17integral_constantIbLb1EES17_EEDaS12_S13_EUlS12_E_NS1_11comp_targetILNS1_3genE0ELNS1_11target_archE4294967295ELNS1_3gpuE0ELNS1_3repE0EEENS1_30default_config_static_selectorELNS0_4arch9wavefront6targetE0EEEvT1_.has_dyn_sized_stack, 0
	.set _ZN7rocprim17ROCPRIM_400000_NS6detail17trampoline_kernelINS0_14default_configENS1_25partition_config_selectorILNS1_17partition_subalgoE8EfNS0_10empty_typeEbEEZZNS1_14partition_implILS5_8ELb0ES3_jPKfPS6_PKS6_NS0_5tupleIJPfS6_EEENSE_IJSB_SB_EEENS0_18inequality_wrapperIN6hipcub16HIPCUB_304000_NS8EqualityEEEPlJS6_EEE10hipError_tPvRmT3_T4_T5_T6_T7_T9_mT8_P12ihipStream_tbDpT10_ENKUlT_T0_E_clISt17integral_constantIbLb1EES17_EEDaS12_S13_EUlS12_E_NS1_11comp_targetILNS1_3genE0ELNS1_11target_archE4294967295ELNS1_3gpuE0ELNS1_3repE0EEENS1_30default_config_static_selectorELNS0_4arch9wavefront6targetE0EEEvT1_.has_recursion, 0
	.set _ZN7rocprim17ROCPRIM_400000_NS6detail17trampoline_kernelINS0_14default_configENS1_25partition_config_selectorILNS1_17partition_subalgoE8EfNS0_10empty_typeEbEEZZNS1_14partition_implILS5_8ELb0ES3_jPKfPS6_PKS6_NS0_5tupleIJPfS6_EEENSE_IJSB_SB_EEENS0_18inequality_wrapperIN6hipcub16HIPCUB_304000_NS8EqualityEEEPlJS6_EEE10hipError_tPvRmT3_T4_T5_T6_T7_T9_mT8_P12ihipStream_tbDpT10_ENKUlT_T0_E_clISt17integral_constantIbLb1EES17_EEDaS12_S13_EUlS12_E_NS1_11comp_targetILNS1_3genE0ELNS1_11target_archE4294967295ELNS1_3gpuE0ELNS1_3repE0EEENS1_30default_config_static_selectorELNS0_4arch9wavefront6targetE0EEEvT1_.has_indirect_call, 0
	.section	.AMDGPU.csdata,"",@progbits
; Kernel info:
; codeLenInByte = 4
; TotalNumSgprs: 0
; NumVgprs: 0
; ScratchSize: 0
; MemoryBound: 0
; FloatMode: 240
; IeeeMode: 1
; LDSByteSize: 0 bytes/workgroup (compile time only)
; SGPRBlocks: 0
; VGPRBlocks: 0
; NumSGPRsForWavesPerEU: 1
; NumVGPRsForWavesPerEU: 1
; NamedBarCnt: 0
; Occupancy: 16
; WaveLimiterHint : 0
; COMPUTE_PGM_RSRC2:SCRATCH_EN: 0
; COMPUTE_PGM_RSRC2:USER_SGPR: 2
; COMPUTE_PGM_RSRC2:TRAP_HANDLER: 0
; COMPUTE_PGM_RSRC2:TGID_X_EN: 1
; COMPUTE_PGM_RSRC2:TGID_Y_EN: 0
; COMPUTE_PGM_RSRC2:TGID_Z_EN: 0
; COMPUTE_PGM_RSRC2:TIDIG_COMP_CNT: 0
	.section	.text._ZN7rocprim17ROCPRIM_400000_NS6detail17trampoline_kernelINS0_14default_configENS1_25partition_config_selectorILNS1_17partition_subalgoE8EfNS0_10empty_typeEbEEZZNS1_14partition_implILS5_8ELb0ES3_jPKfPS6_PKS6_NS0_5tupleIJPfS6_EEENSE_IJSB_SB_EEENS0_18inequality_wrapperIN6hipcub16HIPCUB_304000_NS8EqualityEEEPlJS6_EEE10hipError_tPvRmT3_T4_T5_T6_T7_T9_mT8_P12ihipStream_tbDpT10_ENKUlT_T0_E_clISt17integral_constantIbLb1EES17_EEDaS12_S13_EUlS12_E_NS1_11comp_targetILNS1_3genE5ELNS1_11target_archE942ELNS1_3gpuE9ELNS1_3repE0EEENS1_30default_config_static_selectorELNS0_4arch9wavefront6targetE0EEEvT1_,"axG",@progbits,_ZN7rocprim17ROCPRIM_400000_NS6detail17trampoline_kernelINS0_14default_configENS1_25partition_config_selectorILNS1_17partition_subalgoE8EfNS0_10empty_typeEbEEZZNS1_14partition_implILS5_8ELb0ES3_jPKfPS6_PKS6_NS0_5tupleIJPfS6_EEENSE_IJSB_SB_EEENS0_18inequality_wrapperIN6hipcub16HIPCUB_304000_NS8EqualityEEEPlJS6_EEE10hipError_tPvRmT3_T4_T5_T6_T7_T9_mT8_P12ihipStream_tbDpT10_ENKUlT_T0_E_clISt17integral_constantIbLb1EES17_EEDaS12_S13_EUlS12_E_NS1_11comp_targetILNS1_3genE5ELNS1_11target_archE942ELNS1_3gpuE9ELNS1_3repE0EEENS1_30default_config_static_selectorELNS0_4arch9wavefront6targetE0EEEvT1_,comdat
	.protected	_ZN7rocprim17ROCPRIM_400000_NS6detail17trampoline_kernelINS0_14default_configENS1_25partition_config_selectorILNS1_17partition_subalgoE8EfNS0_10empty_typeEbEEZZNS1_14partition_implILS5_8ELb0ES3_jPKfPS6_PKS6_NS0_5tupleIJPfS6_EEENSE_IJSB_SB_EEENS0_18inequality_wrapperIN6hipcub16HIPCUB_304000_NS8EqualityEEEPlJS6_EEE10hipError_tPvRmT3_T4_T5_T6_T7_T9_mT8_P12ihipStream_tbDpT10_ENKUlT_T0_E_clISt17integral_constantIbLb1EES17_EEDaS12_S13_EUlS12_E_NS1_11comp_targetILNS1_3genE5ELNS1_11target_archE942ELNS1_3gpuE9ELNS1_3repE0EEENS1_30default_config_static_selectorELNS0_4arch9wavefront6targetE0EEEvT1_ ; -- Begin function _ZN7rocprim17ROCPRIM_400000_NS6detail17trampoline_kernelINS0_14default_configENS1_25partition_config_selectorILNS1_17partition_subalgoE8EfNS0_10empty_typeEbEEZZNS1_14partition_implILS5_8ELb0ES3_jPKfPS6_PKS6_NS0_5tupleIJPfS6_EEENSE_IJSB_SB_EEENS0_18inequality_wrapperIN6hipcub16HIPCUB_304000_NS8EqualityEEEPlJS6_EEE10hipError_tPvRmT3_T4_T5_T6_T7_T9_mT8_P12ihipStream_tbDpT10_ENKUlT_T0_E_clISt17integral_constantIbLb1EES17_EEDaS12_S13_EUlS12_E_NS1_11comp_targetILNS1_3genE5ELNS1_11target_archE942ELNS1_3gpuE9ELNS1_3repE0EEENS1_30default_config_static_selectorELNS0_4arch9wavefront6targetE0EEEvT1_
	.globl	_ZN7rocprim17ROCPRIM_400000_NS6detail17trampoline_kernelINS0_14default_configENS1_25partition_config_selectorILNS1_17partition_subalgoE8EfNS0_10empty_typeEbEEZZNS1_14partition_implILS5_8ELb0ES3_jPKfPS6_PKS6_NS0_5tupleIJPfS6_EEENSE_IJSB_SB_EEENS0_18inequality_wrapperIN6hipcub16HIPCUB_304000_NS8EqualityEEEPlJS6_EEE10hipError_tPvRmT3_T4_T5_T6_T7_T9_mT8_P12ihipStream_tbDpT10_ENKUlT_T0_E_clISt17integral_constantIbLb1EES17_EEDaS12_S13_EUlS12_E_NS1_11comp_targetILNS1_3genE5ELNS1_11target_archE942ELNS1_3gpuE9ELNS1_3repE0EEENS1_30default_config_static_selectorELNS0_4arch9wavefront6targetE0EEEvT1_
	.p2align	8
	.type	_ZN7rocprim17ROCPRIM_400000_NS6detail17trampoline_kernelINS0_14default_configENS1_25partition_config_selectorILNS1_17partition_subalgoE8EfNS0_10empty_typeEbEEZZNS1_14partition_implILS5_8ELb0ES3_jPKfPS6_PKS6_NS0_5tupleIJPfS6_EEENSE_IJSB_SB_EEENS0_18inequality_wrapperIN6hipcub16HIPCUB_304000_NS8EqualityEEEPlJS6_EEE10hipError_tPvRmT3_T4_T5_T6_T7_T9_mT8_P12ihipStream_tbDpT10_ENKUlT_T0_E_clISt17integral_constantIbLb1EES17_EEDaS12_S13_EUlS12_E_NS1_11comp_targetILNS1_3genE5ELNS1_11target_archE942ELNS1_3gpuE9ELNS1_3repE0EEENS1_30default_config_static_selectorELNS0_4arch9wavefront6targetE0EEEvT1_,@function
_ZN7rocprim17ROCPRIM_400000_NS6detail17trampoline_kernelINS0_14default_configENS1_25partition_config_selectorILNS1_17partition_subalgoE8EfNS0_10empty_typeEbEEZZNS1_14partition_implILS5_8ELb0ES3_jPKfPS6_PKS6_NS0_5tupleIJPfS6_EEENSE_IJSB_SB_EEENS0_18inequality_wrapperIN6hipcub16HIPCUB_304000_NS8EqualityEEEPlJS6_EEE10hipError_tPvRmT3_T4_T5_T6_T7_T9_mT8_P12ihipStream_tbDpT10_ENKUlT_T0_E_clISt17integral_constantIbLb1EES17_EEDaS12_S13_EUlS12_E_NS1_11comp_targetILNS1_3genE5ELNS1_11target_archE942ELNS1_3gpuE9ELNS1_3repE0EEENS1_30default_config_static_selectorELNS0_4arch9wavefront6targetE0EEEvT1_: ; @_ZN7rocprim17ROCPRIM_400000_NS6detail17trampoline_kernelINS0_14default_configENS1_25partition_config_selectorILNS1_17partition_subalgoE8EfNS0_10empty_typeEbEEZZNS1_14partition_implILS5_8ELb0ES3_jPKfPS6_PKS6_NS0_5tupleIJPfS6_EEENSE_IJSB_SB_EEENS0_18inequality_wrapperIN6hipcub16HIPCUB_304000_NS8EqualityEEEPlJS6_EEE10hipError_tPvRmT3_T4_T5_T6_T7_T9_mT8_P12ihipStream_tbDpT10_ENKUlT_T0_E_clISt17integral_constantIbLb1EES17_EEDaS12_S13_EUlS12_E_NS1_11comp_targetILNS1_3genE5ELNS1_11target_archE942ELNS1_3gpuE9ELNS1_3repE0EEENS1_30default_config_static_selectorELNS0_4arch9wavefront6targetE0EEEvT1_
; %bb.0:
	.section	.rodata,"a",@progbits
	.p2align	6, 0x0
	.amdhsa_kernel _ZN7rocprim17ROCPRIM_400000_NS6detail17trampoline_kernelINS0_14default_configENS1_25partition_config_selectorILNS1_17partition_subalgoE8EfNS0_10empty_typeEbEEZZNS1_14partition_implILS5_8ELb0ES3_jPKfPS6_PKS6_NS0_5tupleIJPfS6_EEENSE_IJSB_SB_EEENS0_18inequality_wrapperIN6hipcub16HIPCUB_304000_NS8EqualityEEEPlJS6_EEE10hipError_tPvRmT3_T4_T5_T6_T7_T9_mT8_P12ihipStream_tbDpT10_ENKUlT_T0_E_clISt17integral_constantIbLb1EES17_EEDaS12_S13_EUlS12_E_NS1_11comp_targetILNS1_3genE5ELNS1_11target_archE942ELNS1_3gpuE9ELNS1_3repE0EEENS1_30default_config_static_selectorELNS0_4arch9wavefront6targetE0EEEvT1_
		.amdhsa_group_segment_fixed_size 0
		.amdhsa_private_segment_fixed_size 0
		.amdhsa_kernarg_size 128
		.amdhsa_user_sgpr_count 2
		.amdhsa_user_sgpr_dispatch_ptr 0
		.amdhsa_user_sgpr_queue_ptr 0
		.amdhsa_user_sgpr_kernarg_segment_ptr 1
		.amdhsa_user_sgpr_dispatch_id 0
		.amdhsa_user_sgpr_kernarg_preload_length 0
		.amdhsa_user_sgpr_kernarg_preload_offset 0
		.amdhsa_user_sgpr_private_segment_size 0
		.amdhsa_wavefront_size32 1
		.amdhsa_uses_dynamic_stack 0
		.amdhsa_enable_private_segment 0
		.amdhsa_system_sgpr_workgroup_id_x 1
		.amdhsa_system_sgpr_workgroup_id_y 0
		.amdhsa_system_sgpr_workgroup_id_z 0
		.amdhsa_system_sgpr_workgroup_info 0
		.amdhsa_system_vgpr_workitem_id 0
		.amdhsa_next_free_vgpr 1
		.amdhsa_next_free_sgpr 1
		.amdhsa_named_barrier_count 0
		.amdhsa_reserve_vcc 0
		.amdhsa_float_round_mode_32 0
		.amdhsa_float_round_mode_16_64 0
		.amdhsa_float_denorm_mode_32 3
		.amdhsa_float_denorm_mode_16_64 3
		.amdhsa_fp16_overflow 0
		.amdhsa_memory_ordered 1
		.amdhsa_forward_progress 1
		.amdhsa_inst_pref_size 0
		.amdhsa_round_robin_scheduling 0
		.amdhsa_exception_fp_ieee_invalid_op 0
		.amdhsa_exception_fp_denorm_src 0
		.amdhsa_exception_fp_ieee_div_zero 0
		.amdhsa_exception_fp_ieee_overflow 0
		.amdhsa_exception_fp_ieee_underflow 0
		.amdhsa_exception_fp_ieee_inexact 0
		.amdhsa_exception_int_div_zero 0
	.end_amdhsa_kernel
	.section	.text._ZN7rocprim17ROCPRIM_400000_NS6detail17trampoline_kernelINS0_14default_configENS1_25partition_config_selectorILNS1_17partition_subalgoE8EfNS0_10empty_typeEbEEZZNS1_14partition_implILS5_8ELb0ES3_jPKfPS6_PKS6_NS0_5tupleIJPfS6_EEENSE_IJSB_SB_EEENS0_18inequality_wrapperIN6hipcub16HIPCUB_304000_NS8EqualityEEEPlJS6_EEE10hipError_tPvRmT3_T4_T5_T6_T7_T9_mT8_P12ihipStream_tbDpT10_ENKUlT_T0_E_clISt17integral_constantIbLb1EES17_EEDaS12_S13_EUlS12_E_NS1_11comp_targetILNS1_3genE5ELNS1_11target_archE942ELNS1_3gpuE9ELNS1_3repE0EEENS1_30default_config_static_selectorELNS0_4arch9wavefront6targetE0EEEvT1_,"axG",@progbits,_ZN7rocprim17ROCPRIM_400000_NS6detail17trampoline_kernelINS0_14default_configENS1_25partition_config_selectorILNS1_17partition_subalgoE8EfNS0_10empty_typeEbEEZZNS1_14partition_implILS5_8ELb0ES3_jPKfPS6_PKS6_NS0_5tupleIJPfS6_EEENSE_IJSB_SB_EEENS0_18inequality_wrapperIN6hipcub16HIPCUB_304000_NS8EqualityEEEPlJS6_EEE10hipError_tPvRmT3_T4_T5_T6_T7_T9_mT8_P12ihipStream_tbDpT10_ENKUlT_T0_E_clISt17integral_constantIbLb1EES17_EEDaS12_S13_EUlS12_E_NS1_11comp_targetILNS1_3genE5ELNS1_11target_archE942ELNS1_3gpuE9ELNS1_3repE0EEENS1_30default_config_static_selectorELNS0_4arch9wavefront6targetE0EEEvT1_,comdat
.Lfunc_end350:
	.size	_ZN7rocprim17ROCPRIM_400000_NS6detail17trampoline_kernelINS0_14default_configENS1_25partition_config_selectorILNS1_17partition_subalgoE8EfNS0_10empty_typeEbEEZZNS1_14partition_implILS5_8ELb0ES3_jPKfPS6_PKS6_NS0_5tupleIJPfS6_EEENSE_IJSB_SB_EEENS0_18inequality_wrapperIN6hipcub16HIPCUB_304000_NS8EqualityEEEPlJS6_EEE10hipError_tPvRmT3_T4_T5_T6_T7_T9_mT8_P12ihipStream_tbDpT10_ENKUlT_T0_E_clISt17integral_constantIbLb1EES17_EEDaS12_S13_EUlS12_E_NS1_11comp_targetILNS1_3genE5ELNS1_11target_archE942ELNS1_3gpuE9ELNS1_3repE0EEENS1_30default_config_static_selectorELNS0_4arch9wavefront6targetE0EEEvT1_, .Lfunc_end350-_ZN7rocprim17ROCPRIM_400000_NS6detail17trampoline_kernelINS0_14default_configENS1_25partition_config_selectorILNS1_17partition_subalgoE8EfNS0_10empty_typeEbEEZZNS1_14partition_implILS5_8ELb0ES3_jPKfPS6_PKS6_NS0_5tupleIJPfS6_EEENSE_IJSB_SB_EEENS0_18inequality_wrapperIN6hipcub16HIPCUB_304000_NS8EqualityEEEPlJS6_EEE10hipError_tPvRmT3_T4_T5_T6_T7_T9_mT8_P12ihipStream_tbDpT10_ENKUlT_T0_E_clISt17integral_constantIbLb1EES17_EEDaS12_S13_EUlS12_E_NS1_11comp_targetILNS1_3genE5ELNS1_11target_archE942ELNS1_3gpuE9ELNS1_3repE0EEENS1_30default_config_static_selectorELNS0_4arch9wavefront6targetE0EEEvT1_
                                        ; -- End function
	.set _ZN7rocprim17ROCPRIM_400000_NS6detail17trampoline_kernelINS0_14default_configENS1_25partition_config_selectorILNS1_17partition_subalgoE8EfNS0_10empty_typeEbEEZZNS1_14partition_implILS5_8ELb0ES3_jPKfPS6_PKS6_NS0_5tupleIJPfS6_EEENSE_IJSB_SB_EEENS0_18inequality_wrapperIN6hipcub16HIPCUB_304000_NS8EqualityEEEPlJS6_EEE10hipError_tPvRmT3_T4_T5_T6_T7_T9_mT8_P12ihipStream_tbDpT10_ENKUlT_T0_E_clISt17integral_constantIbLb1EES17_EEDaS12_S13_EUlS12_E_NS1_11comp_targetILNS1_3genE5ELNS1_11target_archE942ELNS1_3gpuE9ELNS1_3repE0EEENS1_30default_config_static_selectorELNS0_4arch9wavefront6targetE0EEEvT1_.num_vgpr, 0
	.set _ZN7rocprim17ROCPRIM_400000_NS6detail17trampoline_kernelINS0_14default_configENS1_25partition_config_selectorILNS1_17partition_subalgoE8EfNS0_10empty_typeEbEEZZNS1_14partition_implILS5_8ELb0ES3_jPKfPS6_PKS6_NS0_5tupleIJPfS6_EEENSE_IJSB_SB_EEENS0_18inequality_wrapperIN6hipcub16HIPCUB_304000_NS8EqualityEEEPlJS6_EEE10hipError_tPvRmT3_T4_T5_T6_T7_T9_mT8_P12ihipStream_tbDpT10_ENKUlT_T0_E_clISt17integral_constantIbLb1EES17_EEDaS12_S13_EUlS12_E_NS1_11comp_targetILNS1_3genE5ELNS1_11target_archE942ELNS1_3gpuE9ELNS1_3repE0EEENS1_30default_config_static_selectorELNS0_4arch9wavefront6targetE0EEEvT1_.num_agpr, 0
	.set _ZN7rocprim17ROCPRIM_400000_NS6detail17trampoline_kernelINS0_14default_configENS1_25partition_config_selectorILNS1_17partition_subalgoE8EfNS0_10empty_typeEbEEZZNS1_14partition_implILS5_8ELb0ES3_jPKfPS6_PKS6_NS0_5tupleIJPfS6_EEENSE_IJSB_SB_EEENS0_18inequality_wrapperIN6hipcub16HIPCUB_304000_NS8EqualityEEEPlJS6_EEE10hipError_tPvRmT3_T4_T5_T6_T7_T9_mT8_P12ihipStream_tbDpT10_ENKUlT_T0_E_clISt17integral_constantIbLb1EES17_EEDaS12_S13_EUlS12_E_NS1_11comp_targetILNS1_3genE5ELNS1_11target_archE942ELNS1_3gpuE9ELNS1_3repE0EEENS1_30default_config_static_selectorELNS0_4arch9wavefront6targetE0EEEvT1_.numbered_sgpr, 0
	.set _ZN7rocprim17ROCPRIM_400000_NS6detail17trampoline_kernelINS0_14default_configENS1_25partition_config_selectorILNS1_17partition_subalgoE8EfNS0_10empty_typeEbEEZZNS1_14partition_implILS5_8ELb0ES3_jPKfPS6_PKS6_NS0_5tupleIJPfS6_EEENSE_IJSB_SB_EEENS0_18inequality_wrapperIN6hipcub16HIPCUB_304000_NS8EqualityEEEPlJS6_EEE10hipError_tPvRmT3_T4_T5_T6_T7_T9_mT8_P12ihipStream_tbDpT10_ENKUlT_T0_E_clISt17integral_constantIbLb1EES17_EEDaS12_S13_EUlS12_E_NS1_11comp_targetILNS1_3genE5ELNS1_11target_archE942ELNS1_3gpuE9ELNS1_3repE0EEENS1_30default_config_static_selectorELNS0_4arch9wavefront6targetE0EEEvT1_.num_named_barrier, 0
	.set _ZN7rocprim17ROCPRIM_400000_NS6detail17trampoline_kernelINS0_14default_configENS1_25partition_config_selectorILNS1_17partition_subalgoE8EfNS0_10empty_typeEbEEZZNS1_14partition_implILS5_8ELb0ES3_jPKfPS6_PKS6_NS0_5tupleIJPfS6_EEENSE_IJSB_SB_EEENS0_18inequality_wrapperIN6hipcub16HIPCUB_304000_NS8EqualityEEEPlJS6_EEE10hipError_tPvRmT3_T4_T5_T6_T7_T9_mT8_P12ihipStream_tbDpT10_ENKUlT_T0_E_clISt17integral_constantIbLb1EES17_EEDaS12_S13_EUlS12_E_NS1_11comp_targetILNS1_3genE5ELNS1_11target_archE942ELNS1_3gpuE9ELNS1_3repE0EEENS1_30default_config_static_selectorELNS0_4arch9wavefront6targetE0EEEvT1_.private_seg_size, 0
	.set _ZN7rocprim17ROCPRIM_400000_NS6detail17trampoline_kernelINS0_14default_configENS1_25partition_config_selectorILNS1_17partition_subalgoE8EfNS0_10empty_typeEbEEZZNS1_14partition_implILS5_8ELb0ES3_jPKfPS6_PKS6_NS0_5tupleIJPfS6_EEENSE_IJSB_SB_EEENS0_18inequality_wrapperIN6hipcub16HIPCUB_304000_NS8EqualityEEEPlJS6_EEE10hipError_tPvRmT3_T4_T5_T6_T7_T9_mT8_P12ihipStream_tbDpT10_ENKUlT_T0_E_clISt17integral_constantIbLb1EES17_EEDaS12_S13_EUlS12_E_NS1_11comp_targetILNS1_3genE5ELNS1_11target_archE942ELNS1_3gpuE9ELNS1_3repE0EEENS1_30default_config_static_selectorELNS0_4arch9wavefront6targetE0EEEvT1_.uses_vcc, 0
	.set _ZN7rocprim17ROCPRIM_400000_NS6detail17trampoline_kernelINS0_14default_configENS1_25partition_config_selectorILNS1_17partition_subalgoE8EfNS0_10empty_typeEbEEZZNS1_14partition_implILS5_8ELb0ES3_jPKfPS6_PKS6_NS0_5tupleIJPfS6_EEENSE_IJSB_SB_EEENS0_18inequality_wrapperIN6hipcub16HIPCUB_304000_NS8EqualityEEEPlJS6_EEE10hipError_tPvRmT3_T4_T5_T6_T7_T9_mT8_P12ihipStream_tbDpT10_ENKUlT_T0_E_clISt17integral_constantIbLb1EES17_EEDaS12_S13_EUlS12_E_NS1_11comp_targetILNS1_3genE5ELNS1_11target_archE942ELNS1_3gpuE9ELNS1_3repE0EEENS1_30default_config_static_selectorELNS0_4arch9wavefront6targetE0EEEvT1_.uses_flat_scratch, 0
	.set _ZN7rocprim17ROCPRIM_400000_NS6detail17trampoline_kernelINS0_14default_configENS1_25partition_config_selectorILNS1_17partition_subalgoE8EfNS0_10empty_typeEbEEZZNS1_14partition_implILS5_8ELb0ES3_jPKfPS6_PKS6_NS0_5tupleIJPfS6_EEENSE_IJSB_SB_EEENS0_18inequality_wrapperIN6hipcub16HIPCUB_304000_NS8EqualityEEEPlJS6_EEE10hipError_tPvRmT3_T4_T5_T6_T7_T9_mT8_P12ihipStream_tbDpT10_ENKUlT_T0_E_clISt17integral_constantIbLb1EES17_EEDaS12_S13_EUlS12_E_NS1_11comp_targetILNS1_3genE5ELNS1_11target_archE942ELNS1_3gpuE9ELNS1_3repE0EEENS1_30default_config_static_selectorELNS0_4arch9wavefront6targetE0EEEvT1_.has_dyn_sized_stack, 0
	.set _ZN7rocprim17ROCPRIM_400000_NS6detail17trampoline_kernelINS0_14default_configENS1_25partition_config_selectorILNS1_17partition_subalgoE8EfNS0_10empty_typeEbEEZZNS1_14partition_implILS5_8ELb0ES3_jPKfPS6_PKS6_NS0_5tupleIJPfS6_EEENSE_IJSB_SB_EEENS0_18inequality_wrapperIN6hipcub16HIPCUB_304000_NS8EqualityEEEPlJS6_EEE10hipError_tPvRmT3_T4_T5_T6_T7_T9_mT8_P12ihipStream_tbDpT10_ENKUlT_T0_E_clISt17integral_constantIbLb1EES17_EEDaS12_S13_EUlS12_E_NS1_11comp_targetILNS1_3genE5ELNS1_11target_archE942ELNS1_3gpuE9ELNS1_3repE0EEENS1_30default_config_static_selectorELNS0_4arch9wavefront6targetE0EEEvT1_.has_recursion, 0
	.set _ZN7rocprim17ROCPRIM_400000_NS6detail17trampoline_kernelINS0_14default_configENS1_25partition_config_selectorILNS1_17partition_subalgoE8EfNS0_10empty_typeEbEEZZNS1_14partition_implILS5_8ELb0ES3_jPKfPS6_PKS6_NS0_5tupleIJPfS6_EEENSE_IJSB_SB_EEENS0_18inequality_wrapperIN6hipcub16HIPCUB_304000_NS8EqualityEEEPlJS6_EEE10hipError_tPvRmT3_T4_T5_T6_T7_T9_mT8_P12ihipStream_tbDpT10_ENKUlT_T0_E_clISt17integral_constantIbLb1EES17_EEDaS12_S13_EUlS12_E_NS1_11comp_targetILNS1_3genE5ELNS1_11target_archE942ELNS1_3gpuE9ELNS1_3repE0EEENS1_30default_config_static_selectorELNS0_4arch9wavefront6targetE0EEEvT1_.has_indirect_call, 0
	.section	.AMDGPU.csdata,"",@progbits
; Kernel info:
; codeLenInByte = 0
; TotalNumSgprs: 0
; NumVgprs: 0
; ScratchSize: 0
; MemoryBound: 0
; FloatMode: 240
; IeeeMode: 1
; LDSByteSize: 0 bytes/workgroup (compile time only)
; SGPRBlocks: 0
; VGPRBlocks: 0
; NumSGPRsForWavesPerEU: 1
; NumVGPRsForWavesPerEU: 1
; NamedBarCnt: 0
; Occupancy: 16
; WaveLimiterHint : 0
; COMPUTE_PGM_RSRC2:SCRATCH_EN: 0
; COMPUTE_PGM_RSRC2:USER_SGPR: 2
; COMPUTE_PGM_RSRC2:TRAP_HANDLER: 0
; COMPUTE_PGM_RSRC2:TGID_X_EN: 1
; COMPUTE_PGM_RSRC2:TGID_Y_EN: 0
; COMPUTE_PGM_RSRC2:TGID_Z_EN: 0
; COMPUTE_PGM_RSRC2:TIDIG_COMP_CNT: 0
	.section	.text._ZN7rocprim17ROCPRIM_400000_NS6detail17trampoline_kernelINS0_14default_configENS1_25partition_config_selectorILNS1_17partition_subalgoE8EfNS0_10empty_typeEbEEZZNS1_14partition_implILS5_8ELb0ES3_jPKfPS6_PKS6_NS0_5tupleIJPfS6_EEENSE_IJSB_SB_EEENS0_18inequality_wrapperIN6hipcub16HIPCUB_304000_NS8EqualityEEEPlJS6_EEE10hipError_tPvRmT3_T4_T5_T6_T7_T9_mT8_P12ihipStream_tbDpT10_ENKUlT_T0_E_clISt17integral_constantIbLb1EES17_EEDaS12_S13_EUlS12_E_NS1_11comp_targetILNS1_3genE4ELNS1_11target_archE910ELNS1_3gpuE8ELNS1_3repE0EEENS1_30default_config_static_selectorELNS0_4arch9wavefront6targetE0EEEvT1_,"axG",@progbits,_ZN7rocprim17ROCPRIM_400000_NS6detail17trampoline_kernelINS0_14default_configENS1_25partition_config_selectorILNS1_17partition_subalgoE8EfNS0_10empty_typeEbEEZZNS1_14partition_implILS5_8ELb0ES3_jPKfPS6_PKS6_NS0_5tupleIJPfS6_EEENSE_IJSB_SB_EEENS0_18inequality_wrapperIN6hipcub16HIPCUB_304000_NS8EqualityEEEPlJS6_EEE10hipError_tPvRmT3_T4_T5_T6_T7_T9_mT8_P12ihipStream_tbDpT10_ENKUlT_T0_E_clISt17integral_constantIbLb1EES17_EEDaS12_S13_EUlS12_E_NS1_11comp_targetILNS1_3genE4ELNS1_11target_archE910ELNS1_3gpuE8ELNS1_3repE0EEENS1_30default_config_static_selectorELNS0_4arch9wavefront6targetE0EEEvT1_,comdat
	.protected	_ZN7rocprim17ROCPRIM_400000_NS6detail17trampoline_kernelINS0_14default_configENS1_25partition_config_selectorILNS1_17partition_subalgoE8EfNS0_10empty_typeEbEEZZNS1_14partition_implILS5_8ELb0ES3_jPKfPS6_PKS6_NS0_5tupleIJPfS6_EEENSE_IJSB_SB_EEENS0_18inequality_wrapperIN6hipcub16HIPCUB_304000_NS8EqualityEEEPlJS6_EEE10hipError_tPvRmT3_T4_T5_T6_T7_T9_mT8_P12ihipStream_tbDpT10_ENKUlT_T0_E_clISt17integral_constantIbLb1EES17_EEDaS12_S13_EUlS12_E_NS1_11comp_targetILNS1_3genE4ELNS1_11target_archE910ELNS1_3gpuE8ELNS1_3repE0EEENS1_30default_config_static_selectorELNS0_4arch9wavefront6targetE0EEEvT1_ ; -- Begin function _ZN7rocprim17ROCPRIM_400000_NS6detail17trampoline_kernelINS0_14default_configENS1_25partition_config_selectorILNS1_17partition_subalgoE8EfNS0_10empty_typeEbEEZZNS1_14partition_implILS5_8ELb0ES3_jPKfPS6_PKS6_NS0_5tupleIJPfS6_EEENSE_IJSB_SB_EEENS0_18inequality_wrapperIN6hipcub16HIPCUB_304000_NS8EqualityEEEPlJS6_EEE10hipError_tPvRmT3_T4_T5_T6_T7_T9_mT8_P12ihipStream_tbDpT10_ENKUlT_T0_E_clISt17integral_constantIbLb1EES17_EEDaS12_S13_EUlS12_E_NS1_11comp_targetILNS1_3genE4ELNS1_11target_archE910ELNS1_3gpuE8ELNS1_3repE0EEENS1_30default_config_static_selectorELNS0_4arch9wavefront6targetE0EEEvT1_
	.globl	_ZN7rocprim17ROCPRIM_400000_NS6detail17trampoline_kernelINS0_14default_configENS1_25partition_config_selectorILNS1_17partition_subalgoE8EfNS0_10empty_typeEbEEZZNS1_14partition_implILS5_8ELb0ES3_jPKfPS6_PKS6_NS0_5tupleIJPfS6_EEENSE_IJSB_SB_EEENS0_18inequality_wrapperIN6hipcub16HIPCUB_304000_NS8EqualityEEEPlJS6_EEE10hipError_tPvRmT3_T4_T5_T6_T7_T9_mT8_P12ihipStream_tbDpT10_ENKUlT_T0_E_clISt17integral_constantIbLb1EES17_EEDaS12_S13_EUlS12_E_NS1_11comp_targetILNS1_3genE4ELNS1_11target_archE910ELNS1_3gpuE8ELNS1_3repE0EEENS1_30default_config_static_selectorELNS0_4arch9wavefront6targetE0EEEvT1_
	.p2align	8
	.type	_ZN7rocprim17ROCPRIM_400000_NS6detail17trampoline_kernelINS0_14default_configENS1_25partition_config_selectorILNS1_17partition_subalgoE8EfNS0_10empty_typeEbEEZZNS1_14partition_implILS5_8ELb0ES3_jPKfPS6_PKS6_NS0_5tupleIJPfS6_EEENSE_IJSB_SB_EEENS0_18inequality_wrapperIN6hipcub16HIPCUB_304000_NS8EqualityEEEPlJS6_EEE10hipError_tPvRmT3_T4_T5_T6_T7_T9_mT8_P12ihipStream_tbDpT10_ENKUlT_T0_E_clISt17integral_constantIbLb1EES17_EEDaS12_S13_EUlS12_E_NS1_11comp_targetILNS1_3genE4ELNS1_11target_archE910ELNS1_3gpuE8ELNS1_3repE0EEENS1_30default_config_static_selectorELNS0_4arch9wavefront6targetE0EEEvT1_,@function
_ZN7rocprim17ROCPRIM_400000_NS6detail17trampoline_kernelINS0_14default_configENS1_25partition_config_selectorILNS1_17partition_subalgoE8EfNS0_10empty_typeEbEEZZNS1_14partition_implILS5_8ELb0ES3_jPKfPS6_PKS6_NS0_5tupleIJPfS6_EEENSE_IJSB_SB_EEENS0_18inequality_wrapperIN6hipcub16HIPCUB_304000_NS8EqualityEEEPlJS6_EEE10hipError_tPvRmT3_T4_T5_T6_T7_T9_mT8_P12ihipStream_tbDpT10_ENKUlT_T0_E_clISt17integral_constantIbLb1EES17_EEDaS12_S13_EUlS12_E_NS1_11comp_targetILNS1_3genE4ELNS1_11target_archE910ELNS1_3gpuE8ELNS1_3repE0EEENS1_30default_config_static_selectorELNS0_4arch9wavefront6targetE0EEEvT1_: ; @_ZN7rocprim17ROCPRIM_400000_NS6detail17trampoline_kernelINS0_14default_configENS1_25partition_config_selectorILNS1_17partition_subalgoE8EfNS0_10empty_typeEbEEZZNS1_14partition_implILS5_8ELb0ES3_jPKfPS6_PKS6_NS0_5tupleIJPfS6_EEENSE_IJSB_SB_EEENS0_18inequality_wrapperIN6hipcub16HIPCUB_304000_NS8EqualityEEEPlJS6_EEE10hipError_tPvRmT3_T4_T5_T6_T7_T9_mT8_P12ihipStream_tbDpT10_ENKUlT_T0_E_clISt17integral_constantIbLb1EES17_EEDaS12_S13_EUlS12_E_NS1_11comp_targetILNS1_3genE4ELNS1_11target_archE910ELNS1_3gpuE8ELNS1_3repE0EEENS1_30default_config_static_selectorELNS0_4arch9wavefront6targetE0EEEvT1_
; %bb.0:
	.section	.rodata,"a",@progbits
	.p2align	6, 0x0
	.amdhsa_kernel _ZN7rocprim17ROCPRIM_400000_NS6detail17trampoline_kernelINS0_14default_configENS1_25partition_config_selectorILNS1_17partition_subalgoE8EfNS0_10empty_typeEbEEZZNS1_14partition_implILS5_8ELb0ES3_jPKfPS6_PKS6_NS0_5tupleIJPfS6_EEENSE_IJSB_SB_EEENS0_18inequality_wrapperIN6hipcub16HIPCUB_304000_NS8EqualityEEEPlJS6_EEE10hipError_tPvRmT3_T4_T5_T6_T7_T9_mT8_P12ihipStream_tbDpT10_ENKUlT_T0_E_clISt17integral_constantIbLb1EES17_EEDaS12_S13_EUlS12_E_NS1_11comp_targetILNS1_3genE4ELNS1_11target_archE910ELNS1_3gpuE8ELNS1_3repE0EEENS1_30default_config_static_selectorELNS0_4arch9wavefront6targetE0EEEvT1_
		.amdhsa_group_segment_fixed_size 0
		.amdhsa_private_segment_fixed_size 0
		.amdhsa_kernarg_size 128
		.amdhsa_user_sgpr_count 2
		.amdhsa_user_sgpr_dispatch_ptr 0
		.amdhsa_user_sgpr_queue_ptr 0
		.amdhsa_user_sgpr_kernarg_segment_ptr 1
		.amdhsa_user_sgpr_dispatch_id 0
		.amdhsa_user_sgpr_kernarg_preload_length 0
		.amdhsa_user_sgpr_kernarg_preload_offset 0
		.amdhsa_user_sgpr_private_segment_size 0
		.amdhsa_wavefront_size32 1
		.amdhsa_uses_dynamic_stack 0
		.amdhsa_enable_private_segment 0
		.amdhsa_system_sgpr_workgroup_id_x 1
		.amdhsa_system_sgpr_workgroup_id_y 0
		.amdhsa_system_sgpr_workgroup_id_z 0
		.amdhsa_system_sgpr_workgroup_info 0
		.amdhsa_system_vgpr_workitem_id 0
		.amdhsa_next_free_vgpr 1
		.amdhsa_next_free_sgpr 1
		.amdhsa_named_barrier_count 0
		.amdhsa_reserve_vcc 0
		.amdhsa_float_round_mode_32 0
		.amdhsa_float_round_mode_16_64 0
		.amdhsa_float_denorm_mode_32 3
		.amdhsa_float_denorm_mode_16_64 3
		.amdhsa_fp16_overflow 0
		.amdhsa_memory_ordered 1
		.amdhsa_forward_progress 1
		.amdhsa_inst_pref_size 0
		.amdhsa_round_robin_scheduling 0
		.amdhsa_exception_fp_ieee_invalid_op 0
		.amdhsa_exception_fp_denorm_src 0
		.amdhsa_exception_fp_ieee_div_zero 0
		.amdhsa_exception_fp_ieee_overflow 0
		.amdhsa_exception_fp_ieee_underflow 0
		.amdhsa_exception_fp_ieee_inexact 0
		.amdhsa_exception_int_div_zero 0
	.end_amdhsa_kernel
	.section	.text._ZN7rocprim17ROCPRIM_400000_NS6detail17trampoline_kernelINS0_14default_configENS1_25partition_config_selectorILNS1_17partition_subalgoE8EfNS0_10empty_typeEbEEZZNS1_14partition_implILS5_8ELb0ES3_jPKfPS6_PKS6_NS0_5tupleIJPfS6_EEENSE_IJSB_SB_EEENS0_18inequality_wrapperIN6hipcub16HIPCUB_304000_NS8EqualityEEEPlJS6_EEE10hipError_tPvRmT3_T4_T5_T6_T7_T9_mT8_P12ihipStream_tbDpT10_ENKUlT_T0_E_clISt17integral_constantIbLb1EES17_EEDaS12_S13_EUlS12_E_NS1_11comp_targetILNS1_3genE4ELNS1_11target_archE910ELNS1_3gpuE8ELNS1_3repE0EEENS1_30default_config_static_selectorELNS0_4arch9wavefront6targetE0EEEvT1_,"axG",@progbits,_ZN7rocprim17ROCPRIM_400000_NS6detail17trampoline_kernelINS0_14default_configENS1_25partition_config_selectorILNS1_17partition_subalgoE8EfNS0_10empty_typeEbEEZZNS1_14partition_implILS5_8ELb0ES3_jPKfPS6_PKS6_NS0_5tupleIJPfS6_EEENSE_IJSB_SB_EEENS0_18inequality_wrapperIN6hipcub16HIPCUB_304000_NS8EqualityEEEPlJS6_EEE10hipError_tPvRmT3_T4_T5_T6_T7_T9_mT8_P12ihipStream_tbDpT10_ENKUlT_T0_E_clISt17integral_constantIbLb1EES17_EEDaS12_S13_EUlS12_E_NS1_11comp_targetILNS1_3genE4ELNS1_11target_archE910ELNS1_3gpuE8ELNS1_3repE0EEENS1_30default_config_static_selectorELNS0_4arch9wavefront6targetE0EEEvT1_,comdat
.Lfunc_end351:
	.size	_ZN7rocprim17ROCPRIM_400000_NS6detail17trampoline_kernelINS0_14default_configENS1_25partition_config_selectorILNS1_17partition_subalgoE8EfNS0_10empty_typeEbEEZZNS1_14partition_implILS5_8ELb0ES3_jPKfPS6_PKS6_NS0_5tupleIJPfS6_EEENSE_IJSB_SB_EEENS0_18inequality_wrapperIN6hipcub16HIPCUB_304000_NS8EqualityEEEPlJS6_EEE10hipError_tPvRmT3_T4_T5_T6_T7_T9_mT8_P12ihipStream_tbDpT10_ENKUlT_T0_E_clISt17integral_constantIbLb1EES17_EEDaS12_S13_EUlS12_E_NS1_11comp_targetILNS1_3genE4ELNS1_11target_archE910ELNS1_3gpuE8ELNS1_3repE0EEENS1_30default_config_static_selectorELNS0_4arch9wavefront6targetE0EEEvT1_, .Lfunc_end351-_ZN7rocprim17ROCPRIM_400000_NS6detail17trampoline_kernelINS0_14default_configENS1_25partition_config_selectorILNS1_17partition_subalgoE8EfNS0_10empty_typeEbEEZZNS1_14partition_implILS5_8ELb0ES3_jPKfPS6_PKS6_NS0_5tupleIJPfS6_EEENSE_IJSB_SB_EEENS0_18inequality_wrapperIN6hipcub16HIPCUB_304000_NS8EqualityEEEPlJS6_EEE10hipError_tPvRmT3_T4_T5_T6_T7_T9_mT8_P12ihipStream_tbDpT10_ENKUlT_T0_E_clISt17integral_constantIbLb1EES17_EEDaS12_S13_EUlS12_E_NS1_11comp_targetILNS1_3genE4ELNS1_11target_archE910ELNS1_3gpuE8ELNS1_3repE0EEENS1_30default_config_static_selectorELNS0_4arch9wavefront6targetE0EEEvT1_
                                        ; -- End function
	.set _ZN7rocprim17ROCPRIM_400000_NS6detail17trampoline_kernelINS0_14default_configENS1_25partition_config_selectorILNS1_17partition_subalgoE8EfNS0_10empty_typeEbEEZZNS1_14partition_implILS5_8ELb0ES3_jPKfPS6_PKS6_NS0_5tupleIJPfS6_EEENSE_IJSB_SB_EEENS0_18inequality_wrapperIN6hipcub16HIPCUB_304000_NS8EqualityEEEPlJS6_EEE10hipError_tPvRmT3_T4_T5_T6_T7_T9_mT8_P12ihipStream_tbDpT10_ENKUlT_T0_E_clISt17integral_constantIbLb1EES17_EEDaS12_S13_EUlS12_E_NS1_11comp_targetILNS1_3genE4ELNS1_11target_archE910ELNS1_3gpuE8ELNS1_3repE0EEENS1_30default_config_static_selectorELNS0_4arch9wavefront6targetE0EEEvT1_.num_vgpr, 0
	.set _ZN7rocprim17ROCPRIM_400000_NS6detail17trampoline_kernelINS0_14default_configENS1_25partition_config_selectorILNS1_17partition_subalgoE8EfNS0_10empty_typeEbEEZZNS1_14partition_implILS5_8ELb0ES3_jPKfPS6_PKS6_NS0_5tupleIJPfS6_EEENSE_IJSB_SB_EEENS0_18inequality_wrapperIN6hipcub16HIPCUB_304000_NS8EqualityEEEPlJS6_EEE10hipError_tPvRmT3_T4_T5_T6_T7_T9_mT8_P12ihipStream_tbDpT10_ENKUlT_T0_E_clISt17integral_constantIbLb1EES17_EEDaS12_S13_EUlS12_E_NS1_11comp_targetILNS1_3genE4ELNS1_11target_archE910ELNS1_3gpuE8ELNS1_3repE0EEENS1_30default_config_static_selectorELNS0_4arch9wavefront6targetE0EEEvT1_.num_agpr, 0
	.set _ZN7rocprim17ROCPRIM_400000_NS6detail17trampoline_kernelINS0_14default_configENS1_25partition_config_selectorILNS1_17partition_subalgoE8EfNS0_10empty_typeEbEEZZNS1_14partition_implILS5_8ELb0ES3_jPKfPS6_PKS6_NS0_5tupleIJPfS6_EEENSE_IJSB_SB_EEENS0_18inequality_wrapperIN6hipcub16HIPCUB_304000_NS8EqualityEEEPlJS6_EEE10hipError_tPvRmT3_T4_T5_T6_T7_T9_mT8_P12ihipStream_tbDpT10_ENKUlT_T0_E_clISt17integral_constantIbLb1EES17_EEDaS12_S13_EUlS12_E_NS1_11comp_targetILNS1_3genE4ELNS1_11target_archE910ELNS1_3gpuE8ELNS1_3repE0EEENS1_30default_config_static_selectorELNS0_4arch9wavefront6targetE0EEEvT1_.numbered_sgpr, 0
	.set _ZN7rocprim17ROCPRIM_400000_NS6detail17trampoline_kernelINS0_14default_configENS1_25partition_config_selectorILNS1_17partition_subalgoE8EfNS0_10empty_typeEbEEZZNS1_14partition_implILS5_8ELb0ES3_jPKfPS6_PKS6_NS0_5tupleIJPfS6_EEENSE_IJSB_SB_EEENS0_18inequality_wrapperIN6hipcub16HIPCUB_304000_NS8EqualityEEEPlJS6_EEE10hipError_tPvRmT3_T4_T5_T6_T7_T9_mT8_P12ihipStream_tbDpT10_ENKUlT_T0_E_clISt17integral_constantIbLb1EES17_EEDaS12_S13_EUlS12_E_NS1_11comp_targetILNS1_3genE4ELNS1_11target_archE910ELNS1_3gpuE8ELNS1_3repE0EEENS1_30default_config_static_selectorELNS0_4arch9wavefront6targetE0EEEvT1_.num_named_barrier, 0
	.set _ZN7rocprim17ROCPRIM_400000_NS6detail17trampoline_kernelINS0_14default_configENS1_25partition_config_selectorILNS1_17partition_subalgoE8EfNS0_10empty_typeEbEEZZNS1_14partition_implILS5_8ELb0ES3_jPKfPS6_PKS6_NS0_5tupleIJPfS6_EEENSE_IJSB_SB_EEENS0_18inequality_wrapperIN6hipcub16HIPCUB_304000_NS8EqualityEEEPlJS6_EEE10hipError_tPvRmT3_T4_T5_T6_T7_T9_mT8_P12ihipStream_tbDpT10_ENKUlT_T0_E_clISt17integral_constantIbLb1EES17_EEDaS12_S13_EUlS12_E_NS1_11comp_targetILNS1_3genE4ELNS1_11target_archE910ELNS1_3gpuE8ELNS1_3repE0EEENS1_30default_config_static_selectorELNS0_4arch9wavefront6targetE0EEEvT1_.private_seg_size, 0
	.set _ZN7rocprim17ROCPRIM_400000_NS6detail17trampoline_kernelINS0_14default_configENS1_25partition_config_selectorILNS1_17partition_subalgoE8EfNS0_10empty_typeEbEEZZNS1_14partition_implILS5_8ELb0ES3_jPKfPS6_PKS6_NS0_5tupleIJPfS6_EEENSE_IJSB_SB_EEENS0_18inequality_wrapperIN6hipcub16HIPCUB_304000_NS8EqualityEEEPlJS6_EEE10hipError_tPvRmT3_T4_T5_T6_T7_T9_mT8_P12ihipStream_tbDpT10_ENKUlT_T0_E_clISt17integral_constantIbLb1EES17_EEDaS12_S13_EUlS12_E_NS1_11comp_targetILNS1_3genE4ELNS1_11target_archE910ELNS1_3gpuE8ELNS1_3repE0EEENS1_30default_config_static_selectorELNS0_4arch9wavefront6targetE0EEEvT1_.uses_vcc, 0
	.set _ZN7rocprim17ROCPRIM_400000_NS6detail17trampoline_kernelINS0_14default_configENS1_25partition_config_selectorILNS1_17partition_subalgoE8EfNS0_10empty_typeEbEEZZNS1_14partition_implILS5_8ELb0ES3_jPKfPS6_PKS6_NS0_5tupleIJPfS6_EEENSE_IJSB_SB_EEENS0_18inequality_wrapperIN6hipcub16HIPCUB_304000_NS8EqualityEEEPlJS6_EEE10hipError_tPvRmT3_T4_T5_T6_T7_T9_mT8_P12ihipStream_tbDpT10_ENKUlT_T0_E_clISt17integral_constantIbLb1EES17_EEDaS12_S13_EUlS12_E_NS1_11comp_targetILNS1_3genE4ELNS1_11target_archE910ELNS1_3gpuE8ELNS1_3repE0EEENS1_30default_config_static_selectorELNS0_4arch9wavefront6targetE0EEEvT1_.uses_flat_scratch, 0
	.set _ZN7rocprim17ROCPRIM_400000_NS6detail17trampoline_kernelINS0_14default_configENS1_25partition_config_selectorILNS1_17partition_subalgoE8EfNS0_10empty_typeEbEEZZNS1_14partition_implILS5_8ELb0ES3_jPKfPS6_PKS6_NS0_5tupleIJPfS6_EEENSE_IJSB_SB_EEENS0_18inequality_wrapperIN6hipcub16HIPCUB_304000_NS8EqualityEEEPlJS6_EEE10hipError_tPvRmT3_T4_T5_T6_T7_T9_mT8_P12ihipStream_tbDpT10_ENKUlT_T0_E_clISt17integral_constantIbLb1EES17_EEDaS12_S13_EUlS12_E_NS1_11comp_targetILNS1_3genE4ELNS1_11target_archE910ELNS1_3gpuE8ELNS1_3repE0EEENS1_30default_config_static_selectorELNS0_4arch9wavefront6targetE0EEEvT1_.has_dyn_sized_stack, 0
	.set _ZN7rocprim17ROCPRIM_400000_NS6detail17trampoline_kernelINS0_14default_configENS1_25partition_config_selectorILNS1_17partition_subalgoE8EfNS0_10empty_typeEbEEZZNS1_14partition_implILS5_8ELb0ES3_jPKfPS6_PKS6_NS0_5tupleIJPfS6_EEENSE_IJSB_SB_EEENS0_18inequality_wrapperIN6hipcub16HIPCUB_304000_NS8EqualityEEEPlJS6_EEE10hipError_tPvRmT3_T4_T5_T6_T7_T9_mT8_P12ihipStream_tbDpT10_ENKUlT_T0_E_clISt17integral_constantIbLb1EES17_EEDaS12_S13_EUlS12_E_NS1_11comp_targetILNS1_3genE4ELNS1_11target_archE910ELNS1_3gpuE8ELNS1_3repE0EEENS1_30default_config_static_selectorELNS0_4arch9wavefront6targetE0EEEvT1_.has_recursion, 0
	.set _ZN7rocprim17ROCPRIM_400000_NS6detail17trampoline_kernelINS0_14default_configENS1_25partition_config_selectorILNS1_17partition_subalgoE8EfNS0_10empty_typeEbEEZZNS1_14partition_implILS5_8ELb0ES3_jPKfPS6_PKS6_NS0_5tupleIJPfS6_EEENSE_IJSB_SB_EEENS0_18inequality_wrapperIN6hipcub16HIPCUB_304000_NS8EqualityEEEPlJS6_EEE10hipError_tPvRmT3_T4_T5_T6_T7_T9_mT8_P12ihipStream_tbDpT10_ENKUlT_T0_E_clISt17integral_constantIbLb1EES17_EEDaS12_S13_EUlS12_E_NS1_11comp_targetILNS1_3genE4ELNS1_11target_archE910ELNS1_3gpuE8ELNS1_3repE0EEENS1_30default_config_static_selectorELNS0_4arch9wavefront6targetE0EEEvT1_.has_indirect_call, 0
	.section	.AMDGPU.csdata,"",@progbits
; Kernel info:
; codeLenInByte = 0
; TotalNumSgprs: 0
; NumVgprs: 0
; ScratchSize: 0
; MemoryBound: 0
; FloatMode: 240
; IeeeMode: 1
; LDSByteSize: 0 bytes/workgroup (compile time only)
; SGPRBlocks: 0
; VGPRBlocks: 0
; NumSGPRsForWavesPerEU: 1
; NumVGPRsForWavesPerEU: 1
; NamedBarCnt: 0
; Occupancy: 16
; WaveLimiterHint : 0
; COMPUTE_PGM_RSRC2:SCRATCH_EN: 0
; COMPUTE_PGM_RSRC2:USER_SGPR: 2
; COMPUTE_PGM_RSRC2:TRAP_HANDLER: 0
; COMPUTE_PGM_RSRC2:TGID_X_EN: 1
; COMPUTE_PGM_RSRC2:TGID_Y_EN: 0
; COMPUTE_PGM_RSRC2:TGID_Z_EN: 0
; COMPUTE_PGM_RSRC2:TIDIG_COMP_CNT: 0
	.section	.text._ZN7rocprim17ROCPRIM_400000_NS6detail17trampoline_kernelINS0_14default_configENS1_25partition_config_selectorILNS1_17partition_subalgoE8EfNS0_10empty_typeEbEEZZNS1_14partition_implILS5_8ELb0ES3_jPKfPS6_PKS6_NS0_5tupleIJPfS6_EEENSE_IJSB_SB_EEENS0_18inequality_wrapperIN6hipcub16HIPCUB_304000_NS8EqualityEEEPlJS6_EEE10hipError_tPvRmT3_T4_T5_T6_T7_T9_mT8_P12ihipStream_tbDpT10_ENKUlT_T0_E_clISt17integral_constantIbLb1EES17_EEDaS12_S13_EUlS12_E_NS1_11comp_targetILNS1_3genE3ELNS1_11target_archE908ELNS1_3gpuE7ELNS1_3repE0EEENS1_30default_config_static_selectorELNS0_4arch9wavefront6targetE0EEEvT1_,"axG",@progbits,_ZN7rocprim17ROCPRIM_400000_NS6detail17trampoline_kernelINS0_14default_configENS1_25partition_config_selectorILNS1_17partition_subalgoE8EfNS0_10empty_typeEbEEZZNS1_14partition_implILS5_8ELb0ES3_jPKfPS6_PKS6_NS0_5tupleIJPfS6_EEENSE_IJSB_SB_EEENS0_18inequality_wrapperIN6hipcub16HIPCUB_304000_NS8EqualityEEEPlJS6_EEE10hipError_tPvRmT3_T4_T5_T6_T7_T9_mT8_P12ihipStream_tbDpT10_ENKUlT_T0_E_clISt17integral_constantIbLb1EES17_EEDaS12_S13_EUlS12_E_NS1_11comp_targetILNS1_3genE3ELNS1_11target_archE908ELNS1_3gpuE7ELNS1_3repE0EEENS1_30default_config_static_selectorELNS0_4arch9wavefront6targetE0EEEvT1_,comdat
	.protected	_ZN7rocprim17ROCPRIM_400000_NS6detail17trampoline_kernelINS0_14default_configENS1_25partition_config_selectorILNS1_17partition_subalgoE8EfNS0_10empty_typeEbEEZZNS1_14partition_implILS5_8ELb0ES3_jPKfPS6_PKS6_NS0_5tupleIJPfS6_EEENSE_IJSB_SB_EEENS0_18inequality_wrapperIN6hipcub16HIPCUB_304000_NS8EqualityEEEPlJS6_EEE10hipError_tPvRmT3_T4_T5_T6_T7_T9_mT8_P12ihipStream_tbDpT10_ENKUlT_T0_E_clISt17integral_constantIbLb1EES17_EEDaS12_S13_EUlS12_E_NS1_11comp_targetILNS1_3genE3ELNS1_11target_archE908ELNS1_3gpuE7ELNS1_3repE0EEENS1_30default_config_static_selectorELNS0_4arch9wavefront6targetE0EEEvT1_ ; -- Begin function _ZN7rocprim17ROCPRIM_400000_NS6detail17trampoline_kernelINS0_14default_configENS1_25partition_config_selectorILNS1_17partition_subalgoE8EfNS0_10empty_typeEbEEZZNS1_14partition_implILS5_8ELb0ES3_jPKfPS6_PKS6_NS0_5tupleIJPfS6_EEENSE_IJSB_SB_EEENS0_18inequality_wrapperIN6hipcub16HIPCUB_304000_NS8EqualityEEEPlJS6_EEE10hipError_tPvRmT3_T4_T5_T6_T7_T9_mT8_P12ihipStream_tbDpT10_ENKUlT_T0_E_clISt17integral_constantIbLb1EES17_EEDaS12_S13_EUlS12_E_NS1_11comp_targetILNS1_3genE3ELNS1_11target_archE908ELNS1_3gpuE7ELNS1_3repE0EEENS1_30default_config_static_selectorELNS0_4arch9wavefront6targetE0EEEvT1_
	.globl	_ZN7rocprim17ROCPRIM_400000_NS6detail17trampoline_kernelINS0_14default_configENS1_25partition_config_selectorILNS1_17partition_subalgoE8EfNS0_10empty_typeEbEEZZNS1_14partition_implILS5_8ELb0ES3_jPKfPS6_PKS6_NS0_5tupleIJPfS6_EEENSE_IJSB_SB_EEENS0_18inequality_wrapperIN6hipcub16HIPCUB_304000_NS8EqualityEEEPlJS6_EEE10hipError_tPvRmT3_T4_T5_T6_T7_T9_mT8_P12ihipStream_tbDpT10_ENKUlT_T0_E_clISt17integral_constantIbLb1EES17_EEDaS12_S13_EUlS12_E_NS1_11comp_targetILNS1_3genE3ELNS1_11target_archE908ELNS1_3gpuE7ELNS1_3repE0EEENS1_30default_config_static_selectorELNS0_4arch9wavefront6targetE0EEEvT1_
	.p2align	8
	.type	_ZN7rocprim17ROCPRIM_400000_NS6detail17trampoline_kernelINS0_14default_configENS1_25partition_config_selectorILNS1_17partition_subalgoE8EfNS0_10empty_typeEbEEZZNS1_14partition_implILS5_8ELb0ES3_jPKfPS6_PKS6_NS0_5tupleIJPfS6_EEENSE_IJSB_SB_EEENS0_18inequality_wrapperIN6hipcub16HIPCUB_304000_NS8EqualityEEEPlJS6_EEE10hipError_tPvRmT3_T4_T5_T6_T7_T9_mT8_P12ihipStream_tbDpT10_ENKUlT_T0_E_clISt17integral_constantIbLb1EES17_EEDaS12_S13_EUlS12_E_NS1_11comp_targetILNS1_3genE3ELNS1_11target_archE908ELNS1_3gpuE7ELNS1_3repE0EEENS1_30default_config_static_selectorELNS0_4arch9wavefront6targetE0EEEvT1_,@function
_ZN7rocprim17ROCPRIM_400000_NS6detail17trampoline_kernelINS0_14default_configENS1_25partition_config_selectorILNS1_17partition_subalgoE8EfNS0_10empty_typeEbEEZZNS1_14partition_implILS5_8ELb0ES3_jPKfPS6_PKS6_NS0_5tupleIJPfS6_EEENSE_IJSB_SB_EEENS0_18inequality_wrapperIN6hipcub16HIPCUB_304000_NS8EqualityEEEPlJS6_EEE10hipError_tPvRmT3_T4_T5_T6_T7_T9_mT8_P12ihipStream_tbDpT10_ENKUlT_T0_E_clISt17integral_constantIbLb1EES17_EEDaS12_S13_EUlS12_E_NS1_11comp_targetILNS1_3genE3ELNS1_11target_archE908ELNS1_3gpuE7ELNS1_3repE0EEENS1_30default_config_static_selectorELNS0_4arch9wavefront6targetE0EEEvT1_: ; @_ZN7rocprim17ROCPRIM_400000_NS6detail17trampoline_kernelINS0_14default_configENS1_25partition_config_selectorILNS1_17partition_subalgoE8EfNS0_10empty_typeEbEEZZNS1_14partition_implILS5_8ELb0ES3_jPKfPS6_PKS6_NS0_5tupleIJPfS6_EEENSE_IJSB_SB_EEENS0_18inequality_wrapperIN6hipcub16HIPCUB_304000_NS8EqualityEEEPlJS6_EEE10hipError_tPvRmT3_T4_T5_T6_T7_T9_mT8_P12ihipStream_tbDpT10_ENKUlT_T0_E_clISt17integral_constantIbLb1EES17_EEDaS12_S13_EUlS12_E_NS1_11comp_targetILNS1_3genE3ELNS1_11target_archE908ELNS1_3gpuE7ELNS1_3repE0EEENS1_30default_config_static_selectorELNS0_4arch9wavefront6targetE0EEEvT1_
; %bb.0:
	.section	.rodata,"a",@progbits
	.p2align	6, 0x0
	.amdhsa_kernel _ZN7rocprim17ROCPRIM_400000_NS6detail17trampoline_kernelINS0_14default_configENS1_25partition_config_selectorILNS1_17partition_subalgoE8EfNS0_10empty_typeEbEEZZNS1_14partition_implILS5_8ELb0ES3_jPKfPS6_PKS6_NS0_5tupleIJPfS6_EEENSE_IJSB_SB_EEENS0_18inequality_wrapperIN6hipcub16HIPCUB_304000_NS8EqualityEEEPlJS6_EEE10hipError_tPvRmT3_T4_T5_T6_T7_T9_mT8_P12ihipStream_tbDpT10_ENKUlT_T0_E_clISt17integral_constantIbLb1EES17_EEDaS12_S13_EUlS12_E_NS1_11comp_targetILNS1_3genE3ELNS1_11target_archE908ELNS1_3gpuE7ELNS1_3repE0EEENS1_30default_config_static_selectorELNS0_4arch9wavefront6targetE0EEEvT1_
		.amdhsa_group_segment_fixed_size 0
		.amdhsa_private_segment_fixed_size 0
		.amdhsa_kernarg_size 128
		.amdhsa_user_sgpr_count 2
		.amdhsa_user_sgpr_dispatch_ptr 0
		.amdhsa_user_sgpr_queue_ptr 0
		.amdhsa_user_sgpr_kernarg_segment_ptr 1
		.amdhsa_user_sgpr_dispatch_id 0
		.amdhsa_user_sgpr_kernarg_preload_length 0
		.amdhsa_user_sgpr_kernarg_preload_offset 0
		.amdhsa_user_sgpr_private_segment_size 0
		.amdhsa_wavefront_size32 1
		.amdhsa_uses_dynamic_stack 0
		.amdhsa_enable_private_segment 0
		.amdhsa_system_sgpr_workgroup_id_x 1
		.amdhsa_system_sgpr_workgroup_id_y 0
		.amdhsa_system_sgpr_workgroup_id_z 0
		.amdhsa_system_sgpr_workgroup_info 0
		.amdhsa_system_vgpr_workitem_id 0
		.amdhsa_next_free_vgpr 1
		.amdhsa_next_free_sgpr 1
		.amdhsa_named_barrier_count 0
		.amdhsa_reserve_vcc 0
		.amdhsa_float_round_mode_32 0
		.amdhsa_float_round_mode_16_64 0
		.amdhsa_float_denorm_mode_32 3
		.amdhsa_float_denorm_mode_16_64 3
		.amdhsa_fp16_overflow 0
		.amdhsa_memory_ordered 1
		.amdhsa_forward_progress 1
		.amdhsa_inst_pref_size 0
		.amdhsa_round_robin_scheduling 0
		.amdhsa_exception_fp_ieee_invalid_op 0
		.amdhsa_exception_fp_denorm_src 0
		.amdhsa_exception_fp_ieee_div_zero 0
		.amdhsa_exception_fp_ieee_overflow 0
		.amdhsa_exception_fp_ieee_underflow 0
		.amdhsa_exception_fp_ieee_inexact 0
		.amdhsa_exception_int_div_zero 0
	.end_amdhsa_kernel
	.section	.text._ZN7rocprim17ROCPRIM_400000_NS6detail17trampoline_kernelINS0_14default_configENS1_25partition_config_selectorILNS1_17partition_subalgoE8EfNS0_10empty_typeEbEEZZNS1_14partition_implILS5_8ELb0ES3_jPKfPS6_PKS6_NS0_5tupleIJPfS6_EEENSE_IJSB_SB_EEENS0_18inequality_wrapperIN6hipcub16HIPCUB_304000_NS8EqualityEEEPlJS6_EEE10hipError_tPvRmT3_T4_T5_T6_T7_T9_mT8_P12ihipStream_tbDpT10_ENKUlT_T0_E_clISt17integral_constantIbLb1EES17_EEDaS12_S13_EUlS12_E_NS1_11comp_targetILNS1_3genE3ELNS1_11target_archE908ELNS1_3gpuE7ELNS1_3repE0EEENS1_30default_config_static_selectorELNS0_4arch9wavefront6targetE0EEEvT1_,"axG",@progbits,_ZN7rocprim17ROCPRIM_400000_NS6detail17trampoline_kernelINS0_14default_configENS1_25partition_config_selectorILNS1_17partition_subalgoE8EfNS0_10empty_typeEbEEZZNS1_14partition_implILS5_8ELb0ES3_jPKfPS6_PKS6_NS0_5tupleIJPfS6_EEENSE_IJSB_SB_EEENS0_18inequality_wrapperIN6hipcub16HIPCUB_304000_NS8EqualityEEEPlJS6_EEE10hipError_tPvRmT3_T4_T5_T6_T7_T9_mT8_P12ihipStream_tbDpT10_ENKUlT_T0_E_clISt17integral_constantIbLb1EES17_EEDaS12_S13_EUlS12_E_NS1_11comp_targetILNS1_3genE3ELNS1_11target_archE908ELNS1_3gpuE7ELNS1_3repE0EEENS1_30default_config_static_selectorELNS0_4arch9wavefront6targetE0EEEvT1_,comdat
.Lfunc_end352:
	.size	_ZN7rocprim17ROCPRIM_400000_NS6detail17trampoline_kernelINS0_14default_configENS1_25partition_config_selectorILNS1_17partition_subalgoE8EfNS0_10empty_typeEbEEZZNS1_14partition_implILS5_8ELb0ES3_jPKfPS6_PKS6_NS0_5tupleIJPfS6_EEENSE_IJSB_SB_EEENS0_18inequality_wrapperIN6hipcub16HIPCUB_304000_NS8EqualityEEEPlJS6_EEE10hipError_tPvRmT3_T4_T5_T6_T7_T9_mT8_P12ihipStream_tbDpT10_ENKUlT_T0_E_clISt17integral_constantIbLb1EES17_EEDaS12_S13_EUlS12_E_NS1_11comp_targetILNS1_3genE3ELNS1_11target_archE908ELNS1_3gpuE7ELNS1_3repE0EEENS1_30default_config_static_selectorELNS0_4arch9wavefront6targetE0EEEvT1_, .Lfunc_end352-_ZN7rocprim17ROCPRIM_400000_NS6detail17trampoline_kernelINS0_14default_configENS1_25partition_config_selectorILNS1_17partition_subalgoE8EfNS0_10empty_typeEbEEZZNS1_14partition_implILS5_8ELb0ES3_jPKfPS6_PKS6_NS0_5tupleIJPfS6_EEENSE_IJSB_SB_EEENS0_18inequality_wrapperIN6hipcub16HIPCUB_304000_NS8EqualityEEEPlJS6_EEE10hipError_tPvRmT3_T4_T5_T6_T7_T9_mT8_P12ihipStream_tbDpT10_ENKUlT_T0_E_clISt17integral_constantIbLb1EES17_EEDaS12_S13_EUlS12_E_NS1_11comp_targetILNS1_3genE3ELNS1_11target_archE908ELNS1_3gpuE7ELNS1_3repE0EEENS1_30default_config_static_selectorELNS0_4arch9wavefront6targetE0EEEvT1_
                                        ; -- End function
	.set _ZN7rocprim17ROCPRIM_400000_NS6detail17trampoline_kernelINS0_14default_configENS1_25partition_config_selectorILNS1_17partition_subalgoE8EfNS0_10empty_typeEbEEZZNS1_14partition_implILS5_8ELb0ES3_jPKfPS6_PKS6_NS0_5tupleIJPfS6_EEENSE_IJSB_SB_EEENS0_18inequality_wrapperIN6hipcub16HIPCUB_304000_NS8EqualityEEEPlJS6_EEE10hipError_tPvRmT3_T4_T5_T6_T7_T9_mT8_P12ihipStream_tbDpT10_ENKUlT_T0_E_clISt17integral_constantIbLb1EES17_EEDaS12_S13_EUlS12_E_NS1_11comp_targetILNS1_3genE3ELNS1_11target_archE908ELNS1_3gpuE7ELNS1_3repE0EEENS1_30default_config_static_selectorELNS0_4arch9wavefront6targetE0EEEvT1_.num_vgpr, 0
	.set _ZN7rocprim17ROCPRIM_400000_NS6detail17trampoline_kernelINS0_14default_configENS1_25partition_config_selectorILNS1_17partition_subalgoE8EfNS0_10empty_typeEbEEZZNS1_14partition_implILS5_8ELb0ES3_jPKfPS6_PKS6_NS0_5tupleIJPfS6_EEENSE_IJSB_SB_EEENS0_18inequality_wrapperIN6hipcub16HIPCUB_304000_NS8EqualityEEEPlJS6_EEE10hipError_tPvRmT3_T4_T5_T6_T7_T9_mT8_P12ihipStream_tbDpT10_ENKUlT_T0_E_clISt17integral_constantIbLb1EES17_EEDaS12_S13_EUlS12_E_NS1_11comp_targetILNS1_3genE3ELNS1_11target_archE908ELNS1_3gpuE7ELNS1_3repE0EEENS1_30default_config_static_selectorELNS0_4arch9wavefront6targetE0EEEvT1_.num_agpr, 0
	.set _ZN7rocprim17ROCPRIM_400000_NS6detail17trampoline_kernelINS0_14default_configENS1_25partition_config_selectorILNS1_17partition_subalgoE8EfNS0_10empty_typeEbEEZZNS1_14partition_implILS5_8ELb0ES3_jPKfPS6_PKS6_NS0_5tupleIJPfS6_EEENSE_IJSB_SB_EEENS0_18inequality_wrapperIN6hipcub16HIPCUB_304000_NS8EqualityEEEPlJS6_EEE10hipError_tPvRmT3_T4_T5_T6_T7_T9_mT8_P12ihipStream_tbDpT10_ENKUlT_T0_E_clISt17integral_constantIbLb1EES17_EEDaS12_S13_EUlS12_E_NS1_11comp_targetILNS1_3genE3ELNS1_11target_archE908ELNS1_3gpuE7ELNS1_3repE0EEENS1_30default_config_static_selectorELNS0_4arch9wavefront6targetE0EEEvT1_.numbered_sgpr, 0
	.set _ZN7rocprim17ROCPRIM_400000_NS6detail17trampoline_kernelINS0_14default_configENS1_25partition_config_selectorILNS1_17partition_subalgoE8EfNS0_10empty_typeEbEEZZNS1_14partition_implILS5_8ELb0ES3_jPKfPS6_PKS6_NS0_5tupleIJPfS6_EEENSE_IJSB_SB_EEENS0_18inequality_wrapperIN6hipcub16HIPCUB_304000_NS8EqualityEEEPlJS6_EEE10hipError_tPvRmT3_T4_T5_T6_T7_T9_mT8_P12ihipStream_tbDpT10_ENKUlT_T0_E_clISt17integral_constantIbLb1EES17_EEDaS12_S13_EUlS12_E_NS1_11comp_targetILNS1_3genE3ELNS1_11target_archE908ELNS1_3gpuE7ELNS1_3repE0EEENS1_30default_config_static_selectorELNS0_4arch9wavefront6targetE0EEEvT1_.num_named_barrier, 0
	.set _ZN7rocprim17ROCPRIM_400000_NS6detail17trampoline_kernelINS0_14default_configENS1_25partition_config_selectorILNS1_17partition_subalgoE8EfNS0_10empty_typeEbEEZZNS1_14partition_implILS5_8ELb0ES3_jPKfPS6_PKS6_NS0_5tupleIJPfS6_EEENSE_IJSB_SB_EEENS0_18inequality_wrapperIN6hipcub16HIPCUB_304000_NS8EqualityEEEPlJS6_EEE10hipError_tPvRmT3_T4_T5_T6_T7_T9_mT8_P12ihipStream_tbDpT10_ENKUlT_T0_E_clISt17integral_constantIbLb1EES17_EEDaS12_S13_EUlS12_E_NS1_11comp_targetILNS1_3genE3ELNS1_11target_archE908ELNS1_3gpuE7ELNS1_3repE0EEENS1_30default_config_static_selectorELNS0_4arch9wavefront6targetE0EEEvT1_.private_seg_size, 0
	.set _ZN7rocprim17ROCPRIM_400000_NS6detail17trampoline_kernelINS0_14default_configENS1_25partition_config_selectorILNS1_17partition_subalgoE8EfNS0_10empty_typeEbEEZZNS1_14partition_implILS5_8ELb0ES3_jPKfPS6_PKS6_NS0_5tupleIJPfS6_EEENSE_IJSB_SB_EEENS0_18inequality_wrapperIN6hipcub16HIPCUB_304000_NS8EqualityEEEPlJS6_EEE10hipError_tPvRmT3_T4_T5_T6_T7_T9_mT8_P12ihipStream_tbDpT10_ENKUlT_T0_E_clISt17integral_constantIbLb1EES17_EEDaS12_S13_EUlS12_E_NS1_11comp_targetILNS1_3genE3ELNS1_11target_archE908ELNS1_3gpuE7ELNS1_3repE0EEENS1_30default_config_static_selectorELNS0_4arch9wavefront6targetE0EEEvT1_.uses_vcc, 0
	.set _ZN7rocprim17ROCPRIM_400000_NS6detail17trampoline_kernelINS0_14default_configENS1_25partition_config_selectorILNS1_17partition_subalgoE8EfNS0_10empty_typeEbEEZZNS1_14partition_implILS5_8ELb0ES3_jPKfPS6_PKS6_NS0_5tupleIJPfS6_EEENSE_IJSB_SB_EEENS0_18inequality_wrapperIN6hipcub16HIPCUB_304000_NS8EqualityEEEPlJS6_EEE10hipError_tPvRmT3_T4_T5_T6_T7_T9_mT8_P12ihipStream_tbDpT10_ENKUlT_T0_E_clISt17integral_constantIbLb1EES17_EEDaS12_S13_EUlS12_E_NS1_11comp_targetILNS1_3genE3ELNS1_11target_archE908ELNS1_3gpuE7ELNS1_3repE0EEENS1_30default_config_static_selectorELNS0_4arch9wavefront6targetE0EEEvT1_.uses_flat_scratch, 0
	.set _ZN7rocprim17ROCPRIM_400000_NS6detail17trampoline_kernelINS0_14default_configENS1_25partition_config_selectorILNS1_17partition_subalgoE8EfNS0_10empty_typeEbEEZZNS1_14partition_implILS5_8ELb0ES3_jPKfPS6_PKS6_NS0_5tupleIJPfS6_EEENSE_IJSB_SB_EEENS0_18inequality_wrapperIN6hipcub16HIPCUB_304000_NS8EqualityEEEPlJS6_EEE10hipError_tPvRmT3_T4_T5_T6_T7_T9_mT8_P12ihipStream_tbDpT10_ENKUlT_T0_E_clISt17integral_constantIbLb1EES17_EEDaS12_S13_EUlS12_E_NS1_11comp_targetILNS1_3genE3ELNS1_11target_archE908ELNS1_3gpuE7ELNS1_3repE0EEENS1_30default_config_static_selectorELNS0_4arch9wavefront6targetE0EEEvT1_.has_dyn_sized_stack, 0
	.set _ZN7rocprim17ROCPRIM_400000_NS6detail17trampoline_kernelINS0_14default_configENS1_25partition_config_selectorILNS1_17partition_subalgoE8EfNS0_10empty_typeEbEEZZNS1_14partition_implILS5_8ELb0ES3_jPKfPS6_PKS6_NS0_5tupleIJPfS6_EEENSE_IJSB_SB_EEENS0_18inequality_wrapperIN6hipcub16HIPCUB_304000_NS8EqualityEEEPlJS6_EEE10hipError_tPvRmT3_T4_T5_T6_T7_T9_mT8_P12ihipStream_tbDpT10_ENKUlT_T0_E_clISt17integral_constantIbLb1EES17_EEDaS12_S13_EUlS12_E_NS1_11comp_targetILNS1_3genE3ELNS1_11target_archE908ELNS1_3gpuE7ELNS1_3repE0EEENS1_30default_config_static_selectorELNS0_4arch9wavefront6targetE0EEEvT1_.has_recursion, 0
	.set _ZN7rocprim17ROCPRIM_400000_NS6detail17trampoline_kernelINS0_14default_configENS1_25partition_config_selectorILNS1_17partition_subalgoE8EfNS0_10empty_typeEbEEZZNS1_14partition_implILS5_8ELb0ES3_jPKfPS6_PKS6_NS0_5tupleIJPfS6_EEENSE_IJSB_SB_EEENS0_18inequality_wrapperIN6hipcub16HIPCUB_304000_NS8EqualityEEEPlJS6_EEE10hipError_tPvRmT3_T4_T5_T6_T7_T9_mT8_P12ihipStream_tbDpT10_ENKUlT_T0_E_clISt17integral_constantIbLb1EES17_EEDaS12_S13_EUlS12_E_NS1_11comp_targetILNS1_3genE3ELNS1_11target_archE908ELNS1_3gpuE7ELNS1_3repE0EEENS1_30default_config_static_selectorELNS0_4arch9wavefront6targetE0EEEvT1_.has_indirect_call, 0
	.section	.AMDGPU.csdata,"",@progbits
; Kernel info:
; codeLenInByte = 0
; TotalNumSgprs: 0
; NumVgprs: 0
; ScratchSize: 0
; MemoryBound: 0
; FloatMode: 240
; IeeeMode: 1
; LDSByteSize: 0 bytes/workgroup (compile time only)
; SGPRBlocks: 0
; VGPRBlocks: 0
; NumSGPRsForWavesPerEU: 1
; NumVGPRsForWavesPerEU: 1
; NamedBarCnt: 0
; Occupancy: 16
; WaveLimiterHint : 0
; COMPUTE_PGM_RSRC2:SCRATCH_EN: 0
; COMPUTE_PGM_RSRC2:USER_SGPR: 2
; COMPUTE_PGM_RSRC2:TRAP_HANDLER: 0
; COMPUTE_PGM_RSRC2:TGID_X_EN: 1
; COMPUTE_PGM_RSRC2:TGID_Y_EN: 0
; COMPUTE_PGM_RSRC2:TGID_Z_EN: 0
; COMPUTE_PGM_RSRC2:TIDIG_COMP_CNT: 0
	.section	.text._ZN7rocprim17ROCPRIM_400000_NS6detail17trampoline_kernelINS0_14default_configENS1_25partition_config_selectorILNS1_17partition_subalgoE8EfNS0_10empty_typeEbEEZZNS1_14partition_implILS5_8ELb0ES3_jPKfPS6_PKS6_NS0_5tupleIJPfS6_EEENSE_IJSB_SB_EEENS0_18inequality_wrapperIN6hipcub16HIPCUB_304000_NS8EqualityEEEPlJS6_EEE10hipError_tPvRmT3_T4_T5_T6_T7_T9_mT8_P12ihipStream_tbDpT10_ENKUlT_T0_E_clISt17integral_constantIbLb1EES17_EEDaS12_S13_EUlS12_E_NS1_11comp_targetILNS1_3genE2ELNS1_11target_archE906ELNS1_3gpuE6ELNS1_3repE0EEENS1_30default_config_static_selectorELNS0_4arch9wavefront6targetE0EEEvT1_,"axG",@progbits,_ZN7rocprim17ROCPRIM_400000_NS6detail17trampoline_kernelINS0_14default_configENS1_25partition_config_selectorILNS1_17partition_subalgoE8EfNS0_10empty_typeEbEEZZNS1_14partition_implILS5_8ELb0ES3_jPKfPS6_PKS6_NS0_5tupleIJPfS6_EEENSE_IJSB_SB_EEENS0_18inequality_wrapperIN6hipcub16HIPCUB_304000_NS8EqualityEEEPlJS6_EEE10hipError_tPvRmT3_T4_T5_T6_T7_T9_mT8_P12ihipStream_tbDpT10_ENKUlT_T0_E_clISt17integral_constantIbLb1EES17_EEDaS12_S13_EUlS12_E_NS1_11comp_targetILNS1_3genE2ELNS1_11target_archE906ELNS1_3gpuE6ELNS1_3repE0EEENS1_30default_config_static_selectorELNS0_4arch9wavefront6targetE0EEEvT1_,comdat
	.protected	_ZN7rocprim17ROCPRIM_400000_NS6detail17trampoline_kernelINS0_14default_configENS1_25partition_config_selectorILNS1_17partition_subalgoE8EfNS0_10empty_typeEbEEZZNS1_14partition_implILS5_8ELb0ES3_jPKfPS6_PKS6_NS0_5tupleIJPfS6_EEENSE_IJSB_SB_EEENS0_18inequality_wrapperIN6hipcub16HIPCUB_304000_NS8EqualityEEEPlJS6_EEE10hipError_tPvRmT3_T4_T5_T6_T7_T9_mT8_P12ihipStream_tbDpT10_ENKUlT_T0_E_clISt17integral_constantIbLb1EES17_EEDaS12_S13_EUlS12_E_NS1_11comp_targetILNS1_3genE2ELNS1_11target_archE906ELNS1_3gpuE6ELNS1_3repE0EEENS1_30default_config_static_selectorELNS0_4arch9wavefront6targetE0EEEvT1_ ; -- Begin function _ZN7rocprim17ROCPRIM_400000_NS6detail17trampoline_kernelINS0_14default_configENS1_25partition_config_selectorILNS1_17partition_subalgoE8EfNS0_10empty_typeEbEEZZNS1_14partition_implILS5_8ELb0ES3_jPKfPS6_PKS6_NS0_5tupleIJPfS6_EEENSE_IJSB_SB_EEENS0_18inequality_wrapperIN6hipcub16HIPCUB_304000_NS8EqualityEEEPlJS6_EEE10hipError_tPvRmT3_T4_T5_T6_T7_T9_mT8_P12ihipStream_tbDpT10_ENKUlT_T0_E_clISt17integral_constantIbLb1EES17_EEDaS12_S13_EUlS12_E_NS1_11comp_targetILNS1_3genE2ELNS1_11target_archE906ELNS1_3gpuE6ELNS1_3repE0EEENS1_30default_config_static_selectorELNS0_4arch9wavefront6targetE0EEEvT1_
	.globl	_ZN7rocprim17ROCPRIM_400000_NS6detail17trampoline_kernelINS0_14default_configENS1_25partition_config_selectorILNS1_17partition_subalgoE8EfNS0_10empty_typeEbEEZZNS1_14partition_implILS5_8ELb0ES3_jPKfPS6_PKS6_NS0_5tupleIJPfS6_EEENSE_IJSB_SB_EEENS0_18inequality_wrapperIN6hipcub16HIPCUB_304000_NS8EqualityEEEPlJS6_EEE10hipError_tPvRmT3_T4_T5_T6_T7_T9_mT8_P12ihipStream_tbDpT10_ENKUlT_T0_E_clISt17integral_constantIbLb1EES17_EEDaS12_S13_EUlS12_E_NS1_11comp_targetILNS1_3genE2ELNS1_11target_archE906ELNS1_3gpuE6ELNS1_3repE0EEENS1_30default_config_static_selectorELNS0_4arch9wavefront6targetE0EEEvT1_
	.p2align	8
	.type	_ZN7rocprim17ROCPRIM_400000_NS6detail17trampoline_kernelINS0_14default_configENS1_25partition_config_selectorILNS1_17partition_subalgoE8EfNS0_10empty_typeEbEEZZNS1_14partition_implILS5_8ELb0ES3_jPKfPS6_PKS6_NS0_5tupleIJPfS6_EEENSE_IJSB_SB_EEENS0_18inequality_wrapperIN6hipcub16HIPCUB_304000_NS8EqualityEEEPlJS6_EEE10hipError_tPvRmT3_T4_T5_T6_T7_T9_mT8_P12ihipStream_tbDpT10_ENKUlT_T0_E_clISt17integral_constantIbLb1EES17_EEDaS12_S13_EUlS12_E_NS1_11comp_targetILNS1_3genE2ELNS1_11target_archE906ELNS1_3gpuE6ELNS1_3repE0EEENS1_30default_config_static_selectorELNS0_4arch9wavefront6targetE0EEEvT1_,@function
_ZN7rocprim17ROCPRIM_400000_NS6detail17trampoline_kernelINS0_14default_configENS1_25partition_config_selectorILNS1_17partition_subalgoE8EfNS0_10empty_typeEbEEZZNS1_14partition_implILS5_8ELb0ES3_jPKfPS6_PKS6_NS0_5tupleIJPfS6_EEENSE_IJSB_SB_EEENS0_18inequality_wrapperIN6hipcub16HIPCUB_304000_NS8EqualityEEEPlJS6_EEE10hipError_tPvRmT3_T4_T5_T6_T7_T9_mT8_P12ihipStream_tbDpT10_ENKUlT_T0_E_clISt17integral_constantIbLb1EES17_EEDaS12_S13_EUlS12_E_NS1_11comp_targetILNS1_3genE2ELNS1_11target_archE906ELNS1_3gpuE6ELNS1_3repE0EEENS1_30default_config_static_selectorELNS0_4arch9wavefront6targetE0EEEvT1_: ; @_ZN7rocprim17ROCPRIM_400000_NS6detail17trampoline_kernelINS0_14default_configENS1_25partition_config_selectorILNS1_17partition_subalgoE8EfNS0_10empty_typeEbEEZZNS1_14partition_implILS5_8ELb0ES3_jPKfPS6_PKS6_NS0_5tupleIJPfS6_EEENSE_IJSB_SB_EEENS0_18inequality_wrapperIN6hipcub16HIPCUB_304000_NS8EqualityEEEPlJS6_EEE10hipError_tPvRmT3_T4_T5_T6_T7_T9_mT8_P12ihipStream_tbDpT10_ENKUlT_T0_E_clISt17integral_constantIbLb1EES17_EEDaS12_S13_EUlS12_E_NS1_11comp_targetILNS1_3genE2ELNS1_11target_archE906ELNS1_3gpuE6ELNS1_3repE0EEENS1_30default_config_static_selectorELNS0_4arch9wavefront6targetE0EEEvT1_
; %bb.0:
	.section	.rodata,"a",@progbits
	.p2align	6, 0x0
	.amdhsa_kernel _ZN7rocprim17ROCPRIM_400000_NS6detail17trampoline_kernelINS0_14default_configENS1_25partition_config_selectorILNS1_17partition_subalgoE8EfNS0_10empty_typeEbEEZZNS1_14partition_implILS5_8ELb0ES3_jPKfPS6_PKS6_NS0_5tupleIJPfS6_EEENSE_IJSB_SB_EEENS0_18inequality_wrapperIN6hipcub16HIPCUB_304000_NS8EqualityEEEPlJS6_EEE10hipError_tPvRmT3_T4_T5_T6_T7_T9_mT8_P12ihipStream_tbDpT10_ENKUlT_T0_E_clISt17integral_constantIbLb1EES17_EEDaS12_S13_EUlS12_E_NS1_11comp_targetILNS1_3genE2ELNS1_11target_archE906ELNS1_3gpuE6ELNS1_3repE0EEENS1_30default_config_static_selectorELNS0_4arch9wavefront6targetE0EEEvT1_
		.amdhsa_group_segment_fixed_size 0
		.amdhsa_private_segment_fixed_size 0
		.amdhsa_kernarg_size 128
		.amdhsa_user_sgpr_count 2
		.amdhsa_user_sgpr_dispatch_ptr 0
		.amdhsa_user_sgpr_queue_ptr 0
		.amdhsa_user_sgpr_kernarg_segment_ptr 1
		.amdhsa_user_sgpr_dispatch_id 0
		.amdhsa_user_sgpr_kernarg_preload_length 0
		.amdhsa_user_sgpr_kernarg_preload_offset 0
		.amdhsa_user_sgpr_private_segment_size 0
		.amdhsa_wavefront_size32 1
		.amdhsa_uses_dynamic_stack 0
		.amdhsa_enable_private_segment 0
		.amdhsa_system_sgpr_workgroup_id_x 1
		.amdhsa_system_sgpr_workgroup_id_y 0
		.amdhsa_system_sgpr_workgroup_id_z 0
		.amdhsa_system_sgpr_workgroup_info 0
		.amdhsa_system_vgpr_workitem_id 0
		.amdhsa_next_free_vgpr 1
		.amdhsa_next_free_sgpr 1
		.amdhsa_named_barrier_count 0
		.amdhsa_reserve_vcc 0
		.amdhsa_float_round_mode_32 0
		.amdhsa_float_round_mode_16_64 0
		.amdhsa_float_denorm_mode_32 3
		.amdhsa_float_denorm_mode_16_64 3
		.amdhsa_fp16_overflow 0
		.amdhsa_memory_ordered 1
		.amdhsa_forward_progress 1
		.amdhsa_inst_pref_size 0
		.amdhsa_round_robin_scheduling 0
		.amdhsa_exception_fp_ieee_invalid_op 0
		.amdhsa_exception_fp_denorm_src 0
		.amdhsa_exception_fp_ieee_div_zero 0
		.amdhsa_exception_fp_ieee_overflow 0
		.amdhsa_exception_fp_ieee_underflow 0
		.amdhsa_exception_fp_ieee_inexact 0
		.amdhsa_exception_int_div_zero 0
	.end_amdhsa_kernel
	.section	.text._ZN7rocprim17ROCPRIM_400000_NS6detail17trampoline_kernelINS0_14default_configENS1_25partition_config_selectorILNS1_17partition_subalgoE8EfNS0_10empty_typeEbEEZZNS1_14partition_implILS5_8ELb0ES3_jPKfPS6_PKS6_NS0_5tupleIJPfS6_EEENSE_IJSB_SB_EEENS0_18inequality_wrapperIN6hipcub16HIPCUB_304000_NS8EqualityEEEPlJS6_EEE10hipError_tPvRmT3_T4_T5_T6_T7_T9_mT8_P12ihipStream_tbDpT10_ENKUlT_T0_E_clISt17integral_constantIbLb1EES17_EEDaS12_S13_EUlS12_E_NS1_11comp_targetILNS1_3genE2ELNS1_11target_archE906ELNS1_3gpuE6ELNS1_3repE0EEENS1_30default_config_static_selectorELNS0_4arch9wavefront6targetE0EEEvT1_,"axG",@progbits,_ZN7rocprim17ROCPRIM_400000_NS6detail17trampoline_kernelINS0_14default_configENS1_25partition_config_selectorILNS1_17partition_subalgoE8EfNS0_10empty_typeEbEEZZNS1_14partition_implILS5_8ELb0ES3_jPKfPS6_PKS6_NS0_5tupleIJPfS6_EEENSE_IJSB_SB_EEENS0_18inequality_wrapperIN6hipcub16HIPCUB_304000_NS8EqualityEEEPlJS6_EEE10hipError_tPvRmT3_T4_T5_T6_T7_T9_mT8_P12ihipStream_tbDpT10_ENKUlT_T0_E_clISt17integral_constantIbLb1EES17_EEDaS12_S13_EUlS12_E_NS1_11comp_targetILNS1_3genE2ELNS1_11target_archE906ELNS1_3gpuE6ELNS1_3repE0EEENS1_30default_config_static_selectorELNS0_4arch9wavefront6targetE0EEEvT1_,comdat
.Lfunc_end353:
	.size	_ZN7rocprim17ROCPRIM_400000_NS6detail17trampoline_kernelINS0_14default_configENS1_25partition_config_selectorILNS1_17partition_subalgoE8EfNS0_10empty_typeEbEEZZNS1_14partition_implILS5_8ELb0ES3_jPKfPS6_PKS6_NS0_5tupleIJPfS6_EEENSE_IJSB_SB_EEENS0_18inequality_wrapperIN6hipcub16HIPCUB_304000_NS8EqualityEEEPlJS6_EEE10hipError_tPvRmT3_T4_T5_T6_T7_T9_mT8_P12ihipStream_tbDpT10_ENKUlT_T0_E_clISt17integral_constantIbLb1EES17_EEDaS12_S13_EUlS12_E_NS1_11comp_targetILNS1_3genE2ELNS1_11target_archE906ELNS1_3gpuE6ELNS1_3repE0EEENS1_30default_config_static_selectorELNS0_4arch9wavefront6targetE0EEEvT1_, .Lfunc_end353-_ZN7rocprim17ROCPRIM_400000_NS6detail17trampoline_kernelINS0_14default_configENS1_25partition_config_selectorILNS1_17partition_subalgoE8EfNS0_10empty_typeEbEEZZNS1_14partition_implILS5_8ELb0ES3_jPKfPS6_PKS6_NS0_5tupleIJPfS6_EEENSE_IJSB_SB_EEENS0_18inequality_wrapperIN6hipcub16HIPCUB_304000_NS8EqualityEEEPlJS6_EEE10hipError_tPvRmT3_T4_T5_T6_T7_T9_mT8_P12ihipStream_tbDpT10_ENKUlT_T0_E_clISt17integral_constantIbLb1EES17_EEDaS12_S13_EUlS12_E_NS1_11comp_targetILNS1_3genE2ELNS1_11target_archE906ELNS1_3gpuE6ELNS1_3repE0EEENS1_30default_config_static_selectorELNS0_4arch9wavefront6targetE0EEEvT1_
                                        ; -- End function
	.set _ZN7rocprim17ROCPRIM_400000_NS6detail17trampoline_kernelINS0_14default_configENS1_25partition_config_selectorILNS1_17partition_subalgoE8EfNS0_10empty_typeEbEEZZNS1_14partition_implILS5_8ELb0ES3_jPKfPS6_PKS6_NS0_5tupleIJPfS6_EEENSE_IJSB_SB_EEENS0_18inequality_wrapperIN6hipcub16HIPCUB_304000_NS8EqualityEEEPlJS6_EEE10hipError_tPvRmT3_T4_T5_T6_T7_T9_mT8_P12ihipStream_tbDpT10_ENKUlT_T0_E_clISt17integral_constantIbLb1EES17_EEDaS12_S13_EUlS12_E_NS1_11comp_targetILNS1_3genE2ELNS1_11target_archE906ELNS1_3gpuE6ELNS1_3repE0EEENS1_30default_config_static_selectorELNS0_4arch9wavefront6targetE0EEEvT1_.num_vgpr, 0
	.set _ZN7rocprim17ROCPRIM_400000_NS6detail17trampoline_kernelINS0_14default_configENS1_25partition_config_selectorILNS1_17partition_subalgoE8EfNS0_10empty_typeEbEEZZNS1_14partition_implILS5_8ELb0ES3_jPKfPS6_PKS6_NS0_5tupleIJPfS6_EEENSE_IJSB_SB_EEENS0_18inequality_wrapperIN6hipcub16HIPCUB_304000_NS8EqualityEEEPlJS6_EEE10hipError_tPvRmT3_T4_T5_T6_T7_T9_mT8_P12ihipStream_tbDpT10_ENKUlT_T0_E_clISt17integral_constantIbLb1EES17_EEDaS12_S13_EUlS12_E_NS1_11comp_targetILNS1_3genE2ELNS1_11target_archE906ELNS1_3gpuE6ELNS1_3repE0EEENS1_30default_config_static_selectorELNS0_4arch9wavefront6targetE0EEEvT1_.num_agpr, 0
	.set _ZN7rocprim17ROCPRIM_400000_NS6detail17trampoline_kernelINS0_14default_configENS1_25partition_config_selectorILNS1_17partition_subalgoE8EfNS0_10empty_typeEbEEZZNS1_14partition_implILS5_8ELb0ES3_jPKfPS6_PKS6_NS0_5tupleIJPfS6_EEENSE_IJSB_SB_EEENS0_18inequality_wrapperIN6hipcub16HIPCUB_304000_NS8EqualityEEEPlJS6_EEE10hipError_tPvRmT3_T4_T5_T6_T7_T9_mT8_P12ihipStream_tbDpT10_ENKUlT_T0_E_clISt17integral_constantIbLb1EES17_EEDaS12_S13_EUlS12_E_NS1_11comp_targetILNS1_3genE2ELNS1_11target_archE906ELNS1_3gpuE6ELNS1_3repE0EEENS1_30default_config_static_selectorELNS0_4arch9wavefront6targetE0EEEvT1_.numbered_sgpr, 0
	.set _ZN7rocprim17ROCPRIM_400000_NS6detail17trampoline_kernelINS0_14default_configENS1_25partition_config_selectorILNS1_17partition_subalgoE8EfNS0_10empty_typeEbEEZZNS1_14partition_implILS5_8ELb0ES3_jPKfPS6_PKS6_NS0_5tupleIJPfS6_EEENSE_IJSB_SB_EEENS0_18inequality_wrapperIN6hipcub16HIPCUB_304000_NS8EqualityEEEPlJS6_EEE10hipError_tPvRmT3_T4_T5_T6_T7_T9_mT8_P12ihipStream_tbDpT10_ENKUlT_T0_E_clISt17integral_constantIbLb1EES17_EEDaS12_S13_EUlS12_E_NS1_11comp_targetILNS1_3genE2ELNS1_11target_archE906ELNS1_3gpuE6ELNS1_3repE0EEENS1_30default_config_static_selectorELNS0_4arch9wavefront6targetE0EEEvT1_.num_named_barrier, 0
	.set _ZN7rocprim17ROCPRIM_400000_NS6detail17trampoline_kernelINS0_14default_configENS1_25partition_config_selectorILNS1_17partition_subalgoE8EfNS0_10empty_typeEbEEZZNS1_14partition_implILS5_8ELb0ES3_jPKfPS6_PKS6_NS0_5tupleIJPfS6_EEENSE_IJSB_SB_EEENS0_18inequality_wrapperIN6hipcub16HIPCUB_304000_NS8EqualityEEEPlJS6_EEE10hipError_tPvRmT3_T4_T5_T6_T7_T9_mT8_P12ihipStream_tbDpT10_ENKUlT_T0_E_clISt17integral_constantIbLb1EES17_EEDaS12_S13_EUlS12_E_NS1_11comp_targetILNS1_3genE2ELNS1_11target_archE906ELNS1_3gpuE6ELNS1_3repE0EEENS1_30default_config_static_selectorELNS0_4arch9wavefront6targetE0EEEvT1_.private_seg_size, 0
	.set _ZN7rocprim17ROCPRIM_400000_NS6detail17trampoline_kernelINS0_14default_configENS1_25partition_config_selectorILNS1_17partition_subalgoE8EfNS0_10empty_typeEbEEZZNS1_14partition_implILS5_8ELb0ES3_jPKfPS6_PKS6_NS0_5tupleIJPfS6_EEENSE_IJSB_SB_EEENS0_18inequality_wrapperIN6hipcub16HIPCUB_304000_NS8EqualityEEEPlJS6_EEE10hipError_tPvRmT3_T4_T5_T6_T7_T9_mT8_P12ihipStream_tbDpT10_ENKUlT_T0_E_clISt17integral_constantIbLb1EES17_EEDaS12_S13_EUlS12_E_NS1_11comp_targetILNS1_3genE2ELNS1_11target_archE906ELNS1_3gpuE6ELNS1_3repE0EEENS1_30default_config_static_selectorELNS0_4arch9wavefront6targetE0EEEvT1_.uses_vcc, 0
	.set _ZN7rocprim17ROCPRIM_400000_NS6detail17trampoline_kernelINS0_14default_configENS1_25partition_config_selectorILNS1_17partition_subalgoE8EfNS0_10empty_typeEbEEZZNS1_14partition_implILS5_8ELb0ES3_jPKfPS6_PKS6_NS0_5tupleIJPfS6_EEENSE_IJSB_SB_EEENS0_18inequality_wrapperIN6hipcub16HIPCUB_304000_NS8EqualityEEEPlJS6_EEE10hipError_tPvRmT3_T4_T5_T6_T7_T9_mT8_P12ihipStream_tbDpT10_ENKUlT_T0_E_clISt17integral_constantIbLb1EES17_EEDaS12_S13_EUlS12_E_NS1_11comp_targetILNS1_3genE2ELNS1_11target_archE906ELNS1_3gpuE6ELNS1_3repE0EEENS1_30default_config_static_selectorELNS0_4arch9wavefront6targetE0EEEvT1_.uses_flat_scratch, 0
	.set _ZN7rocprim17ROCPRIM_400000_NS6detail17trampoline_kernelINS0_14default_configENS1_25partition_config_selectorILNS1_17partition_subalgoE8EfNS0_10empty_typeEbEEZZNS1_14partition_implILS5_8ELb0ES3_jPKfPS6_PKS6_NS0_5tupleIJPfS6_EEENSE_IJSB_SB_EEENS0_18inequality_wrapperIN6hipcub16HIPCUB_304000_NS8EqualityEEEPlJS6_EEE10hipError_tPvRmT3_T4_T5_T6_T7_T9_mT8_P12ihipStream_tbDpT10_ENKUlT_T0_E_clISt17integral_constantIbLb1EES17_EEDaS12_S13_EUlS12_E_NS1_11comp_targetILNS1_3genE2ELNS1_11target_archE906ELNS1_3gpuE6ELNS1_3repE0EEENS1_30default_config_static_selectorELNS0_4arch9wavefront6targetE0EEEvT1_.has_dyn_sized_stack, 0
	.set _ZN7rocprim17ROCPRIM_400000_NS6detail17trampoline_kernelINS0_14default_configENS1_25partition_config_selectorILNS1_17partition_subalgoE8EfNS0_10empty_typeEbEEZZNS1_14partition_implILS5_8ELb0ES3_jPKfPS6_PKS6_NS0_5tupleIJPfS6_EEENSE_IJSB_SB_EEENS0_18inequality_wrapperIN6hipcub16HIPCUB_304000_NS8EqualityEEEPlJS6_EEE10hipError_tPvRmT3_T4_T5_T6_T7_T9_mT8_P12ihipStream_tbDpT10_ENKUlT_T0_E_clISt17integral_constantIbLb1EES17_EEDaS12_S13_EUlS12_E_NS1_11comp_targetILNS1_3genE2ELNS1_11target_archE906ELNS1_3gpuE6ELNS1_3repE0EEENS1_30default_config_static_selectorELNS0_4arch9wavefront6targetE0EEEvT1_.has_recursion, 0
	.set _ZN7rocprim17ROCPRIM_400000_NS6detail17trampoline_kernelINS0_14default_configENS1_25partition_config_selectorILNS1_17partition_subalgoE8EfNS0_10empty_typeEbEEZZNS1_14partition_implILS5_8ELb0ES3_jPKfPS6_PKS6_NS0_5tupleIJPfS6_EEENSE_IJSB_SB_EEENS0_18inequality_wrapperIN6hipcub16HIPCUB_304000_NS8EqualityEEEPlJS6_EEE10hipError_tPvRmT3_T4_T5_T6_T7_T9_mT8_P12ihipStream_tbDpT10_ENKUlT_T0_E_clISt17integral_constantIbLb1EES17_EEDaS12_S13_EUlS12_E_NS1_11comp_targetILNS1_3genE2ELNS1_11target_archE906ELNS1_3gpuE6ELNS1_3repE0EEENS1_30default_config_static_selectorELNS0_4arch9wavefront6targetE0EEEvT1_.has_indirect_call, 0
	.section	.AMDGPU.csdata,"",@progbits
; Kernel info:
; codeLenInByte = 0
; TotalNumSgprs: 0
; NumVgprs: 0
; ScratchSize: 0
; MemoryBound: 0
; FloatMode: 240
; IeeeMode: 1
; LDSByteSize: 0 bytes/workgroup (compile time only)
; SGPRBlocks: 0
; VGPRBlocks: 0
; NumSGPRsForWavesPerEU: 1
; NumVGPRsForWavesPerEU: 1
; NamedBarCnt: 0
; Occupancy: 16
; WaveLimiterHint : 0
; COMPUTE_PGM_RSRC2:SCRATCH_EN: 0
; COMPUTE_PGM_RSRC2:USER_SGPR: 2
; COMPUTE_PGM_RSRC2:TRAP_HANDLER: 0
; COMPUTE_PGM_RSRC2:TGID_X_EN: 1
; COMPUTE_PGM_RSRC2:TGID_Y_EN: 0
; COMPUTE_PGM_RSRC2:TGID_Z_EN: 0
; COMPUTE_PGM_RSRC2:TIDIG_COMP_CNT: 0
	.section	.text._ZN7rocprim17ROCPRIM_400000_NS6detail17trampoline_kernelINS0_14default_configENS1_25partition_config_selectorILNS1_17partition_subalgoE8EfNS0_10empty_typeEbEEZZNS1_14partition_implILS5_8ELb0ES3_jPKfPS6_PKS6_NS0_5tupleIJPfS6_EEENSE_IJSB_SB_EEENS0_18inequality_wrapperIN6hipcub16HIPCUB_304000_NS8EqualityEEEPlJS6_EEE10hipError_tPvRmT3_T4_T5_T6_T7_T9_mT8_P12ihipStream_tbDpT10_ENKUlT_T0_E_clISt17integral_constantIbLb1EES17_EEDaS12_S13_EUlS12_E_NS1_11comp_targetILNS1_3genE10ELNS1_11target_archE1200ELNS1_3gpuE4ELNS1_3repE0EEENS1_30default_config_static_selectorELNS0_4arch9wavefront6targetE0EEEvT1_,"axG",@progbits,_ZN7rocprim17ROCPRIM_400000_NS6detail17trampoline_kernelINS0_14default_configENS1_25partition_config_selectorILNS1_17partition_subalgoE8EfNS0_10empty_typeEbEEZZNS1_14partition_implILS5_8ELb0ES3_jPKfPS6_PKS6_NS0_5tupleIJPfS6_EEENSE_IJSB_SB_EEENS0_18inequality_wrapperIN6hipcub16HIPCUB_304000_NS8EqualityEEEPlJS6_EEE10hipError_tPvRmT3_T4_T5_T6_T7_T9_mT8_P12ihipStream_tbDpT10_ENKUlT_T0_E_clISt17integral_constantIbLb1EES17_EEDaS12_S13_EUlS12_E_NS1_11comp_targetILNS1_3genE10ELNS1_11target_archE1200ELNS1_3gpuE4ELNS1_3repE0EEENS1_30default_config_static_selectorELNS0_4arch9wavefront6targetE0EEEvT1_,comdat
	.protected	_ZN7rocprim17ROCPRIM_400000_NS6detail17trampoline_kernelINS0_14default_configENS1_25partition_config_selectorILNS1_17partition_subalgoE8EfNS0_10empty_typeEbEEZZNS1_14partition_implILS5_8ELb0ES3_jPKfPS6_PKS6_NS0_5tupleIJPfS6_EEENSE_IJSB_SB_EEENS0_18inequality_wrapperIN6hipcub16HIPCUB_304000_NS8EqualityEEEPlJS6_EEE10hipError_tPvRmT3_T4_T5_T6_T7_T9_mT8_P12ihipStream_tbDpT10_ENKUlT_T0_E_clISt17integral_constantIbLb1EES17_EEDaS12_S13_EUlS12_E_NS1_11comp_targetILNS1_3genE10ELNS1_11target_archE1200ELNS1_3gpuE4ELNS1_3repE0EEENS1_30default_config_static_selectorELNS0_4arch9wavefront6targetE0EEEvT1_ ; -- Begin function _ZN7rocprim17ROCPRIM_400000_NS6detail17trampoline_kernelINS0_14default_configENS1_25partition_config_selectorILNS1_17partition_subalgoE8EfNS0_10empty_typeEbEEZZNS1_14partition_implILS5_8ELb0ES3_jPKfPS6_PKS6_NS0_5tupleIJPfS6_EEENSE_IJSB_SB_EEENS0_18inequality_wrapperIN6hipcub16HIPCUB_304000_NS8EqualityEEEPlJS6_EEE10hipError_tPvRmT3_T4_T5_T6_T7_T9_mT8_P12ihipStream_tbDpT10_ENKUlT_T0_E_clISt17integral_constantIbLb1EES17_EEDaS12_S13_EUlS12_E_NS1_11comp_targetILNS1_3genE10ELNS1_11target_archE1200ELNS1_3gpuE4ELNS1_3repE0EEENS1_30default_config_static_selectorELNS0_4arch9wavefront6targetE0EEEvT1_
	.globl	_ZN7rocprim17ROCPRIM_400000_NS6detail17trampoline_kernelINS0_14default_configENS1_25partition_config_selectorILNS1_17partition_subalgoE8EfNS0_10empty_typeEbEEZZNS1_14partition_implILS5_8ELb0ES3_jPKfPS6_PKS6_NS0_5tupleIJPfS6_EEENSE_IJSB_SB_EEENS0_18inequality_wrapperIN6hipcub16HIPCUB_304000_NS8EqualityEEEPlJS6_EEE10hipError_tPvRmT3_T4_T5_T6_T7_T9_mT8_P12ihipStream_tbDpT10_ENKUlT_T0_E_clISt17integral_constantIbLb1EES17_EEDaS12_S13_EUlS12_E_NS1_11comp_targetILNS1_3genE10ELNS1_11target_archE1200ELNS1_3gpuE4ELNS1_3repE0EEENS1_30default_config_static_selectorELNS0_4arch9wavefront6targetE0EEEvT1_
	.p2align	8
	.type	_ZN7rocprim17ROCPRIM_400000_NS6detail17trampoline_kernelINS0_14default_configENS1_25partition_config_selectorILNS1_17partition_subalgoE8EfNS0_10empty_typeEbEEZZNS1_14partition_implILS5_8ELb0ES3_jPKfPS6_PKS6_NS0_5tupleIJPfS6_EEENSE_IJSB_SB_EEENS0_18inequality_wrapperIN6hipcub16HIPCUB_304000_NS8EqualityEEEPlJS6_EEE10hipError_tPvRmT3_T4_T5_T6_T7_T9_mT8_P12ihipStream_tbDpT10_ENKUlT_T0_E_clISt17integral_constantIbLb1EES17_EEDaS12_S13_EUlS12_E_NS1_11comp_targetILNS1_3genE10ELNS1_11target_archE1200ELNS1_3gpuE4ELNS1_3repE0EEENS1_30default_config_static_selectorELNS0_4arch9wavefront6targetE0EEEvT1_,@function
_ZN7rocprim17ROCPRIM_400000_NS6detail17trampoline_kernelINS0_14default_configENS1_25partition_config_selectorILNS1_17partition_subalgoE8EfNS0_10empty_typeEbEEZZNS1_14partition_implILS5_8ELb0ES3_jPKfPS6_PKS6_NS0_5tupleIJPfS6_EEENSE_IJSB_SB_EEENS0_18inequality_wrapperIN6hipcub16HIPCUB_304000_NS8EqualityEEEPlJS6_EEE10hipError_tPvRmT3_T4_T5_T6_T7_T9_mT8_P12ihipStream_tbDpT10_ENKUlT_T0_E_clISt17integral_constantIbLb1EES17_EEDaS12_S13_EUlS12_E_NS1_11comp_targetILNS1_3genE10ELNS1_11target_archE1200ELNS1_3gpuE4ELNS1_3repE0EEENS1_30default_config_static_selectorELNS0_4arch9wavefront6targetE0EEEvT1_: ; @_ZN7rocprim17ROCPRIM_400000_NS6detail17trampoline_kernelINS0_14default_configENS1_25partition_config_selectorILNS1_17partition_subalgoE8EfNS0_10empty_typeEbEEZZNS1_14partition_implILS5_8ELb0ES3_jPKfPS6_PKS6_NS0_5tupleIJPfS6_EEENSE_IJSB_SB_EEENS0_18inequality_wrapperIN6hipcub16HIPCUB_304000_NS8EqualityEEEPlJS6_EEE10hipError_tPvRmT3_T4_T5_T6_T7_T9_mT8_P12ihipStream_tbDpT10_ENKUlT_T0_E_clISt17integral_constantIbLb1EES17_EEDaS12_S13_EUlS12_E_NS1_11comp_targetILNS1_3genE10ELNS1_11target_archE1200ELNS1_3gpuE4ELNS1_3repE0EEENS1_30default_config_static_selectorELNS0_4arch9wavefront6targetE0EEEvT1_
; %bb.0:
	.section	.rodata,"a",@progbits
	.p2align	6, 0x0
	.amdhsa_kernel _ZN7rocprim17ROCPRIM_400000_NS6detail17trampoline_kernelINS0_14default_configENS1_25partition_config_selectorILNS1_17partition_subalgoE8EfNS0_10empty_typeEbEEZZNS1_14partition_implILS5_8ELb0ES3_jPKfPS6_PKS6_NS0_5tupleIJPfS6_EEENSE_IJSB_SB_EEENS0_18inequality_wrapperIN6hipcub16HIPCUB_304000_NS8EqualityEEEPlJS6_EEE10hipError_tPvRmT3_T4_T5_T6_T7_T9_mT8_P12ihipStream_tbDpT10_ENKUlT_T0_E_clISt17integral_constantIbLb1EES17_EEDaS12_S13_EUlS12_E_NS1_11comp_targetILNS1_3genE10ELNS1_11target_archE1200ELNS1_3gpuE4ELNS1_3repE0EEENS1_30default_config_static_selectorELNS0_4arch9wavefront6targetE0EEEvT1_
		.amdhsa_group_segment_fixed_size 0
		.amdhsa_private_segment_fixed_size 0
		.amdhsa_kernarg_size 128
		.amdhsa_user_sgpr_count 2
		.amdhsa_user_sgpr_dispatch_ptr 0
		.amdhsa_user_sgpr_queue_ptr 0
		.amdhsa_user_sgpr_kernarg_segment_ptr 1
		.amdhsa_user_sgpr_dispatch_id 0
		.amdhsa_user_sgpr_kernarg_preload_length 0
		.amdhsa_user_sgpr_kernarg_preload_offset 0
		.amdhsa_user_sgpr_private_segment_size 0
		.amdhsa_wavefront_size32 1
		.amdhsa_uses_dynamic_stack 0
		.amdhsa_enable_private_segment 0
		.amdhsa_system_sgpr_workgroup_id_x 1
		.amdhsa_system_sgpr_workgroup_id_y 0
		.amdhsa_system_sgpr_workgroup_id_z 0
		.amdhsa_system_sgpr_workgroup_info 0
		.amdhsa_system_vgpr_workitem_id 0
		.amdhsa_next_free_vgpr 1
		.amdhsa_next_free_sgpr 1
		.amdhsa_named_barrier_count 0
		.amdhsa_reserve_vcc 0
		.amdhsa_float_round_mode_32 0
		.amdhsa_float_round_mode_16_64 0
		.amdhsa_float_denorm_mode_32 3
		.amdhsa_float_denorm_mode_16_64 3
		.amdhsa_fp16_overflow 0
		.amdhsa_memory_ordered 1
		.amdhsa_forward_progress 1
		.amdhsa_inst_pref_size 0
		.amdhsa_round_robin_scheduling 0
		.amdhsa_exception_fp_ieee_invalid_op 0
		.amdhsa_exception_fp_denorm_src 0
		.amdhsa_exception_fp_ieee_div_zero 0
		.amdhsa_exception_fp_ieee_overflow 0
		.amdhsa_exception_fp_ieee_underflow 0
		.amdhsa_exception_fp_ieee_inexact 0
		.amdhsa_exception_int_div_zero 0
	.end_amdhsa_kernel
	.section	.text._ZN7rocprim17ROCPRIM_400000_NS6detail17trampoline_kernelINS0_14default_configENS1_25partition_config_selectorILNS1_17partition_subalgoE8EfNS0_10empty_typeEbEEZZNS1_14partition_implILS5_8ELb0ES3_jPKfPS6_PKS6_NS0_5tupleIJPfS6_EEENSE_IJSB_SB_EEENS0_18inequality_wrapperIN6hipcub16HIPCUB_304000_NS8EqualityEEEPlJS6_EEE10hipError_tPvRmT3_T4_T5_T6_T7_T9_mT8_P12ihipStream_tbDpT10_ENKUlT_T0_E_clISt17integral_constantIbLb1EES17_EEDaS12_S13_EUlS12_E_NS1_11comp_targetILNS1_3genE10ELNS1_11target_archE1200ELNS1_3gpuE4ELNS1_3repE0EEENS1_30default_config_static_selectorELNS0_4arch9wavefront6targetE0EEEvT1_,"axG",@progbits,_ZN7rocprim17ROCPRIM_400000_NS6detail17trampoline_kernelINS0_14default_configENS1_25partition_config_selectorILNS1_17partition_subalgoE8EfNS0_10empty_typeEbEEZZNS1_14partition_implILS5_8ELb0ES3_jPKfPS6_PKS6_NS0_5tupleIJPfS6_EEENSE_IJSB_SB_EEENS0_18inequality_wrapperIN6hipcub16HIPCUB_304000_NS8EqualityEEEPlJS6_EEE10hipError_tPvRmT3_T4_T5_T6_T7_T9_mT8_P12ihipStream_tbDpT10_ENKUlT_T0_E_clISt17integral_constantIbLb1EES17_EEDaS12_S13_EUlS12_E_NS1_11comp_targetILNS1_3genE10ELNS1_11target_archE1200ELNS1_3gpuE4ELNS1_3repE0EEENS1_30default_config_static_selectorELNS0_4arch9wavefront6targetE0EEEvT1_,comdat
.Lfunc_end354:
	.size	_ZN7rocprim17ROCPRIM_400000_NS6detail17trampoline_kernelINS0_14default_configENS1_25partition_config_selectorILNS1_17partition_subalgoE8EfNS0_10empty_typeEbEEZZNS1_14partition_implILS5_8ELb0ES3_jPKfPS6_PKS6_NS0_5tupleIJPfS6_EEENSE_IJSB_SB_EEENS0_18inequality_wrapperIN6hipcub16HIPCUB_304000_NS8EqualityEEEPlJS6_EEE10hipError_tPvRmT3_T4_T5_T6_T7_T9_mT8_P12ihipStream_tbDpT10_ENKUlT_T0_E_clISt17integral_constantIbLb1EES17_EEDaS12_S13_EUlS12_E_NS1_11comp_targetILNS1_3genE10ELNS1_11target_archE1200ELNS1_3gpuE4ELNS1_3repE0EEENS1_30default_config_static_selectorELNS0_4arch9wavefront6targetE0EEEvT1_, .Lfunc_end354-_ZN7rocprim17ROCPRIM_400000_NS6detail17trampoline_kernelINS0_14default_configENS1_25partition_config_selectorILNS1_17partition_subalgoE8EfNS0_10empty_typeEbEEZZNS1_14partition_implILS5_8ELb0ES3_jPKfPS6_PKS6_NS0_5tupleIJPfS6_EEENSE_IJSB_SB_EEENS0_18inequality_wrapperIN6hipcub16HIPCUB_304000_NS8EqualityEEEPlJS6_EEE10hipError_tPvRmT3_T4_T5_T6_T7_T9_mT8_P12ihipStream_tbDpT10_ENKUlT_T0_E_clISt17integral_constantIbLb1EES17_EEDaS12_S13_EUlS12_E_NS1_11comp_targetILNS1_3genE10ELNS1_11target_archE1200ELNS1_3gpuE4ELNS1_3repE0EEENS1_30default_config_static_selectorELNS0_4arch9wavefront6targetE0EEEvT1_
                                        ; -- End function
	.set _ZN7rocprim17ROCPRIM_400000_NS6detail17trampoline_kernelINS0_14default_configENS1_25partition_config_selectorILNS1_17partition_subalgoE8EfNS0_10empty_typeEbEEZZNS1_14partition_implILS5_8ELb0ES3_jPKfPS6_PKS6_NS0_5tupleIJPfS6_EEENSE_IJSB_SB_EEENS0_18inequality_wrapperIN6hipcub16HIPCUB_304000_NS8EqualityEEEPlJS6_EEE10hipError_tPvRmT3_T4_T5_T6_T7_T9_mT8_P12ihipStream_tbDpT10_ENKUlT_T0_E_clISt17integral_constantIbLb1EES17_EEDaS12_S13_EUlS12_E_NS1_11comp_targetILNS1_3genE10ELNS1_11target_archE1200ELNS1_3gpuE4ELNS1_3repE0EEENS1_30default_config_static_selectorELNS0_4arch9wavefront6targetE0EEEvT1_.num_vgpr, 0
	.set _ZN7rocprim17ROCPRIM_400000_NS6detail17trampoline_kernelINS0_14default_configENS1_25partition_config_selectorILNS1_17partition_subalgoE8EfNS0_10empty_typeEbEEZZNS1_14partition_implILS5_8ELb0ES3_jPKfPS6_PKS6_NS0_5tupleIJPfS6_EEENSE_IJSB_SB_EEENS0_18inequality_wrapperIN6hipcub16HIPCUB_304000_NS8EqualityEEEPlJS6_EEE10hipError_tPvRmT3_T4_T5_T6_T7_T9_mT8_P12ihipStream_tbDpT10_ENKUlT_T0_E_clISt17integral_constantIbLb1EES17_EEDaS12_S13_EUlS12_E_NS1_11comp_targetILNS1_3genE10ELNS1_11target_archE1200ELNS1_3gpuE4ELNS1_3repE0EEENS1_30default_config_static_selectorELNS0_4arch9wavefront6targetE0EEEvT1_.num_agpr, 0
	.set _ZN7rocprim17ROCPRIM_400000_NS6detail17trampoline_kernelINS0_14default_configENS1_25partition_config_selectorILNS1_17partition_subalgoE8EfNS0_10empty_typeEbEEZZNS1_14partition_implILS5_8ELb0ES3_jPKfPS6_PKS6_NS0_5tupleIJPfS6_EEENSE_IJSB_SB_EEENS0_18inequality_wrapperIN6hipcub16HIPCUB_304000_NS8EqualityEEEPlJS6_EEE10hipError_tPvRmT3_T4_T5_T6_T7_T9_mT8_P12ihipStream_tbDpT10_ENKUlT_T0_E_clISt17integral_constantIbLb1EES17_EEDaS12_S13_EUlS12_E_NS1_11comp_targetILNS1_3genE10ELNS1_11target_archE1200ELNS1_3gpuE4ELNS1_3repE0EEENS1_30default_config_static_selectorELNS0_4arch9wavefront6targetE0EEEvT1_.numbered_sgpr, 0
	.set _ZN7rocprim17ROCPRIM_400000_NS6detail17trampoline_kernelINS0_14default_configENS1_25partition_config_selectorILNS1_17partition_subalgoE8EfNS0_10empty_typeEbEEZZNS1_14partition_implILS5_8ELb0ES3_jPKfPS6_PKS6_NS0_5tupleIJPfS6_EEENSE_IJSB_SB_EEENS0_18inequality_wrapperIN6hipcub16HIPCUB_304000_NS8EqualityEEEPlJS6_EEE10hipError_tPvRmT3_T4_T5_T6_T7_T9_mT8_P12ihipStream_tbDpT10_ENKUlT_T0_E_clISt17integral_constantIbLb1EES17_EEDaS12_S13_EUlS12_E_NS1_11comp_targetILNS1_3genE10ELNS1_11target_archE1200ELNS1_3gpuE4ELNS1_3repE0EEENS1_30default_config_static_selectorELNS0_4arch9wavefront6targetE0EEEvT1_.num_named_barrier, 0
	.set _ZN7rocprim17ROCPRIM_400000_NS6detail17trampoline_kernelINS0_14default_configENS1_25partition_config_selectorILNS1_17partition_subalgoE8EfNS0_10empty_typeEbEEZZNS1_14partition_implILS5_8ELb0ES3_jPKfPS6_PKS6_NS0_5tupleIJPfS6_EEENSE_IJSB_SB_EEENS0_18inequality_wrapperIN6hipcub16HIPCUB_304000_NS8EqualityEEEPlJS6_EEE10hipError_tPvRmT3_T4_T5_T6_T7_T9_mT8_P12ihipStream_tbDpT10_ENKUlT_T0_E_clISt17integral_constantIbLb1EES17_EEDaS12_S13_EUlS12_E_NS1_11comp_targetILNS1_3genE10ELNS1_11target_archE1200ELNS1_3gpuE4ELNS1_3repE0EEENS1_30default_config_static_selectorELNS0_4arch9wavefront6targetE0EEEvT1_.private_seg_size, 0
	.set _ZN7rocprim17ROCPRIM_400000_NS6detail17trampoline_kernelINS0_14default_configENS1_25partition_config_selectorILNS1_17partition_subalgoE8EfNS0_10empty_typeEbEEZZNS1_14partition_implILS5_8ELb0ES3_jPKfPS6_PKS6_NS0_5tupleIJPfS6_EEENSE_IJSB_SB_EEENS0_18inequality_wrapperIN6hipcub16HIPCUB_304000_NS8EqualityEEEPlJS6_EEE10hipError_tPvRmT3_T4_T5_T6_T7_T9_mT8_P12ihipStream_tbDpT10_ENKUlT_T0_E_clISt17integral_constantIbLb1EES17_EEDaS12_S13_EUlS12_E_NS1_11comp_targetILNS1_3genE10ELNS1_11target_archE1200ELNS1_3gpuE4ELNS1_3repE0EEENS1_30default_config_static_selectorELNS0_4arch9wavefront6targetE0EEEvT1_.uses_vcc, 0
	.set _ZN7rocprim17ROCPRIM_400000_NS6detail17trampoline_kernelINS0_14default_configENS1_25partition_config_selectorILNS1_17partition_subalgoE8EfNS0_10empty_typeEbEEZZNS1_14partition_implILS5_8ELb0ES3_jPKfPS6_PKS6_NS0_5tupleIJPfS6_EEENSE_IJSB_SB_EEENS0_18inequality_wrapperIN6hipcub16HIPCUB_304000_NS8EqualityEEEPlJS6_EEE10hipError_tPvRmT3_T4_T5_T6_T7_T9_mT8_P12ihipStream_tbDpT10_ENKUlT_T0_E_clISt17integral_constantIbLb1EES17_EEDaS12_S13_EUlS12_E_NS1_11comp_targetILNS1_3genE10ELNS1_11target_archE1200ELNS1_3gpuE4ELNS1_3repE0EEENS1_30default_config_static_selectorELNS0_4arch9wavefront6targetE0EEEvT1_.uses_flat_scratch, 0
	.set _ZN7rocprim17ROCPRIM_400000_NS6detail17trampoline_kernelINS0_14default_configENS1_25partition_config_selectorILNS1_17partition_subalgoE8EfNS0_10empty_typeEbEEZZNS1_14partition_implILS5_8ELb0ES3_jPKfPS6_PKS6_NS0_5tupleIJPfS6_EEENSE_IJSB_SB_EEENS0_18inequality_wrapperIN6hipcub16HIPCUB_304000_NS8EqualityEEEPlJS6_EEE10hipError_tPvRmT3_T4_T5_T6_T7_T9_mT8_P12ihipStream_tbDpT10_ENKUlT_T0_E_clISt17integral_constantIbLb1EES17_EEDaS12_S13_EUlS12_E_NS1_11comp_targetILNS1_3genE10ELNS1_11target_archE1200ELNS1_3gpuE4ELNS1_3repE0EEENS1_30default_config_static_selectorELNS0_4arch9wavefront6targetE0EEEvT1_.has_dyn_sized_stack, 0
	.set _ZN7rocprim17ROCPRIM_400000_NS6detail17trampoline_kernelINS0_14default_configENS1_25partition_config_selectorILNS1_17partition_subalgoE8EfNS0_10empty_typeEbEEZZNS1_14partition_implILS5_8ELb0ES3_jPKfPS6_PKS6_NS0_5tupleIJPfS6_EEENSE_IJSB_SB_EEENS0_18inequality_wrapperIN6hipcub16HIPCUB_304000_NS8EqualityEEEPlJS6_EEE10hipError_tPvRmT3_T4_T5_T6_T7_T9_mT8_P12ihipStream_tbDpT10_ENKUlT_T0_E_clISt17integral_constantIbLb1EES17_EEDaS12_S13_EUlS12_E_NS1_11comp_targetILNS1_3genE10ELNS1_11target_archE1200ELNS1_3gpuE4ELNS1_3repE0EEENS1_30default_config_static_selectorELNS0_4arch9wavefront6targetE0EEEvT1_.has_recursion, 0
	.set _ZN7rocprim17ROCPRIM_400000_NS6detail17trampoline_kernelINS0_14default_configENS1_25partition_config_selectorILNS1_17partition_subalgoE8EfNS0_10empty_typeEbEEZZNS1_14partition_implILS5_8ELb0ES3_jPKfPS6_PKS6_NS0_5tupleIJPfS6_EEENSE_IJSB_SB_EEENS0_18inequality_wrapperIN6hipcub16HIPCUB_304000_NS8EqualityEEEPlJS6_EEE10hipError_tPvRmT3_T4_T5_T6_T7_T9_mT8_P12ihipStream_tbDpT10_ENKUlT_T0_E_clISt17integral_constantIbLb1EES17_EEDaS12_S13_EUlS12_E_NS1_11comp_targetILNS1_3genE10ELNS1_11target_archE1200ELNS1_3gpuE4ELNS1_3repE0EEENS1_30default_config_static_selectorELNS0_4arch9wavefront6targetE0EEEvT1_.has_indirect_call, 0
	.section	.AMDGPU.csdata,"",@progbits
; Kernel info:
; codeLenInByte = 0
; TotalNumSgprs: 0
; NumVgprs: 0
; ScratchSize: 0
; MemoryBound: 0
; FloatMode: 240
; IeeeMode: 1
; LDSByteSize: 0 bytes/workgroup (compile time only)
; SGPRBlocks: 0
; VGPRBlocks: 0
; NumSGPRsForWavesPerEU: 1
; NumVGPRsForWavesPerEU: 1
; NamedBarCnt: 0
; Occupancy: 16
; WaveLimiterHint : 0
; COMPUTE_PGM_RSRC2:SCRATCH_EN: 0
; COMPUTE_PGM_RSRC2:USER_SGPR: 2
; COMPUTE_PGM_RSRC2:TRAP_HANDLER: 0
; COMPUTE_PGM_RSRC2:TGID_X_EN: 1
; COMPUTE_PGM_RSRC2:TGID_Y_EN: 0
; COMPUTE_PGM_RSRC2:TGID_Z_EN: 0
; COMPUTE_PGM_RSRC2:TIDIG_COMP_CNT: 0
	.section	.text._ZN7rocprim17ROCPRIM_400000_NS6detail17trampoline_kernelINS0_14default_configENS1_25partition_config_selectorILNS1_17partition_subalgoE8EfNS0_10empty_typeEbEEZZNS1_14partition_implILS5_8ELb0ES3_jPKfPS6_PKS6_NS0_5tupleIJPfS6_EEENSE_IJSB_SB_EEENS0_18inequality_wrapperIN6hipcub16HIPCUB_304000_NS8EqualityEEEPlJS6_EEE10hipError_tPvRmT3_T4_T5_T6_T7_T9_mT8_P12ihipStream_tbDpT10_ENKUlT_T0_E_clISt17integral_constantIbLb1EES17_EEDaS12_S13_EUlS12_E_NS1_11comp_targetILNS1_3genE9ELNS1_11target_archE1100ELNS1_3gpuE3ELNS1_3repE0EEENS1_30default_config_static_selectorELNS0_4arch9wavefront6targetE0EEEvT1_,"axG",@progbits,_ZN7rocprim17ROCPRIM_400000_NS6detail17trampoline_kernelINS0_14default_configENS1_25partition_config_selectorILNS1_17partition_subalgoE8EfNS0_10empty_typeEbEEZZNS1_14partition_implILS5_8ELb0ES3_jPKfPS6_PKS6_NS0_5tupleIJPfS6_EEENSE_IJSB_SB_EEENS0_18inequality_wrapperIN6hipcub16HIPCUB_304000_NS8EqualityEEEPlJS6_EEE10hipError_tPvRmT3_T4_T5_T6_T7_T9_mT8_P12ihipStream_tbDpT10_ENKUlT_T0_E_clISt17integral_constantIbLb1EES17_EEDaS12_S13_EUlS12_E_NS1_11comp_targetILNS1_3genE9ELNS1_11target_archE1100ELNS1_3gpuE3ELNS1_3repE0EEENS1_30default_config_static_selectorELNS0_4arch9wavefront6targetE0EEEvT1_,comdat
	.protected	_ZN7rocprim17ROCPRIM_400000_NS6detail17trampoline_kernelINS0_14default_configENS1_25partition_config_selectorILNS1_17partition_subalgoE8EfNS0_10empty_typeEbEEZZNS1_14partition_implILS5_8ELb0ES3_jPKfPS6_PKS6_NS0_5tupleIJPfS6_EEENSE_IJSB_SB_EEENS0_18inequality_wrapperIN6hipcub16HIPCUB_304000_NS8EqualityEEEPlJS6_EEE10hipError_tPvRmT3_T4_T5_T6_T7_T9_mT8_P12ihipStream_tbDpT10_ENKUlT_T0_E_clISt17integral_constantIbLb1EES17_EEDaS12_S13_EUlS12_E_NS1_11comp_targetILNS1_3genE9ELNS1_11target_archE1100ELNS1_3gpuE3ELNS1_3repE0EEENS1_30default_config_static_selectorELNS0_4arch9wavefront6targetE0EEEvT1_ ; -- Begin function _ZN7rocprim17ROCPRIM_400000_NS6detail17trampoline_kernelINS0_14default_configENS1_25partition_config_selectorILNS1_17partition_subalgoE8EfNS0_10empty_typeEbEEZZNS1_14partition_implILS5_8ELb0ES3_jPKfPS6_PKS6_NS0_5tupleIJPfS6_EEENSE_IJSB_SB_EEENS0_18inequality_wrapperIN6hipcub16HIPCUB_304000_NS8EqualityEEEPlJS6_EEE10hipError_tPvRmT3_T4_T5_T6_T7_T9_mT8_P12ihipStream_tbDpT10_ENKUlT_T0_E_clISt17integral_constantIbLb1EES17_EEDaS12_S13_EUlS12_E_NS1_11comp_targetILNS1_3genE9ELNS1_11target_archE1100ELNS1_3gpuE3ELNS1_3repE0EEENS1_30default_config_static_selectorELNS0_4arch9wavefront6targetE0EEEvT1_
	.globl	_ZN7rocprim17ROCPRIM_400000_NS6detail17trampoline_kernelINS0_14default_configENS1_25partition_config_selectorILNS1_17partition_subalgoE8EfNS0_10empty_typeEbEEZZNS1_14partition_implILS5_8ELb0ES3_jPKfPS6_PKS6_NS0_5tupleIJPfS6_EEENSE_IJSB_SB_EEENS0_18inequality_wrapperIN6hipcub16HIPCUB_304000_NS8EqualityEEEPlJS6_EEE10hipError_tPvRmT3_T4_T5_T6_T7_T9_mT8_P12ihipStream_tbDpT10_ENKUlT_T0_E_clISt17integral_constantIbLb1EES17_EEDaS12_S13_EUlS12_E_NS1_11comp_targetILNS1_3genE9ELNS1_11target_archE1100ELNS1_3gpuE3ELNS1_3repE0EEENS1_30default_config_static_selectorELNS0_4arch9wavefront6targetE0EEEvT1_
	.p2align	8
	.type	_ZN7rocprim17ROCPRIM_400000_NS6detail17trampoline_kernelINS0_14default_configENS1_25partition_config_selectorILNS1_17partition_subalgoE8EfNS0_10empty_typeEbEEZZNS1_14partition_implILS5_8ELb0ES3_jPKfPS6_PKS6_NS0_5tupleIJPfS6_EEENSE_IJSB_SB_EEENS0_18inequality_wrapperIN6hipcub16HIPCUB_304000_NS8EqualityEEEPlJS6_EEE10hipError_tPvRmT3_T4_T5_T6_T7_T9_mT8_P12ihipStream_tbDpT10_ENKUlT_T0_E_clISt17integral_constantIbLb1EES17_EEDaS12_S13_EUlS12_E_NS1_11comp_targetILNS1_3genE9ELNS1_11target_archE1100ELNS1_3gpuE3ELNS1_3repE0EEENS1_30default_config_static_selectorELNS0_4arch9wavefront6targetE0EEEvT1_,@function
_ZN7rocprim17ROCPRIM_400000_NS6detail17trampoline_kernelINS0_14default_configENS1_25partition_config_selectorILNS1_17partition_subalgoE8EfNS0_10empty_typeEbEEZZNS1_14partition_implILS5_8ELb0ES3_jPKfPS6_PKS6_NS0_5tupleIJPfS6_EEENSE_IJSB_SB_EEENS0_18inequality_wrapperIN6hipcub16HIPCUB_304000_NS8EqualityEEEPlJS6_EEE10hipError_tPvRmT3_T4_T5_T6_T7_T9_mT8_P12ihipStream_tbDpT10_ENKUlT_T0_E_clISt17integral_constantIbLb1EES17_EEDaS12_S13_EUlS12_E_NS1_11comp_targetILNS1_3genE9ELNS1_11target_archE1100ELNS1_3gpuE3ELNS1_3repE0EEENS1_30default_config_static_selectorELNS0_4arch9wavefront6targetE0EEEvT1_: ; @_ZN7rocprim17ROCPRIM_400000_NS6detail17trampoline_kernelINS0_14default_configENS1_25partition_config_selectorILNS1_17partition_subalgoE8EfNS0_10empty_typeEbEEZZNS1_14partition_implILS5_8ELb0ES3_jPKfPS6_PKS6_NS0_5tupleIJPfS6_EEENSE_IJSB_SB_EEENS0_18inequality_wrapperIN6hipcub16HIPCUB_304000_NS8EqualityEEEPlJS6_EEE10hipError_tPvRmT3_T4_T5_T6_T7_T9_mT8_P12ihipStream_tbDpT10_ENKUlT_T0_E_clISt17integral_constantIbLb1EES17_EEDaS12_S13_EUlS12_E_NS1_11comp_targetILNS1_3genE9ELNS1_11target_archE1100ELNS1_3gpuE3ELNS1_3repE0EEENS1_30default_config_static_selectorELNS0_4arch9wavefront6targetE0EEEvT1_
; %bb.0:
	.section	.rodata,"a",@progbits
	.p2align	6, 0x0
	.amdhsa_kernel _ZN7rocprim17ROCPRIM_400000_NS6detail17trampoline_kernelINS0_14default_configENS1_25partition_config_selectorILNS1_17partition_subalgoE8EfNS0_10empty_typeEbEEZZNS1_14partition_implILS5_8ELb0ES3_jPKfPS6_PKS6_NS0_5tupleIJPfS6_EEENSE_IJSB_SB_EEENS0_18inequality_wrapperIN6hipcub16HIPCUB_304000_NS8EqualityEEEPlJS6_EEE10hipError_tPvRmT3_T4_T5_T6_T7_T9_mT8_P12ihipStream_tbDpT10_ENKUlT_T0_E_clISt17integral_constantIbLb1EES17_EEDaS12_S13_EUlS12_E_NS1_11comp_targetILNS1_3genE9ELNS1_11target_archE1100ELNS1_3gpuE3ELNS1_3repE0EEENS1_30default_config_static_selectorELNS0_4arch9wavefront6targetE0EEEvT1_
		.amdhsa_group_segment_fixed_size 0
		.amdhsa_private_segment_fixed_size 0
		.amdhsa_kernarg_size 128
		.amdhsa_user_sgpr_count 2
		.amdhsa_user_sgpr_dispatch_ptr 0
		.amdhsa_user_sgpr_queue_ptr 0
		.amdhsa_user_sgpr_kernarg_segment_ptr 1
		.amdhsa_user_sgpr_dispatch_id 0
		.amdhsa_user_sgpr_kernarg_preload_length 0
		.amdhsa_user_sgpr_kernarg_preload_offset 0
		.amdhsa_user_sgpr_private_segment_size 0
		.amdhsa_wavefront_size32 1
		.amdhsa_uses_dynamic_stack 0
		.amdhsa_enable_private_segment 0
		.amdhsa_system_sgpr_workgroup_id_x 1
		.amdhsa_system_sgpr_workgroup_id_y 0
		.amdhsa_system_sgpr_workgroup_id_z 0
		.amdhsa_system_sgpr_workgroup_info 0
		.amdhsa_system_vgpr_workitem_id 0
		.amdhsa_next_free_vgpr 1
		.amdhsa_next_free_sgpr 1
		.amdhsa_named_barrier_count 0
		.amdhsa_reserve_vcc 0
		.amdhsa_float_round_mode_32 0
		.amdhsa_float_round_mode_16_64 0
		.amdhsa_float_denorm_mode_32 3
		.amdhsa_float_denorm_mode_16_64 3
		.amdhsa_fp16_overflow 0
		.amdhsa_memory_ordered 1
		.amdhsa_forward_progress 1
		.amdhsa_inst_pref_size 0
		.amdhsa_round_robin_scheduling 0
		.amdhsa_exception_fp_ieee_invalid_op 0
		.amdhsa_exception_fp_denorm_src 0
		.amdhsa_exception_fp_ieee_div_zero 0
		.amdhsa_exception_fp_ieee_overflow 0
		.amdhsa_exception_fp_ieee_underflow 0
		.amdhsa_exception_fp_ieee_inexact 0
		.amdhsa_exception_int_div_zero 0
	.end_amdhsa_kernel
	.section	.text._ZN7rocprim17ROCPRIM_400000_NS6detail17trampoline_kernelINS0_14default_configENS1_25partition_config_selectorILNS1_17partition_subalgoE8EfNS0_10empty_typeEbEEZZNS1_14partition_implILS5_8ELb0ES3_jPKfPS6_PKS6_NS0_5tupleIJPfS6_EEENSE_IJSB_SB_EEENS0_18inequality_wrapperIN6hipcub16HIPCUB_304000_NS8EqualityEEEPlJS6_EEE10hipError_tPvRmT3_T4_T5_T6_T7_T9_mT8_P12ihipStream_tbDpT10_ENKUlT_T0_E_clISt17integral_constantIbLb1EES17_EEDaS12_S13_EUlS12_E_NS1_11comp_targetILNS1_3genE9ELNS1_11target_archE1100ELNS1_3gpuE3ELNS1_3repE0EEENS1_30default_config_static_selectorELNS0_4arch9wavefront6targetE0EEEvT1_,"axG",@progbits,_ZN7rocprim17ROCPRIM_400000_NS6detail17trampoline_kernelINS0_14default_configENS1_25partition_config_selectorILNS1_17partition_subalgoE8EfNS0_10empty_typeEbEEZZNS1_14partition_implILS5_8ELb0ES3_jPKfPS6_PKS6_NS0_5tupleIJPfS6_EEENSE_IJSB_SB_EEENS0_18inequality_wrapperIN6hipcub16HIPCUB_304000_NS8EqualityEEEPlJS6_EEE10hipError_tPvRmT3_T4_T5_T6_T7_T9_mT8_P12ihipStream_tbDpT10_ENKUlT_T0_E_clISt17integral_constantIbLb1EES17_EEDaS12_S13_EUlS12_E_NS1_11comp_targetILNS1_3genE9ELNS1_11target_archE1100ELNS1_3gpuE3ELNS1_3repE0EEENS1_30default_config_static_selectorELNS0_4arch9wavefront6targetE0EEEvT1_,comdat
.Lfunc_end355:
	.size	_ZN7rocprim17ROCPRIM_400000_NS6detail17trampoline_kernelINS0_14default_configENS1_25partition_config_selectorILNS1_17partition_subalgoE8EfNS0_10empty_typeEbEEZZNS1_14partition_implILS5_8ELb0ES3_jPKfPS6_PKS6_NS0_5tupleIJPfS6_EEENSE_IJSB_SB_EEENS0_18inequality_wrapperIN6hipcub16HIPCUB_304000_NS8EqualityEEEPlJS6_EEE10hipError_tPvRmT3_T4_T5_T6_T7_T9_mT8_P12ihipStream_tbDpT10_ENKUlT_T0_E_clISt17integral_constantIbLb1EES17_EEDaS12_S13_EUlS12_E_NS1_11comp_targetILNS1_3genE9ELNS1_11target_archE1100ELNS1_3gpuE3ELNS1_3repE0EEENS1_30default_config_static_selectorELNS0_4arch9wavefront6targetE0EEEvT1_, .Lfunc_end355-_ZN7rocprim17ROCPRIM_400000_NS6detail17trampoline_kernelINS0_14default_configENS1_25partition_config_selectorILNS1_17partition_subalgoE8EfNS0_10empty_typeEbEEZZNS1_14partition_implILS5_8ELb0ES3_jPKfPS6_PKS6_NS0_5tupleIJPfS6_EEENSE_IJSB_SB_EEENS0_18inequality_wrapperIN6hipcub16HIPCUB_304000_NS8EqualityEEEPlJS6_EEE10hipError_tPvRmT3_T4_T5_T6_T7_T9_mT8_P12ihipStream_tbDpT10_ENKUlT_T0_E_clISt17integral_constantIbLb1EES17_EEDaS12_S13_EUlS12_E_NS1_11comp_targetILNS1_3genE9ELNS1_11target_archE1100ELNS1_3gpuE3ELNS1_3repE0EEENS1_30default_config_static_selectorELNS0_4arch9wavefront6targetE0EEEvT1_
                                        ; -- End function
	.set _ZN7rocprim17ROCPRIM_400000_NS6detail17trampoline_kernelINS0_14default_configENS1_25partition_config_selectorILNS1_17partition_subalgoE8EfNS0_10empty_typeEbEEZZNS1_14partition_implILS5_8ELb0ES3_jPKfPS6_PKS6_NS0_5tupleIJPfS6_EEENSE_IJSB_SB_EEENS0_18inequality_wrapperIN6hipcub16HIPCUB_304000_NS8EqualityEEEPlJS6_EEE10hipError_tPvRmT3_T4_T5_T6_T7_T9_mT8_P12ihipStream_tbDpT10_ENKUlT_T0_E_clISt17integral_constantIbLb1EES17_EEDaS12_S13_EUlS12_E_NS1_11comp_targetILNS1_3genE9ELNS1_11target_archE1100ELNS1_3gpuE3ELNS1_3repE0EEENS1_30default_config_static_selectorELNS0_4arch9wavefront6targetE0EEEvT1_.num_vgpr, 0
	.set _ZN7rocprim17ROCPRIM_400000_NS6detail17trampoline_kernelINS0_14default_configENS1_25partition_config_selectorILNS1_17partition_subalgoE8EfNS0_10empty_typeEbEEZZNS1_14partition_implILS5_8ELb0ES3_jPKfPS6_PKS6_NS0_5tupleIJPfS6_EEENSE_IJSB_SB_EEENS0_18inequality_wrapperIN6hipcub16HIPCUB_304000_NS8EqualityEEEPlJS6_EEE10hipError_tPvRmT3_T4_T5_T6_T7_T9_mT8_P12ihipStream_tbDpT10_ENKUlT_T0_E_clISt17integral_constantIbLb1EES17_EEDaS12_S13_EUlS12_E_NS1_11comp_targetILNS1_3genE9ELNS1_11target_archE1100ELNS1_3gpuE3ELNS1_3repE0EEENS1_30default_config_static_selectorELNS0_4arch9wavefront6targetE0EEEvT1_.num_agpr, 0
	.set _ZN7rocprim17ROCPRIM_400000_NS6detail17trampoline_kernelINS0_14default_configENS1_25partition_config_selectorILNS1_17partition_subalgoE8EfNS0_10empty_typeEbEEZZNS1_14partition_implILS5_8ELb0ES3_jPKfPS6_PKS6_NS0_5tupleIJPfS6_EEENSE_IJSB_SB_EEENS0_18inequality_wrapperIN6hipcub16HIPCUB_304000_NS8EqualityEEEPlJS6_EEE10hipError_tPvRmT3_T4_T5_T6_T7_T9_mT8_P12ihipStream_tbDpT10_ENKUlT_T0_E_clISt17integral_constantIbLb1EES17_EEDaS12_S13_EUlS12_E_NS1_11comp_targetILNS1_3genE9ELNS1_11target_archE1100ELNS1_3gpuE3ELNS1_3repE0EEENS1_30default_config_static_selectorELNS0_4arch9wavefront6targetE0EEEvT1_.numbered_sgpr, 0
	.set _ZN7rocprim17ROCPRIM_400000_NS6detail17trampoline_kernelINS0_14default_configENS1_25partition_config_selectorILNS1_17partition_subalgoE8EfNS0_10empty_typeEbEEZZNS1_14partition_implILS5_8ELb0ES3_jPKfPS6_PKS6_NS0_5tupleIJPfS6_EEENSE_IJSB_SB_EEENS0_18inequality_wrapperIN6hipcub16HIPCUB_304000_NS8EqualityEEEPlJS6_EEE10hipError_tPvRmT3_T4_T5_T6_T7_T9_mT8_P12ihipStream_tbDpT10_ENKUlT_T0_E_clISt17integral_constantIbLb1EES17_EEDaS12_S13_EUlS12_E_NS1_11comp_targetILNS1_3genE9ELNS1_11target_archE1100ELNS1_3gpuE3ELNS1_3repE0EEENS1_30default_config_static_selectorELNS0_4arch9wavefront6targetE0EEEvT1_.num_named_barrier, 0
	.set _ZN7rocprim17ROCPRIM_400000_NS6detail17trampoline_kernelINS0_14default_configENS1_25partition_config_selectorILNS1_17partition_subalgoE8EfNS0_10empty_typeEbEEZZNS1_14partition_implILS5_8ELb0ES3_jPKfPS6_PKS6_NS0_5tupleIJPfS6_EEENSE_IJSB_SB_EEENS0_18inequality_wrapperIN6hipcub16HIPCUB_304000_NS8EqualityEEEPlJS6_EEE10hipError_tPvRmT3_T4_T5_T6_T7_T9_mT8_P12ihipStream_tbDpT10_ENKUlT_T0_E_clISt17integral_constantIbLb1EES17_EEDaS12_S13_EUlS12_E_NS1_11comp_targetILNS1_3genE9ELNS1_11target_archE1100ELNS1_3gpuE3ELNS1_3repE0EEENS1_30default_config_static_selectorELNS0_4arch9wavefront6targetE0EEEvT1_.private_seg_size, 0
	.set _ZN7rocprim17ROCPRIM_400000_NS6detail17trampoline_kernelINS0_14default_configENS1_25partition_config_selectorILNS1_17partition_subalgoE8EfNS0_10empty_typeEbEEZZNS1_14partition_implILS5_8ELb0ES3_jPKfPS6_PKS6_NS0_5tupleIJPfS6_EEENSE_IJSB_SB_EEENS0_18inequality_wrapperIN6hipcub16HIPCUB_304000_NS8EqualityEEEPlJS6_EEE10hipError_tPvRmT3_T4_T5_T6_T7_T9_mT8_P12ihipStream_tbDpT10_ENKUlT_T0_E_clISt17integral_constantIbLb1EES17_EEDaS12_S13_EUlS12_E_NS1_11comp_targetILNS1_3genE9ELNS1_11target_archE1100ELNS1_3gpuE3ELNS1_3repE0EEENS1_30default_config_static_selectorELNS0_4arch9wavefront6targetE0EEEvT1_.uses_vcc, 0
	.set _ZN7rocprim17ROCPRIM_400000_NS6detail17trampoline_kernelINS0_14default_configENS1_25partition_config_selectorILNS1_17partition_subalgoE8EfNS0_10empty_typeEbEEZZNS1_14partition_implILS5_8ELb0ES3_jPKfPS6_PKS6_NS0_5tupleIJPfS6_EEENSE_IJSB_SB_EEENS0_18inequality_wrapperIN6hipcub16HIPCUB_304000_NS8EqualityEEEPlJS6_EEE10hipError_tPvRmT3_T4_T5_T6_T7_T9_mT8_P12ihipStream_tbDpT10_ENKUlT_T0_E_clISt17integral_constantIbLb1EES17_EEDaS12_S13_EUlS12_E_NS1_11comp_targetILNS1_3genE9ELNS1_11target_archE1100ELNS1_3gpuE3ELNS1_3repE0EEENS1_30default_config_static_selectorELNS0_4arch9wavefront6targetE0EEEvT1_.uses_flat_scratch, 0
	.set _ZN7rocprim17ROCPRIM_400000_NS6detail17trampoline_kernelINS0_14default_configENS1_25partition_config_selectorILNS1_17partition_subalgoE8EfNS0_10empty_typeEbEEZZNS1_14partition_implILS5_8ELb0ES3_jPKfPS6_PKS6_NS0_5tupleIJPfS6_EEENSE_IJSB_SB_EEENS0_18inequality_wrapperIN6hipcub16HIPCUB_304000_NS8EqualityEEEPlJS6_EEE10hipError_tPvRmT3_T4_T5_T6_T7_T9_mT8_P12ihipStream_tbDpT10_ENKUlT_T0_E_clISt17integral_constantIbLb1EES17_EEDaS12_S13_EUlS12_E_NS1_11comp_targetILNS1_3genE9ELNS1_11target_archE1100ELNS1_3gpuE3ELNS1_3repE0EEENS1_30default_config_static_selectorELNS0_4arch9wavefront6targetE0EEEvT1_.has_dyn_sized_stack, 0
	.set _ZN7rocprim17ROCPRIM_400000_NS6detail17trampoline_kernelINS0_14default_configENS1_25partition_config_selectorILNS1_17partition_subalgoE8EfNS0_10empty_typeEbEEZZNS1_14partition_implILS5_8ELb0ES3_jPKfPS6_PKS6_NS0_5tupleIJPfS6_EEENSE_IJSB_SB_EEENS0_18inequality_wrapperIN6hipcub16HIPCUB_304000_NS8EqualityEEEPlJS6_EEE10hipError_tPvRmT3_T4_T5_T6_T7_T9_mT8_P12ihipStream_tbDpT10_ENKUlT_T0_E_clISt17integral_constantIbLb1EES17_EEDaS12_S13_EUlS12_E_NS1_11comp_targetILNS1_3genE9ELNS1_11target_archE1100ELNS1_3gpuE3ELNS1_3repE0EEENS1_30default_config_static_selectorELNS0_4arch9wavefront6targetE0EEEvT1_.has_recursion, 0
	.set _ZN7rocprim17ROCPRIM_400000_NS6detail17trampoline_kernelINS0_14default_configENS1_25partition_config_selectorILNS1_17partition_subalgoE8EfNS0_10empty_typeEbEEZZNS1_14partition_implILS5_8ELb0ES3_jPKfPS6_PKS6_NS0_5tupleIJPfS6_EEENSE_IJSB_SB_EEENS0_18inequality_wrapperIN6hipcub16HIPCUB_304000_NS8EqualityEEEPlJS6_EEE10hipError_tPvRmT3_T4_T5_T6_T7_T9_mT8_P12ihipStream_tbDpT10_ENKUlT_T0_E_clISt17integral_constantIbLb1EES17_EEDaS12_S13_EUlS12_E_NS1_11comp_targetILNS1_3genE9ELNS1_11target_archE1100ELNS1_3gpuE3ELNS1_3repE0EEENS1_30default_config_static_selectorELNS0_4arch9wavefront6targetE0EEEvT1_.has_indirect_call, 0
	.section	.AMDGPU.csdata,"",@progbits
; Kernel info:
; codeLenInByte = 0
; TotalNumSgprs: 0
; NumVgprs: 0
; ScratchSize: 0
; MemoryBound: 0
; FloatMode: 240
; IeeeMode: 1
; LDSByteSize: 0 bytes/workgroup (compile time only)
; SGPRBlocks: 0
; VGPRBlocks: 0
; NumSGPRsForWavesPerEU: 1
; NumVGPRsForWavesPerEU: 1
; NamedBarCnt: 0
; Occupancy: 16
; WaveLimiterHint : 0
; COMPUTE_PGM_RSRC2:SCRATCH_EN: 0
; COMPUTE_PGM_RSRC2:USER_SGPR: 2
; COMPUTE_PGM_RSRC2:TRAP_HANDLER: 0
; COMPUTE_PGM_RSRC2:TGID_X_EN: 1
; COMPUTE_PGM_RSRC2:TGID_Y_EN: 0
; COMPUTE_PGM_RSRC2:TGID_Z_EN: 0
; COMPUTE_PGM_RSRC2:TIDIG_COMP_CNT: 0
	.section	.text._ZN7rocprim17ROCPRIM_400000_NS6detail17trampoline_kernelINS0_14default_configENS1_25partition_config_selectorILNS1_17partition_subalgoE8EfNS0_10empty_typeEbEEZZNS1_14partition_implILS5_8ELb0ES3_jPKfPS6_PKS6_NS0_5tupleIJPfS6_EEENSE_IJSB_SB_EEENS0_18inequality_wrapperIN6hipcub16HIPCUB_304000_NS8EqualityEEEPlJS6_EEE10hipError_tPvRmT3_T4_T5_T6_T7_T9_mT8_P12ihipStream_tbDpT10_ENKUlT_T0_E_clISt17integral_constantIbLb1EES17_EEDaS12_S13_EUlS12_E_NS1_11comp_targetILNS1_3genE8ELNS1_11target_archE1030ELNS1_3gpuE2ELNS1_3repE0EEENS1_30default_config_static_selectorELNS0_4arch9wavefront6targetE0EEEvT1_,"axG",@progbits,_ZN7rocprim17ROCPRIM_400000_NS6detail17trampoline_kernelINS0_14default_configENS1_25partition_config_selectorILNS1_17partition_subalgoE8EfNS0_10empty_typeEbEEZZNS1_14partition_implILS5_8ELb0ES3_jPKfPS6_PKS6_NS0_5tupleIJPfS6_EEENSE_IJSB_SB_EEENS0_18inequality_wrapperIN6hipcub16HIPCUB_304000_NS8EqualityEEEPlJS6_EEE10hipError_tPvRmT3_T4_T5_T6_T7_T9_mT8_P12ihipStream_tbDpT10_ENKUlT_T0_E_clISt17integral_constantIbLb1EES17_EEDaS12_S13_EUlS12_E_NS1_11comp_targetILNS1_3genE8ELNS1_11target_archE1030ELNS1_3gpuE2ELNS1_3repE0EEENS1_30default_config_static_selectorELNS0_4arch9wavefront6targetE0EEEvT1_,comdat
	.protected	_ZN7rocprim17ROCPRIM_400000_NS6detail17trampoline_kernelINS0_14default_configENS1_25partition_config_selectorILNS1_17partition_subalgoE8EfNS0_10empty_typeEbEEZZNS1_14partition_implILS5_8ELb0ES3_jPKfPS6_PKS6_NS0_5tupleIJPfS6_EEENSE_IJSB_SB_EEENS0_18inequality_wrapperIN6hipcub16HIPCUB_304000_NS8EqualityEEEPlJS6_EEE10hipError_tPvRmT3_T4_T5_T6_T7_T9_mT8_P12ihipStream_tbDpT10_ENKUlT_T0_E_clISt17integral_constantIbLb1EES17_EEDaS12_S13_EUlS12_E_NS1_11comp_targetILNS1_3genE8ELNS1_11target_archE1030ELNS1_3gpuE2ELNS1_3repE0EEENS1_30default_config_static_selectorELNS0_4arch9wavefront6targetE0EEEvT1_ ; -- Begin function _ZN7rocprim17ROCPRIM_400000_NS6detail17trampoline_kernelINS0_14default_configENS1_25partition_config_selectorILNS1_17partition_subalgoE8EfNS0_10empty_typeEbEEZZNS1_14partition_implILS5_8ELb0ES3_jPKfPS6_PKS6_NS0_5tupleIJPfS6_EEENSE_IJSB_SB_EEENS0_18inequality_wrapperIN6hipcub16HIPCUB_304000_NS8EqualityEEEPlJS6_EEE10hipError_tPvRmT3_T4_T5_T6_T7_T9_mT8_P12ihipStream_tbDpT10_ENKUlT_T0_E_clISt17integral_constantIbLb1EES17_EEDaS12_S13_EUlS12_E_NS1_11comp_targetILNS1_3genE8ELNS1_11target_archE1030ELNS1_3gpuE2ELNS1_3repE0EEENS1_30default_config_static_selectorELNS0_4arch9wavefront6targetE0EEEvT1_
	.globl	_ZN7rocprim17ROCPRIM_400000_NS6detail17trampoline_kernelINS0_14default_configENS1_25partition_config_selectorILNS1_17partition_subalgoE8EfNS0_10empty_typeEbEEZZNS1_14partition_implILS5_8ELb0ES3_jPKfPS6_PKS6_NS0_5tupleIJPfS6_EEENSE_IJSB_SB_EEENS0_18inequality_wrapperIN6hipcub16HIPCUB_304000_NS8EqualityEEEPlJS6_EEE10hipError_tPvRmT3_T4_T5_T6_T7_T9_mT8_P12ihipStream_tbDpT10_ENKUlT_T0_E_clISt17integral_constantIbLb1EES17_EEDaS12_S13_EUlS12_E_NS1_11comp_targetILNS1_3genE8ELNS1_11target_archE1030ELNS1_3gpuE2ELNS1_3repE0EEENS1_30default_config_static_selectorELNS0_4arch9wavefront6targetE0EEEvT1_
	.p2align	8
	.type	_ZN7rocprim17ROCPRIM_400000_NS6detail17trampoline_kernelINS0_14default_configENS1_25partition_config_selectorILNS1_17partition_subalgoE8EfNS0_10empty_typeEbEEZZNS1_14partition_implILS5_8ELb0ES3_jPKfPS6_PKS6_NS0_5tupleIJPfS6_EEENSE_IJSB_SB_EEENS0_18inequality_wrapperIN6hipcub16HIPCUB_304000_NS8EqualityEEEPlJS6_EEE10hipError_tPvRmT3_T4_T5_T6_T7_T9_mT8_P12ihipStream_tbDpT10_ENKUlT_T0_E_clISt17integral_constantIbLb1EES17_EEDaS12_S13_EUlS12_E_NS1_11comp_targetILNS1_3genE8ELNS1_11target_archE1030ELNS1_3gpuE2ELNS1_3repE0EEENS1_30default_config_static_selectorELNS0_4arch9wavefront6targetE0EEEvT1_,@function
_ZN7rocprim17ROCPRIM_400000_NS6detail17trampoline_kernelINS0_14default_configENS1_25partition_config_selectorILNS1_17partition_subalgoE8EfNS0_10empty_typeEbEEZZNS1_14partition_implILS5_8ELb0ES3_jPKfPS6_PKS6_NS0_5tupleIJPfS6_EEENSE_IJSB_SB_EEENS0_18inequality_wrapperIN6hipcub16HIPCUB_304000_NS8EqualityEEEPlJS6_EEE10hipError_tPvRmT3_T4_T5_T6_T7_T9_mT8_P12ihipStream_tbDpT10_ENKUlT_T0_E_clISt17integral_constantIbLb1EES17_EEDaS12_S13_EUlS12_E_NS1_11comp_targetILNS1_3genE8ELNS1_11target_archE1030ELNS1_3gpuE2ELNS1_3repE0EEENS1_30default_config_static_selectorELNS0_4arch9wavefront6targetE0EEEvT1_: ; @_ZN7rocprim17ROCPRIM_400000_NS6detail17trampoline_kernelINS0_14default_configENS1_25partition_config_selectorILNS1_17partition_subalgoE8EfNS0_10empty_typeEbEEZZNS1_14partition_implILS5_8ELb0ES3_jPKfPS6_PKS6_NS0_5tupleIJPfS6_EEENSE_IJSB_SB_EEENS0_18inequality_wrapperIN6hipcub16HIPCUB_304000_NS8EqualityEEEPlJS6_EEE10hipError_tPvRmT3_T4_T5_T6_T7_T9_mT8_P12ihipStream_tbDpT10_ENKUlT_T0_E_clISt17integral_constantIbLb1EES17_EEDaS12_S13_EUlS12_E_NS1_11comp_targetILNS1_3genE8ELNS1_11target_archE1030ELNS1_3gpuE2ELNS1_3repE0EEENS1_30default_config_static_selectorELNS0_4arch9wavefront6targetE0EEEvT1_
; %bb.0:
	.section	.rodata,"a",@progbits
	.p2align	6, 0x0
	.amdhsa_kernel _ZN7rocprim17ROCPRIM_400000_NS6detail17trampoline_kernelINS0_14default_configENS1_25partition_config_selectorILNS1_17partition_subalgoE8EfNS0_10empty_typeEbEEZZNS1_14partition_implILS5_8ELb0ES3_jPKfPS6_PKS6_NS0_5tupleIJPfS6_EEENSE_IJSB_SB_EEENS0_18inequality_wrapperIN6hipcub16HIPCUB_304000_NS8EqualityEEEPlJS6_EEE10hipError_tPvRmT3_T4_T5_T6_T7_T9_mT8_P12ihipStream_tbDpT10_ENKUlT_T0_E_clISt17integral_constantIbLb1EES17_EEDaS12_S13_EUlS12_E_NS1_11comp_targetILNS1_3genE8ELNS1_11target_archE1030ELNS1_3gpuE2ELNS1_3repE0EEENS1_30default_config_static_selectorELNS0_4arch9wavefront6targetE0EEEvT1_
		.amdhsa_group_segment_fixed_size 0
		.amdhsa_private_segment_fixed_size 0
		.amdhsa_kernarg_size 128
		.amdhsa_user_sgpr_count 2
		.amdhsa_user_sgpr_dispatch_ptr 0
		.amdhsa_user_sgpr_queue_ptr 0
		.amdhsa_user_sgpr_kernarg_segment_ptr 1
		.amdhsa_user_sgpr_dispatch_id 0
		.amdhsa_user_sgpr_kernarg_preload_length 0
		.amdhsa_user_sgpr_kernarg_preload_offset 0
		.amdhsa_user_sgpr_private_segment_size 0
		.amdhsa_wavefront_size32 1
		.amdhsa_uses_dynamic_stack 0
		.amdhsa_enable_private_segment 0
		.amdhsa_system_sgpr_workgroup_id_x 1
		.amdhsa_system_sgpr_workgroup_id_y 0
		.amdhsa_system_sgpr_workgroup_id_z 0
		.amdhsa_system_sgpr_workgroup_info 0
		.amdhsa_system_vgpr_workitem_id 0
		.amdhsa_next_free_vgpr 1
		.amdhsa_next_free_sgpr 1
		.amdhsa_named_barrier_count 0
		.amdhsa_reserve_vcc 0
		.amdhsa_float_round_mode_32 0
		.amdhsa_float_round_mode_16_64 0
		.amdhsa_float_denorm_mode_32 3
		.amdhsa_float_denorm_mode_16_64 3
		.amdhsa_fp16_overflow 0
		.amdhsa_memory_ordered 1
		.amdhsa_forward_progress 1
		.amdhsa_inst_pref_size 0
		.amdhsa_round_robin_scheduling 0
		.amdhsa_exception_fp_ieee_invalid_op 0
		.amdhsa_exception_fp_denorm_src 0
		.amdhsa_exception_fp_ieee_div_zero 0
		.amdhsa_exception_fp_ieee_overflow 0
		.amdhsa_exception_fp_ieee_underflow 0
		.amdhsa_exception_fp_ieee_inexact 0
		.amdhsa_exception_int_div_zero 0
	.end_amdhsa_kernel
	.section	.text._ZN7rocprim17ROCPRIM_400000_NS6detail17trampoline_kernelINS0_14default_configENS1_25partition_config_selectorILNS1_17partition_subalgoE8EfNS0_10empty_typeEbEEZZNS1_14partition_implILS5_8ELb0ES3_jPKfPS6_PKS6_NS0_5tupleIJPfS6_EEENSE_IJSB_SB_EEENS0_18inequality_wrapperIN6hipcub16HIPCUB_304000_NS8EqualityEEEPlJS6_EEE10hipError_tPvRmT3_T4_T5_T6_T7_T9_mT8_P12ihipStream_tbDpT10_ENKUlT_T0_E_clISt17integral_constantIbLb1EES17_EEDaS12_S13_EUlS12_E_NS1_11comp_targetILNS1_3genE8ELNS1_11target_archE1030ELNS1_3gpuE2ELNS1_3repE0EEENS1_30default_config_static_selectorELNS0_4arch9wavefront6targetE0EEEvT1_,"axG",@progbits,_ZN7rocprim17ROCPRIM_400000_NS6detail17trampoline_kernelINS0_14default_configENS1_25partition_config_selectorILNS1_17partition_subalgoE8EfNS0_10empty_typeEbEEZZNS1_14partition_implILS5_8ELb0ES3_jPKfPS6_PKS6_NS0_5tupleIJPfS6_EEENSE_IJSB_SB_EEENS0_18inequality_wrapperIN6hipcub16HIPCUB_304000_NS8EqualityEEEPlJS6_EEE10hipError_tPvRmT3_T4_T5_T6_T7_T9_mT8_P12ihipStream_tbDpT10_ENKUlT_T0_E_clISt17integral_constantIbLb1EES17_EEDaS12_S13_EUlS12_E_NS1_11comp_targetILNS1_3genE8ELNS1_11target_archE1030ELNS1_3gpuE2ELNS1_3repE0EEENS1_30default_config_static_selectorELNS0_4arch9wavefront6targetE0EEEvT1_,comdat
.Lfunc_end356:
	.size	_ZN7rocprim17ROCPRIM_400000_NS6detail17trampoline_kernelINS0_14default_configENS1_25partition_config_selectorILNS1_17partition_subalgoE8EfNS0_10empty_typeEbEEZZNS1_14partition_implILS5_8ELb0ES3_jPKfPS6_PKS6_NS0_5tupleIJPfS6_EEENSE_IJSB_SB_EEENS0_18inequality_wrapperIN6hipcub16HIPCUB_304000_NS8EqualityEEEPlJS6_EEE10hipError_tPvRmT3_T4_T5_T6_T7_T9_mT8_P12ihipStream_tbDpT10_ENKUlT_T0_E_clISt17integral_constantIbLb1EES17_EEDaS12_S13_EUlS12_E_NS1_11comp_targetILNS1_3genE8ELNS1_11target_archE1030ELNS1_3gpuE2ELNS1_3repE0EEENS1_30default_config_static_selectorELNS0_4arch9wavefront6targetE0EEEvT1_, .Lfunc_end356-_ZN7rocprim17ROCPRIM_400000_NS6detail17trampoline_kernelINS0_14default_configENS1_25partition_config_selectorILNS1_17partition_subalgoE8EfNS0_10empty_typeEbEEZZNS1_14partition_implILS5_8ELb0ES3_jPKfPS6_PKS6_NS0_5tupleIJPfS6_EEENSE_IJSB_SB_EEENS0_18inequality_wrapperIN6hipcub16HIPCUB_304000_NS8EqualityEEEPlJS6_EEE10hipError_tPvRmT3_T4_T5_T6_T7_T9_mT8_P12ihipStream_tbDpT10_ENKUlT_T0_E_clISt17integral_constantIbLb1EES17_EEDaS12_S13_EUlS12_E_NS1_11comp_targetILNS1_3genE8ELNS1_11target_archE1030ELNS1_3gpuE2ELNS1_3repE0EEENS1_30default_config_static_selectorELNS0_4arch9wavefront6targetE0EEEvT1_
                                        ; -- End function
	.set _ZN7rocprim17ROCPRIM_400000_NS6detail17trampoline_kernelINS0_14default_configENS1_25partition_config_selectorILNS1_17partition_subalgoE8EfNS0_10empty_typeEbEEZZNS1_14partition_implILS5_8ELb0ES3_jPKfPS6_PKS6_NS0_5tupleIJPfS6_EEENSE_IJSB_SB_EEENS0_18inequality_wrapperIN6hipcub16HIPCUB_304000_NS8EqualityEEEPlJS6_EEE10hipError_tPvRmT3_T4_T5_T6_T7_T9_mT8_P12ihipStream_tbDpT10_ENKUlT_T0_E_clISt17integral_constantIbLb1EES17_EEDaS12_S13_EUlS12_E_NS1_11comp_targetILNS1_3genE8ELNS1_11target_archE1030ELNS1_3gpuE2ELNS1_3repE0EEENS1_30default_config_static_selectorELNS0_4arch9wavefront6targetE0EEEvT1_.num_vgpr, 0
	.set _ZN7rocprim17ROCPRIM_400000_NS6detail17trampoline_kernelINS0_14default_configENS1_25partition_config_selectorILNS1_17partition_subalgoE8EfNS0_10empty_typeEbEEZZNS1_14partition_implILS5_8ELb0ES3_jPKfPS6_PKS6_NS0_5tupleIJPfS6_EEENSE_IJSB_SB_EEENS0_18inequality_wrapperIN6hipcub16HIPCUB_304000_NS8EqualityEEEPlJS6_EEE10hipError_tPvRmT3_T4_T5_T6_T7_T9_mT8_P12ihipStream_tbDpT10_ENKUlT_T0_E_clISt17integral_constantIbLb1EES17_EEDaS12_S13_EUlS12_E_NS1_11comp_targetILNS1_3genE8ELNS1_11target_archE1030ELNS1_3gpuE2ELNS1_3repE0EEENS1_30default_config_static_selectorELNS0_4arch9wavefront6targetE0EEEvT1_.num_agpr, 0
	.set _ZN7rocprim17ROCPRIM_400000_NS6detail17trampoline_kernelINS0_14default_configENS1_25partition_config_selectorILNS1_17partition_subalgoE8EfNS0_10empty_typeEbEEZZNS1_14partition_implILS5_8ELb0ES3_jPKfPS6_PKS6_NS0_5tupleIJPfS6_EEENSE_IJSB_SB_EEENS0_18inequality_wrapperIN6hipcub16HIPCUB_304000_NS8EqualityEEEPlJS6_EEE10hipError_tPvRmT3_T4_T5_T6_T7_T9_mT8_P12ihipStream_tbDpT10_ENKUlT_T0_E_clISt17integral_constantIbLb1EES17_EEDaS12_S13_EUlS12_E_NS1_11comp_targetILNS1_3genE8ELNS1_11target_archE1030ELNS1_3gpuE2ELNS1_3repE0EEENS1_30default_config_static_selectorELNS0_4arch9wavefront6targetE0EEEvT1_.numbered_sgpr, 0
	.set _ZN7rocprim17ROCPRIM_400000_NS6detail17trampoline_kernelINS0_14default_configENS1_25partition_config_selectorILNS1_17partition_subalgoE8EfNS0_10empty_typeEbEEZZNS1_14partition_implILS5_8ELb0ES3_jPKfPS6_PKS6_NS0_5tupleIJPfS6_EEENSE_IJSB_SB_EEENS0_18inequality_wrapperIN6hipcub16HIPCUB_304000_NS8EqualityEEEPlJS6_EEE10hipError_tPvRmT3_T4_T5_T6_T7_T9_mT8_P12ihipStream_tbDpT10_ENKUlT_T0_E_clISt17integral_constantIbLb1EES17_EEDaS12_S13_EUlS12_E_NS1_11comp_targetILNS1_3genE8ELNS1_11target_archE1030ELNS1_3gpuE2ELNS1_3repE0EEENS1_30default_config_static_selectorELNS0_4arch9wavefront6targetE0EEEvT1_.num_named_barrier, 0
	.set _ZN7rocprim17ROCPRIM_400000_NS6detail17trampoline_kernelINS0_14default_configENS1_25partition_config_selectorILNS1_17partition_subalgoE8EfNS0_10empty_typeEbEEZZNS1_14partition_implILS5_8ELb0ES3_jPKfPS6_PKS6_NS0_5tupleIJPfS6_EEENSE_IJSB_SB_EEENS0_18inequality_wrapperIN6hipcub16HIPCUB_304000_NS8EqualityEEEPlJS6_EEE10hipError_tPvRmT3_T4_T5_T6_T7_T9_mT8_P12ihipStream_tbDpT10_ENKUlT_T0_E_clISt17integral_constantIbLb1EES17_EEDaS12_S13_EUlS12_E_NS1_11comp_targetILNS1_3genE8ELNS1_11target_archE1030ELNS1_3gpuE2ELNS1_3repE0EEENS1_30default_config_static_selectorELNS0_4arch9wavefront6targetE0EEEvT1_.private_seg_size, 0
	.set _ZN7rocprim17ROCPRIM_400000_NS6detail17trampoline_kernelINS0_14default_configENS1_25partition_config_selectorILNS1_17partition_subalgoE8EfNS0_10empty_typeEbEEZZNS1_14partition_implILS5_8ELb0ES3_jPKfPS6_PKS6_NS0_5tupleIJPfS6_EEENSE_IJSB_SB_EEENS0_18inequality_wrapperIN6hipcub16HIPCUB_304000_NS8EqualityEEEPlJS6_EEE10hipError_tPvRmT3_T4_T5_T6_T7_T9_mT8_P12ihipStream_tbDpT10_ENKUlT_T0_E_clISt17integral_constantIbLb1EES17_EEDaS12_S13_EUlS12_E_NS1_11comp_targetILNS1_3genE8ELNS1_11target_archE1030ELNS1_3gpuE2ELNS1_3repE0EEENS1_30default_config_static_selectorELNS0_4arch9wavefront6targetE0EEEvT1_.uses_vcc, 0
	.set _ZN7rocprim17ROCPRIM_400000_NS6detail17trampoline_kernelINS0_14default_configENS1_25partition_config_selectorILNS1_17partition_subalgoE8EfNS0_10empty_typeEbEEZZNS1_14partition_implILS5_8ELb0ES3_jPKfPS6_PKS6_NS0_5tupleIJPfS6_EEENSE_IJSB_SB_EEENS0_18inequality_wrapperIN6hipcub16HIPCUB_304000_NS8EqualityEEEPlJS6_EEE10hipError_tPvRmT3_T4_T5_T6_T7_T9_mT8_P12ihipStream_tbDpT10_ENKUlT_T0_E_clISt17integral_constantIbLb1EES17_EEDaS12_S13_EUlS12_E_NS1_11comp_targetILNS1_3genE8ELNS1_11target_archE1030ELNS1_3gpuE2ELNS1_3repE0EEENS1_30default_config_static_selectorELNS0_4arch9wavefront6targetE0EEEvT1_.uses_flat_scratch, 0
	.set _ZN7rocprim17ROCPRIM_400000_NS6detail17trampoline_kernelINS0_14default_configENS1_25partition_config_selectorILNS1_17partition_subalgoE8EfNS0_10empty_typeEbEEZZNS1_14partition_implILS5_8ELb0ES3_jPKfPS6_PKS6_NS0_5tupleIJPfS6_EEENSE_IJSB_SB_EEENS0_18inequality_wrapperIN6hipcub16HIPCUB_304000_NS8EqualityEEEPlJS6_EEE10hipError_tPvRmT3_T4_T5_T6_T7_T9_mT8_P12ihipStream_tbDpT10_ENKUlT_T0_E_clISt17integral_constantIbLb1EES17_EEDaS12_S13_EUlS12_E_NS1_11comp_targetILNS1_3genE8ELNS1_11target_archE1030ELNS1_3gpuE2ELNS1_3repE0EEENS1_30default_config_static_selectorELNS0_4arch9wavefront6targetE0EEEvT1_.has_dyn_sized_stack, 0
	.set _ZN7rocprim17ROCPRIM_400000_NS6detail17trampoline_kernelINS0_14default_configENS1_25partition_config_selectorILNS1_17partition_subalgoE8EfNS0_10empty_typeEbEEZZNS1_14partition_implILS5_8ELb0ES3_jPKfPS6_PKS6_NS0_5tupleIJPfS6_EEENSE_IJSB_SB_EEENS0_18inequality_wrapperIN6hipcub16HIPCUB_304000_NS8EqualityEEEPlJS6_EEE10hipError_tPvRmT3_T4_T5_T6_T7_T9_mT8_P12ihipStream_tbDpT10_ENKUlT_T0_E_clISt17integral_constantIbLb1EES17_EEDaS12_S13_EUlS12_E_NS1_11comp_targetILNS1_3genE8ELNS1_11target_archE1030ELNS1_3gpuE2ELNS1_3repE0EEENS1_30default_config_static_selectorELNS0_4arch9wavefront6targetE0EEEvT1_.has_recursion, 0
	.set _ZN7rocprim17ROCPRIM_400000_NS6detail17trampoline_kernelINS0_14default_configENS1_25partition_config_selectorILNS1_17partition_subalgoE8EfNS0_10empty_typeEbEEZZNS1_14partition_implILS5_8ELb0ES3_jPKfPS6_PKS6_NS0_5tupleIJPfS6_EEENSE_IJSB_SB_EEENS0_18inequality_wrapperIN6hipcub16HIPCUB_304000_NS8EqualityEEEPlJS6_EEE10hipError_tPvRmT3_T4_T5_T6_T7_T9_mT8_P12ihipStream_tbDpT10_ENKUlT_T0_E_clISt17integral_constantIbLb1EES17_EEDaS12_S13_EUlS12_E_NS1_11comp_targetILNS1_3genE8ELNS1_11target_archE1030ELNS1_3gpuE2ELNS1_3repE0EEENS1_30default_config_static_selectorELNS0_4arch9wavefront6targetE0EEEvT1_.has_indirect_call, 0
	.section	.AMDGPU.csdata,"",@progbits
; Kernel info:
; codeLenInByte = 0
; TotalNumSgprs: 0
; NumVgprs: 0
; ScratchSize: 0
; MemoryBound: 0
; FloatMode: 240
; IeeeMode: 1
; LDSByteSize: 0 bytes/workgroup (compile time only)
; SGPRBlocks: 0
; VGPRBlocks: 0
; NumSGPRsForWavesPerEU: 1
; NumVGPRsForWavesPerEU: 1
; NamedBarCnt: 0
; Occupancy: 16
; WaveLimiterHint : 0
; COMPUTE_PGM_RSRC2:SCRATCH_EN: 0
; COMPUTE_PGM_RSRC2:USER_SGPR: 2
; COMPUTE_PGM_RSRC2:TRAP_HANDLER: 0
; COMPUTE_PGM_RSRC2:TGID_X_EN: 1
; COMPUTE_PGM_RSRC2:TGID_Y_EN: 0
; COMPUTE_PGM_RSRC2:TGID_Z_EN: 0
; COMPUTE_PGM_RSRC2:TIDIG_COMP_CNT: 0
	.section	.text._ZN7rocprim17ROCPRIM_400000_NS6detail17trampoline_kernelINS0_14default_configENS1_25partition_config_selectorILNS1_17partition_subalgoE8EfNS0_10empty_typeEbEEZZNS1_14partition_implILS5_8ELb0ES3_jPKfPS6_PKS6_NS0_5tupleIJPfS6_EEENSE_IJSB_SB_EEENS0_18inequality_wrapperIN6hipcub16HIPCUB_304000_NS8EqualityEEEPlJS6_EEE10hipError_tPvRmT3_T4_T5_T6_T7_T9_mT8_P12ihipStream_tbDpT10_ENKUlT_T0_E_clISt17integral_constantIbLb1EES16_IbLb0EEEEDaS12_S13_EUlS12_E_NS1_11comp_targetILNS1_3genE0ELNS1_11target_archE4294967295ELNS1_3gpuE0ELNS1_3repE0EEENS1_30default_config_static_selectorELNS0_4arch9wavefront6targetE0EEEvT1_,"axG",@progbits,_ZN7rocprim17ROCPRIM_400000_NS6detail17trampoline_kernelINS0_14default_configENS1_25partition_config_selectorILNS1_17partition_subalgoE8EfNS0_10empty_typeEbEEZZNS1_14partition_implILS5_8ELb0ES3_jPKfPS6_PKS6_NS0_5tupleIJPfS6_EEENSE_IJSB_SB_EEENS0_18inequality_wrapperIN6hipcub16HIPCUB_304000_NS8EqualityEEEPlJS6_EEE10hipError_tPvRmT3_T4_T5_T6_T7_T9_mT8_P12ihipStream_tbDpT10_ENKUlT_T0_E_clISt17integral_constantIbLb1EES16_IbLb0EEEEDaS12_S13_EUlS12_E_NS1_11comp_targetILNS1_3genE0ELNS1_11target_archE4294967295ELNS1_3gpuE0ELNS1_3repE0EEENS1_30default_config_static_selectorELNS0_4arch9wavefront6targetE0EEEvT1_,comdat
	.protected	_ZN7rocprim17ROCPRIM_400000_NS6detail17trampoline_kernelINS0_14default_configENS1_25partition_config_selectorILNS1_17partition_subalgoE8EfNS0_10empty_typeEbEEZZNS1_14partition_implILS5_8ELb0ES3_jPKfPS6_PKS6_NS0_5tupleIJPfS6_EEENSE_IJSB_SB_EEENS0_18inequality_wrapperIN6hipcub16HIPCUB_304000_NS8EqualityEEEPlJS6_EEE10hipError_tPvRmT3_T4_T5_T6_T7_T9_mT8_P12ihipStream_tbDpT10_ENKUlT_T0_E_clISt17integral_constantIbLb1EES16_IbLb0EEEEDaS12_S13_EUlS12_E_NS1_11comp_targetILNS1_3genE0ELNS1_11target_archE4294967295ELNS1_3gpuE0ELNS1_3repE0EEENS1_30default_config_static_selectorELNS0_4arch9wavefront6targetE0EEEvT1_ ; -- Begin function _ZN7rocprim17ROCPRIM_400000_NS6detail17trampoline_kernelINS0_14default_configENS1_25partition_config_selectorILNS1_17partition_subalgoE8EfNS0_10empty_typeEbEEZZNS1_14partition_implILS5_8ELb0ES3_jPKfPS6_PKS6_NS0_5tupleIJPfS6_EEENSE_IJSB_SB_EEENS0_18inequality_wrapperIN6hipcub16HIPCUB_304000_NS8EqualityEEEPlJS6_EEE10hipError_tPvRmT3_T4_T5_T6_T7_T9_mT8_P12ihipStream_tbDpT10_ENKUlT_T0_E_clISt17integral_constantIbLb1EES16_IbLb0EEEEDaS12_S13_EUlS12_E_NS1_11comp_targetILNS1_3genE0ELNS1_11target_archE4294967295ELNS1_3gpuE0ELNS1_3repE0EEENS1_30default_config_static_selectorELNS0_4arch9wavefront6targetE0EEEvT1_
	.globl	_ZN7rocprim17ROCPRIM_400000_NS6detail17trampoline_kernelINS0_14default_configENS1_25partition_config_selectorILNS1_17partition_subalgoE8EfNS0_10empty_typeEbEEZZNS1_14partition_implILS5_8ELb0ES3_jPKfPS6_PKS6_NS0_5tupleIJPfS6_EEENSE_IJSB_SB_EEENS0_18inequality_wrapperIN6hipcub16HIPCUB_304000_NS8EqualityEEEPlJS6_EEE10hipError_tPvRmT3_T4_T5_T6_T7_T9_mT8_P12ihipStream_tbDpT10_ENKUlT_T0_E_clISt17integral_constantIbLb1EES16_IbLb0EEEEDaS12_S13_EUlS12_E_NS1_11comp_targetILNS1_3genE0ELNS1_11target_archE4294967295ELNS1_3gpuE0ELNS1_3repE0EEENS1_30default_config_static_selectorELNS0_4arch9wavefront6targetE0EEEvT1_
	.p2align	8
	.type	_ZN7rocprim17ROCPRIM_400000_NS6detail17trampoline_kernelINS0_14default_configENS1_25partition_config_selectorILNS1_17partition_subalgoE8EfNS0_10empty_typeEbEEZZNS1_14partition_implILS5_8ELb0ES3_jPKfPS6_PKS6_NS0_5tupleIJPfS6_EEENSE_IJSB_SB_EEENS0_18inequality_wrapperIN6hipcub16HIPCUB_304000_NS8EqualityEEEPlJS6_EEE10hipError_tPvRmT3_T4_T5_T6_T7_T9_mT8_P12ihipStream_tbDpT10_ENKUlT_T0_E_clISt17integral_constantIbLb1EES16_IbLb0EEEEDaS12_S13_EUlS12_E_NS1_11comp_targetILNS1_3genE0ELNS1_11target_archE4294967295ELNS1_3gpuE0ELNS1_3repE0EEENS1_30default_config_static_selectorELNS0_4arch9wavefront6targetE0EEEvT1_,@function
_ZN7rocprim17ROCPRIM_400000_NS6detail17trampoline_kernelINS0_14default_configENS1_25partition_config_selectorILNS1_17partition_subalgoE8EfNS0_10empty_typeEbEEZZNS1_14partition_implILS5_8ELb0ES3_jPKfPS6_PKS6_NS0_5tupleIJPfS6_EEENSE_IJSB_SB_EEENS0_18inequality_wrapperIN6hipcub16HIPCUB_304000_NS8EqualityEEEPlJS6_EEE10hipError_tPvRmT3_T4_T5_T6_T7_T9_mT8_P12ihipStream_tbDpT10_ENKUlT_T0_E_clISt17integral_constantIbLb1EES16_IbLb0EEEEDaS12_S13_EUlS12_E_NS1_11comp_targetILNS1_3genE0ELNS1_11target_archE4294967295ELNS1_3gpuE0ELNS1_3repE0EEENS1_30default_config_static_selectorELNS0_4arch9wavefront6targetE0EEEvT1_: ; @_ZN7rocprim17ROCPRIM_400000_NS6detail17trampoline_kernelINS0_14default_configENS1_25partition_config_selectorILNS1_17partition_subalgoE8EfNS0_10empty_typeEbEEZZNS1_14partition_implILS5_8ELb0ES3_jPKfPS6_PKS6_NS0_5tupleIJPfS6_EEENSE_IJSB_SB_EEENS0_18inequality_wrapperIN6hipcub16HIPCUB_304000_NS8EqualityEEEPlJS6_EEE10hipError_tPvRmT3_T4_T5_T6_T7_T9_mT8_P12ihipStream_tbDpT10_ENKUlT_T0_E_clISt17integral_constantIbLb1EES16_IbLb0EEEEDaS12_S13_EUlS12_E_NS1_11comp_targetILNS1_3genE0ELNS1_11target_archE4294967295ELNS1_3gpuE0ELNS1_3repE0EEENS1_30default_config_static_selectorELNS0_4arch9wavefront6targetE0EEEvT1_
; %bb.0:
	s_endpgm
	.section	.rodata,"a",@progbits
	.p2align	6, 0x0
	.amdhsa_kernel _ZN7rocprim17ROCPRIM_400000_NS6detail17trampoline_kernelINS0_14default_configENS1_25partition_config_selectorILNS1_17partition_subalgoE8EfNS0_10empty_typeEbEEZZNS1_14partition_implILS5_8ELb0ES3_jPKfPS6_PKS6_NS0_5tupleIJPfS6_EEENSE_IJSB_SB_EEENS0_18inequality_wrapperIN6hipcub16HIPCUB_304000_NS8EqualityEEEPlJS6_EEE10hipError_tPvRmT3_T4_T5_T6_T7_T9_mT8_P12ihipStream_tbDpT10_ENKUlT_T0_E_clISt17integral_constantIbLb1EES16_IbLb0EEEEDaS12_S13_EUlS12_E_NS1_11comp_targetILNS1_3genE0ELNS1_11target_archE4294967295ELNS1_3gpuE0ELNS1_3repE0EEENS1_30default_config_static_selectorELNS0_4arch9wavefront6targetE0EEEvT1_
		.amdhsa_group_segment_fixed_size 0
		.amdhsa_private_segment_fixed_size 0
		.amdhsa_kernarg_size 112
		.amdhsa_user_sgpr_count 2
		.amdhsa_user_sgpr_dispatch_ptr 0
		.amdhsa_user_sgpr_queue_ptr 0
		.amdhsa_user_sgpr_kernarg_segment_ptr 1
		.amdhsa_user_sgpr_dispatch_id 0
		.amdhsa_user_sgpr_kernarg_preload_length 0
		.amdhsa_user_sgpr_kernarg_preload_offset 0
		.amdhsa_user_sgpr_private_segment_size 0
		.amdhsa_wavefront_size32 1
		.amdhsa_uses_dynamic_stack 0
		.amdhsa_enable_private_segment 0
		.amdhsa_system_sgpr_workgroup_id_x 1
		.amdhsa_system_sgpr_workgroup_id_y 0
		.amdhsa_system_sgpr_workgroup_id_z 0
		.amdhsa_system_sgpr_workgroup_info 0
		.amdhsa_system_vgpr_workitem_id 0
		.amdhsa_next_free_vgpr 1
		.amdhsa_next_free_sgpr 1
		.amdhsa_named_barrier_count 0
		.amdhsa_reserve_vcc 0
		.amdhsa_float_round_mode_32 0
		.amdhsa_float_round_mode_16_64 0
		.amdhsa_float_denorm_mode_32 3
		.amdhsa_float_denorm_mode_16_64 3
		.amdhsa_fp16_overflow 0
		.amdhsa_memory_ordered 1
		.amdhsa_forward_progress 1
		.amdhsa_inst_pref_size 1
		.amdhsa_round_robin_scheduling 0
		.amdhsa_exception_fp_ieee_invalid_op 0
		.amdhsa_exception_fp_denorm_src 0
		.amdhsa_exception_fp_ieee_div_zero 0
		.amdhsa_exception_fp_ieee_overflow 0
		.amdhsa_exception_fp_ieee_underflow 0
		.amdhsa_exception_fp_ieee_inexact 0
		.amdhsa_exception_int_div_zero 0
	.end_amdhsa_kernel
	.section	.text._ZN7rocprim17ROCPRIM_400000_NS6detail17trampoline_kernelINS0_14default_configENS1_25partition_config_selectorILNS1_17partition_subalgoE8EfNS0_10empty_typeEbEEZZNS1_14partition_implILS5_8ELb0ES3_jPKfPS6_PKS6_NS0_5tupleIJPfS6_EEENSE_IJSB_SB_EEENS0_18inequality_wrapperIN6hipcub16HIPCUB_304000_NS8EqualityEEEPlJS6_EEE10hipError_tPvRmT3_T4_T5_T6_T7_T9_mT8_P12ihipStream_tbDpT10_ENKUlT_T0_E_clISt17integral_constantIbLb1EES16_IbLb0EEEEDaS12_S13_EUlS12_E_NS1_11comp_targetILNS1_3genE0ELNS1_11target_archE4294967295ELNS1_3gpuE0ELNS1_3repE0EEENS1_30default_config_static_selectorELNS0_4arch9wavefront6targetE0EEEvT1_,"axG",@progbits,_ZN7rocprim17ROCPRIM_400000_NS6detail17trampoline_kernelINS0_14default_configENS1_25partition_config_selectorILNS1_17partition_subalgoE8EfNS0_10empty_typeEbEEZZNS1_14partition_implILS5_8ELb0ES3_jPKfPS6_PKS6_NS0_5tupleIJPfS6_EEENSE_IJSB_SB_EEENS0_18inequality_wrapperIN6hipcub16HIPCUB_304000_NS8EqualityEEEPlJS6_EEE10hipError_tPvRmT3_T4_T5_T6_T7_T9_mT8_P12ihipStream_tbDpT10_ENKUlT_T0_E_clISt17integral_constantIbLb1EES16_IbLb0EEEEDaS12_S13_EUlS12_E_NS1_11comp_targetILNS1_3genE0ELNS1_11target_archE4294967295ELNS1_3gpuE0ELNS1_3repE0EEENS1_30default_config_static_selectorELNS0_4arch9wavefront6targetE0EEEvT1_,comdat
.Lfunc_end357:
	.size	_ZN7rocprim17ROCPRIM_400000_NS6detail17trampoline_kernelINS0_14default_configENS1_25partition_config_selectorILNS1_17partition_subalgoE8EfNS0_10empty_typeEbEEZZNS1_14partition_implILS5_8ELb0ES3_jPKfPS6_PKS6_NS0_5tupleIJPfS6_EEENSE_IJSB_SB_EEENS0_18inequality_wrapperIN6hipcub16HIPCUB_304000_NS8EqualityEEEPlJS6_EEE10hipError_tPvRmT3_T4_T5_T6_T7_T9_mT8_P12ihipStream_tbDpT10_ENKUlT_T0_E_clISt17integral_constantIbLb1EES16_IbLb0EEEEDaS12_S13_EUlS12_E_NS1_11comp_targetILNS1_3genE0ELNS1_11target_archE4294967295ELNS1_3gpuE0ELNS1_3repE0EEENS1_30default_config_static_selectorELNS0_4arch9wavefront6targetE0EEEvT1_, .Lfunc_end357-_ZN7rocprim17ROCPRIM_400000_NS6detail17trampoline_kernelINS0_14default_configENS1_25partition_config_selectorILNS1_17partition_subalgoE8EfNS0_10empty_typeEbEEZZNS1_14partition_implILS5_8ELb0ES3_jPKfPS6_PKS6_NS0_5tupleIJPfS6_EEENSE_IJSB_SB_EEENS0_18inequality_wrapperIN6hipcub16HIPCUB_304000_NS8EqualityEEEPlJS6_EEE10hipError_tPvRmT3_T4_T5_T6_T7_T9_mT8_P12ihipStream_tbDpT10_ENKUlT_T0_E_clISt17integral_constantIbLb1EES16_IbLb0EEEEDaS12_S13_EUlS12_E_NS1_11comp_targetILNS1_3genE0ELNS1_11target_archE4294967295ELNS1_3gpuE0ELNS1_3repE0EEENS1_30default_config_static_selectorELNS0_4arch9wavefront6targetE0EEEvT1_
                                        ; -- End function
	.set _ZN7rocprim17ROCPRIM_400000_NS6detail17trampoline_kernelINS0_14default_configENS1_25partition_config_selectorILNS1_17partition_subalgoE8EfNS0_10empty_typeEbEEZZNS1_14partition_implILS5_8ELb0ES3_jPKfPS6_PKS6_NS0_5tupleIJPfS6_EEENSE_IJSB_SB_EEENS0_18inequality_wrapperIN6hipcub16HIPCUB_304000_NS8EqualityEEEPlJS6_EEE10hipError_tPvRmT3_T4_T5_T6_T7_T9_mT8_P12ihipStream_tbDpT10_ENKUlT_T0_E_clISt17integral_constantIbLb1EES16_IbLb0EEEEDaS12_S13_EUlS12_E_NS1_11comp_targetILNS1_3genE0ELNS1_11target_archE4294967295ELNS1_3gpuE0ELNS1_3repE0EEENS1_30default_config_static_selectorELNS0_4arch9wavefront6targetE0EEEvT1_.num_vgpr, 0
	.set _ZN7rocprim17ROCPRIM_400000_NS6detail17trampoline_kernelINS0_14default_configENS1_25partition_config_selectorILNS1_17partition_subalgoE8EfNS0_10empty_typeEbEEZZNS1_14partition_implILS5_8ELb0ES3_jPKfPS6_PKS6_NS0_5tupleIJPfS6_EEENSE_IJSB_SB_EEENS0_18inequality_wrapperIN6hipcub16HIPCUB_304000_NS8EqualityEEEPlJS6_EEE10hipError_tPvRmT3_T4_T5_T6_T7_T9_mT8_P12ihipStream_tbDpT10_ENKUlT_T0_E_clISt17integral_constantIbLb1EES16_IbLb0EEEEDaS12_S13_EUlS12_E_NS1_11comp_targetILNS1_3genE0ELNS1_11target_archE4294967295ELNS1_3gpuE0ELNS1_3repE0EEENS1_30default_config_static_selectorELNS0_4arch9wavefront6targetE0EEEvT1_.num_agpr, 0
	.set _ZN7rocprim17ROCPRIM_400000_NS6detail17trampoline_kernelINS0_14default_configENS1_25partition_config_selectorILNS1_17partition_subalgoE8EfNS0_10empty_typeEbEEZZNS1_14partition_implILS5_8ELb0ES3_jPKfPS6_PKS6_NS0_5tupleIJPfS6_EEENSE_IJSB_SB_EEENS0_18inequality_wrapperIN6hipcub16HIPCUB_304000_NS8EqualityEEEPlJS6_EEE10hipError_tPvRmT3_T4_T5_T6_T7_T9_mT8_P12ihipStream_tbDpT10_ENKUlT_T0_E_clISt17integral_constantIbLb1EES16_IbLb0EEEEDaS12_S13_EUlS12_E_NS1_11comp_targetILNS1_3genE0ELNS1_11target_archE4294967295ELNS1_3gpuE0ELNS1_3repE0EEENS1_30default_config_static_selectorELNS0_4arch9wavefront6targetE0EEEvT1_.numbered_sgpr, 0
	.set _ZN7rocprim17ROCPRIM_400000_NS6detail17trampoline_kernelINS0_14default_configENS1_25partition_config_selectorILNS1_17partition_subalgoE8EfNS0_10empty_typeEbEEZZNS1_14partition_implILS5_8ELb0ES3_jPKfPS6_PKS6_NS0_5tupleIJPfS6_EEENSE_IJSB_SB_EEENS0_18inequality_wrapperIN6hipcub16HIPCUB_304000_NS8EqualityEEEPlJS6_EEE10hipError_tPvRmT3_T4_T5_T6_T7_T9_mT8_P12ihipStream_tbDpT10_ENKUlT_T0_E_clISt17integral_constantIbLb1EES16_IbLb0EEEEDaS12_S13_EUlS12_E_NS1_11comp_targetILNS1_3genE0ELNS1_11target_archE4294967295ELNS1_3gpuE0ELNS1_3repE0EEENS1_30default_config_static_selectorELNS0_4arch9wavefront6targetE0EEEvT1_.num_named_barrier, 0
	.set _ZN7rocprim17ROCPRIM_400000_NS6detail17trampoline_kernelINS0_14default_configENS1_25partition_config_selectorILNS1_17partition_subalgoE8EfNS0_10empty_typeEbEEZZNS1_14partition_implILS5_8ELb0ES3_jPKfPS6_PKS6_NS0_5tupleIJPfS6_EEENSE_IJSB_SB_EEENS0_18inequality_wrapperIN6hipcub16HIPCUB_304000_NS8EqualityEEEPlJS6_EEE10hipError_tPvRmT3_T4_T5_T6_T7_T9_mT8_P12ihipStream_tbDpT10_ENKUlT_T0_E_clISt17integral_constantIbLb1EES16_IbLb0EEEEDaS12_S13_EUlS12_E_NS1_11comp_targetILNS1_3genE0ELNS1_11target_archE4294967295ELNS1_3gpuE0ELNS1_3repE0EEENS1_30default_config_static_selectorELNS0_4arch9wavefront6targetE0EEEvT1_.private_seg_size, 0
	.set _ZN7rocprim17ROCPRIM_400000_NS6detail17trampoline_kernelINS0_14default_configENS1_25partition_config_selectorILNS1_17partition_subalgoE8EfNS0_10empty_typeEbEEZZNS1_14partition_implILS5_8ELb0ES3_jPKfPS6_PKS6_NS0_5tupleIJPfS6_EEENSE_IJSB_SB_EEENS0_18inequality_wrapperIN6hipcub16HIPCUB_304000_NS8EqualityEEEPlJS6_EEE10hipError_tPvRmT3_T4_T5_T6_T7_T9_mT8_P12ihipStream_tbDpT10_ENKUlT_T0_E_clISt17integral_constantIbLb1EES16_IbLb0EEEEDaS12_S13_EUlS12_E_NS1_11comp_targetILNS1_3genE0ELNS1_11target_archE4294967295ELNS1_3gpuE0ELNS1_3repE0EEENS1_30default_config_static_selectorELNS0_4arch9wavefront6targetE0EEEvT1_.uses_vcc, 0
	.set _ZN7rocprim17ROCPRIM_400000_NS6detail17trampoline_kernelINS0_14default_configENS1_25partition_config_selectorILNS1_17partition_subalgoE8EfNS0_10empty_typeEbEEZZNS1_14partition_implILS5_8ELb0ES3_jPKfPS6_PKS6_NS0_5tupleIJPfS6_EEENSE_IJSB_SB_EEENS0_18inequality_wrapperIN6hipcub16HIPCUB_304000_NS8EqualityEEEPlJS6_EEE10hipError_tPvRmT3_T4_T5_T6_T7_T9_mT8_P12ihipStream_tbDpT10_ENKUlT_T0_E_clISt17integral_constantIbLb1EES16_IbLb0EEEEDaS12_S13_EUlS12_E_NS1_11comp_targetILNS1_3genE0ELNS1_11target_archE4294967295ELNS1_3gpuE0ELNS1_3repE0EEENS1_30default_config_static_selectorELNS0_4arch9wavefront6targetE0EEEvT1_.uses_flat_scratch, 0
	.set _ZN7rocprim17ROCPRIM_400000_NS6detail17trampoline_kernelINS0_14default_configENS1_25partition_config_selectorILNS1_17partition_subalgoE8EfNS0_10empty_typeEbEEZZNS1_14partition_implILS5_8ELb0ES3_jPKfPS6_PKS6_NS0_5tupleIJPfS6_EEENSE_IJSB_SB_EEENS0_18inequality_wrapperIN6hipcub16HIPCUB_304000_NS8EqualityEEEPlJS6_EEE10hipError_tPvRmT3_T4_T5_T6_T7_T9_mT8_P12ihipStream_tbDpT10_ENKUlT_T0_E_clISt17integral_constantIbLb1EES16_IbLb0EEEEDaS12_S13_EUlS12_E_NS1_11comp_targetILNS1_3genE0ELNS1_11target_archE4294967295ELNS1_3gpuE0ELNS1_3repE0EEENS1_30default_config_static_selectorELNS0_4arch9wavefront6targetE0EEEvT1_.has_dyn_sized_stack, 0
	.set _ZN7rocprim17ROCPRIM_400000_NS6detail17trampoline_kernelINS0_14default_configENS1_25partition_config_selectorILNS1_17partition_subalgoE8EfNS0_10empty_typeEbEEZZNS1_14partition_implILS5_8ELb0ES3_jPKfPS6_PKS6_NS0_5tupleIJPfS6_EEENSE_IJSB_SB_EEENS0_18inequality_wrapperIN6hipcub16HIPCUB_304000_NS8EqualityEEEPlJS6_EEE10hipError_tPvRmT3_T4_T5_T6_T7_T9_mT8_P12ihipStream_tbDpT10_ENKUlT_T0_E_clISt17integral_constantIbLb1EES16_IbLb0EEEEDaS12_S13_EUlS12_E_NS1_11comp_targetILNS1_3genE0ELNS1_11target_archE4294967295ELNS1_3gpuE0ELNS1_3repE0EEENS1_30default_config_static_selectorELNS0_4arch9wavefront6targetE0EEEvT1_.has_recursion, 0
	.set _ZN7rocprim17ROCPRIM_400000_NS6detail17trampoline_kernelINS0_14default_configENS1_25partition_config_selectorILNS1_17partition_subalgoE8EfNS0_10empty_typeEbEEZZNS1_14partition_implILS5_8ELb0ES3_jPKfPS6_PKS6_NS0_5tupleIJPfS6_EEENSE_IJSB_SB_EEENS0_18inequality_wrapperIN6hipcub16HIPCUB_304000_NS8EqualityEEEPlJS6_EEE10hipError_tPvRmT3_T4_T5_T6_T7_T9_mT8_P12ihipStream_tbDpT10_ENKUlT_T0_E_clISt17integral_constantIbLb1EES16_IbLb0EEEEDaS12_S13_EUlS12_E_NS1_11comp_targetILNS1_3genE0ELNS1_11target_archE4294967295ELNS1_3gpuE0ELNS1_3repE0EEENS1_30default_config_static_selectorELNS0_4arch9wavefront6targetE0EEEvT1_.has_indirect_call, 0
	.section	.AMDGPU.csdata,"",@progbits
; Kernel info:
; codeLenInByte = 4
; TotalNumSgprs: 0
; NumVgprs: 0
; ScratchSize: 0
; MemoryBound: 0
; FloatMode: 240
; IeeeMode: 1
; LDSByteSize: 0 bytes/workgroup (compile time only)
; SGPRBlocks: 0
; VGPRBlocks: 0
; NumSGPRsForWavesPerEU: 1
; NumVGPRsForWavesPerEU: 1
; NamedBarCnt: 0
; Occupancy: 16
; WaveLimiterHint : 0
; COMPUTE_PGM_RSRC2:SCRATCH_EN: 0
; COMPUTE_PGM_RSRC2:USER_SGPR: 2
; COMPUTE_PGM_RSRC2:TRAP_HANDLER: 0
; COMPUTE_PGM_RSRC2:TGID_X_EN: 1
; COMPUTE_PGM_RSRC2:TGID_Y_EN: 0
; COMPUTE_PGM_RSRC2:TGID_Z_EN: 0
; COMPUTE_PGM_RSRC2:TIDIG_COMP_CNT: 0
	.section	.text._ZN7rocprim17ROCPRIM_400000_NS6detail17trampoline_kernelINS0_14default_configENS1_25partition_config_selectorILNS1_17partition_subalgoE8EfNS0_10empty_typeEbEEZZNS1_14partition_implILS5_8ELb0ES3_jPKfPS6_PKS6_NS0_5tupleIJPfS6_EEENSE_IJSB_SB_EEENS0_18inequality_wrapperIN6hipcub16HIPCUB_304000_NS8EqualityEEEPlJS6_EEE10hipError_tPvRmT3_T4_T5_T6_T7_T9_mT8_P12ihipStream_tbDpT10_ENKUlT_T0_E_clISt17integral_constantIbLb1EES16_IbLb0EEEEDaS12_S13_EUlS12_E_NS1_11comp_targetILNS1_3genE5ELNS1_11target_archE942ELNS1_3gpuE9ELNS1_3repE0EEENS1_30default_config_static_selectorELNS0_4arch9wavefront6targetE0EEEvT1_,"axG",@progbits,_ZN7rocprim17ROCPRIM_400000_NS6detail17trampoline_kernelINS0_14default_configENS1_25partition_config_selectorILNS1_17partition_subalgoE8EfNS0_10empty_typeEbEEZZNS1_14partition_implILS5_8ELb0ES3_jPKfPS6_PKS6_NS0_5tupleIJPfS6_EEENSE_IJSB_SB_EEENS0_18inequality_wrapperIN6hipcub16HIPCUB_304000_NS8EqualityEEEPlJS6_EEE10hipError_tPvRmT3_T4_T5_T6_T7_T9_mT8_P12ihipStream_tbDpT10_ENKUlT_T0_E_clISt17integral_constantIbLb1EES16_IbLb0EEEEDaS12_S13_EUlS12_E_NS1_11comp_targetILNS1_3genE5ELNS1_11target_archE942ELNS1_3gpuE9ELNS1_3repE0EEENS1_30default_config_static_selectorELNS0_4arch9wavefront6targetE0EEEvT1_,comdat
	.protected	_ZN7rocprim17ROCPRIM_400000_NS6detail17trampoline_kernelINS0_14default_configENS1_25partition_config_selectorILNS1_17partition_subalgoE8EfNS0_10empty_typeEbEEZZNS1_14partition_implILS5_8ELb0ES3_jPKfPS6_PKS6_NS0_5tupleIJPfS6_EEENSE_IJSB_SB_EEENS0_18inequality_wrapperIN6hipcub16HIPCUB_304000_NS8EqualityEEEPlJS6_EEE10hipError_tPvRmT3_T4_T5_T6_T7_T9_mT8_P12ihipStream_tbDpT10_ENKUlT_T0_E_clISt17integral_constantIbLb1EES16_IbLb0EEEEDaS12_S13_EUlS12_E_NS1_11comp_targetILNS1_3genE5ELNS1_11target_archE942ELNS1_3gpuE9ELNS1_3repE0EEENS1_30default_config_static_selectorELNS0_4arch9wavefront6targetE0EEEvT1_ ; -- Begin function _ZN7rocprim17ROCPRIM_400000_NS6detail17trampoline_kernelINS0_14default_configENS1_25partition_config_selectorILNS1_17partition_subalgoE8EfNS0_10empty_typeEbEEZZNS1_14partition_implILS5_8ELb0ES3_jPKfPS6_PKS6_NS0_5tupleIJPfS6_EEENSE_IJSB_SB_EEENS0_18inequality_wrapperIN6hipcub16HIPCUB_304000_NS8EqualityEEEPlJS6_EEE10hipError_tPvRmT3_T4_T5_T6_T7_T9_mT8_P12ihipStream_tbDpT10_ENKUlT_T0_E_clISt17integral_constantIbLb1EES16_IbLb0EEEEDaS12_S13_EUlS12_E_NS1_11comp_targetILNS1_3genE5ELNS1_11target_archE942ELNS1_3gpuE9ELNS1_3repE0EEENS1_30default_config_static_selectorELNS0_4arch9wavefront6targetE0EEEvT1_
	.globl	_ZN7rocprim17ROCPRIM_400000_NS6detail17trampoline_kernelINS0_14default_configENS1_25partition_config_selectorILNS1_17partition_subalgoE8EfNS0_10empty_typeEbEEZZNS1_14partition_implILS5_8ELb0ES3_jPKfPS6_PKS6_NS0_5tupleIJPfS6_EEENSE_IJSB_SB_EEENS0_18inequality_wrapperIN6hipcub16HIPCUB_304000_NS8EqualityEEEPlJS6_EEE10hipError_tPvRmT3_T4_T5_T6_T7_T9_mT8_P12ihipStream_tbDpT10_ENKUlT_T0_E_clISt17integral_constantIbLb1EES16_IbLb0EEEEDaS12_S13_EUlS12_E_NS1_11comp_targetILNS1_3genE5ELNS1_11target_archE942ELNS1_3gpuE9ELNS1_3repE0EEENS1_30default_config_static_selectorELNS0_4arch9wavefront6targetE0EEEvT1_
	.p2align	8
	.type	_ZN7rocprim17ROCPRIM_400000_NS6detail17trampoline_kernelINS0_14default_configENS1_25partition_config_selectorILNS1_17partition_subalgoE8EfNS0_10empty_typeEbEEZZNS1_14partition_implILS5_8ELb0ES3_jPKfPS6_PKS6_NS0_5tupleIJPfS6_EEENSE_IJSB_SB_EEENS0_18inequality_wrapperIN6hipcub16HIPCUB_304000_NS8EqualityEEEPlJS6_EEE10hipError_tPvRmT3_T4_T5_T6_T7_T9_mT8_P12ihipStream_tbDpT10_ENKUlT_T0_E_clISt17integral_constantIbLb1EES16_IbLb0EEEEDaS12_S13_EUlS12_E_NS1_11comp_targetILNS1_3genE5ELNS1_11target_archE942ELNS1_3gpuE9ELNS1_3repE0EEENS1_30default_config_static_selectorELNS0_4arch9wavefront6targetE0EEEvT1_,@function
_ZN7rocprim17ROCPRIM_400000_NS6detail17trampoline_kernelINS0_14default_configENS1_25partition_config_selectorILNS1_17partition_subalgoE8EfNS0_10empty_typeEbEEZZNS1_14partition_implILS5_8ELb0ES3_jPKfPS6_PKS6_NS0_5tupleIJPfS6_EEENSE_IJSB_SB_EEENS0_18inequality_wrapperIN6hipcub16HIPCUB_304000_NS8EqualityEEEPlJS6_EEE10hipError_tPvRmT3_T4_T5_T6_T7_T9_mT8_P12ihipStream_tbDpT10_ENKUlT_T0_E_clISt17integral_constantIbLb1EES16_IbLb0EEEEDaS12_S13_EUlS12_E_NS1_11comp_targetILNS1_3genE5ELNS1_11target_archE942ELNS1_3gpuE9ELNS1_3repE0EEENS1_30default_config_static_selectorELNS0_4arch9wavefront6targetE0EEEvT1_: ; @_ZN7rocprim17ROCPRIM_400000_NS6detail17trampoline_kernelINS0_14default_configENS1_25partition_config_selectorILNS1_17partition_subalgoE8EfNS0_10empty_typeEbEEZZNS1_14partition_implILS5_8ELb0ES3_jPKfPS6_PKS6_NS0_5tupleIJPfS6_EEENSE_IJSB_SB_EEENS0_18inequality_wrapperIN6hipcub16HIPCUB_304000_NS8EqualityEEEPlJS6_EEE10hipError_tPvRmT3_T4_T5_T6_T7_T9_mT8_P12ihipStream_tbDpT10_ENKUlT_T0_E_clISt17integral_constantIbLb1EES16_IbLb0EEEEDaS12_S13_EUlS12_E_NS1_11comp_targetILNS1_3genE5ELNS1_11target_archE942ELNS1_3gpuE9ELNS1_3repE0EEENS1_30default_config_static_selectorELNS0_4arch9wavefront6targetE0EEEvT1_
; %bb.0:
	.section	.rodata,"a",@progbits
	.p2align	6, 0x0
	.amdhsa_kernel _ZN7rocprim17ROCPRIM_400000_NS6detail17trampoline_kernelINS0_14default_configENS1_25partition_config_selectorILNS1_17partition_subalgoE8EfNS0_10empty_typeEbEEZZNS1_14partition_implILS5_8ELb0ES3_jPKfPS6_PKS6_NS0_5tupleIJPfS6_EEENSE_IJSB_SB_EEENS0_18inequality_wrapperIN6hipcub16HIPCUB_304000_NS8EqualityEEEPlJS6_EEE10hipError_tPvRmT3_T4_T5_T6_T7_T9_mT8_P12ihipStream_tbDpT10_ENKUlT_T0_E_clISt17integral_constantIbLb1EES16_IbLb0EEEEDaS12_S13_EUlS12_E_NS1_11comp_targetILNS1_3genE5ELNS1_11target_archE942ELNS1_3gpuE9ELNS1_3repE0EEENS1_30default_config_static_selectorELNS0_4arch9wavefront6targetE0EEEvT1_
		.amdhsa_group_segment_fixed_size 0
		.amdhsa_private_segment_fixed_size 0
		.amdhsa_kernarg_size 112
		.amdhsa_user_sgpr_count 2
		.amdhsa_user_sgpr_dispatch_ptr 0
		.amdhsa_user_sgpr_queue_ptr 0
		.amdhsa_user_sgpr_kernarg_segment_ptr 1
		.amdhsa_user_sgpr_dispatch_id 0
		.amdhsa_user_sgpr_kernarg_preload_length 0
		.amdhsa_user_sgpr_kernarg_preload_offset 0
		.amdhsa_user_sgpr_private_segment_size 0
		.amdhsa_wavefront_size32 1
		.amdhsa_uses_dynamic_stack 0
		.amdhsa_enable_private_segment 0
		.amdhsa_system_sgpr_workgroup_id_x 1
		.amdhsa_system_sgpr_workgroup_id_y 0
		.amdhsa_system_sgpr_workgroup_id_z 0
		.amdhsa_system_sgpr_workgroup_info 0
		.amdhsa_system_vgpr_workitem_id 0
		.amdhsa_next_free_vgpr 1
		.amdhsa_next_free_sgpr 1
		.amdhsa_named_barrier_count 0
		.amdhsa_reserve_vcc 0
		.amdhsa_float_round_mode_32 0
		.amdhsa_float_round_mode_16_64 0
		.amdhsa_float_denorm_mode_32 3
		.amdhsa_float_denorm_mode_16_64 3
		.amdhsa_fp16_overflow 0
		.amdhsa_memory_ordered 1
		.amdhsa_forward_progress 1
		.amdhsa_inst_pref_size 0
		.amdhsa_round_robin_scheduling 0
		.amdhsa_exception_fp_ieee_invalid_op 0
		.amdhsa_exception_fp_denorm_src 0
		.amdhsa_exception_fp_ieee_div_zero 0
		.amdhsa_exception_fp_ieee_overflow 0
		.amdhsa_exception_fp_ieee_underflow 0
		.amdhsa_exception_fp_ieee_inexact 0
		.amdhsa_exception_int_div_zero 0
	.end_amdhsa_kernel
	.section	.text._ZN7rocprim17ROCPRIM_400000_NS6detail17trampoline_kernelINS0_14default_configENS1_25partition_config_selectorILNS1_17partition_subalgoE8EfNS0_10empty_typeEbEEZZNS1_14partition_implILS5_8ELb0ES3_jPKfPS6_PKS6_NS0_5tupleIJPfS6_EEENSE_IJSB_SB_EEENS0_18inequality_wrapperIN6hipcub16HIPCUB_304000_NS8EqualityEEEPlJS6_EEE10hipError_tPvRmT3_T4_T5_T6_T7_T9_mT8_P12ihipStream_tbDpT10_ENKUlT_T0_E_clISt17integral_constantIbLb1EES16_IbLb0EEEEDaS12_S13_EUlS12_E_NS1_11comp_targetILNS1_3genE5ELNS1_11target_archE942ELNS1_3gpuE9ELNS1_3repE0EEENS1_30default_config_static_selectorELNS0_4arch9wavefront6targetE0EEEvT1_,"axG",@progbits,_ZN7rocprim17ROCPRIM_400000_NS6detail17trampoline_kernelINS0_14default_configENS1_25partition_config_selectorILNS1_17partition_subalgoE8EfNS0_10empty_typeEbEEZZNS1_14partition_implILS5_8ELb0ES3_jPKfPS6_PKS6_NS0_5tupleIJPfS6_EEENSE_IJSB_SB_EEENS0_18inequality_wrapperIN6hipcub16HIPCUB_304000_NS8EqualityEEEPlJS6_EEE10hipError_tPvRmT3_T4_T5_T6_T7_T9_mT8_P12ihipStream_tbDpT10_ENKUlT_T0_E_clISt17integral_constantIbLb1EES16_IbLb0EEEEDaS12_S13_EUlS12_E_NS1_11comp_targetILNS1_3genE5ELNS1_11target_archE942ELNS1_3gpuE9ELNS1_3repE0EEENS1_30default_config_static_selectorELNS0_4arch9wavefront6targetE0EEEvT1_,comdat
.Lfunc_end358:
	.size	_ZN7rocprim17ROCPRIM_400000_NS6detail17trampoline_kernelINS0_14default_configENS1_25partition_config_selectorILNS1_17partition_subalgoE8EfNS0_10empty_typeEbEEZZNS1_14partition_implILS5_8ELb0ES3_jPKfPS6_PKS6_NS0_5tupleIJPfS6_EEENSE_IJSB_SB_EEENS0_18inequality_wrapperIN6hipcub16HIPCUB_304000_NS8EqualityEEEPlJS6_EEE10hipError_tPvRmT3_T4_T5_T6_T7_T9_mT8_P12ihipStream_tbDpT10_ENKUlT_T0_E_clISt17integral_constantIbLb1EES16_IbLb0EEEEDaS12_S13_EUlS12_E_NS1_11comp_targetILNS1_3genE5ELNS1_11target_archE942ELNS1_3gpuE9ELNS1_3repE0EEENS1_30default_config_static_selectorELNS0_4arch9wavefront6targetE0EEEvT1_, .Lfunc_end358-_ZN7rocprim17ROCPRIM_400000_NS6detail17trampoline_kernelINS0_14default_configENS1_25partition_config_selectorILNS1_17partition_subalgoE8EfNS0_10empty_typeEbEEZZNS1_14partition_implILS5_8ELb0ES3_jPKfPS6_PKS6_NS0_5tupleIJPfS6_EEENSE_IJSB_SB_EEENS0_18inequality_wrapperIN6hipcub16HIPCUB_304000_NS8EqualityEEEPlJS6_EEE10hipError_tPvRmT3_T4_T5_T6_T7_T9_mT8_P12ihipStream_tbDpT10_ENKUlT_T0_E_clISt17integral_constantIbLb1EES16_IbLb0EEEEDaS12_S13_EUlS12_E_NS1_11comp_targetILNS1_3genE5ELNS1_11target_archE942ELNS1_3gpuE9ELNS1_3repE0EEENS1_30default_config_static_selectorELNS0_4arch9wavefront6targetE0EEEvT1_
                                        ; -- End function
	.set _ZN7rocprim17ROCPRIM_400000_NS6detail17trampoline_kernelINS0_14default_configENS1_25partition_config_selectorILNS1_17partition_subalgoE8EfNS0_10empty_typeEbEEZZNS1_14partition_implILS5_8ELb0ES3_jPKfPS6_PKS6_NS0_5tupleIJPfS6_EEENSE_IJSB_SB_EEENS0_18inequality_wrapperIN6hipcub16HIPCUB_304000_NS8EqualityEEEPlJS6_EEE10hipError_tPvRmT3_T4_T5_T6_T7_T9_mT8_P12ihipStream_tbDpT10_ENKUlT_T0_E_clISt17integral_constantIbLb1EES16_IbLb0EEEEDaS12_S13_EUlS12_E_NS1_11comp_targetILNS1_3genE5ELNS1_11target_archE942ELNS1_3gpuE9ELNS1_3repE0EEENS1_30default_config_static_selectorELNS0_4arch9wavefront6targetE0EEEvT1_.num_vgpr, 0
	.set _ZN7rocprim17ROCPRIM_400000_NS6detail17trampoline_kernelINS0_14default_configENS1_25partition_config_selectorILNS1_17partition_subalgoE8EfNS0_10empty_typeEbEEZZNS1_14partition_implILS5_8ELb0ES3_jPKfPS6_PKS6_NS0_5tupleIJPfS6_EEENSE_IJSB_SB_EEENS0_18inequality_wrapperIN6hipcub16HIPCUB_304000_NS8EqualityEEEPlJS6_EEE10hipError_tPvRmT3_T4_T5_T6_T7_T9_mT8_P12ihipStream_tbDpT10_ENKUlT_T0_E_clISt17integral_constantIbLb1EES16_IbLb0EEEEDaS12_S13_EUlS12_E_NS1_11comp_targetILNS1_3genE5ELNS1_11target_archE942ELNS1_3gpuE9ELNS1_3repE0EEENS1_30default_config_static_selectorELNS0_4arch9wavefront6targetE0EEEvT1_.num_agpr, 0
	.set _ZN7rocprim17ROCPRIM_400000_NS6detail17trampoline_kernelINS0_14default_configENS1_25partition_config_selectorILNS1_17partition_subalgoE8EfNS0_10empty_typeEbEEZZNS1_14partition_implILS5_8ELb0ES3_jPKfPS6_PKS6_NS0_5tupleIJPfS6_EEENSE_IJSB_SB_EEENS0_18inequality_wrapperIN6hipcub16HIPCUB_304000_NS8EqualityEEEPlJS6_EEE10hipError_tPvRmT3_T4_T5_T6_T7_T9_mT8_P12ihipStream_tbDpT10_ENKUlT_T0_E_clISt17integral_constantIbLb1EES16_IbLb0EEEEDaS12_S13_EUlS12_E_NS1_11comp_targetILNS1_3genE5ELNS1_11target_archE942ELNS1_3gpuE9ELNS1_3repE0EEENS1_30default_config_static_selectorELNS0_4arch9wavefront6targetE0EEEvT1_.numbered_sgpr, 0
	.set _ZN7rocprim17ROCPRIM_400000_NS6detail17trampoline_kernelINS0_14default_configENS1_25partition_config_selectorILNS1_17partition_subalgoE8EfNS0_10empty_typeEbEEZZNS1_14partition_implILS5_8ELb0ES3_jPKfPS6_PKS6_NS0_5tupleIJPfS6_EEENSE_IJSB_SB_EEENS0_18inequality_wrapperIN6hipcub16HIPCUB_304000_NS8EqualityEEEPlJS6_EEE10hipError_tPvRmT3_T4_T5_T6_T7_T9_mT8_P12ihipStream_tbDpT10_ENKUlT_T0_E_clISt17integral_constantIbLb1EES16_IbLb0EEEEDaS12_S13_EUlS12_E_NS1_11comp_targetILNS1_3genE5ELNS1_11target_archE942ELNS1_3gpuE9ELNS1_3repE0EEENS1_30default_config_static_selectorELNS0_4arch9wavefront6targetE0EEEvT1_.num_named_barrier, 0
	.set _ZN7rocprim17ROCPRIM_400000_NS6detail17trampoline_kernelINS0_14default_configENS1_25partition_config_selectorILNS1_17partition_subalgoE8EfNS0_10empty_typeEbEEZZNS1_14partition_implILS5_8ELb0ES3_jPKfPS6_PKS6_NS0_5tupleIJPfS6_EEENSE_IJSB_SB_EEENS0_18inequality_wrapperIN6hipcub16HIPCUB_304000_NS8EqualityEEEPlJS6_EEE10hipError_tPvRmT3_T4_T5_T6_T7_T9_mT8_P12ihipStream_tbDpT10_ENKUlT_T0_E_clISt17integral_constantIbLb1EES16_IbLb0EEEEDaS12_S13_EUlS12_E_NS1_11comp_targetILNS1_3genE5ELNS1_11target_archE942ELNS1_3gpuE9ELNS1_3repE0EEENS1_30default_config_static_selectorELNS0_4arch9wavefront6targetE0EEEvT1_.private_seg_size, 0
	.set _ZN7rocprim17ROCPRIM_400000_NS6detail17trampoline_kernelINS0_14default_configENS1_25partition_config_selectorILNS1_17partition_subalgoE8EfNS0_10empty_typeEbEEZZNS1_14partition_implILS5_8ELb0ES3_jPKfPS6_PKS6_NS0_5tupleIJPfS6_EEENSE_IJSB_SB_EEENS0_18inequality_wrapperIN6hipcub16HIPCUB_304000_NS8EqualityEEEPlJS6_EEE10hipError_tPvRmT3_T4_T5_T6_T7_T9_mT8_P12ihipStream_tbDpT10_ENKUlT_T0_E_clISt17integral_constantIbLb1EES16_IbLb0EEEEDaS12_S13_EUlS12_E_NS1_11comp_targetILNS1_3genE5ELNS1_11target_archE942ELNS1_3gpuE9ELNS1_3repE0EEENS1_30default_config_static_selectorELNS0_4arch9wavefront6targetE0EEEvT1_.uses_vcc, 0
	.set _ZN7rocprim17ROCPRIM_400000_NS6detail17trampoline_kernelINS0_14default_configENS1_25partition_config_selectorILNS1_17partition_subalgoE8EfNS0_10empty_typeEbEEZZNS1_14partition_implILS5_8ELb0ES3_jPKfPS6_PKS6_NS0_5tupleIJPfS6_EEENSE_IJSB_SB_EEENS0_18inequality_wrapperIN6hipcub16HIPCUB_304000_NS8EqualityEEEPlJS6_EEE10hipError_tPvRmT3_T4_T5_T6_T7_T9_mT8_P12ihipStream_tbDpT10_ENKUlT_T0_E_clISt17integral_constantIbLb1EES16_IbLb0EEEEDaS12_S13_EUlS12_E_NS1_11comp_targetILNS1_3genE5ELNS1_11target_archE942ELNS1_3gpuE9ELNS1_3repE0EEENS1_30default_config_static_selectorELNS0_4arch9wavefront6targetE0EEEvT1_.uses_flat_scratch, 0
	.set _ZN7rocprim17ROCPRIM_400000_NS6detail17trampoline_kernelINS0_14default_configENS1_25partition_config_selectorILNS1_17partition_subalgoE8EfNS0_10empty_typeEbEEZZNS1_14partition_implILS5_8ELb0ES3_jPKfPS6_PKS6_NS0_5tupleIJPfS6_EEENSE_IJSB_SB_EEENS0_18inequality_wrapperIN6hipcub16HIPCUB_304000_NS8EqualityEEEPlJS6_EEE10hipError_tPvRmT3_T4_T5_T6_T7_T9_mT8_P12ihipStream_tbDpT10_ENKUlT_T0_E_clISt17integral_constantIbLb1EES16_IbLb0EEEEDaS12_S13_EUlS12_E_NS1_11comp_targetILNS1_3genE5ELNS1_11target_archE942ELNS1_3gpuE9ELNS1_3repE0EEENS1_30default_config_static_selectorELNS0_4arch9wavefront6targetE0EEEvT1_.has_dyn_sized_stack, 0
	.set _ZN7rocprim17ROCPRIM_400000_NS6detail17trampoline_kernelINS0_14default_configENS1_25partition_config_selectorILNS1_17partition_subalgoE8EfNS0_10empty_typeEbEEZZNS1_14partition_implILS5_8ELb0ES3_jPKfPS6_PKS6_NS0_5tupleIJPfS6_EEENSE_IJSB_SB_EEENS0_18inequality_wrapperIN6hipcub16HIPCUB_304000_NS8EqualityEEEPlJS6_EEE10hipError_tPvRmT3_T4_T5_T6_T7_T9_mT8_P12ihipStream_tbDpT10_ENKUlT_T0_E_clISt17integral_constantIbLb1EES16_IbLb0EEEEDaS12_S13_EUlS12_E_NS1_11comp_targetILNS1_3genE5ELNS1_11target_archE942ELNS1_3gpuE9ELNS1_3repE0EEENS1_30default_config_static_selectorELNS0_4arch9wavefront6targetE0EEEvT1_.has_recursion, 0
	.set _ZN7rocprim17ROCPRIM_400000_NS6detail17trampoline_kernelINS0_14default_configENS1_25partition_config_selectorILNS1_17partition_subalgoE8EfNS0_10empty_typeEbEEZZNS1_14partition_implILS5_8ELb0ES3_jPKfPS6_PKS6_NS0_5tupleIJPfS6_EEENSE_IJSB_SB_EEENS0_18inequality_wrapperIN6hipcub16HIPCUB_304000_NS8EqualityEEEPlJS6_EEE10hipError_tPvRmT3_T4_T5_T6_T7_T9_mT8_P12ihipStream_tbDpT10_ENKUlT_T0_E_clISt17integral_constantIbLb1EES16_IbLb0EEEEDaS12_S13_EUlS12_E_NS1_11comp_targetILNS1_3genE5ELNS1_11target_archE942ELNS1_3gpuE9ELNS1_3repE0EEENS1_30default_config_static_selectorELNS0_4arch9wavefront6targetE0EEEvT1_.has_indirect_call, 0
	.section	.AMDGPU.csdata,"",@progbits
; Kernel info:
; codeLenInByte = 0
; TotalNumSgprs: 0
; NumVgprs: 0
; ScratchSize: 0
; MemoryBound: 0
; FloatMode: 240
; IeeeMode: 1
; LDSByteSize: 0 bytes/workgroup (compile time only)
; SGPRBlocks: 0
; VGPRBlocks: 0
; NumSGPRsForWavesPerEU: 1
; NumVGPRsForWavesPerEU: 1
; NamedBarCnt: 0
; Occupancy: 16
; WaveLimiterHint : 0
; COMPUTE_PGM_RSRC2:SCRATCH_EN: 0
; COMPUTE_PGM_RSRC2:USER_SGPR: 2
; COMPUTE_PGM_RSRC2:TRAP_HANDLER: 0
; COMPUTE_PGM_RSRC2:TGID_X_EN: 1
; COMPUTE_PGM_RSRC2:TGID_Y_EN: 0
; COMPUTE_PGM_RSRC2:TGID_Z_EN: 0
; COMPUTE_PGM_RSRC2:TIDIG_COMP_CNT: 0
	.section	.text._ZN7rocprim17ROCPRIM_400000_NS6detail17trampoline_kernelINS0_14default_configENS1_25partition_config_selectorILNS1_17partition_subalgoE8EfNS0_10empty_typeEbEEZZNS1_14partition_implILS5_8ELb0ES3_jPKfPS6_PKS6_NS0_5tupleIJPfS6_EEENSE_IJSB_SB_EEENS0_18inequality_wrapperIN6hipcub16HIPCUB_304000_NS8EqualityEEEPlJS6_EEE10hipError_tPvRmT3_T4_T5_T6_T7_T9_mT8_P12ihipStream_tbDpT10_ENKUlT_T0_E_clISt17integral_constantIbLb1EES16_IbLb0EEEEDaS12_S13_EUlS12_E_NS1_11comp_targetILNS1_3genE4ELNS1_11target_archE910ELNS1_3gpuE8ELNS1_3repE0EEENS1_30default_config_static_selectorELNS0_4arch9wavefront6targetE0EEEvT1_,"axG",@progbits,_ZN7rocprim17ROCPRIM_400000_NS6detail17trampoline_kernelINS0_14default_configENS1_25partition_config_selectorILNS1_17partition_subalgoE8EfNS0_10empty_typeEbEEZZNS1_14partition_implILS5_8ELb0ES3_jPKfPS6_PKS6_NS0_5tupleIJPfS6_EEENSE_IJSB_SB_EEENS0_18inequality_wrapperIN6hipcub16HIPCUB_304000_NS8EqualityEEEPlJS6_EEE10hipError_tPvRmT3_T4_T5_T6_T7_T9_mT8_P12ihipStream_tbDpT10_ENKUlT_T0_E_clISt17integral_constantIbLb1EES16_IbLb0EEEEDaS12_S13_EUlS12_E_NS1_11comp_targetILNS1_3genE4ELNS1_11target_archE910ELNS1_3gpuE8ELNS1_3repE0EEENS1_30default_config_static_selectorELNS0_4arch9wavefront6targetE0EEEvT1_,comdat
	.protected	_ZN7rocprim17ROCPRIM_400000_NS6detail17trampoline_kernelINS0_14default_configENS1_25partition_config_selectorILNS1_17partition_subalgoE8EfNS0_10empty_typeEbEEZZNS1_14partition_implILS5_8ELb0ES3_jPKfPS6_PKS6_NS0_5tupleIJPfS6_EEENSE_IJSB_SB_EEENS0_18inequality_wrapperIN6hipcub16HIPCUB_304000_NS8EqualityEEEPlJS6_EEE10hipError_tPvRmT3_T4_T5_T6_T7_T9_mT8_P12ihipStream_tbDpT10_ENKUlT_T0_E_clISt17integral_constantIbLb1EES16_IbLb0EEEEDaS12_S13_EUlS12_E_NS1_11comp_targetILNS1_3genE4ELNS1_11target_archE910ELNS1_3gpuE8ELNS1_3repE0EEENS1_30default_config_static_selectorELNS0_4arch9wavefront6targetE0EEEvT1_ ; -- Begin function _ZN7rocprim17ROCPRIM_400000_NS6detail17trampoline_kernelINS0_14default_configENS1_25partition_config_selectorILNS1_17partition_subalgoE8EfNS0_10empty_typeEbEEZZNS1_14partition_implILS5_8ELb0ES3_jPKfPS6_PKS6_NS0_5tupleIJPfS6_EEENSE_IJSB_SB_EEENS0_18inequality_wrapperIN6hipcub16HIPCUB_304000_NS8EqualityEEEPlJS6_EEE10hipError_tPvRmT3_T4_T5_T6_T7_T9_mT8_P12ihipStream_tbDpT10_ENKUlT_T0_E_clISt17integral_constantIbLb1EES16_IbLb0EEEEDaS12_S13_EUlS12_E_NS1_11comp_targetILNS1_3genE4ELNS1_11target_archE910ELNS1_3gpuE8ELNS1_3repE0EEENS1_30default_config_static_selectorELNS0_4arch9wavefront6targetE0EEEvT1_
	.globl	_ZN7rocprim17ROCPRIM_400000_NS6detail17trampoline_kernelINS0_14default_configENS1_25partition_config_selectorILNS1_17partition_subalgoE8EfNS0_10empty_typeEbEEZZNS1_14partition_implILS5_8ELb0ES3_jPKfPS6_PKS6_NS0_5tupleIJPfS6_EEENSE_IJSB_SB_EEENS0_18inequality_wrapperIN6hipcub16HIPCUB_304000_NS8EqualityEEEPlJS6_EEE10hipError_tPvRmT3_T4_T5_T6_T7_T9_mT8_P12ihipStream_tbDpT10_ENKUlT_T0_E_clISt17integral_constantIbLb1EES16_IbLb0EEEEDaS12_S13_EUlS12_E_NS1_11comp_targetILNS1_3genE4ELNS1_11target_archE910ELNS1_3gpuE8ELNS1_3repE0EEENS1_30default_config_static_selectorELNS0_4arch9wavefront6targetE0EEEvT1_
	.p2align	8
	.type	_ZN7rocprim17ROCPRIM_400000_NS6detail17trampoline_kernelINS0_14default_configENS1_25partition_config_selectorILNS1_17partition_subalgoE8EfNS0_10empty_typeEbEEZZNS1_14partition_implILS5_8ELb0ES3_jPKfPS6_PKS6_NS0_5tupleIJPfS6_EEENSE_IJSB_SB_EEENS0_18inequality_wrapperIN6hipcub16HIPCUB_304000_NS8EqualityEEEPlJS6_EEE10hipError_tPvRmT3_T4_T5_T6_T7_T9_mT8_P12ihipStream_tbDpT10_ENKUlT_T0_E_clISt17integral_constantIbLb1EES16_IbLb0EEEEDaS12_S13_EUlS12_E_NS1_11comp_targetILNS1_3genE4ELNS1_11target_archE910ELNS1_3gpuE8ELNS1_3repE0EEENS1_30default_config_static_selectorELNS0_4arch9wavefront6targetE0EEEvT1_,@function
_ZN7rocprim17ROCPRIM_400000_NS6detail17trampoline_kernelINS0_14default_configENS1_25partition_config_selectorILNS1_17partition_subalgoE8EfNS0_10empty_typeEbEEZZNS1_14partition_implILS5_8ELb0ES3_jPKfPS6_PKS6_NS0_5tupleIJPfS6_EEENSE_IJSB_SB_EEENS0_18inequality_wrapperIN6hipcub16HIPCUB_304000_NS8EqualityEEEPlJS6_EEE10hipError_tPvRmT3_T4_T5_T6_T7_T9_mT8_P12ihipStream_tbDpT10_ENKUlT_T0_E_clISt17integral_constantIbLb1EES16_IbLb0EEEEDaS12_S13_EUlS12_E_NS1_11comp_targetILNS1_3genE4ELNS1_11target_archE910ELNS1_3gpuE8ELNS1_3repE0EEENS1_30default_config_static_selectorELNS0_4arch9wavefront6targetE0EEEvT1_: ; @_ZN7rocprim17ROCPRIM_400000_NS6detail17trampoline_kernelINS0_14default_configENS1_25partition_config_selectorILNS1_17partition_subalgoE8EfNS0_10empty_typeEbEEZZNS1_14partition_implILS5_8ELb0ES3_jPKfPS6_PKS6_NS0_5tupleIJPfS6_EEENSE_IJSB_SB_EEENS0_18inequality_wrapperIN6hipcub16HIPCUB_304000_NS8EqualityEEEPlJS6_EEE10hipError_tPvRmT3_T4_T5_T6_T7_T9_mT8_P12ihipStream_tbDpT10_ENKUlT_T0_E_clISt17integral_constantIbLb1EES16_IbLb0EEEEDaS12_S13_EUlS12_E_NS1_11comp_targetILNS1_3genE4ELNS1_11target_archE910ELNS1_3gpuE8ELNS1_3repE0EEENS1_30default_config_static_selectorELNS0_4arch9wavefront6targetE0EEEvT1_
; %bb.0:
	.section	.rodata,"a",@progbits
	.p2align	6, 0x0
	.amdhsa_kernel _ZN7rocprim17ROCPRIM_400000_NS6detail17trampoline_kernelINS0_14default_configENS1_25partition_config_selectorILNS1_17partition_subalgoE8EfNS0_10empty_typeEbEEZZNS1_14partition_implILS5_8ELb0ES3_jPKfPS6_PKS6_NS0_5tupleIJPfS6_EEENSE_IJSB_SB_EEENS0_18inequality_wrapperIN6hipcub16HIPCUB_304000_NS8EqualityEEEPlJS6_EEE10hipError_tPvRmT3_T4_T5_T6_T7_T9_mT8_P12ihipStream_tbDpT10_ENKUlT_T0_E_clISt17integral_constantIbLb1EES16_IbLb0EEEEDaS12_S13_EUlS12_E_NS1_11comp_targetILNS1_3genE4ELNS1_11target_archE910ELNS1_3gpuE8ELNS1_3repE0EEENS1_30default_config_static_selectorELNS0_4arch9wavefront6targetE0EEEvT1_
		.amdhsa_group_segment_fixed_size 0
		.amdhsa_private_segment_fixed_size 0
		.amdhsa_kernarg_size 112
		.amdhsa_user_sgpr_count 2
		.amdhsa_user_sgpr_dispatch_ptr 0
		.amdhsa_user_sgpr_queue_ptr 0
		.amdhsa_user_sgpr_kernarg_segment_ptr 1
		.amdhsa_user_sgpr_dispatch_id 0
		.amdhsa_user_sgpr_kernarg_preload_length 0
		.amdhsa_user_sgpr_kernarg_preload_offset 0
		.amdhsa_user_sgpr_private_segment_size 0
		.amdhsa_wavefront_size32 1
		.amdhsa_uses_dynamic_stack 0
		.amdhsa_enable_private_segment 0
		.amdhsa_system_sgpr_workgroup_id_x 1
		.amdhsa_system_sgpr_workgroup_id_y 0
		.amdhsa_system_sgpr_workgroup_id_z 0
		.amdhsa_system_sgpr_workgroup_info 0
		.amdhsa_system_vgpr_workitem_id 0
		.amdhsa_next_free_vgpr 1
		.amdhsa_next_free_sgpr 1
		.amdhsa_named_barrier_count 0
		.amdhsa_reserve_vcc 0
		.amdhsa_float_round_mode_32 0
		.amdhsa_float_round_mode_16_64 0
		.amdhsa_float_denorm_mode_32 3
		.amdhsa_float_denorm_mode_16_64 3
		.amdhsa_fp16_overflow 0
		.amdhsa_memory_ordered 1
		.amdhsa_forward_progress 1
		.amdhsa_inst_pref_size 0
		.amdhsa_round_robin_scheduling 0
		.amdhsa_exception_fp_ieee_invalid_op 0
		.amdhsa_exception_fp_denorm_src 0
		.amdhsa_exception_fp_ieee_div_zero 0
		.amdhsa_exception_fp_ieee_overflow 0
		.amdhsa_exception_fp_ieee_underflow 0
		.amdhsa_exception_fp_ieee_inexact 0
		.amdhsa_exception_int_div_zero 0
	.end_amdhsa_kernel
	.section	.text._ZN7rocprim17ROCPRIM_400000_NS6detail17trampoline_kernelINS0_14default_configENS1_25partition_config_selectorILNS1_17partition_subalgoE8EfNS0_10empty_typeEbEEZZNS1_14partition_implILS5_8ELb0ES3_jPKfPS6_PKS6_NS0_5tupleIJPfS6_EEENSE_IJSB_SB_EEENS0_18inequality_wrapperIN6hipcub16HIPCUB_304000_NS8EqualityEEEPlJS6_EEE10hipError_tPvRmT3_T4_T5_T6_T7_T9_mT8_P12ihipStream_tbDpT10_ENKUlT_T0_E_clISt17integral_constantIbLb1EES16_IbLb0EEEEDaS12_S13_EUlS12_E_NS1_11comp_targetILNS1_3genE4ELNS1_11target_archE910ELNS1_3gpuE8ELNS1_3repE0EEENS1_30default_config_static_selectorELNS0_4arch9wavefront6targetE0EEEvT1_,"axG",@progbits,_ZN7rocprim17ROCPRIM_400000_NS6detail17trampoline_kernelINS0_14default_configENS1_25partition_config_selectorILNS1_17partition_subalgoE8EfNS0_10empty_typeEbEEZZNS1_14partition_implILS5_8ELb0ES3_jPKfPS6_PKS6_NS0_5tupleIJPfS6_EEENSE_IJSB_SB_EEENS0_18inequality_wrapperIN6hipcub16HIPCUB_304000_NS8EqualityEEEPlJS6_EEE10hipError_tPvRmT3_T4_T5_T6_T7_T9_mT8_P12ihipStream_tbDpT10_ENKUlT_T0_E_clISt17integral_constantIbLb1EES16_IbLb0EEEEDaS12_S13_EUlS12_E_NS1_11comp_targetILNS1_3genE4ELNS1_11target_archE910ELNS1_3gpuE8ELNS1_3repE0EEENS1_30default_config_static_selectorELNS0_4arch9wavefront6targetE0EEEvT1_,comdat
.Lfunc_end359:
	.size	_ZN7rocprim17ROCPRIM_400000_NS6detail17trampoline_kernelINS0_14default_configENS1_25partition_config_selectorILNS1_17partition_subalgoE8EfNS0_10empty_typeEbEEZZNS1_14partition_implILS5_8ELb0ES3_jPKfPS6_PKS6_NS0_5tupleIJPfS6_EEENSE_IJSB_SB_EEENS0_18inequality_wrapperIN6hipcub16HIPCUB_304000_NS8EqualityEEEPlJS6_EEE10hipError_tPvRmT3_T4_T5_T6_T7_T9_mT8_P12ihipStream_tbDpT10_ENKUlT_T0_E_clISt17integral_constantIbLb1EES16_IbLb0EEEEDaS12_S13_EUlS12_E_NS1_11comp_targetILNS1_3genE4ELNS1_11target_archE910ELNS1_3gpuE8ELNS1_3repE0EEENS1_30default_config_static_selectorELNS0_4arch9wavefront6targetE0EEEvT1_, .Lfunc_end359-_ZN7rocprim17ROCPRIM_400000_NS6detail17trampoline_kernelINS0_14default_configENS1_25partition_config_selectorILNS1_17partition_subalgoE8EfNS0_10empty_typeEbEEZZNS1_14partition_implILS5_8ELb0ES3_jPKfPS6_PKS6_NS0_5tupleIJPfS6_EEENSE_IJSB_SB_EEENS0_18inequality_wrapperIN6hipcub16HIPCUB_304000_NS8EqualityEEEPlJS6_EEE10hipError_tPvRmT3_T4_T5_T6_T7_T9_mT8_P12ihipStream_tbDpT10_ENKUlT_T0_E_clISt17integral_constantIbLb1EES16_IbLb0EEEEDaS12_S13_EUlS12_E_NS1_11comp_targetILNS1_3genE4ELNS1_11target_archE910ELNS1_3gpuE8ELNS1_3repE0EEENS1_30default_config_static_selectorELNS0_4arch9wavefront6targetE0EEEvT1_
                                        ; -- End function
	.set _ZN7rocprim17ROCPRIM_400000_NS6detail17trampoline_kernelINS0_14default_configENS1_25partition_config_selectorILNS1_17partition_subalgoE8EfNS0_10empty_typeEbEEZZNS1_14partition_implILS5_8ELb0ES3_jPKfPS6_PKS6_NS0_5tupleIJPfS6_EEENSE_IJSB_SB_EEENS0_18inequality_wrapperIN6hipcub16HIPCUB_304000_NS8EqualityEEEPlJS6_EEE10hipError_tPvRmT3_T4_T5_T6_T7_T9_mT8_P12ihipStream_tbDpT10_ENKUlT_T0_E_clISt17integral_constantIbLb1EES16_IbLb0EEEEDaS12_S13_EUlS12_E_NS1_11comp_targetILNS1_3genE4ELNS1_11target_archE910ELNS1_3gpuE8ELNS1_3repE0EEENS1_30default_config_static_selectorELNS0_4arch9wavefront6targetE0EEEvT1_.num_vgpr, 0
	.set _ZN7rocprim17ROCPRIM_400000_NS6detail17trampoline_kernelINS0_14default_configENS1_25partition_config_selectorILNS1_17partition_subalgoE8EfNS0_10empty_typeEbEEZZNS1_14partition_implILS5_8ELb0ES3_jPKfPS6_PKS6_NS0_5tupleIJPfS6_EEENSE_IJSB_SB_EEENS0_18inequality_wrapperIN6hipcub16HIPCUB_304000_NS8EqualityEEEPlJS6_EEE10hipError_tPvRmT3_T4_T5_T6_T7_T9_mT8_P12ihipStream_tbDpT10_ENKUlT_T0_E_clISt17integral_constantIbLb1EES16_IbLb0EEEEDaS12_S13_EUlS12_E_NS1_11comp_targetILNS1_3genE4ELNS1_11target_archE910ELNS1_3gpuE8ELNS1_3repE0EEENS1_30default_config_static_selectorELNS0_4arch9wavefront6targetE0EEEvT1_.num_agpr, 0
	.set _ZN7rocprim17ROCPRIM_400000_NS6detail17trampoline_kernelINS0_14default_configENS1_25partition_config_selectorILNS1_17partition_subalgoE8EfNS0_10empty_typeEbEEZZNS1_14partition_implILS5_8ELb0ES3_jPKfPS6_PKS6_NS0_5tupleIJPfS6_EEENSE_IJSB_SB_EEENS0_18inequality_wrapperIN6hipcub16HIPCUB_304000_NS8EqualityEEEPlJS6_EEE10hipError_tPvRmT3_T4_T5_T6_T7_T9_mT8_P12ihipStream_tbDpT10_ENKUlT_T0_E_clISt17integral_constantIbLb1EES16_IbLb0EEEEDaS12_S13_EUlS12_E_NS1_11comp_targetILNS1_3genE4ELNS1_11target_archE910ELNS1_3gpuE8ELNS1_3repE0EEENS1_30default_config_static_selectorELNS0_4arch9wavefront6targetE0EEEvT1_.numbered_sgpr, 0
	.set _ZN7rocprim17ROCPRIM_400000_NS6detail17trampoline_kernelINS0_14default_configENS1_25partition_config_selectorILNS1_17partition_subalgoE8EfNS0_10empty_typeEbEEZZNS1_14partition_implILS5_8ELb0ES3_jPKfPS6_PKS6_NS0_5tupleIJPfS6_EEENSE_IJSB_SB_EEENS0_18inequality_wrapperIN6hipcub16HIPCUB_304000_NS8EqualityEEEPlJS6_EEE10hipError_tPvRmT3_T4_T5_T6_T7_T9_mT8_P12ihipStream_tbDpT10_ENKUlT_T0_E_clISt17integral_constantIbLb1EES16_IbLb0EEEEDaS12_S13_EUlS12_E_NS1_11comp_targetILNS1_3genE4ELNS1_11target_archE910ELNS1_3gpuE8ELNS1_3repE0EEENS1_30default_config_static_selectorELNS0_4arch9wavefront6targetE0EEEvT1_.num_named_barrier, 0
	.set _ZN7rocprim17ROCPRIM_400000_NS6detail17trampoline_kernelINS0_14default_configENS1_25partition_config_selectorILNS1_17partition_subalgoE8EfNS0_10empty_typeEbEEZZNS1_14partition_implILS5_8ELb0ES3_jPKfPS6_PKS6_NS0_5tupleIJPfS6_EEENSE_IJSB_SB_EEENS0_18inequality_wrapperIN6hipcub16HIPCUB_304000_NS8EqualityEEEPlJS6_EEE10hipError_tPvRmT3_T4_T5_T6_T7_T9_mT8_P12ihipStream_tbDpT10_ENKUlT_T0_E_clISt17integral_constantIbLb1EES16_IbLb0EEEEDaS12_S13_EUlS12_E_NS1_11comp_targetILNS1_3genE4ELNS1_11target_archE910ELNS1_3gpuE8ELNS1_3repE0EEENS1_30default_config_static_selectorELNS0_4arch9wavefront6targetE0EEEvT1_.private_seg_size, 0
	.set _ZN7rocprim17ROCPRIM_400000_NS6detail17trampoline_kernelINS0_14default_configENS1_25partition_config_selectorILNS1_17partition_subalgoE8EfNS0_10empty_typeEbEEZZNS1_14partition_implILS5_8ELb0ES3_jPKfPS6_PKS6_NS0_5tupleIJPfS6_EEENSE_IJSB_SB_EEENS0_18inequality_wrapperIN6hipcub16HIPCUB_304000_NS8EqualityEEEPlJS6_EEE10hipError_tPvRmT3_T4_T5_T6_T7_T9_mT8_P12ihipStream_tbDpT10_ENKUlT_T0_E_clISt17integral_constantIbLb1EES16_IbLb0EEEEDaS12_S13_EUlS12_E_NS1_11comp_targetILNS1_3genE4ELNS1_11target_archE910ELNS1_3gpuE8ELNS1_3repE0EEENS1_30default_config_static_selectorELNS0_4arch9wavefront6targetE0EEEvT1_.uses_vcc, 0
	.set _ZN7rocprim17ROCPRIM_400000_NS6detail17trampoline_kernelINS0_14default_configENS1_25partition_config_selectorILNS1_17partition_subalgoE8EfNS0_10empty_typeEbEEZZNS1_14partition_implILS5_8ELb0ES3_jPKfPS6_PKS6_NS0_5tupleIJPfS6_EEENSE_IJSB_SB_EEENS0_18inequality_wrapperIN6hipcub16HIPCUB_304000_NS8EqualityEEEPlJS6_EEE10hipError_tPvRmT3_T4_T5_T6_T7_T9_mT8_P12ihipStream_tbDpT10_ENKUlT_T0_E_clISt17integral_constantIbLb1EES16_IbLb0EEEEDaS12_S13_EUlS12_E_NS1_11comp_targetILNS1_3genE4ELNS1_11target_archE910ELNS1_3gpuE8ELNS1_3repE0EEENS1_30default_config_static_selectorELNS0_4arch9wavefront6targetE0EEEvT1_.uses_flat_scratch, 0
	.set _ZN7rocprim17ROCPRIM_400000_NS6detail17trampoline_kernelINS0_14default_configENS1_25partition_config_selectorILNS1_17partition_subalgoE8EfNS0_10empty_typeEbEEZZNS1_14partition_implILS5_8ELb0ES3_jPKfPS6_PKS6_NS0_5tupleIJPfS6_EEENSE_IJSB_SB_EEENS0_18inequality_wrapperIN6hipcub16HIPCUB_304000_NS8EqualityEEEPlJS6_EEE10hipError_tPvRmT3_T4_T5_T6_T7_T9_mT8_P12ihipStream_tbDpT10_ENKUlT_T0_E_clISt17integral_constantIbLb1EES16_IbLb0EEEEDaS12_S13_EUlS12_E_NS1_11comp_targetILNS1_3genE4ELNS1_11target_archE910ELNS1_3gpuE8ELNS1_3repE0EEENS1_30default_config_static_selectorELNS0_4arch9wavefront6targetE0EEEvT1_.has_dyn_sized_stack, 0
	.set _ZN7rocprim17ROCPRIM_400000_NS6detail17trampoline_kernelINS0_14default_configENS1_25partition_config_selectorILNS1_17partition_subalgoE8EfNS0_10empty_typeEbEEZZNS1_14partition_implILS5_8ELb0ES3_jPKfPS6_PKS6_NS0_5tupleIJPfS6_EEENSE_IJSB_SB_EEENS0_18inequality_wrapperIN6hipcub16HIPCUB_304000_NS8EqualityEEEPlJS6_EEE10hipError_tPvRmT3_T4_T5_T6_T7_T9_mT8_P12ihipStream_tbDpT10_ENKUlT_T0_E_clISt17integral_constantIbLb1EES16_IbLb0EEEEDaS12_S13_EUlS12_E_NS1_11comp_targetILNS1_3genE4ELNS1_11target_archE910ELNS1_3gpuE8ELNS1_3repE0EEENS1_30default_config_static_selectorELNS0_4arch9wavefront6targetE0EEEvT1_.has_recursion, 0
	.set _ZN7rocprim17ROCPRIM_400000_NS6detail17trampoline_kernelINS0_14default_configENS1_25partition_config_selectorILNS1_17partition_subalgoE8EfNS0_10empty_typeEbEEZZNS1_14partition_implILS5_8ELb0ES3_jPKfPS6_PKS6_NS0_5tupleIJPfS6_EEENSE_IJSB_SB_EEENS0_18inequality_wrapperIN6hipcub16HIPCUB_304000_NS8EqualityEEEPlJS6_EEE10hipError_tPvRmT3_T4_T5_T6_T7_T9_mT8_P12ihipStream_tbDpT10_ENKUlT_T0_E_clISt17integral_constantIbLb1EES16_IbLb0EEEEDaS12_S13_EUlS12_E_NS1_11comp_targetILNS1_3genE4ELNS1_11target_archE910ELNS1_3gpuE8ELNS1_3repE0EEENS1_30default_config_static_selectorELNS0_4arch9wavefront6targetE0EEEvT1_.has_indirect_call, 0
	.section	.AMDGPU.csdata,"",@progbits
; Kernel info:
; codeLenInByte = 0
; TotalNumSgprs: 0
; NumVgprs: 0
; ScratchSize: 0
; MemoryBound: 0
; FloatMode: 240
; IeeeMode: 1
; LDSByteSize: 0 bytes/workgroup (compile time only)
; SGPRBlocks: 0
; VGPRBlocks: 0
; NumSGPRsForWavesPerEU: 1
; NumVGPRsForWavesPerEU: 1
; NamedBarCnt: 0
; Occupancy: 16
; WaveLimiterHint : 0
; COMPUTE_PGM_RSRC2:SCRATCH_EN: 0
; COMPUTE_PGM_RSRC2:USER_SGPR: 2
; COMPUTE_PGM_RSRC2:TRAP_HANDLER: 0
; COMPUTE_PGM_RSRC2:TGID_X_EN: 1
; COMPUTE_PGM_RSRC2:TGID_Y_EN: 0
; COMPUTE_PGM_RSRC2:TGID_Z_EN: 0
; COMPUTE_PGM_RSRC2:TIDIG_COMP_CNT: 0
	.section	.text._ZN7rocprim17ROCPRIM_400000_NS6detail17trampoline_kernelINS0_14default_configENS1_25partition_config_selectorILNS1_17partition_subalgoE8EfNS0_10empty_typeEbEEZZNS1_14partition_implILS5_8ELb0ES3_jPKfPS6_PKS6_NS0_5tupleIJPfS6_EEENSE_IJSB_SB_EEENS0_18inequality_wrapperIN6hipcub16HIPCUB_304000_NS8EqualityEEEPlJS6_EEE10hipError_tPvRmT3_T4_T5_T6_T7_T9_mT8_P12ihipStream_tbDpT10_ENKUlT_T0_E_clISt17integral_constantIbLb1EES16_IbLb0EEEEDaS12_S13_EUlS12_E_NS1_11comp_targetILNS1_3genE3ELNS1_11target_archE908ELNS1_3gpuE7ELNS1_3repE0EEENS1_30default_config_static_selectorELNS0_4arch9wavefront6targetE0EEEvT1_,"axG",@progbits,_ZN7rocprim17ROCPRIM_400000_NS6detail17trampoline_kernelINS0_14default_configENS1_25partition_config_selectorILNS1_17partition_subalgoE8EfNS0_10empty_typeEbEEZZNS1_14partition_implILS5_8ELb0ES3_jPKfPS6_PKS6_NS0_5tupleIJPfS6_EEENSE_IJSB_SB_EEENS0_18inequality_wrapperIN6hipcub16HIPCUB_304000_NS8EqualityEEEPlJS6_EEE10hipError_tPvRmT3_T4_T5_T6_T7_T9_mT8_P12ihipStream_tbDpT10_ENKUlT_T0_E_clISt17integral_constantIbLb1EES16_IbLb0EEEEDaS12_S13_EUlS12_E_NS1_11comp_targetILNS1_3genE3ELNS1_11target_archE908ELNS1_3gpuE7ELNS1_3repE0EEENS1_30default_config_static_selectorELNS0_4arch9wavefront6targetE0EEEvT1_,comdat
	.protected	_ZN7rocprim17ROCPRIM_400000_NS6detail17trampoline_kernelINS0_14default_configENS1_25partition_config_selectorILNS1_17partition_subalgoE8EfNS0_10empty_typeEbEEZZNS1_14partition_implILS5_8ELb0ES3_jPKfPS6_PKS6_NS0_5tupleIJPfS6_EEENSE_IJSB_SB_EEENS0_18inequality_wrapperIN6hipcub16HIPCUB_304000_NS8EqualityEEEPlJS6_EEE10hipError_tPvRmT3_T4_T5_T6_T7_T9_mT8_P12ihipStream_tbDpT10_ENKUlT_T0_E_clISt17integral_constantIbLb1EES16_IbLb0EEEEDaS12_S13_EUlS12_E_NS1_11comp_targetILNS1_3genE3ELNS1_11target_archE908ELNS1_3gpuE7ELNS1_3repE0EEENS1_30default_config_static_selectorELNS0_4arch9wavefront6targetE0EEEvT1_ ; -- Begin function _ZN7rocprim17ROCPRIM_400000_NS6detail17trampoline_kernelINS0_14default_configENS1_25partition_config_selectorILNS1_17partition_subalgoE8EfNS0_10empty_typeEbEEZZNS1_14partition_implILS5_8ELb0ES3_jPKfPS6_PKS6_NS0_5tupleIJPfS6_EEENSE_IJSB_SB_EEENS0_18inequality_wrapperIN6hipcub16HIPCUB_304000_NS8EqualityEEEPlJS6_EEE10hipError_tPvRmT3_T4_T5_T6_T7_T9_mT8_P12ihipStream_tbDpT10_ENKUlT_T0_E_clISt17integral_constantIbLb1EES16_IbLb0EEEEDaS12_S13_EUlS12_E_NS1_11comp_targetILNS1_3genE3ELNS1_11target_archE908ELNS1_3gpuE7ELNS1_3repE0EEENS1_30default_config_static_selectorELNS0_4arch9wavefront6targetE0EEEvT1_
	.globl	_ZN7rocprim17ROCPRIM_400000_NS6detail17trampoline_kernelINS0_14default_configENS1_25partition_config_selectorILNS1_17partition_subalgoE8EfNS0_10empty_typeEbEEZZNS1_14partition_implILS5_8ELb0ES3_jPKfPS6_PKS6_NS0_5tupleIJPfS6_EEENSE_IJSB_SB_EEENS0_18inequality_wrapperIN6hipcub16HIPCUB_304000_NS8EqualityEEEPlJS6_EEE10hipError_tPvRmT3_T4_T5_T6_T7_T9_mT8_P12ihipStream_tbDpT10_ENKUlT_T0_E_clISt17integral_constantIbLb1EES16_IbLb0EEEEDaS12_S13_EUlS12_E_NS1_11comp_targetILNS1_3genE3ELNS1_11target_archE908ELNS1_3gpuE7ELNS1_3repE0EEENS1_30default_config_static_selectorELNS0_4arch9wavefront6targetE0EEEvT1_
	.p2align	8
	.type	_ZN7rocprim17ROCPRIM_400000_NS6detail17trampoline_kernelINS0_14default_configENS1_25partition_config_selectorILNS1_17partition_subalgoE8EfNS0_10empty_typeEbEEZZNS1_14partition_implILS5_8ELb0ES3_jPKfPS6_PKS6_NS0_5tupleIJPfS6_EEENSE_IJSB_SB_EEENS0_18inequality_wrapperIN6hipcub16HIPCUB_304000_NS8EqualityEEEPlJS6_EEE10hipError_tPvRmT3_T4_T5_T6_T7_T9_mT8_P12ihipStream_tbDpT10_ENKUlT_T0_E_clISt17integral_constantIbLb1EES16_IbLb0EEEEDaS12_S13_EUlS12_E_NS1_11comp_targetILNS1_3genE3ELNS1_11target_archE908ELNS1_3gpuE7ELNS1_3repE0EEENS1_30default_config_static_selectorELNS0_4arch9wavefront6targetE0EEEvT1_,@function
_ZN7rocprim17ROCPRIM_400000_NS6detail17trampoline_kernelINS0_14default_configENS1_25partition_config_selectorILNS1_17partition_subalgoE8EfNS0_10empty_typeEbEEZZNS1_14partition_implILS5_8ELb0ES3_jPKfPS6_PKS6_NS0_5tupleIJPfS6_EEENSE_IJSB_SB_EEENS0_18inequality_wrapperIN6hipcub16HIPCUB_304000_NS8EqualityEEEPlJS6_EEE10hipError_tPvRmT3_T4_T5_T6_T7_T9_mT8_P12ihipStream_tbDpT10_ENKUlT_T0_E_clISt17integral_constantIbLb1EES16_IbLb0EEEEDaS12_S13_EUlS12_E_NS1_11comp_targetILNS1_3genE3ELNS1_11target_archE908ELNS1_3gpuE7ELNS1_3repE0EEENS1_30default_config_static_selectorELNS0_4arch9wavefront6targetE0EEEvT1_: ; @_ZN7rocprim17ROCPRIM_400000_NS6detail17trampoline_kernelINS0_14default_configENS1_25partition_config_selectorILNS1_17partition_subalgoE8EfNS0_10empty_typeEbEEZZNS1_14partition_implILS5_8ELb0ES3_jPKfPS6_PKS6_NS0_5tupleIJPfS6_EEENSE_IJSB_SB_EEENS0_18inequality_wrapperIN6hipcub16HIPCUB_304000_NS8EqualityEEEPlJS6_EEE10hipError_tPvRmT3_T4_T5_T6_T7_T9_mT8_P12ihipStream_tbDpT10_ENKUlT_T0_E_clISt17integral_constantIbLb1EES16_IbLb0EEEEDaS12_S13_EUlS12_E_NS1_11comp_targetILNS1_3genE3ELNS1_11target_archE908ELNS1_3gpuE7ELNS1_3repE0EEENS1_30default_config_static_selectorELNS0_4arch9wavefront6targetE0EEEvT1_
; %bb.0:
	.section	.rodata,"a",@progbits
	.p2align	6, 0x0
	.amdhsa_kernel _ZN7rocprim17ROCPRIM_400000_NS6detail17trampoline_kernelINS0_14default_configENS1_25partition_config_selectorILNS1_17partition_subalgoE8EfNS0_10empty_typeEbEEZZNS1_14partition_implILS5_8ELb0ES3_jPKfPS6_PKS6_NS0_5tupleIJPfS6_EEENSE_IJSB_SB_EEENS0_18inequality_wrapperIN6hipcub16HIPCUB_304000_NS8EqualityEEEPlJS6_EEE10hipError_tPvRmT3_T4_T5_T6_T7_T9_mT8_P12ihipStream_tbDpT10_ENKUlT_T0_E_clISt17integral_constantIbLb1EES16_IbLb0EEEEDaS12_S13_EUlS12_E_NS1_11comp_targetILNS1_3genE3ELNS1_11target_archE908ELNS1_3gpuE7ELNS1_3repE0EEENS1_30default_config_static_selectorELNS0_4arch9wavefront6targetE0EEEvT1_
		.amdhsa_group_segment_fixed_size 0
		.amdhsa_private_segment_fixed_size 0
		.amdhsa_kernarg_size 112
		.amdhsa_user_sgpr_count 2
		.amdhsa_user_sgpr_dispatch_ptr 0
		.amdhsa_user_sgpr_queue_ptr 0
		.amdhsa_user_sgpr_kernarg_segment_ptr 1
		.amdhsa_user_sgpr_dispatch_id 0
		.amdhsa_user_sgpr_kernarg_preload_length 0
		.amdhsa_user_sgpr_kernarg_preload_offset 0
		.amdhsa_user_sgpr_private_segment_size 0
		.amdhsa_wavefront_size32 1
		.amdhsa_uses_dynamic_stack 0
		.amdhsa_enable_private_segment 0
		.amdhsa_system_sgpr_workgroup_id_x 1
		.amdhsa_system_sgpr_workgroup_id_y 0
		.amdhsa_system_sgpr_workgroup_id_z 0
		.amdhsa_system_sgpr_workgroup_info 0
		.amdhsa_system_vgpr_workitem_id 0
		.amdhsa_next_free_vgpr 1
		.amdhsa_next_free_sgpr 1
		.amdhsa_named_barrier_count 0
		.amdhsa_reserve_vcc 0
		.amdhsa_float_round_mode_32 0
		.amdhsa_float_round_mode_16_64 0
		.amdhsa_float_denorm_mode_32 3
		.amdhsa_float_denorm_mode_16_64 3
		.amdhsa_fp16_overflow 0
		.amdhsa_memory_ordered 1
		.amdhsa_forward_progress 1
		.amdhsa_inst_pref_size 0
		.amdhsa_round_robin_scheduling 0
		.amdhsa_exception_fp_ieee_invalid_op 0
		.amdhsa_exception_fp_denorm_src 0
		.amdhsa_exception_fp_ieee_div_zero 0
		.amdhsa_exception_fp_ieee_overflow 0
		.amdhsa_exception_fp_ieee_underflow 0
		.amdhsa_exception_fp_ieee_inexact 0
		.amdhsa_exception_int_div_zero 0
	.end_amdhsa_kernel
	.section	.text._ZN7rocprim17ROCPRIM_400000_NS6detail17trampoline_kernelINS0_14default_configENS1_25partition_config_selectorILNS1_17partition_subalgoE8EfNS0_10empty_typeEbEEZZNS1_14partition_implILS5_8ELb0ES3_jPKfPS6_PKS6_NS0_5tupleIJPfS6_EEENSE_IJSB_SB_EEENS0_18inequality_wrapperIN6hipcub16HIPCUB_304000_NS8EqualityEEEPlJS6_EEE10hipError_tPvRmT3_T4_T5_T6_T7_T9_mT8_P12ihipStream_tbDpT10_ENKUlT_T0_E_clISt17integral_constantIbLb1EES16_IbLb0EEEEDaS12_S13_EUlS12_E_NS1_11comp_targetILNS1_3genE3ELNS1_11target_archE908ELNS1_3gpuE7ELNS1_3repE0EEENS1_30default_config_static_selectorELNS0_4arch9wavefront6targetE0EEEvT1_,"axG",@progbits,_ZN7rocprim17ROCPRIM_400000_NS6detail17trampoline_kernelINS0_14default_configENS1_25partition_config_selectorILNS1_17partition_subalgoE8EfNS0_10empty_typeEbEEZZNS1_14partition_implILS5_8ELb0ES3_jPKfPS6_PKS6_NS0_5tupleIJPfS6_EEENSE_IJSB_SB_EEENS0_18inequality_wrapperIN6hipcub16HIPCUB_304000_NS8EqualityEEEPlJS6_EEE10hipError_tPvRmT3_T4_T5_T6_T7_T9_mT8_P12ihipStream_tbDpT10_ENKUlT_T0_E_clISt17integral_constantIbLb1EES16_IbLb0EEEEDaS12_S13_EUlS12_E_NS1_11comp_targetILNS1_3genE3ELNS1_11target_archE908ELNS1_3gpuE7ELNS1_3repE0EEENS1_30default_config_static_selectorELNS0_4arch9wavefront6targetE0EEEvT1_,comdat
.Lfunc_end360:
	.size	_ZN7rocprim17ROCPRIM_400000_NS6detail17trampoline_kernelINS0_14default_configENS1_25partition_config_selectorILNS1_17partition_subalgoE8EfNS0_10empty_typeEbEEZZNS1_14partition_implILS5_8ELb0ES3_jPKfPS6_PKS6_NS0_5tupleIJPfS6_EEENSE_IJSB_SB_EEENS0_18inequality_wrapperIN6hipcub16HIPCUB_304000_NS8EqualityEEEPlJS6_EEE10hipError_tPvRmT3_T4_T5_T6_T7_T9_mT8_P12ihipStream_tbDpT10_ENKUlT_T0_E_clISt17integral_constantIbLb1EES16_IbLb0EEEEDaS12_S13_EUlS12_E_NS1_11comp_targetILNS1_3genE3ELNS1_11target_archE908ELNS1_3gpuE7ELNS1_3repE0EEENS1_30default_config_static_selectorELNS0_4arch9wavefront6targetE0EEEvT1_, .Lfunc_end360-_ZN7rocprim17ROCPRIM_400000_NS6detail17trampoline_kernelINS0_14default_configENS1_25partition_config_selectorILNS1_17partition_subalgoE8EfNS0_10empty_typeEbEEZZNS1_14partition_implILS5_8ELb0ES3_jPKfPS6_PKS6_NS0_5tupleIJPfS6_EEENSE_IJSB_SB_EEENS0_18inequality_wrapperIN6hipcub16HIPCUB_304000_NS8EqualityEEEPlJS6_EEE10hipError_tPvRmT3_T4_T5_T6_T7_T9_mT8_P12ihipStream_tbDpT10_ENKUlT_T0_E_clISt17integral_constantIbLb1EES16_IbLb0EEEEDaS12_S13_EUlS12_E_NS1_11comp_targetILNS1_3genE3ELNS1_11target_archE908ELNS1_3gpuE7ELNS1_3repE0EEENS1_30default_config_static_selectorELNS0_4arch9wavefront6targetE0EEEvT1_
                                        ; -- End function
	.set _ZN7rocprim17ROCPRIM_400000_NS6detail17trampoline_kernelINS0_14default_configENS1_25partition_config_selectorILNS1_17partition_subalgoE8EfNS0_10empty_typeEbEEZZNS1_14partition_implILS5_8ELb0ES3_jPKfPS6_PKS6_NS0_5tupleIJPfS6_EEENSE_IJSB_SB_EEENS0_18inequality_wrapperIN6hipcub16HIPCUB_304000_NS8EqualityEEEPlJS6_EEE10hipError_tPvRmT3_T4_T5_T6_T7_T9_mT8_P12ihipStream_tbDpT10_ENKUlT_T0_E_clISt17integral_constantIbLb1EES16_IbLb0EEEEDaS12_S13_EUlS12_E_NS1_11comp_targetILNS1_3genE3ELNS1_11target_archE908ELNS1_3gpuE7ELNS1_3repE0EEENS1_30default_config_static_selectorELNS0_4arch9wavefront6targetE0EEEvT1_.num_vgpr, 0
	.set _ZN7rocprim17ROCPRIM_400000_NS6detail17trampoline_kernelINS0_14default_configENS1_25partition_config_selectorILNS1_17partition_subalgoE8EfNS0_10empty_typeEbEEZZNS1_14partition_implILS5_8ELb0ES3_jPKfPS6_PKS6_NS0_5tupleIJPfS6_EEENSE_IJSB_SB_EEENS0_18inequality_wrapperIN6hipcub16HIPCUB_304000_NS8EqualityEEEPlJS6_EEE10hipError_tPvRmT3_T4_T5_T6_T7_T9_mT8_P12ihipStream_tbDpT10_ENKUlT_T0_E_clISt17integral_constantIbLb1EES16_IbLb0EEEEDaS12_S13_EUlS12_E_NS1_11comp_targetILNS1_3genE3ELNS1_11target_archE908ELNS1_3gpuE7ELNS1_3repE0EEENS1_30default_config_static_selectorELNS0_4arch9wavefront6targetE0EEEvT1_.num_agpr, 0
	.set _ZN7rocprim17ROCPRIM_400000_NS6detail17trampoline_kernelINS0_14default_configENS1_25partition_config_selectorILNS1_17partition_subalgoE8EfNS0_10empty_typeEbEEZZNS1_14partition_implILS5_8ELb0ES3_jPKfPS6_PKS6_NS0_5tupleIJPfS6_EEENSE_IJSB_SB_EEENS0_18inequality_wrapperIN6hipcub16HIPCUB_304000_NS8EqualityEEEPlJS6_EEE10hipError_tPvRmT3_T4_T5_T6_T7_T9_mT8_P12ihipStream_tbDpT10_ENKUlT_T0_E_clISt17integral_constantIbLb1EES16_IbLb0EEEEDaS12_S13_EUlS12_E_NS1_11comp_targetILNS1_3genE3ELNS1_11target_archE908ELNS1_3gpuE7ELNS1_3repE0EEENS1_30default_config_static_selectorELNS0_4arch9wavefront6targetE0EEEvT1_.numbered_sgpr, 0
	.set _ZN7rocprim17ROCPRIM_400000_NS6detail17trampoline_kernelINS0_14default_configENS1_25partition_config_selectorILNS1_17partition_subalgoE8EfNS0_10empty_typeEbEEZZNS1_14partition_implILS5_8ELb0ES3_jPKfPS6_PKS6_NS0_5tupleIJPfS6_EEENSE_IJSB_SB_EEENS0_18inequality_wrapperIN6hipcub16HIPCUB_304000_NS8EqualityEEEPlJS6_EEE10hipError_tPvRmT3_T4_T5_T6_T7_T9_mT8_P12ihipStream_tbDpT10_ENKUlT_T0_E_clISt17integral_constantIbLb1EES16_IbLb0EEEEDaS12_S13_EUlS12_E_NS1_11comp_targetILNS1_3genE3ELNS1_11target_archE908ELNS1_3gpuE7ELNS1_3repE0EEENS1_30default_config_static_selectorELNS0_4arch9wavefront6targetE0EEEvT1_.num_named_barrier, 0
	.set _ZN7rocprim17ROCPRIM_400000_NS6detail17trampoline_kernelINS0_14default_configENS1_25partition_config_selectorILNS1_17partition_subalgoE8EfNS0_10empty_typeEbEEZZNS1_14partition_implILS5_8ELb0ES3_jPKfPS6_PKS6_NS0_5tupleIJPfS6_EEENSE_IJSB_SB_EEENS0_18inequality_wrapperIN6hipcub16HIPCUB_304000_NS8EqualityEEEPlJS6_EEE10hipError_tPvRmT3_T4_T5_T6_T7_T9_mT8_P12ihipStream_tbDpT10_ENKUlT_T0_E_clISt17integral_constantIbLb1EES16_IbLb0EEEEDaS12_S13_EUlS12_E_NS1_11comp_targetILNS1_3genE3ELNS1_11target_archE908ELNS1_3gpuE7ELNS1_3repE0EEENS1_30default_config_static_selectorELNS0_4arch9wavefront6targetE0EEEvT1_.private_seg_size, 0
	.set _ZN7rocprim17ROCPRIM_400000_NS6detail17trampoline_kernelINS0_14default_configENS1_25partition_config_selectorILNS1_17partition_subalgoE8EfNS0_10empty_typeEbEEZZNS1_14partition_implILS5_8ELb0ES3_jPKfPS6_PKS6_NS0_5tupleIJPfS6_EEENSE_IJSB_SB_EEENS0_18inequality_wrapperIN6hipcub16HIPCUB_304000_NS8EqualityEEEPlJS6_EEE10hipError_tPvRmT3_T4_T5_T6_T7_T9_mT8_P12ihipStream_tbDpT10_ENKUlT_T0_E_clISt17integral_constantIbLb1EES16_IbLb0EEEEDaS12_S13_EUlS12_E_NS1_11comp_targetILNS1_3genE3ELNS1_11target_archE908ELNS1_3gpuE7ELNS1_3repE0EEENS1_30default_config_static_selectorELNS0_4arch9wavefront6targetE0EEEvT1_.uses_vcc, 0
	.set _ZN7rocprim17ROCPRIM_400000_NS6detail17trampoline_kernelINS0_14default_configENS1_25partition_config_selectorILNS1_17partition_subalgoE8EfNS0_10empty_typeEbEEZZNS1_14partition_implILS5_8ELb0ES3_jPKfPS6_PKS6_NS0_5tupleIJPfS6_EEENSE_IJSB_SB_EEENS0_18inequality_wrapperIN6hipcub16HIPCUB_304000_NS8EqualityEEEPlJS6_EEE10hipError_tPvRmT3_T4_T5_T6_T7_T9_mT8_P12ihipStream_tbDpT10_ENKUlT_T0_E_clISt17integral_constantIbLb1EES16_IbLb0EEEEDaS12_S13_EUlS12_E_NS1_11comp_targetILNS1_3genE3ELNS1_11target_archE908ELNS1_3gpuE7ELNS1_3repE0EEENS1_30default_config_static_selectorELNS0_4arch9wavefront6targetE0EEEvT1_.uses_flat_scratch, 0
	.set _ZN7rocprim17ROCPRIM_400000_NS6detail17trampoline_kernelINS0_14default_configENS1_25partition_config_selectorILNS1_17partition_subalgoE8EfNS0_10empty_typeEbEEZZNS1_14partition_implILS5_8ELb0ES3_jPKfPS6_PKS6_NS0_5tupleIJPfS6_EEENSE_IJSB_SB_EEENS0_18inequality_wrapperIN6hipcub16HIPCUB_304000_NS8EqualityEEEPlJS6_EEE10hipError_tPvRmT3_T4_T5_T6_T7_T9_mT8_P12ihipStream_tbDpT10_ENKUlT_T0_E_clISt17integral_constantIbLb1EES16_IbLb0EEEEDaS12_S13_EUlS12_E_NS1_11comp_targetILNS1_3genE3ELNS1_11target_archE908ELNS1_3gpuE7ELNS1_3repE0EEENS1_30default_config_static_selectorELNS0_4arch9wavefront6targetE0EEEvT1_.has_dyn_sized_stack, 0
	.set _ZN7rocprim17ROCPRIM_400000_NS6detail17trampoline_kernelINS0_14default_configENS1_25partition_config_selectorILNS1_17partition_subalgoE8EfNS0_10empty_typeEbEEZZNS1_14partition_implILS5_8ELb0ES3_jPKfPS6_PKS6_NS0_5tupleIJPfS6_EEENSE_IJSB_SB_EEENS0_18inequality_wrapperIN6hipcub16HIPCUB_304000_NS8EqualityEEEPlJS6_EEE10hipError_tPvRmT3_T4_T5_T6_T7_T9_mT8_P12ihipStream_tbDpT10_ENKUlT_T0_E_clISt17integral_constantIbLb1EES16_IbLb0EEEEDaS12_S13_EUlS12_E_NS1_11comp_targetILNS1_3genE3ELNS1_11target_archE908ELNS1_3gpuE7ELNS1_3repE0EEENS1_30default_config_static_selectorELNS0_4arch9wavefront6targetE0EEEvT1_.has_recursion, 0
	.set _ZN7rocprim17ROCPRIM_400000_NS6detail17trampoline_kernelINS0_14default_configENS1_25partition_config_selectorILNS1_17partition_subalgoE8EfNS0_10empty_typeEbEEZZNS1_14partition_implILS5_8ELb0ES3_jPKfPS6_PKS6_NS0_5tupleIJPfS6_EEENSE_IJSB_SB_EEENS0_18inequality_wrapperIN6hipcub16HIPCUB_304000_NS8EqualityEEEPlJS6_EEE10hipError_tPvRmT3_T4_T5_T6_T7_T9_mT8_P12ihipStream_tbDpT10_ENKUlT_T0_E_clISt17integral_constantIbLb1EES16_IbLb0EEEEDaS12_S13_EUlS12_E_NS1_11comp_targetILNS1_3genE3ELNS1_11target_archE908ELNS1_3gpuE7ELNS1_3repE0EEENS1_30default_config_static_selectorELNS0_4arch9wavefront6targetE0EEEvT1_.has_indirect_call, 0
	.section	.AMDGPU.csdata,"",@progbits
; Kernel info:
; codeLenInByte = 0
; TotalNumSgprs: 0
; NumVgprs: 0
; ScratchSize: 0
; MemoryBound: 0
; FloatMode: 240
; IeeeMode: 1
; LDSByteSize: 0 bytes/workgroup (compile time only)
; SGPRBlocks: 0
; VGPRBlocks: 0
; NumSGPRsForWavesPerEU: 1
; NumVGPRsForWavesPerEU: 1
; NamedBarCnt: 0
; Occupancy: 16
; WaveLimiterHint : 0
; COMPUTE_PGM_RSRC2:SCRATCH_EN: 0
; COMPUTE_PGM_RSRC2:USER_SGPR: 2
; COMPUTE_PGM_RSRC2:TRAP_HANDLER: 0
; COMPUTE_PGM_RSRC2:TGID_X_EN: 1
; COMPUTE_PGM_RSRC2:TGID_Y_EN: 0
; COMPUTE_PGM_RSRC2:TGID_Z_EN: 0
; COMPUTE_PGM_RSRC2:TIDIG_COMP_CNT: 0
	.section	.text._ZN7rocprim17ROCPRIM_400000_NS6detail17trampoline_kernelINS0_14default_configENS1_25partition_config_selectorILNS1_17partition_subalgoE8EfNS0_10empty_typeEbEEZZNS1_14partition_implILS5_8ELb0ES3_jPKfPS6_PKS6_NS0_5tupleIJPfS6_EEENSE_IJSB_SB_EEENS0_18inequality_wrapperIN6hipcub16HIPCUB_304000_NS8EqualityEEEPlJS6_EEE10hipError_tPvRmT3_T4_T5_T6_T7_T9_mT8_P12ihipStream_tbDpT10_ENKUlT_T0_E_clISt17integral_constantIbLb1EES16_IbLb0EEEEDaS12_S13_EUlS12_E_NS1_11comp_targetILNS1_3genE2ELNS1_11target_archE906ELNS1_3gpuE6ELNS1_3repE0EEENS1_30default_config_static_selectorELNS0_4arch9wavefront6targetE0EEEvT1_,"axG",@progbits,_ZN7rocprim17ROCPRIM_400000_NS6detail17trampoline_kernelINS0_14default_configENS1_25partition_config_selectorILNS1_17partition_subalgoE8EfNS0_10empty_typeEbEEZZNS1_14partition_implILS5_8ELb0ES3_jPKfPS6_PKS6_NS0_5tupleIJPfS6_EEENSE_IJSB_SB_EEENS0_18inequality_wrapperIN6hipcub16HIPCUB_304000_NS8EqualityEEEPlJS6_EEE10hipError_tPvRmT3_T4_T5_T6_T7_T9_mT8_P12ihipStream_tbDpT10_ENKUlT_T0_E_clISt17integral_constantIbLb1EES16_IbLb0EEEEDaS12_S13_EUlS12_E_NS1_11comp_targetILNS1_3genE2ELNS1_11target_archE906ELNS1_3gpuE6ELNS1_3repE0EEENS1_30default_config_static_selectorELNS0_4arch9wavefront6targetE0EEEvT1_,comdat
	.protected	_ZN7rocprim17ROCPRIM_400000_NS6detail17trampoline_kernelINS0_14default_configENS1_25partition_config_selectorILNS1_17partition_subalgoE8EfNS0_10empty_typeEbEEZZNS1_14partition_implILS5_8ELb0ES3_jPKfPS6_PKS6_NS0_5tupleIJPfS6_EEENSE_IJSB_SB_EEENS0_18inequality_wrapperIN6hipcub16HIPCUB_304000_NS8EqualityEEEPlJS6_EEE10hipError_tPvRmT3_T4_T5_T6_T7_T9_mT8_P12ihipStream_tbDpT10_ENKUlT_T0_E_clISt17integral_constantIbLb1EES16_IbLb0EEEEDaS12_S13_EUlS12_E_NS1_11comp_targetILNS1_3genE2ELNS1_11target_archE906ELNS1_3gpuE6ELNS1_3repE0EEENS1_30default_config_static_selectorELNS0_4arch9wavefront6targetE0EEEvT1_ ; -- Begin function _ZN7rocprim17ROCPRIM_400000_NS6detail17trampoline_kernelINS0_14default_configENS1_25partition_config_selectorILNS1_17partition_subalgoE8EfNS0_10empty_typeEbEEZZNS1_14partition_implILS5_8ELb0ES3_jPKfPS6_PKS6_NS0_5tupleIJPfS6_EEENSE_IJSB_SB_EEENS0_18inequality_wrapperIN6hipcub16HIPCUB_304000_NS8EqualityEEEPlJS6_EEE10hipError_tPvRmT3_T4_T5_T6_T7_T9_mT8_P12ihipStream_tbDpT10_ENKUlT_T0_E_clISt17integral_constantIbLb1EES16_IbLb0EEEEDaS12_S13_EUlS12_E_NS1_11comp_targetILNS1_3genE2ELNS1_11target_archE906ELNS1_3gpuE6ELNS1_3repE0EEENS1_30default_config_static_selectorELNS0_4arch9wavefront6targetE0EEEvT1_
	.globl	_ZN7rocprim17ROCPRIM_400000_NS6detail17trampoline_kernelINS0_14default_configENS1_25partition_config_selectorILNS1_17partition_subalgoE8EfNS0_10empty_typeEbEEZZNS1_14partition_implILS5_8ELb0ES3_jPKfPS6_PKS6_NS0_5tupleIJPfS6_EEENSE_IJSB_SB_EEENS0_18inequality_wrapperIN6hipcub16HIPCUB_304000_NS8EqualityEEEPlJS6_EEE10hipError_tPvRmT3_T4_T5_T6_T7_T9_mT8_P12ihipStream_tbDpT10_ENKUlT_T0_E_clISt17integral_constantIbLb1EES16_IbLb0EEEEDaS12_S13_EUlS12_E_NS1_11comp_targetILNS1_3genE2ELNS1_11target_archE906ELNS1_3gpuE6ELNS1_3repE0EEENS1_30default_config_static_selectorELNS0_4arch9wavefront6targetE0EEEvT1_
	.p2align	8
	.type	_ZN7rocprim17ROCPRIM_400000_NS6detail17trampoline_kernelINS0_14default_configENS1_25partition_config_selectorILNS1_17partition_subalgoE8EfNS0_10empty_typeEbEEZZNS1_14partition_implILS5_8ELb0ES3_jPKfPS6_PKS6_NS0_5tupleIJPfS6_EEENSE_IJSB_SB_EEENS0_18inequality_wrapperIN6hipcub16HIPCUB_304000_NS8EqualityEEEPlJS6_EEE10hipError_tPvRmT3_T4_T5_T6_T7_T9_mT8_P12ihipStream_tbDpT10_ENKUlT_T0_E_clISt17integral_constantIbLb1EES16_IbLb0EEEEDaS12_S13_EUlS12_E_NS1_11comp_targetILNS1_3genE2ELNS1_11target_archE906ELNS1_3gpuE6ELNS1_3repE0EEENS1_30default_config_static_selectorELNS0_4arch9wavefront6targetE0EEEvT1_,@function
_ZN7rocprim17ROCPRIM_400000_NS6detail17trampoline_kernelINS0_14default_configENS1_25partition_config_selectorILNS1_17partition_subalgoE8EfNS0_10empty_typeEbEEZZNS1_14partition_implILS5_8ELb0ES3_jPKfPS6_PKS6_NS0_5tupleIJPfS6_EEENSE_IJSB_SB_EEENS0_18inequality_wrapperIN6hipcub16HIPCUB_304000_NS8EqualityEEEPlJS6_EEE10hipError_tPvRmT3_T4_T5_T6_T7_T9_mT8_P12ihipStream_tbDpT10_ENKUlT_T0_E_clISt17integral_constantIbLb1EES16_IbLb0EEEEDaS12_S13_EUlS12_E_NS1_11comp_targetILNS1_3genE2ELNS1_11target_archE906ELNS1_3gpuE6ELNS1_3repE0EEENS1_30default_config_static_selectorELNS0_4arch9wavefront6targetE0EEEvT1_: ; @_ZN7rocprim17ROCPRIM_400000_NS6detail17trampoline_kernelINS0_14default_configENS1_25partition_config_selectorILNS1_17partition_subalgoE8EfNS0_10empty_typeEbEEZZNS1_14partition_implILS5_8ELb0ES3_jPKfPS6_PKS6_NS0_5tupleIJPfS6_EEENSE_IJSB_SB_EEENS0_18inequality_wrapperIN6hipcub16HIPCUB_304000_NS8EqualityEEEPlJS6_EEE10hipError_tPvRmT3_T4_T5_T6_T7_T9_mT8_P12ihipStream_tbDpT10_ENKUlT_T0_E_clISt17integral_constantIbLb1EES16_IbLb0EEEEDaS12_S13_EUlS12_E_NS1_11comp_targetILNS1_3genE2ELNS1_11target_archE906ELNS1_3gpuE6ELNS1_3repE0EEENS1_30default_config_static_selectorELNS0_4arch9wavefront6targetE0EEEvT1_
; %bb.0:
	.section	.rodata,"a",@progbits
	.p2align	6, 0x0
	.amdhsa_kernel _ZN7rocprim17ROCPRIM_400000_NS6detail17trampoline_kernelINS0_14default_configENS1_25partition_config_selectorILNS1_17partition_subalgoE8EfNS0_10empty_typeEbEEZZNS1_14partition_implILS5_8ELb0ES3_jPKfPS6_PKS6_NS0_5tupleIJPfS6_EEENSE_IJSB_SB_EEENS0_18inequality_wrapperIN6hipcub16HIPCUB_304000_NS8EqualityEEEPlJS6_EEE10hipError_tPvRmT3_T4_T5_T6_T7_T9_mT8_P12ihipStream_tbDpT10_ENKUlT_T0_E_clISt17integral_constantIbLb1EES16_IbLb0EEEEDaS12_S13_EUlS12_E_NS1_11comp_targetILNS1_3genE2ELNS1_11target_archE906ELNS1_3gpuE6ELNS1_3repE0EEENS1_30default_config_static_selectorELNS0_4arch9wavefront6targetE0EEEvT1_
		.amdhsa_group_segment_fixed_size 0
		.amdhsa_private_segment_fixed_size 0
		.amdhsa_kernarg_size 112
		.amdhsa_user_sgpr_count 2
		.amdhsa_user_sgpr_dispatch_ptr 0
		.amdhsa_user_sgpr_queue_ptr 0
		.amdhsa_user_sgpr_kernarg_segment_ptr 1
		.amdhsa_user_sgpr_dispatch_id 0
		.amdhsa_user_sgpr_kernarg_preload_length 0
		.amdhsa_user_sgpr_kernarg_preload_offset 0
		.amdhsa_user_sgpr_private_segment_size 0
		.amdhsa_wavefront_size32 1
		.amdhsa_uses_dynamic_stack 0
		.amdhsa_enable_private_segment 0
		.amdhsa_system_sgpr_workgroup_id_x 1
		.amdhsa_system_sgpr_workgroup_id_y 0
		.amdhsa_system_sgpr_workgroup_id_z 0
		.amdhsa_system_sgpr_workgroup_info 0
		.amdhsa_system_vgpr_workitem_id 0
		.amdhsa_next_free_vgpr 1
		.amdhsa_next_free_sgpr 1
		.amdhsa_named_barrier_count 0
		.amdhsa_reserve_vcc 0
		.amdhsa_float_round_mode_32 0
		.amdhsa_float_round_mode_16_64 0
		.amdhsa_float_denorm_mode_32 3
		.amdhsa_float_denorm_mode_16_64 3
		.amdhsa_fp16_overflow 0
		.amdhsa_memory_ordered 1
		.amdhsa_forward_progress 1
		.amdhsa_inst_pref_size 0
		.amdhsa_round_robin_scheduling 0
		.amdhsa_exception_fp_ieee_invalid_op 0
		.amdhsa_exception_fp_denorm_src 0
		.amdhsa_exception_fp_ieee_div_zero 0
		.amdhsa_exception_fp_ieee_overflow 0
		.amdhsa_exception_fp_ieee_underflow 0
		.amdhsa_exception_fp_ieee_inexact 0
		.amdhsa_exception_int_div_zero 0
	.end_amdhsa_kernel
	.section	.text._ZN7rocprim17ROCPRIM_400000_NS6detail17trampoline_kernelINS0_14default_configENS1_25partition_config_selectorILNS1_17partition_subalgoE8EfNS0_10empty_typeEbEEZZNS1_14partition_implILS5_8ELb0ES3_jPKfPS6_PKS6_NS0_5tupleIJPfS6_EEENSE_IJSB_SB_EEENS0_18inequality_wrapperIN6hipcub16HIPCUB_304000_NS8EqualityEEEPlJS6_EEE10hipError_tPvRmT3_T4_T5_T6_T7_T9_mT8_P12ihipStream_tbDpT10_ENKUlT_T0_E_clISt17integral_constantIbLb1EES16_IbLb0EEEEDaS12_S13_EUlS12_E_NS1_11comp_targetILNS1_3genE2ELNS1_11target_archE906ELNS1_3gpuE6ELNS1_3repE0EEENS1_30default_config_static_selectorELNS0_4arch9wavefront6targetE0EEEvT1_,"axG",@progbits,_ZN7rocprim17ROCPRIM_400000_NS6detail17trampoline_kernelINS0_14default_configENS1_25partition_config_selectorILNS1_17partition_subalgoE8EfNS0_10empty_typeEbEEZZNS1_14partition_implILS5_8ELb0ES3_jPKfPS6_PKS6_NS0_5tupleIJPfS6_EEENSE_IJSB_SB_EEENS0_18inequality_wrapperIN6hipcub16HIPCUB_304000_NS8EqualityEEEPlJS6_EEE10hipError_tPvRmT3_T4_T5_T6_T7_T9_mT8_P12ihipStream_tbDpT10_ENKUlT_T0_E_clISt17integral_constantIbLb1EES16_IbLb0EEEEDaS12_S13_EUlS12_E_NS1_11comp_targetILNS1_3genE2ELNS1_11target_archE906ELNS1_3gpuE6ELNS1_3repE0EEENS1_30default_config_static_selectorELNS0_4arch9wavefront6targetE0EEEvT1_,comdat
.Lfunc_end361:
	.size	_ZN7rocprim17ROCPRIM_400000_NS6detail17trampoline_kernelINS0_14default_configENS1_25partition_config_selectorILNS1_17partition_subalgoE8EfNS0_10empty_typeEbEEZZNS1_14partition_implILS5_8ELb0ES3_jPKfPS6_PKS6_NS0_5tupleIJPfS6_EEENSE_IJSB_SB_EEENS0_18inequality_wrapperIN6hipcub16HIPCUB_304000_NS8EqualityEEEPlJS6_EEE10hipError_tPvRmT3_T4_T5_T6_T7_T9_mT8_P12ihipStream_tbDpT10_ENKUlT_T0_E_clISt17integral_constantIbLb1EES16_IbLb0EEEEDaS12_S13_EUlS12_E_NS1_11comp_targetILNS1_3genE2ELNS1_11target_archE906ELNS1_3gpuE6ELNS1_3repE0EEENS1_30default_config_static_selectorELNS0_4arch9wavefront6targetE0EEEvT1_, .Lfunc_end361-_ZN7rocprim17ROCPRIM_400000_NS6detail17trampoline_kernelINS0_14default_configENS1_25partition_config_selectorILNS1_17partition_subalgoE8EfNS0_10empty_typeEbEEZZNS1_14partition_implILS5_8ELb0ES3_jPKfPS6_PKS6_NS0_5tupleIJPfS6_EEENSE_IJSB_SB_EEENS0_18inequality_wrapperIN6hipcub16HIPCUB_304000_NS8EqualityEEEPlJS6_EEE10hipError_tPvRmT3_T4_T5_T6_T7_T9_mT8_P12ihipStream_tbDpT10_ENKUlT_T0_E_clISt17integral_constantIbLb1EES16_IbLb0EEEEDaS12_S13_EUlS12_E_NS1_11comp_targetILNS1_3genE2ELNS1_11target_archE906ELNS1_3gpuE6ELNS1_3repE0EEENS1_30default_config_static_selectorELNS0_4arch9wavefront6targetE0EEEvT1_
                                        ; -- End function
	.set _ZN7rocprim17ROCPRIM_400000_NS6detail17trampoline_kernelINS0_14default_configENS1_25partition_config_selectorILNS1_17partition_subalgoE8EfNS0_10empty_typeEbEEZZNS1_14partition_implILS5_8ELb0ES3_jPKfPS6_PKS6_NS0_5tupleIJPfS6_EEENSE_IJSB_SB_EEENS0_18inequality_wrapperIN6hipcub16HIPCUB_304000_NS8EqualityEEEPlJS6_EEE10hipError_tPvRmT3_T4_T5_T6_T7_T9_mT8_P12ihipStream_tbDpT10_ENKUlT_T0_E_clISt17integral_constantIbLb1EES16_IbLb0EEEEDaS12_S13_EUlS12_E_NS1_11comp_targetILNS1_3genE2ELNS1_11target_archE906ELNS1_3gpuE6ELNS1_3repE0EEENS1_30default_config_static_selectorELNS0_4arch9wavefront6targetE0EEEvT1_.num_vgpr, 0
	.set _ZN7rocprim17ROCPRIM_400000_NS6detail17trampoline_kernelINS0_14default_configENS1_25partition_config_selectorILNS1_17partition_subalgoE8EfNS0_10empty_typeEbEEZZNS1_14partition_implILS5_8ELb0ES3_jPKfPS6_PKS6_NS0_5tupleIJPfS6_EEENSE_IJSB_SB_EEENS0_18inequality_wrapperIN6hipcub16HIPCUB_304000_NS8EqualityEEEPlJS6_EEE10hipError_tPvRmT3_T4_T5_T6_T7_T9_mT8_P12ihipStream_tbDpT10_ENKUlT_T0_E_clISt17integral_constantIbLb1EES16_IbLb0EEEEDaS12_S13_EUlS12_E_NS1_11comp_targetILNS1_3genE2ELNS1_11target_archE906ELNS1_3gpuE6ELNS1_3repE0EEENS1_30default_config_static_selectorELNS0_4arch9wavefront6targetE0EEEvT1_.num_agpr, 0
	.set _ZN7rocprim17ROCPRIM_400000_NS6detail17trampoline_kernelINS0_14default_configENS1_25partition_config_selectorILNS1_17partition_subalgoE8EfNS0_10empty_typeEbEEZZNS1_14partition_implILS5_8ELb0ES3_jPKfPS6_PKS6_NS0_5tupleIJPfS6_EEENSE_IJSB_SB_EEENS0_18inequality_wrapperIN6hipcub16HIPCUB_304000_NS8EqualityEEEPlJS6_EEE10hipError_tPvRmT3_T4_T5_T6_T7_T9_mT8_P12ihipStream_tbDpT10_ENKUlT_T0_E_clISt17integral_constantIbLb1EES16_IbLb0EEEEDaS12_S13_EUlS12_E_NS1_11comp_targetILNS1_3genE2ELNS1_11target_archE906ELNS1_3gpuE6ELNS1_3repE0EEENS1_30default_config_static_selectorELNS0_4arch9wavefront6targetE0EEEvT1_.numbered_sgpr, 0
	.set _ZN7rocprim17ROCPRIM_400000_NS6detail17trampoline_kernelINS0_14default_configENS1_25partition_config_selectorILNS1_17partition_subalgoE8EfNS0_10empty_typeEbEEZZNS1_14partition_implILS5_8ELb0ES3_jPKfPS6_PKS6_NS0_5tupleIJPfS6_EEENSE_IJSB_SB_EEENS0_18inequality_wrapperIN6hipcub16HIPCUB_304000_NS8EqualityEEEPlJS6_EEE10hipError_tPvRmT3_T4_T5_T6_T7_T9_mT8_P12ihipStream_tbDpT10_ENKUlT_T0_E_clISt17integral_constantIbLb1EES16_IbLb0EEEEDaS12_S13_EUlS12_E_NS1_11comp_targetILNS1_3genE2ELNS1_11target_archE906ELNS1_3gpuE6ELNS1_3repE0EEENS1_30default_config_static_selectorELNS0_4arch9wavefront6targetE0EEEvT1_.num_named_barrier, 0
	.set _ZN7rocprim17ROCPRIM_400000_NS6detail17trampoline_kernelINS0_14default_configENS1_25partition_config_selectorILNS1_17partition_subalgoE8EfNS0_10empty_typeEbEEZZNS1_14partition_implILS5_8ELb0ES3_jPKfPS6_PKS6_NS0_5tupleIJPfS6_EEENSE_IJSB_SB_EEENS0_18inequality_wrapperIN6hipcub16HIPCUB_304000_NS8EqualityEEEPlJS6_EEE10hipError_tPvRmT3_T4_T5_T6_T7_T9_mT8_P12ihipStream_tbDpT10_ENKUlT_T0_E_clISt17integral_constantIbLb1EES16_IbLb0EEEEDaS12_S13_EUlS12_E_NS1_11comp_targetILNS1_3genE2ELNS1_11target_archE906ELNS1_3gpuE6ELNS1_3repE0EEENS1_30default_config_static_selectorELNS0_4arch9wavefront6targetE0EEEvT1_.private_seg_size, 0
	.set _ZN7rocprim17ROCPRIM_400000_NS6detail17trampoline_kernelINS0_14default_configENS1_25partition_config_selectorILNS1_17partition_subalgoE8EfNS0_10empty_typeEbEEZZNS1_14partition_implILS5_8ELb0ES3_jPKfPS6_PKS6_NS0_5tupleIJPfS6_EEENSE_IJSB_SB_EEENS0_18inequality_wrapperIN6hipcub16HIPCUB_304000_NS8EqualityEEEPlJS6_EEE10hipError_tPvRmT3_T4_T5_T6_T7_T9_mT8_P12ihipStream_tbDpT10_ENKUlT_T0_E_clISt17integral_constantIbLb1EES16_IbLb0EEEEDaS12_S13_EUlS12_E_NS1_11comp_targetILNS1_3genE2ELNS1_11target_archE906ELNS1_3gpuE6ELNS1_3repE0EEENS1_30default_config_static_selectorELNS0_4arch9wavefront6targetE0EEEvT1_.uses_vcc, 0
	.set _ZN7rocprim17ROCPRIM_400000_NS6detail17trampoline_kernelINS0_14default_configENS1_25partition_config_selectorILNS1_17partition_subalgoE8EfNS0_10empty_typeEbEEZZNS1_14partition_implILS5_8ELb0ES3_jPKfPS6_PKS6_NS0_5tupleIJPfS6_EEENSE_IJSB_SB_EEENS0_18inequality_wrapperIN6hipcub16HIPCUB_304000_NS8EqualityEEEPlJS6_EEE10hipError_tPvRmT3_T4_T5_T6_T7_T9_mT8_P12ihipStream_tbDpT10_ENKUlT_T0_E_clISt17integral_constantIbLb1EES16_IbLb0EEEEDaS12_S13_EUlS12_E_NS1_11comp_targetILNS1_3genE2ELNS1_11target_archE906ELNS1_3gpuE6ELNS1_3repE0EEENS1_30default_config_static_selectorELNS0_4arch9wavefront6targetE0EEEvT1_.uses_flat_scratch, 0
	.set _ZN7rocprim17ROCPRIM_400000_NS6detail17trampoline_kernelINS0_14default_configENS1_25partition_config_selectorILNS1_17partition_subalgoE8EfNS0_10empty_typeEbEEZZNS1_14partition_implILS5_8ELb0ES3_jPKfPS6_PKS6_NS0_5tupleIJPfS6_EEENSE_IJSB_SB_EEENS0_18inequality_wrapperIN6hipcub16HIPCUB_304000_NS8EqualityEEEPlJS6_EEE10hipError_tPvRmT3_T4_T5_T6_T7_T9_mT8_P12ihipStream_tbDpT10_ENKUlT_T0_E_clISt17integral_constantIbLb1EES16_IbLb0EEEEDaS12_S13_EUlS12_E_NS1_11comp_targetILNS1_3genE2ELNS1_11target_archE906ELNS1_3gpuE6ELNS1_3repE0EEENS1_30default_config_static_selectorELNS0_4arch9wavefront6targetE0EEEvT1_.has_dyn_sized_stack, 0
	.set _ZN7rocprim17ROCPRIM_400000_NS6detail17trampoline_kernelINS0_14default_configENS1_25partition_config_selectorILNS1_17partition_subalgoE8EfNS0_10empty_typeEbEEZZNS1_14partition_implILS5_8ELb0ES3_jPKfPS6_PKS6_NS0_5tupleIJPfS6_EEENSE_IJSB_SB_EEENS0_18inequality_wrapperIN6hipcub16HIPCUB_304000_NS8EqualityEEEPlJS6_EEE10hipError_tPvRmT3_T4_T5_T6_T7_T9_mT8_P12ihipStream_tbDpT10_ENKUlT_T0_E_clISt17integral_constantIbLb1EES16_IbLb0EEEEDaS12_S13_EUlS12_E_NS1_11comp_targetILNS1_3genE2ELNS1_11target_archE906ELNS1_3gpuE6ELNS1_3repE0EEENS1_30default_config_static_selectorELNS0_4arch9wavefront6targetE0EEEvT1_.has_recursion, 0
	.set _ZN7rocprim17ROCPRIM_400000_NS6detail17trampoline_kernelINS0_14default_configENS1_25partition_config_selectorILNS1_17partition_subalgoE8EfNS0_10empty_typeEbEEZZNS1_14partition_implILS5_8ELb0ES3_jPKfPS6_PKS6_NS0_5tupleIJPfS6_EEENSE_IJSB_SB_EEENS0_18inequality_wrapperIN6hipcub16HIPCUB_304000_NS8EqualityEEEPlJS6_EEE10hipError_tPvRmT3_T4_T5_T6_T7_T9_mT8_P12ihipStream_tbDpT10_ENKUlT_T0_E_clISt17integral_constantIbLb1EES16_IbLb0EEEEDaS12_S13_EUlS12_E_NS1_11comp_targetILNS1_3genE2ELNS1_11target_archE906ELNS1_3gpuE6ELNS1_3repE0EEENS1_30default_config_static_selectorELNS0_4arch9wavefront6targetE0EEEvT1_.has_indirect_call, 0
	.section	.AMDGPU.csdata,"",@progbits
; Kernel info:
; codeLenInByte = 0
; TotalNumSgprs: 0
; NumVgprs: 0
; ScratchSize: 0
; MemoryBound: 0
; FloatMode: 240
; IeeeMode: 1
; LDSByteSize: 0 bytes/workgroup (compile time only)
; SGPRBlocks: 0
; VGPRBlocks: 0
; NumSGPRsForWavesPerEU: 1
; NumVGPRsForWavesPerEU: 1
; NamedBarCnt: 0
; Occupancy: 16
; WaveLimiterHint : 0
; COMPUTE_PGM_RSRC2:SCRATCH_EN: 0
; COMPUTE_PGM_RSRC2:USER_SGPR: 2
; COMPUTE_PGM_RSRC2:TRAP_HANDLER: 0
; COMPUTE_PGM_RSRC2:TGID_X_EN: 1
; COMPUTE_PGM_RSRC2:TGID_Y_EN: 0
; COMPUTE_PGM_RSRC2:TGID_Z_EN: 0
; COMPUTE_PGM_RSRC2:TIDIG_COMP_CNT: 0
	.section	.text._ZN7rocprim17ROCPRIM_400000_NS6detail17trampoline_kernelINS0_14default_configENS1_25partition_config_selectorILNS1_17partition_subalgoE8EfNS0_10empty_typeEbEEZZNS1_14partition_implILS5_8ELb0ES3_jPKfPS6_PKS6_NS0_5tupleIJPfS6_EEENSE_IJSB_SB_EEENS0_18inequality_wrapperIN6hipcub16HIPCUB_304000_NS8EqualityEEEPlJS6_EEE10hipError_tPvRmT3_T4_T5_T6_T7_T9_mT8_P12ihipStream_tbDpT10_ENKUlT_T0_E_clISt17integral_constantIbLb1EES16_IbLb0EEEEDaS12_S13_EUlS12_E_NS1_11comp_targetILNS1_3genE10ELNS1_11target_archE1200ELNS1_3gpuE4ELNS1_3repE0EEENS1_30default_config_static_selectorELNS0_4arch9wavefront6targetE0EEEvT1_,"axG",@progbits,_ZN7rocprim17ROCPRIM_400000_NS6detail17trampoline_kernelINS0_14default_configENS1_25partition_config_selectorILNS1_17partition_subalgoE8EfNS0_10empty_typeEbEEZZNS1_14partition_implILS5_8ELb0ES3_jPKfPS6_PKS6_NS0_5tupleIJPfS6_EEENSE_IJSB_SB_EEENS0_18inequality_wrapperIN6hipcub16HIPCUB_304000_NS8EqualityEEEPlJS6_EEE10hipError_tPvRmT3_T4_T5_T6_T7_T9_mT8_P12ihipStream_tbDpT10_ENKUlT_T0_E_clISt17integral_constantIbLb1EES16_IbLb0EEEEDaS12_S13_EUlS12_E_NS1_11comp_targetILNS1_3genE10ELNS1_11target_archE1200ELNS1_3gpuE4ELNS1_3repE0EEENS1_30default_config_static_selectorELNS0_4arch9wavefront6targetE0EEEvT1_,comdat
	.protected	_ZN7rocprim17ROCPRIM_400000_NS6detail17trampoline_kernelINS0_14default_configENS1_25partition_config_selectorILNS1_17partition_subalgoE8EfNS0_10empty_typeEbEEZZNS1_14partition_implILS5_8ELb0ES3_jPKfPS6_PKS6_NS0_5tupleIJPfS6_EEENSE_IJSB_SB_EEENS0_18inequality_wrapperIN6hipcub16HIPCUB_304000_NS8EqualityEEEPlJS6_EEE10hipError_tPvRmT3_T4_T5_T6_T7_T9_mT8_P12ihipStream_tbDpT10_ENKUlT_T0_E_clISt17integral_constantIbLb1EES16_IbLb0EEEEDaS12_S13_EUlS12_E_NS1_11comp_targetILNS1_3genE10ELNS1_11target_archE1200ELNS1_3gpuE4ELNS1_3repE0EEENS1_30default_config_static_selectorELNS0_4arch9wavefront6targetE0EEEvT1_ ; -- Begin function _ZN7rocprim17ROCPRIM_400000_NS6detail17trampoline_kernelINS0_14default_configENS1_25partition_config_selectorILNS1_17partition_subalgoE8EfNS0_10empty_typeEbEEZZNS1_14partition_implILS5_8ELb0ES3_jPKfPS6_PKS6_NS0_5tupleIJPfS6_EEENSE_IJSB_SB_EEENS0_18inequality_wrapperIN6hipcub16HIPCUB_304000_NS8EqualityEEEPlJS6_EEE10hipError_tPvRmT3_T4_T5_T6_T7_T9_mT8_P12ihipStream_tbDpT10_ENKUlT_T0_E_clISt17integral_constantIbLb1EES16_IbLb0EEEEDaS12_S13_EUlS12_E_NS1_11comp_targetILNS1_3genE10ELNS1_11target_archE1200ELNS1_3gpuE4ELNS1_3repE0EEENS1_30default_config_static_selectorELNS0_4arch9wavefront6targetE0EEEvT1_
	.globl	_ZN7rocprim17ROCPRIM_400000_NS6detail17trampoline_kernelINS0_14default_configENS1_25partition_config_selectorILNS1_17partition_subalgoE8EfNS0_10empty_typeEbEEZZNS1_14partition_implILS5_8ELb0ES3_jPKfPS6_PKS6_NS0_5tupleIJPfS6_EEENSE_IJSB_SB_EEENS0_18inequality_wrapperIN6hipcub16HIPCUB_304000_NS8EqualityEEEPlJS6_EEE10hipError_tPvRmT3_T4_T5_T6_T7_T9_mT8_P12ihipStream_tbDpT10_ENKUlT_T0_E_clISt17integral_constantIbLb1EES16_IbLb0EEEEDaS12_S13_EUlS12_E_NS1_11comp_targetILNS1_3genE10ELNS1_11target_archE1200ELNS1_3gpuE4ELNS1_3repE0EEENS1_30default_config_static_selectorELNS0_4arch9wavefront6targetE0EEEvT1_
	.p2align	8
	.type	_ZN7rocprim17ROCPRIM_400000_NS6detail17trampoline_kernelINS0_14default_configENS1_25partition_config_selectorILNS1_17partition_subalgoE8EfNS0_10empty_typeEbEEZZNS1_14partition_implILS5_8ELb0ES3_jPKfPS6_PKS6_NS0_5tupleIJPfS6_EEENSE_IJSB_SB_EEENS0_18inequality_wrapperIN6hipcub16HIPCUB_304000_NS8EqualityEEEPlJS6_EEE10hipError_tPvRmT3_T4_T5_T6_T7_T9_mT8_P12ihipStream_tbDpT10_ENKUlT_T0_E_clISt17integral_constantIbLb1EES16_IbLb0EEEEDaS12_S13_EUlS12_E_NS1_11comp_targetILNS1_3genE10ELNS1_11target_archE1200ELNS1_3gpuE4ELNS1_3repE0EEENS1_30default_config_static_selectorELNS0_4arch9wavefront6targetE0EEEvT1_,@function
_ZN7rocprim17ROCPRIM_400000_NS6detail17trampoline_kernelINS0_14default_configENS1_25partition_config_selectorILNS1_17partition_subalgoE8EfNS0_10empty_typeEbEEZZNS1_14partition_implILS5_8ELb0ES3_jPKfPS6_PKS6_NS0_5tupleIJPfS6_EEENSE_IJSB_SB_EEENS0_18inequality_wrapperIN6hipcub16HIPCUB_304000_NS8EqualityEEEPlJS6_EEE10hipError_tPvRmT3_T4_T5_T6_T7_T9_mT8_P12ihipStream_tbDpT10_ENKUlT_T0_E_clISt17integral_constantIbLb1EES16_IbLb0EEEEDaS12_S13_EUlS12_E_NS1_11comp_targetILNS1_3genE10ELNS1_11target_archE1200ELNS1_3gpuE4ELNS1_3repE0EEENS1_30default_config_static_selectorELNS0_4arch9wavefront6targetE0EEEvT1_: ; @_ZN7rocprim17ROCPRIM_400000_NS6detail17trampoline_kernelINS0_14default_configENS1_25partition_config_selectorILNS1_17partition_subalgoE8EfNS0_10empty_typeEbEEZZNS1_14partition_implILS5_8ELb0ES3_jPKfPS6_PKS6_NS0_5tupleIJPfS6_EEENSE_IJSB_SB_EEENS0_18inequality_wrapperIN6hipcub16HIPCUB_304000_NS8EqualityEEEPlJS6_EEE10hipError_tPvRmT3_T4_T5_T6_T7_T9_mT8_P12ihipStream_tbDpT10_ENKUlT_T0_E_clISt17integral_constantIbLb1EES16_IbLb0EEEEDaS12_S13_EUlS12_E_NS1_11comp_targetILNS1_3genE10ELNS1_11target_archE1200ELNS1_3gpuE4ELNS1_3repE0EEENS1_30default_config_static_selectorELNS0_4arch9wavefront6targetE0EEEvT1_
; %bb.0:
	.section	.rodata,"a",@progbits
	.p2align	6, 0x0
	.amdhsa_kernel _ZN7rocprim17ROCPRIM_400000_NS6detail17trampoline_kernelINS0_14default_configENS1_25partition_config_selectorILNS1_17partition_subalgoE8EfNS0_10empty_typeEbEEZZNS1_14partition_implILS5_8ELb0ES3_jPKfPS6_PKS6_NS0_5tupleIJPfS6_EEENSE_IJSB_SB_EEENS0_18inequality_wrapperIN6hipcub16HIPCUB_304000_NS8EqualityEEEPlJS6_EEE10hipError_tPvRmT3_T4_T5_T6_T7_T9_mT8_P12ihipStream_tbDpT10_ENKUlT_T0_E_clISt17integral_constantIbLb1EES16_IbLb0EEEEDaS12_S13_EUlS12_E_NS1_11comp_targetILNS1_3genE10ELNS1_11target_archE1200ELNS1_3gpuE4ELNS1_3repE0EEENS1_30default_config_static_selectorELNS0_4arch9wavefront6targetE0EEEvT1_
		.amdhsa_group_segment_fixed_size 0
		.amdhsa_private_segment_fixed_size 0
		.amdhsa_kernarg_size 112
		.amdhsa_user_sgpr_count 2
		.amdhsa_user_sgpr_dispatch_ptr 0
		.amdhsa_user_sgpr_queue_ptr 0
		.amdhsa_user_sgpr_kernarg_segment_ptr 1
		.amdhsa_user_sgpr_dispatch_id 0
		.amdhsa_user_sgpr_kernarg_preload_length 0
		.amdhsa_user_sgpr_kernarg_preload_offset 0
		.amdhsa_user_sgpr_private_segment_size 0
		.amdhsa_wavefront_size32 1
		.amdhsa_uses_dynamic_stack 0
		.amdhsa_enable_private_segment 0
		.amdhsa_system_sgpr_workgroup_id_x 1
		.amdhsa_system_sgpr_workgroup_id_y 0
		.amdhsa_system_sgpr_workgroup_id_z 0
		.amdhsa_system_sgpr_workgroup_info 0
		.amdhsa_system_vgpr_workitem_id 0
		.amdhsa_next_free_vgpr 1
		.amdhsa_next_free_sgpr 1
		.amdhsa_named_barrier_count 0
		.amdhsa_reserve_vcc 0
		.amdhsa_float_round_mode_32 0
		.amdhsa_float_round_mode_16_64 0
		.amdhsa_float_denorm_mode_32 3
		.amdhsa_float_denorm_mode_16_64 3
		.amdhsa_fp16_overflow 0
		.amdhsa_memory_ordered 1
		.amdhsa_forward_progress 1
		.amdhsa_inst_pref_size 0
		.amdhsa_round_robin_scheduling 0
		.amdhsa_exception_fp_ieee_invalid_op 0
		.amdhsa_exception_fp_denorm_src 0
		.amdhsa_exception_fp_ieee_div_zero 0
		.amdhsa_exception_fp_ieee_overflow 0
		.amdhsa_exception_fp_ieee_underflow 0
		.amdhsa_exception_fp_ieee_inexact 0
		.amdhsa_exception_int_div_zero 0
	.end_amdhsa_kernel
	.section	.text._ZN7rocprim17ROCPRIM_400000_NS6detail17trampoline_kernelINS0_14default_configENS1_25partition_config_selectorILNS1_17partition_subalgoE8EfNS0_10empty_typeEbEEZZNS1_14partition_implILS5_8ELb0ES3_jPKfPS6_PKS6_NS0_5tupleIJPfS6_EEENSE_IJSB_SB_EEENS0_18inequality_wrapperIN6hipcub16HIPCUB_304000_NS8EqualityEEEPlJS6_EEE10hipError_tPvRmT3_T4_T5_T6_T7_T9_mT8_P12ihipStream_tbDpT10_ENKUlT_T0_E_clISt17integral_constantIbLb1EES16_IbLb0EEEEDaS12_S13_EUlS12_E_NS1_11comp_targetILNS1_3genE10ELNS1_11target_archE1200ELNS1_3gpuE4ELNS1_3repE0EEENS1_30default_config_static_selectorELNS0_4arch9wavefront6targetE0EEEvT1_,"axG",@progbits,_ZN7rocprim17ROCPRIM_400000_NS6detail17trampoline_kernelINS0_14default_configENS1_25partition_config_selectorILNS1_17partition_subalgoE8EfNS0_10empty_typeEbEEZZNS1_14partition_implILS5_8ELb0ES3_jPKfPS6_PKS6_NS0_5tupleIJPfS6_EEENSE_IJSB_SB_EEENS0_18inequality_wrapperIN6hipcub16HIPCUB_304000_NS8EqualityEEEPlJS6_EEE10hipError_tPvRmT3_T4_T5_T6_T7_T9_mT8_P12ihipStream_tbDpT10_ENKUlT_T0_E_clISt17integral_constantIbLb1EES16_IbLb0EEEEDaS12_S13_EUlS12_E_NS1_11comp_targetILNS1_3genE10ELNS1_11target_archE1200ELNS1_3gpuE4ELNS1_3repE0EEENS1_30default_config_static_selectorELNS0_4arch9wavefront6targetE0EEEvT1_,comdat
.Lfunc_end362:
	.size	_ZN7rocprim17ROCPRIM_400000_NS6detail17trampoline_kernelINS0_14default_configENS1_25partition_config_selectorILNS1_17partition_subalgoE8EfNS0_10empty_typeEbEEZZNS1_14partition_implILS5_8ELb0ES3_jPKfPS6_PKS6_NS0_5tupleIJPfS6_EEENSE_IJSB_SB_EEENS0_18inequality_wrapperIN6hipcub16HIPCUB_304000_NS8EqualityEEEPlJS6_EEE10hipError_tPvRmT3_T4_T5_T6_T7_T9_mT8_P12ihipStream_tbDpT10_ENKUlT_T0_E_clISt17integral_constantIbLb1EES16_IbLb0EEEEDaS12_S13_EUlS12_E_NS1_11comp_targetILNS1_3genE10ELNS1_11target_archE1200ELNS1_3gpuE4ELNS1_3repE0EEENS1_30default_config_static_selectorELNS0_4arch9wavefront6targetE0EEEvT1_, .Lfunc_end362-_ZN7rocprim17ROCPRIM_400000_NS6detail17trampoline_kernelINS0_14default_configENS1_25partition_config_selectorILNS1_17partition_subalgoE8EfNS0_10empty_typeEbEEZZNS1_14partition_implILS5_8ELb0ES3_jPKfPS6_PKS6_NS0_5tupleIJPfS6_EEENSE_IJSB_SB_EEENS0_18inequality_wrapperIN6hipcub16HIPCUB_304000_NS8EqualityEEEPlJS6_EEE10hipError_tPvRmT3_T4_T5_T6_T7_T9_mT8_P12ihipStream_tbDpT10_ENKUlT_T0_E_clISt17integral_constantIbLb1EES16_IbLb0EEEEDaS12_S13_EUlS12_E_NS1_11comp_targetILNS1_3genE10ELNS1_11target_archE1200ELNS1_3gpuE4ELNS1_3repE0EEENS1_30default_config_static_selectorELNS0_4arch9wavefront6targetE0EEEvT1_
                                        ; -- End function
	.set _ZN7rocprim17ROCPRIM_400000_NS6detail17trampoline_kernelINS0_14default_configENS1_25partition_config_selectorILNS1_17partition_subalgoE8EfNS0_10empty_typeEbEEZZNS1_14partition_implILS5_8ELb0ES3_jPKfPS6_PKS6_NS0_5tupleIJPfS6_EEENSE_IJSB_SB_EEENS0_18inequality_wrapperIN6hipcub16HIPCUB_304000_NS8EqualityEEEPlJS6_EEE10hipError_tPvRmT3_T4_T5_T6_T7_T9_mT8_P12ihipStream_tbDpT10_ENKUlT_T0_E_clISt17integral_constantIbLb1EES16_IbLb0EEEEDaS12_S13_EUlS12_E_NS1_11comp_targetILNS1_3genE10ELNS1_11target_archE1200ELNS1_3gpuE4ELNS1_3repE0EEENS1_30default_config_static_selectorELNS0_4arch9wavefront6targetE0EEEvT1_.num_vgpr, 0
	.set _ZN7rocprim17ROCPRIM_400000_NS6detail17trampoline_kernelINS0_14default_configENS1_25partition_config_selectorILNS1_17partition_subalgoE8EfNS0_10empty_typeEbEEZZNS1_14partition_implILS5_8ELb0ES3_jPKfPS6_PKS6_NS0_5tupleIJPfS6_EEENSE_IJSB_SB_EEENS0_18inequality_wrapperIN6hipcub16HIPCUB_304000_NS8EqualityEEEPlJS6_EEE10hipError_tPvRmT3_T4_T5_T6_T7_T9_mT8_P12ihipStream_tbDpT10_ENKUlT_T0_E_clISt17integral_constantIbLb1EES16_IbLb0EEEEDaS12_S13_EUlS12_E_NS1_11comp_targetILNS1_3genE10ELNS1_11target_archE1200ELNS1_3gpuE4ELNS1_3repE0EEENS1_30default_config_static_selectorELNS0_4arch9wavefront6targetE0EEEvT1_.num_agpr, 0
	.set _ZN7rocprim17ROCPRIM_400000_NS6detail17trampoline_kernelINS0_14default_configENS1_25partition_config_selectorILNS1_17partition_subalgoE8EfNS0_10empty_typeEbEEZZNS1_14partition_implILS5_8ELb0ES3_jPKfPS6_PKS6_NS0_5tupleIJPfS6_EEENSE_IJSB_SB_EEENS0_18inequality_wrapperIN6hipcub16HIPCUB_304000_NS8EqualityEEEPlJS6_EEE10hipError_tPvRmT3_T4_T5_T6_T7_T9_mT8_P12ihipStream_tbDpT10_ENKUlT_T0_E_clISt17integral_constantIbLb1EES16_IbLb0EEEEDaS12_S13_EUlS12_E_NS1_11comp_targetILNS1_3genE10ELNS1_11target_archE1200ELNS1_3gpuE4ELNS1_3repE0EEENS1_30default_config_static_selectorELNS0_4arch9wavefront6targetE0EEEvT1_.numbered_sgpr, 0
	.set _ZN7rocprim17ROCPRIM_400000_NS6detail17trampoline_kernelINS0_14default_configENS1_25partition_config_selectorILNS1_17partition_subalgoE8EfNS0_10empty_typeEbEEZZNS1_14partition_implILS5_8ELb0ES3_jPKfPS6_PKS6_NS0_5tupleIJPfS6_EEENSE_IJSB_SB_EEENS0_18inequality_wrapperIN6hipcub16HIPCUB_304000_NS8EqualityEEEPlJS6_EEE10hipError_tPvRmT3_T4_T5_T6_T7_T9_mT8_P12ihipStream_tbDpT10_ENKUlT_T0_E_clISt17integral_constantIbLb1EES16_IbLb0EEEEDaS12_S13_EUlS12_E_NS1_11comp_targetILNS1_3genE10ELNS1_11target_archE1200ELNS1_3gpuE4ELNS1_3repE0EEENS1_30default_config_static_selectorELNS0_4arch9wavefront6targetE0EEEvT1_.num_named_barrier, 0
	.set _ZN7rocprim17ROCPRIM_400000_NS6detail17trampoline_kernelINS0_14default_configENS1_25partition_config_selectorILNS1_17partition_subalgoE8EfNS0_10empty_typeEbEEZZNS1_14partition_implILS5_8ELb0ES3_jPKfPS6_PKS6_NS0_5tupleIJPfS6_EEENSE_IJSB_SB_EEENS0_18inequality_wrapperIN6hipcub16HIPCUB_304000_NS8EqualityEEEPlJS6_EEE10hipError_tPvRmT3_T4_T5_T6_T7_T9_mT8_P12ihipStream_tbDpT10_ENKUlT_T0_E_clISt17integral_constantIbLb1EES16_IbLb0EEEEDaS12_S13_EUlS12_E_NS1_11comp_targetILNS1_3genE10ELNS1_11target_archE1200ELNS1_3gpuE4ELNS1_3repE0EEENS1_30default_config_static_selectorELNS0_4arch9wavefront6targetE0EEEvT1_.private_seg_size, 0
	.set _ZN7rocprim17ROCPRIM_400000_NS6detail17trampoline_kernelINS0_14default_configENS1_25partition_config_selectorILNS1_17partition_subalgoE8EfNS0_10empty_typeEbEEZZNS1_14partition_implILS5_8ELb0ES3_jPKfPS6_PKS6_NS0_5tupleIJPfS6_EEENSE_IJSB_SB_EEENS0_18inequality_wrapperIN6hipcub16HIPCUB_304000_NS8EqualityEEEPlJS6_EEE10hipError_tPvRmT3_T4_T5_T6_T7_T9_mT8_P12ihipStream_tbDpT10_ENKUlT_T0_E_clISt17integral_constantIbLb1EES16_IbLb0EEEEDaS12_S13_EUlS12_E_NS1_11comp_targetILNS1_3genE10ELNS1_11target_archE1200ELNS1_3gpuE4ELNS1_3repE0EEENS1_30default_config_static_selectorELNS0_4arch9wavefront6targetE0EEEvT1_.uses_vcc, 0
	.set _ZN7rocprim17ROCPRIM_400000_NS6detail17trampoline_kernelINS0_14default_configENS1_25partition_config_selectorILNS1_17partition_subalgoE8EfNS0_10empty_typeEbEEZZNS1_14partition_implILS5_8ELb0ES3_jPKfPS6_PKS6_NS0_5tupleIJPfS6_EEENSE_IJSB_SB_EEENS0_18inequality_wrapperIN6hipcub16HIPCUB_304000_NS8EqualityEEEPlJS6_EEE10hipError_tPvRmT3_T4_T5_T6_T7_T9_mT8_P12ihipStream_tbDpT10_ENKUlT_T0_E_clISt17integral_constantIbLb1EES16_IbLb0EEEEDaS12_S13_EUlS12_E_NS1_11comp_targetILNS1_3genE10ELNS1_11target_archE1200ELNS1_3gpuE4ELNS1_3repE0EEENS1_30default_config_static_selectorELNS0_4arch9wavefront6targetE0EEEvT1_.uses_flat_scratch, 0
	.set _ZN7rocprim17ROCPRIM_400000_NS6detail17trampoline_kernelINS0_14default_configENS1_25partition_config_selectorILNS1_17partition_subalgoE8EfNS0_10empty_typeEbEEZZNS1_14partition_implILS5_8ELb0ES3_jPKfPS6_PKS6_NS0_5tupleIJPfS6_EEENSE_IJSB_SB_EEENS0_18inequality_wrapperIN6hipcub16HIPCUB_304000_NS8EqualityEEEPlJS6_EEE10hipError_tPvRmT3_T4_T5_T6_T7_T9_mT8_P12ihipStream_tbDpT10_ENKUlT_T0_E_clISt17integral_constantIbLb1EES16_IbLb0EEEEDaS12_S13_EUlS12_E_NS1_11comp_targetILNS1_3genE10ELNS1_11target_archE1200ELNS1_3gpuE4ELNS1_3repE0EEENS1_30default_config_static_selectorELNS0_4arch9wavefront6targetE0EEEvT1_.has_dyn_sized_stack, 0
	.set _ZN7rocprim17ROCPRIM_400000_NS6detail17trampoline_kernelINS0_14default_configENS1_25partition_config_selectorILNS1_17partition_subalgoE8EfNS0_10empty_typeEbEEZZNS1_14partition_implILS5_8ELb0ES3_jPKfPS6_PKS6_NS0_5tupleIJPfS6_EEENSE_IJSB_SB_EEENS0_18inequality_wrapperIN6hipcub16HIPCUB_304000_NS8EqualityEEEPlJS6_EEE10hipError_tPvRmT3_T4_T5_T6_T7_T9_mT8_P12ihipStream_tbDpT10_ENKUlT_T0_E_clISt17integral_constantIbLb1EES16_IbLb0EEEEDaS12_S13_EUlS12_E_NS1_11comp_targetILNS1_3genE10ELNS1_11target_archE1200ELNS1_3gpuE4ELNS1_3repE0EEENS1_30default_config_static_selectorELNS0_4arch9wavefront6targetE0EEEvT1_.has_recursion, 0
	.set _ZN7rocprim17ROCPRIM_400000_NS6detail17trampoline_kernelINS0_14default_configENS1_25partition_config_selectorILNS1_17partition_subalgoE8EfNS0_10empty_typeEbEEZZNS1_14partition_implILS5_8ELb0ES3_jPKfPS6_PKS6_NS0_5tupleIJPfS6_EEENSE_IJSB_SB_EEENS0_18inequality_wrapperIN6hipcub16HIPCUB_304000_NS8EqualityEEEPlJS6_EEE10hipError_tPvRmT3_T4_T5_T6_T7_T9_mT8_P12ihipStream_tbDpT10_ENKUlT_T0_E_clISt17integral_constantIbLb1EES16_IbLb0EEEEDaS12_S13_EUlS12_E_NS1_11comp_targetILNS1_3genE10ELNS1_11target_archE1200ELNS1_3gpuE4ELNS1_3repE0EEENS1_30default_config_static_selectorELNS0_4arch9wavefront6targetE0EEEvT1_.has_indirect_call, 0
	.section	.AMDGPU.csdata,"",@progbits
; Kernel info:
; codeLenInByte = 0
; TotalNumSgprs: 0
; NumVgprs: 0
; ScratchSize: 0
; MemoryBound: 0
; FloatMode: 240
; IeeeMode: 1
; LDSByteSize: 0 bytes/workgroup (compile time only)
; SGPRBlocks: 0
; VGPRBlocks: 0
; NumSGPRsForWavesPerEU: 1
; NumVGPRsForWavesPerEU: 1
; NamedBarCnt: 0
; Occupancy: 16
; WaveLimiterHint : 0
; COMPUTE_PGM_RSRC2:SCRATCH_EN: 0
; COMPUTE_PGM_RSRC2:USER_SGPR: 2
; COMPUTE_PGM_RSRC2:TRAP_HANDLER: 0
; COMPUTE_PGM_RSRC2:TGID_X_EN: 1
; COMPUTE_PGM_RSRC2:TGID_Y_EN: 0
; COMPUTE_PGM_RSRC2:TGID_Z_EN: 0
; COMPUTE_PGM_RSRC2:TIDIG_COMP_CNT: 0
	.section	.text._ZN7rocprim17ROCPRIM_400000_NS6detail17trampoline_kernelINS0_14default_configENS1_25partition_config_selectorILNS1_17partition_subalgoE8EfNS0_10empty_typeEbEEZZNS1_14partition_implILS5_8ELb0ES3_jPKfPS6_PKS6_NS0_5tupleIJPfS6_EEENSE_IJSB_SB_EEENS0_18inequality_wrapperIN6hipcub16HIPCUB_304000_NS8EqualityEEEPlJS6_EEE10hipError_tPvRmT3_T4_T5_T6_T7_T9_mT8_P12ihipStream_tbDpT10_ENKUlT_T0_E_clISt17integral_constantIbLb1EES16_IbLb0EEEEDaS12_S13_EUlS12_E_NS1_11comp_targetILNS1_3genE9ELNS1_11target_archE1100ELNS1_3gpuE3ELNS1_3repE0EEENS1_30default_config_static_selectorELNS0_4arch9wavefront6targetE0EEEvT1_,"axG",@progbits,_ZN7rocprim17ROCPRIM_400000_NS6detail17trampoline_kernelINS0_14default_configENS1_25partition_config_selectorILNS1_17partition_subalgoE8EfNS0_10empty_typeEbEEZZNS1_14partition_implILS5_8ELb0ES3_jPKfPS6_PKS6_NS0_5tupleIJPfS6_EEENSE_IJSB_SB_EEENS0_18inequality_wrapperIN6hipcub16HIPCUB_304000_NS8EqualityEEEPlJS6_EEE10hipError_tPvRmT3_T4_T5_T6_T7_T9_mT8_P12ihipStream_tbDpT10_ENKUlT_T0_E_clISt17integral_constantIbLb1EES16_IbLb0EEEEDaS12_S13_EUlS12_E_NS1_11comp_targetILNS1_3genE9ELNS1_11target_archE1100ELNS1_3gpuE3ELNS1_3repE0EEENS1_30default_config_static_selectorELNS0_4arch9wavefront6targetE0EEEvT1_,comdat
	.protected	_ZN7rocprim17ROCPRIM_400000_NS6detail17trampoline_kernelINS0_14default_configENS1_25partition_config_selectorILNS1_17partition_subalgoE8EfNS0_10empty_typeEbEEZZNS1_14partition_implILS5_8ELb0ES3_jPKfPS6_PKS6_NS0_5tupleIJPfS6_EEENSE_IJSB_SB_EEENS0_18inequality_wrapperIN6hipcub16HIPCUB_304000_NS8EqualityEEEPlJS6_EEE10hipError_tPvRmT3_T4_T5_T6_T7_T9_mT8_P12ihipStream_tbDpT10_ENKUlT_T0_E_clISt17integral_constantIbLb1EES16_IbLb0EEEEDaS12_S13_EUlS12_E_NS1_11comp_targetILNS1_3genE9ELNS1_11target_archE1100ELNS1_3gpuE3ELNS1_3repE0EEENS1_30default_config_static_selectorELNS0_4arch9wavefront6targetE0EEEvT1_ ; -- Begin function _ZN7rocprim17ROCPRIM_400000_NS6detail17trampoline_kernelINS0_14default_configENS1_25partition_config_selectorILNS1_17partition_subalgoE8EfNS0_10empty_typeEbEEZZNS1_14partition_implILS5_8ELb0ES3_jPKfPS6_PKS6_NS0_5tupleIJPfS6_EEENSE_IJSB_SB_EEENS0_18inequality_wrapperIN6hipcub16HIPCUB_304000_NS8EqualityEEEPlJS6_EEE10hipError_tPvRmT3_T4_T5_T6_T7_T9_mT8_P12ihipStream_tbDpT10_ENKUlT_T0_E_clISt17integral_constantIbLb1EES16_IbLb0EEEEDaS12_S13_EUlS12_E_NS1_11comp_targetILNS1_3genE9ELNS1_11target_archE1100ELNS1_3gpuE3ELNS1_3repE0EEENS1_30default_config_static_selectorELNS0_4arch9wavefront6targetE0EEEvT1_
	.globl	_ZN7rocprim17ROCPRIM_400000_NS6detail17trampoline_kernelINS0_14default_configENS1_25partition_config_selectorILNS1_17partition_subalgoE8EfNS0_10empty_typeEbEEZZNS1_14partition_implILS5_8ELb0ES3_jPKfPS6_PKS6_NS0_5tupleIJPfS6_EEENSE_IJSB_SB_EEENS0_18inequality_wrapperIN6hipcub16HIPCUB_304000_NS8EqualityEEEPlJS6_EEE10hipError_tPvRmT3_T4_T5_T6_T7_T9_mT8_P12ihipStream_tbDpT10_ENKUlT_T0_E_clISt17integral_constantIbLb1EES16_IbLb0EEEEDaS12_S13_EUlS12_E_NS1_11comp_targetILNS1_3genE9ELNS1_11target_archE1100ELNS1_3gpuE3ELNS1_3repE0EEENS1_30default_config_static_selectorELNS0_4arch9wavefront6targetE0EEEvT1_
	.p2align	8
	.type	_ZN7rocprim17ROCPRIM_400000_NS6detail17trampoline_kernelINS0_14default_configENS1_25partition_config_selectorILNS1_17partition_subalgoE8EfNS0_10empty_typeEbEEZZNS1_14partition_implILS5_8ELb0ES3_jPKfPS6_PKS6_NS0_5tupleIJPfS6_EEENSE_IJSB_SB_EEENS0_18inequality_wrapperIN6hipcub16HIPCUB_304000_NS8EqualityEEEPlJS6_EEE10hipError_tPvRmT3_T4_T5_T6_T7_T9_mT8_P12ihipStream_tbDpT10_ENKUlT_T0_E_clISt17integral_constantIbLb1EES16_IbLb0EEEEDaS12_S13_EUlS12_E_NS1_11comp_targetILNS1_3genE9ELNS1_11target_archE1100ELNS1_3gpuE3ELNS1_3repE0EEENS1_30default_config_static_selectorELNS0_4arch9wavefront6targetE0EEEvT1_,@function
_ZN7rocprim17ROCPRIM_400000_NS6detail17trampoline_kernelINS0_14default_configENS1_25partition_config_selectorILNS1_17partition_subalgoE8EfNS0_10empty_typeEbEEZZNS1_14partition_implILS5_8ELb0ES3_jPKfPS6_PKS6_NS0_5tupleIJPfS6_EEENSE_IJSB_SB_EEENS0_18inequality_wrapperIN6hipcub16HIPCUB_304000_NS8EqualityEEEPlJS6_EEE10hipError_tPvRmT3_T4_T5_T6_T7_T9_mT8_P12ihipStream_tbDpT10_ENKUlT_T0_E_clISt17integral_constantIbLb1EES16_IbLb0EEEEDaS12_S13_EUlS12_E_NS1_11comp_targetILNS1_3genE9ELNS1_11target_archE1100ELNS1_3gpuE3ELNS1_3repE0EEENS1_30default_config_static_selectorELNS0_4arch9wavefront6targetE0EEEvT1_: ; @_ZN7rocprim17ROCPRIM_400000_NS6detail17trampoline_kernelINS0_14default_configENS1_25partition_config_selectorILNS1_17partition_subalgoE8EfNS0_10empty_typeEbEEZZNS1_14partition_implILS5_8ELb0ES3_jPKfPS6_PKS6_NS0_5tupleIJPfS6_EEENSE_IJSB_SB_EEENS0_18inequality_wrapperIN6hipcub16HIPCUB_304000_NS8EqualityEEEPlJS6_EEE10hipError_tPvRmT3_T4_T5_T6_T7_T9_mT8_P12ihipStream_tbDpT10_ENKUlT_T0_E_clISt17integral_constantIbLb1EES16_IbLb0EEEEDaS12_S13_EUlS12_E_NS1_11comp_targetILNS1_3genE9ELNS1_11target_archE1100ELNS1_3gpuE3ELNS1_3repE0EEENS1_30default_config_static_selectorELNS0_4arch9wavefront6targetE0EEEvT1_
; %bb.0:
	.section	.rodata,"a",@progbits
	.p2align	6, 0x0
	.amdhsa_kernel _ZN7rocprim17ROCPRIM_400000_NS6detail17trampoline_kernelINS0_14default_configENS1_25partition_config_selectorILNS1_17partition_subalgoE8EfNS0_10empty_typeEbEEZZNS1_14partition_implILS5_8ELb0ES3_jPKfPS6_PKS6_NS0_5tupleIJPfS6_EEENSE_IJSB_SB_EEENS0_18inequality_wrapperIN6hipcub16HIPCUB_304000_NS8EqualityEEEPlJS6_EEE10hipError_tPvRmT3_T4_T5_T6_T7_T9_mT8_P12ihipStream_tbDpT10_ENKUlT_T0_E_clISt17integral_constantIbLb1EES16_IbLb0EEEEDaS12_S13_EUlS12_E_NS1_11comp_targetILNS1_3genE9ELNS1_11target_archE1100ELNS1_3gpuE3ELNS1_3repE0EEENS1_30default_config_static_selectorELNS0_4arch9wavefront6targetE0EEEvT1_
		.amdhsa_group_segment_fixed_size 0
		.amdhsa_private_segment_fixed_size 0
		.amdhsa_kernarg_size 112
		.amdhsa_user_sgpr_count 2
		.amdhsa_user_sgpr_dispatch_ptr 0
		.amdhsa_user_sgpr_queue_ptr 0
		.amdhsa_user_sgpr_kernarg_segment_ptr 1
		.amdhsa_user_sgpr_dispatch_id 0
		.amdhsa_user_sgpr_kernarg_preload_length 0
		.amdhsa_user_sgpr_kernarg_preload_offset 0
		.amdhsa_user_sgpr_private_segment_size 0
		.amdhsa_wavefront_size32 1
		.amdhsa_uses_dynamic_stack 0
		.amdhsa_enable_private_segment 0
		.amdhsa_system_sgpr_workgroup_id_x 1
		.amdhsa_system_sgpr_workgroup_id_y 0
		.amdhsa_system_sgpr_workgroup_id_z 0
		.amdhsa_system_sgpr_workgroup_info 0
		.amdhsa_system_vgpr_workitem_id 0
		.amdhsa_next_free_vgpr 1
		.amdhsa_next_free_sgpr 1
		.amdhsa_named_barrier_count 0
		.amdhsa_reserve_vcc 0
		.amdhsa_float_round_mode_32 0
		.amdhsa_float_round_mode_16_64 0
		.amdhsa_float_denorm_mode_32 3
		.amdhsa_float_denorm_mode_16_64 3
		.amdhsa_fp16_overflow 0
		.amdhsa_memory_ordered 1
		.amdhsa_forward_progress 1
		.amdhsa_inst_pref_size 0
		.amdhsa_round_robin_scheduling 0
		.amdhsa_exception_fp_ieee_invalid_op 0
		.amdhsa_exception_fp_denorm_src 0
		.amdhsa_exception_fp_ieee_div_zero 0
		.amdhsa_exception_fp_ieee_overflow 0
		.amdhsa_exception_fp_ieee_underflow 0
		.amdhsa_exception_fp_ieee_inexact 0
		.amdhsa_exception_int_div_zero 0
	.end_amdhsa_kernel
	.section	.text._ZN7rocprim17ROCPRIM_400000_NS6detail17trampoline_kernelINS0_14default_configENS1_25partition_config_selectorILNS1_17partition_subalgoE8EfNS0_10empty_typeEbEEZZNS1_14partition_implILS5_8ELb0ES3_jPKfPS6_PKS6_NS0_5tupleIJPfS6_EEENSE_IJSB_SB_EEENS0_18inequality_wrapperIN6hipcub16HIPCUB_304000_NS8EqualityEEEPlJS6_EEE10hipError_tPvRmT3_T4_T5_T6_T7_T9_mT8_P12ihipStream_tbDpT10_ENKUlT_T0_E_clISt17integral_constantIbLb1EES16_IbLb0EEEEDaS12_S13_EUlS12_E_NS1_11comp_targetILNS1_3genE9ELNS1_11target_archE1100ELNS1_3gpuE3ELNS1_3repE0EEENS1_30default_config_static_selectorELNS0_4arch9wavefront6targetE0EEEvT1_,"axG",@progbits,_ZN7rocprim17ROCPRIM_400000_NS6detail17trampoline_kernelINS0_14default_configENS1_25partition_config_selectorILNS1_17partition_subalgoE8EfNS0_10empty_typeEbEEZZNS1_14partition_implILS5_8ELb0ES3_jPKfPS6_PKS6_NS0_5tupleIJPfS6_EEENSE_IJSB_SB_EEENS0_18inequality_wrapperIN6hipcub16HIPCUB_304000_NS8EqualityEEEPlJS6_EEE10hipError_tPvRmT3_T4_T5_T6_T7_T9_mT8_P12ihipStream_tbDpT10_ENKUlT_T0_E_clISt17integral_constantIbLb1EES16_IbLb0EEEEDaS12_S13_EUlS12_E_NS1_11comp_targetILNS1_3genE9ELNS1_11target_archE1100ELNS1_3gpuE3ELNS1_3repE0EEENS1_30default_config_static_selectorELNS0_4arch9wavefront6targetE0EEEvT1_,comdat
.Lfunc_end363:
	.size	_ZN7rocprim17ROCPRIM_400000_NS6detail17trampoline_kernelINS0_14default_configENS1_25partition_config_selectorILNS1_17partition_subalgoE8EfNS0_10empty_typeEbEEZZNS1_14partition_implILS5_8ELb0ES3_jPKfPS6_PKS6_NS0_5tupleIJPfS6_EEENSE_IJSB_SB_EEENS0_18inequality_wrapperIN6hipcub16HIPCUB_304000_NS8EqualityEEEPlJS6_EEE10hipError_tPvRmT3_T4_T5_T6_T7_T9_mT8_P12ihipStream_tbDpT10_ENKUlT_T0_E_clISt17integral_constantIbLb1EES16_IbLb0EEEEDaS12_S13_EUlS12_E_NS1_11comp_targetILNS1_3genE9ELNS1_11target_archE1100ELNS1_3gpuE3ELNS1_3repE0EEENS1_30default_config_static_selectorELNS0_4arch9wavefront6targetE0EEEvT1_, .Lfunc_end363-_ZN7rocprim17ROCPRIM_400000_NS6detail17trampoline_kernelINS0_14default_configENS1_25partition_config_selectorILNS1_17partition_subalgoE8EfNS0_10empty_typeEbEEZZNS1_14partition_implILS5_8ELb0ES3_jPKfPS6_PKS6_NS0_5tupleIJPfS6_EEENSE_IJSB_SB_EEENS0_18inequality_wrapperIN6hipcub16HIPCUB_304000_NS8EqualityEEEPlJS6_EEE10hipError_tPvRmT3_T4_T5_T6_T7_T9_mT8_P12ihipStream_tbDpT10_ENKUlT_T0_E_clISt17integral_constantIbLb1EES16_IbLb0EEEEDaS12_S13_EUlS12_E_NS1_11comp_targetILNS1_3genE9ELNS1_11target_archE1100ELNS1_3gpuE3ELNS1_3repE0EEENS1_30default_config_static_selectorELNS0_4arch9wavefront6targetE0EEEvT1_
                                        ; -- End function
	.set _ZN7rocprim17ROCPRIM_400000_NS6detail17trampoline_kernelINS0_14default_configENS1_25partition_config_selectorILNS1_17partition_subalgoE8EfNS0_10empty_typeEbEEZZNS1_14partition_implILS5_8ELb0ES3_jPKfPS6_PKS6_NS0_5tupleIJPfS6_EEENSE_IJSB_SB_EEENS0_18inequality_wrapperIN6hipcub16HIPCUB_304000_NS8EqualityEEEPlJS6_EEE10hipError_tPvRmT3_T4_T5_T6_T7_T9_mT8_P12ihipStream_tbDpT10_ENKUlT_T0_E_clISt17integral_constantIbLb1EES16_IbLb0EEEEDaS12_S13_EUlS12_E_NS1_11comp_targetILNS1_3genE9ELNS1_11target_archE1100ELNS1_3gpuE3ELNS1_3repE0EEENS1_30default_config_static_selectorELNS0_4arch9wavefront6targetE0EEEvT1_.num_vgpr, 0
	.set _ZN7rocprim17ROCPRIM_400000_NS6detail17trampoline_kernelINS0_14default_configENS1_25partition_config_selectorILNS1_17partition_subalgoE8EfNS0_10empty_typeEbEEZZNS1_14partition_implILS5_8ELb0ES3_jPKfPS6_PKS6_NS0_5tupleIJPfS6_EEENSE_IJSB_SB_EEENS0_18inequality_wrapperIN6hipcub16HIPCUB_304000_NS8EqualityEEEPlJS6_EEE10hipError_tPvRmT3_T4_T5_T6_T7_T9_mT8_P12ihipStream_tbDpT10_ENKUlT_T0_E_clISt17integral_constantIbLb1EES16_IbLb0EEEEDaS12_S13_EUlS12_E_NS1_11comp_targetILNS1_3genE9ELNS1_11target_archE1100ELNS1_3gpuE3ELNS1_3repE0EEENS1_30default_config_static_selectorELNS0_4arch9wavefront6targetE0EEEvT1_.num_agpr, 0
	.set _ZN7rocprim17ROCPRIM_400000_NS6detail17trampoline_kernelINS0_14default_configENS1_25partition_config_selectorILNS1_17partition_subalgoE8EfNS0_10empty_typeEbEEZZNS1_14partition_implILS5_8ELb0ES3_jPKfPS6_PKS6_NS0_5tupleIJPfS6_EEENSE_IJSB_SB_EEENS0_18inequality_wrapperIN6hipcub16HIPCUB_304000_NS8EqualityEEEPlJS6_EEE10hipError_tPvRmT3_T4_T5_T6_T7_T9_mT8_P12ihipStream_tbDpT10_ENKUlT_T0_E_clISt17integral_constantIbLb1EES16_IbLb0EEEEDaS12_S13_EUlS12_E_NS1_11comp_targetILNS1_3genE9ELNS1_11target_archE1100ELNS1_3gpuE3ELNS1_3repE0EEENS1_30default_config_static_selectorELNS0_4arch9wavefront6targetE0EEEvT1_.numbered_sgpr, 0
	.set _ZN7rocprim17ROCPRIM_400000_NS6detail17trampoline_kernelINS0_14default_configENS1_25partition_config_selectorILNS1_17partition_subalgoE8EfNS0_10empty_typeEbEEZZNS1_14partition_implILS5_8ELb0ES3_jPKfPS6_PKS6_NS0_5tupleIJPfS6_EEENSE_IJSB_SB_EEENS0_18inequality_wrapperIN6hipcub16HIPCUB_304000_NS8EqualityEEEPlJS6_EEE10hipError_tPvRmT3_T4_T5_T6_T7_T9_mT8_P12ihipStream_tbDpT10_ENKUlT_T0_E_clISt17integral_constantIbLb1EES16_IbLb0EEEEDaS12_S13_EUlS12_E_NS1_11comp_targetILNS1_3genE9ELNS1_11target_archE1100ELNS1_3gpuE3ELNS1_3repE0EEENS1_30default_config_static_selectorELNS0_4arch9wavefront6targetE0EEEvT1_.num_named_barrier, 0
	.set _ZN7rocprim17ROCPRIM_400000_NS6detail17trampoline_kernelINS0_14default_configENS1_25partition_config_selectorILNS1_17partition_subalgoE8EfNS0_10empty_typeEbEEZZNS1_14partition_implILS5_8ELb0ES3_jPKfPS6_PKS6_NS0_5tupleIJPfS6_EEENSE_IJSB_SB_EEENS0_18inequality_wrapperIN6hipcub16HIPCUB_304000_NS8EqualityEEEPlJS6_EEE10hipError_tPvRmT3_T4_T5_T6_T7_T9_mT8_P12ihipStream_tbDpT10_ENKUlT_T0_E_clISt17integral_constantIbLb1EES16_IbLb0EEEEDaS12_S13_EUlS12_E_NS1_11comp_targetILNS1_3genE9ELNS1_11target_archE1100ELNS1_3gpuE3ELNS1_3repE0EEENS1_30default_config_static_selectorELNS0_4arch9wavefront6targetE0EEEvT1_.private_seg_size, 0
	.set _ZN7rocprim17ROCPRIM_400000_NS6detail17trampoline_kernelINS0_14default_configENS1_25partition_config_selectorILNS1_17partition_subalgoE8EfNS0_10empty_typeEbEEZZNS1_14partition_implILS5_8ELb0ES3_jPKfPS6_PKS6_NS0_5tupleIJPfS6_EEENSE_IJSB_SB_EEENS0_18inequality_wrapperIN6hipcub16HIPCUB_304000_NS8EqualityEEEPlJS6_EEE10hipError_tPvRmT3_T4_T5_T6_T7_T9_mT8_P12ihipStream_tbDpT10_ENKUlT_T0_E_clISt17integral_constantIbLb1EES16_IbLb0EEEEDaS12_S13_EUlS12_E_NS1_11comp_targetILNS1_3genE9ELNS1_11target_archE1100ELNS1_3gpuE3ELNS1_3repE0EEENS1_30default_config_static_selectorELNS0_4arch9wavefront6targetE0EEEvT1_.uses_vcc, 0
	.set _ZN7rocprim17ROCPRIM_400000_NS6detail17trampoline_kernelINS0_14default_configENS1_25partition_config_selectorILNS1_17partition_subalgoE8EfNS0_10empty_typeEbEEZZNS1_14partition_implILS5_8ELb0ES3_jPKfPS6_PKS6_NS0_5tupleIJPfS6_EEENSE_IJSB_SB_EEENS0_18inequality_wrapperIN6hipcub16HIPCUB_304000_NS8EqualityEEEPlJS6_EEE10hipError_tPvRmT3_T4_T5_T6_T7_T9_mT8_P12ihipStream_tbDpT10_ENKUlT_T0_E_clISt17integral_constantIbLb1EES16_IbLb0EEEEDaS12_S13_EUlS12_E_NS1_11comp_targetILNS1_3genE9ELNS1_11target_archE1100ELNS1_3gpuE3ELNS1_3repE0EEENS1_30default_config_static_selectorELNS0_4arch9wavefront6targetE0EEEvT1_.uses_flat_scratch, 0
	.set _ZN7rocprim17ROCPRIM_400000_NS6detail17trampoline_kernelINS0_14default_configENS1_25partition_config_selectorILNS1_17partition_subalgoE8EfNS0_10empty_typeEbEEZZNS1_14partition_implILS5_8ELb0ES3_jPKfPS6_PKS6_NS0_5tupleIJPfS6_EEENSE_IJSB_SB_EEENS0_18inequality_wrapperIN6hipcub16HIPCUB_304000_NS8EqualityEEEPlJS6_EEE10hipError_tPvRmT3_T4_T5_T6_T7_T9_mT8_P12ihipStream_tbDpT10_ENKUlT_T0_E_clISt17integral_constantIbLb1EES16_IbLb0EEEEDaS12_S13_EUlS12_E_NS1_11comp_targetILNS1_3genE9ELNS1_11target_archE1100ELNS1_3gpuE3ELNS1_3repE0EEENS1_30default_config_static_selectorELNS0_4arch9wavefront6targetE0EEEvT1_.has_dyn_sized_stack, 0
	.set _ZN7rocprim17ROCPRIM_400000_NS6detail17trampoline_kernelINS0_14default_configENS1_25partition_config_selectorILNS1_17partition_subalgoE8EfNS0_10empty_typeEbEEZZNS1_14partition_implILS5_8ELb0ES3_jPKfPS6_PKS6_NS0_5tupleIJPfS6_EEENSE_IJSB_SB_EEENS0_18inequality_wrapperIN6hipcub16HIPCUB_304000_NS8EqualityEEEPlJS6_EEE10hipError_tPvRmT3_T4_T5_T6_T7_T9_mT8_P12ihipStream_tbDpT10_ENKUlT_T0_E_clISt17integral_constantIbLb1EES16_IbLb0EEEEDaS12_S13_EUlS12_E_NS1_11comp_targetILNS1_3genE9ELNS1_11target_archE1100ELNS1_3gpuE3ELNS1_3repE0EEENS1_30default_config_static_selectorELNS0_4arch9wavefront6targetE0EEEvT1_.has_recursion, 0
	.set _ZN7rocprim17ROCPRIM_400000_NS6detail17trampoline_kernelINS0_14default_configENS1_25partition_config_selectorILNS1_17partition_subalgoE8EfNS0_10empty_typeEbEEZZNS1_14partition_implILS5_8ELb0ES3_jPKfPS6_PKS6_NS0_5tupleIJPfS6_EEENSE_IJSB_SB_EEENS0_18inequality_wrapperIN6hipcub16HIPCUB_304000_NS8EqualityEEEPlJS6_EEE10hipError_tPvRmT3_T4_T5_T6_T7_T9_mT8_P12ihipStream_tbDpT10_ENKUlT_T0_E_clISt17integral_constantIbLb1EES16_IbLb0EEEEDaS12_S13_EUlS12_E_NS1_11comp_targetILNS1_3genE9ELNS1_11target_archE1100ELNS1_3gpuE3ELNS1_3repE0EEENS1_30default_config_static_selectorELNS0_4arch9wavefront6targetE0EEEvT1_.has_indirect_call, 0
	.section	.AMDGPU.csdata,"",@progbits
; Kernel info:
; codeLenInByte = 0
; TotalNumSgprs: 0
; NumVgprs: 0
; ScratchSize: 0
; MemoryBound: 0
; FloatMode: 240
; IeeeMode: 1
; LDSByteSize: 0 bytes/workgroup (compile time only)
; SGPRBlocks: 0
; VGPRBlocks: 0
; NumSGPRsForWavesPerEU: 1
; NumVGPRsForWavesPerEU: 1
; NamedBarCnt: 0
; Occupancy: 16
; WaveLimiterHint : 0
; COMPUTE_PGM_RSRC2:SCRATCH_EN: 0
; COMPUTE_PGM_RSRC2:USER_SGPR: 2
; COMPUTE_PGM_RSRC2:TRAP_HANDLER: 0
; COMPUTE_PGM_RSRC2:TGID_X_EN: 1
; COMPUTE_PGM_RSRC2:TGID_Y_EN: 0
; COMPUTE_PGM_RSRC2:TGID_Z_EN: 0
; COMPUTE_PGM_RSRC2:TIDIG_COMP_CNT: 0
	.section	.text._ZN7rocprim17ROCPRIM_400000_NS6detail17trampoline_kernelINS0_14default_configENS1_25partition_config_selectorILNS1_17partition_subalgoE8EfNS0_10empty_typeEbEEZZNS1_14partition_implILS5_8ELb0ES3_jPKfPS6_PKS6_NS0_5tupleIJPfS6_EEENSE_IJSB_SB_EEENS0_18inequality_wrapperIN6hipcub16HIPCUB_304000_NS8EqualityEEEPlJS6_EEE10hipError_tPvRmT3_T4_T5_T6_T7_T9_mT8_P12ihipStream_tbDpT10_ENKUlT_T0_E_clISt17integral_constantIbLb1EES16_IbLb0EEEEDaS12_S13_EUlS12_E_NS1_11comp_targetILNS1_3genE8ELNS1_11target_archE1030ELNS1_3gpuE2ELNS1_3repE0EEENS1_30default_config_static_selectorELNS0_4arch9wavefront6targetE0EEEvT1_,"axG",@progbits,_ZN7rocprim17ROCPRIM_400000_NS6detail17trampoline_kernelINS0_14default_configENS1_25partition_config_selectorILNS1_17partition_subalgoE8EfNS0_10empty_typeEbEEZZNS1_14partition_implILS5_8ELb0ES3_jPKfPS6_PKS6_NS0_5tupleIJPfS6_EEENSE_IJSB_SB_EEENS0_18inequality_wrapperIN6hipcub16HIPCUB_304000_NS8EqualityEEEPlJS6_EEE10hipError_tPvRmT3_T4_T5_T6_T7_T9_mT8_P12ihipStream_tbDpT10_ENKUlT_T0_E_clISt17integral_constantIbLb1EES16_IbLb0EEEEDaS12_S13_EUlS12_E_NS1_11comp_targetILNS1_3genE8ELNS1_11target_archE1030ELNS1_3gpuE2ELNS1_3repE0EEENS1_30default_config_static_selectorELNS0_4arch9wavefront6targetE0EEEvT1_,comdat
	.protected	_ZN7rocprim17ROCPRIM_400000_NS6detail17trampoline_kernelINS0_14default_configENS1_25partition_config_selectorILNS1_17partition_subalgoE8EfNS0_10empty_typeEbEEZZNS1_14partition_implILS5_8ELb0ES3_jPKfPS6_PKS6_NS0_5tupleIJPfS6_EEENSE_IJSB_SB_EEENS0_18inequality_wrapperIN6hipcub16HIPCUB_304000_NS8EqualityEEEPlJS6_EEE10hipError_tPvRmT3_T4_T5_T6_T7_T9_mT8_P12ihipStream_tbDpT10_ENKUlT_T0_E_clISt17integral_constantIbLb1EES16_IbLb0EEEEDaS12_S13_EUlS12_E_NS1_11comp_targetILNS1_3genE8ELNS1_11target_archE1030ELNS1_3gpuE2ELNS1_3repE0EEENS1_30default_config_static_selectorELNS0_4arch9wavefront6targetE0EEEvT1_ ; -- Begin function _ZN7rocprim17ROCPRIM_400000_NS6detail17trampoline_kernelINS0_14default_configENS1_25partition_config_selectorILNS1_17partition_subalgoE8EfNS0_10empty_typeEbEEZZNS1_14partition_implILS5_8ELb0ES3_jPKfPS6_PKS6_NS0_5tupleIJPfS6_EEENSE_IJSB_SB_EEENS0_18inequality_wrapperIN6hipcub16HIPCUB_304000_NS8EqualityEEEPlJS6_EEE10hipError_tPvRmT3_T4_T5_T6_T7_T9_mT8_P12ihipStream_tbDpT10_ENKUlT_T0_E_clISt17integral_constantIbLb1EES16_IbLb0EEEEDaS12_S13_EUlS12_E_NS1_11comp_targetILNS1_3genE8ELNS1_11target_archE1030ELNS1_3gpuE2ELNS1_3repE0EEENS1_30default_config_static_selectorELNS0_4arch9wavefront6targetE0EEEvT1_
	.globl	_ZN7rocprim17ROCPRIM_400000_NS6detail17trampoline_kernelINS0_14default_configENS1_25partition_config_selectorILNS1_17partition_subalgoE8EfNS0_10empty_typeEbEEZZNS1_14partition_implILS5_8ELb0ES3_jPKfPS6_PKS6_NS0_5tupleIJPfS6_EEENSE_IJSB_SB_EEENS0_18inequality_wrapperIN6hipcub16HIPCUB_304000_NS8EqualityEEEPlJS6_EEE10hipError_tPvRmT3_T4_T5_T6_T7_T9_mT8_P12ihipStream_tbDpT10_ENKUlT_T0_E_clISt17integral_constantIbLb1EES16_IbLb0EEEEDaS12_S13_EUlS12_E_NS1_11comp_targetILNS1_3genE8ELNS1_11target_archE1030ELNS1_3gpuE2ELNS1_3repE0EEENS1_30default_config_static_selectorELNS0_4arch9wavefront6targetE0EEEvT1_
	.p2align	8
	.type	_ZN7rocprim17ROCPRIM_400000_NS6detail17trampoline_kernelINS0_14default_configENS1_25partition_config_selectorILNS1_17partition_subalgoE8EfNS0_10empty_typeEbEEZZNS1_14partition_implILS5_8ELb0ES3_jPKfPS6_PKS6_NS0_5tupleIJPfS6_EEENSE_IJSB_SB_EEENS0_18inequality_wrapperIN6hipcub16HIPCUB_304000_NS8EqualityEEEPlJS6_EEE10hipError_tPvRmT3_T4_T5_T6_T7_T9_mT8_P12ihipStream_tbDpT10_ENKUlT_T0_E_clISt17integral_constantIbLb1EES16_IbLb0EEEEDaS12_S13_EUlS12_E_NS1_11comp_targetILNS1_3genE8ELNS1_11target_archE1030ELNS1_3gpuE2ELNS1_3repE0EEENS1_30default_config_static_selectorELNS0_4arch9wavefront6targetE0EEEvT1_,@function
_ZN7rocprim17ROCPRIM_400000_NS6detail17trampoline_kernelINS0_14default_configENS1_25partition_config_selectorILNS1_17partition_subalgoE8EfNS0_10empty_typeEbEEZZNS1_14partition_implILS5_8ELb0ES3_jPKfPS6_PKS6_NS0_5tupleIJPfS6_EEENSE_IJSB_SB_EEENS0_18inequality_wrapperIN6hipcub16HIPCUB_304000_NS8EqualityEEEPlJS6_EEE10hipError_tPvRmT3_T4_T5_T6_T7_T9_mT8_P12ihipStream_tbDpT10_ENKUlT_T0_E_clISt17integral_constantIbLb1EES16_IbLb0EEEEDaS12_S13_EUlS12_E_NS1_11comp_targetILNS1_3genE8ELNS1_11target_archE1030ELNS1_3gpuE2ELNS1_3repE0EEENS1_30default_config_static_selectorELNS0_4arch9wavefront6targetE0EEEvT1_: ; @_ZN7rocprim17ROCPRIM_400000_NS6detail17trampoline_kernelINS0_14default_configENS1_25partition_config_selectorILNS1_17partition_subalgoE8EfNS0_10empty_typeEbEEZZNS1_14partition_implILS5_8ELb0ES3_jPKfPS6_PKS6_NS0_5tupleIJPfS6_EEENSE_IJSB_SB_EEENS0_18inequality_wrapperIN6hipcub16HIPCUB_304000_NS8EqualityEEEPlJS6_EEE10hipError_tPvRmT3_T4_T5_T6_T7_T9_mT8_P12ihipStream_tbDpT10_ENKUlT_T0_E_clISt17integral_constantIbLb1EES16_IbLb0EEEEDaS12_S13_EUlS12_E_NS1_11comp_targetILNS1_3genE8ELNS1_11target_archE1030ELNS1_3gpuE2ELNS1_3repE0EEENS1_30default_config_static_selectorELNS0_4arch9wavefront6targetE0EEEvT1_
; %bb.0:
	.section	.rodata,"a",@progbits
	.p2align	6, 0x0
	.amdhsa_kernel _ZN7rocprim17ROCPRIM_400000_NS6detail17trampoline_kernelINS0_14default_configENS1_25partition_config_selectorILNS1_17partition_subalgoE8EfNS0_10empty_typeEbEEZZNS1_14partition_implILS5_8ELb0ES3_jPKfPS6_PKS6_NS0_5tupleIJPfS6_EEENSE_IJSB_SB_EEENS0_18inequality_wrapperIN6hipcub16HIPCUB_304000_NS8EqualityEEEPlJS6_EEE10hipError_tPvRmT3_T4_T5_T6_T7_T9_mT8_P12ihipStream_tbDpT10_ENKUlT_T0_E_clISt17integral_constantIbLb1EES16_IbLb0EEEEDaS12_S13_EUlS12_E_NS1_11comp_targetILNS1_3genE8ELNS1_11target_archE1030ELNS1_3gpuE2ELNS1_3repE0EEENS1_30default_config_static_selectorELNS0_4arch9wavefront6targetE0EEEvT1_
		.amdhsa_group_segment_fixed_size 0
		.amdhsa_private_segment_fixed_size 0
		.amdhsa_kernarg_size 112
		.amdhsa_user_sgpr_count 2
		.amdhsa_user_sgpr_dispatch_ptr 0
		.amdhsa_user_sgpr_queue_ptr 0
		.amdhsa_user_sgpr_kernarg_segment_ptr 1
		.amdhsa_user_sgpr_dispatch_id 0
		.amdhsa_user_sgpr_kernarg_preload_length 0
		.amdhsa_user_sgpr_kernarg_preload_offset 0
		.amdhsa_user_sgpr_private_segment_size 0
		.amdhsa_wavefront_size32 1
		.amdhsa_uses_dynamic_stack 0
		.amdhsa_enable_private_segment 0
		.amdhsa_system_sgpr_workgroup_id_x 1
		.amdhsa_system_sgpr_workgroup_id_y 0
		.amdhsa_system_sgpr_workgroup_id_z 0
		.amdhsa_system_sgpr_workgroup_info 0
		.amdhsa_system_vgpr_workitem_id 0
		.amdhsa_next_free_vgpr 1
		.amdhsa_next_free_sgpr 1
		.amdhsa_named_barrier_count 0
		.amdhsa_reserve_vcc 0
		.amdhsa_float_round_mode_32 0
		.amdhsa_float_round_mode_16_64 0
		.amdhsa_float_denorm_mode_32 3
		.amdhsa_float_denorm_mode_16_64 3
		.amdhsa_fp16_overflow 0
		.amdhsa_memory_ordered 1
		.amdhsa_forward_progress 1
		.amdhsa_inst_pref_size 0
		.amdhsa_round_robin_scheduling 0
		.amdhsa_exception_fp_ieee_invalid_op 0
		.amdhsa_exception_fp_denorm_src 0
		.amdhsa_exception_fp_ieee_div_zero 0
		.amdhsa_exception_fp_ieee_overflow 0
		.amdhsa_exception_fp_ieee_underflow 0
		.amdhsa_exception_fp_ieee_inexact 0
		.amdhsa_exception_int_div_zero 0
	.end_amdhsa_kernel
	.section	.text._ZN7rocprim17ROCPRIM_400000_NS6detail17trampoline_kernelINS0_14default_configENS1_25partition_config_selectorILNS1_17partition_subalgoE8EfNS0_10empty_typeEbEEZZNS1_14partition_implILS5_8ELb0ES3_jPKfPS6_PKS6_NS0_5tupleIJPfS6_EEENSE_IJSB_SB_EEENS0_18inequality_wrapperIN6hipcub16HIPCUB_304000_NS8EqualityEEEPlJS6_EEE10hipError_tPvRmT3_T4_T5_T6_T7_T9_mT8_P12ihipStream_tbDpT10_ENKUlT_T0_E_clISt17integral_constantIbLb1EES16_IbLb0EEEEDaS12_S13_EUlS12_E_NS1_11comp_targetILNS1_3genE8ELNS1_11target_archE1030ELNS1_3gpuE2ELNS1_3repE0EEENS1_30default_config_static_selectorELNS0_4arch9wavefront6targetE0EEEvT1_,"axG",@progbits,_ZN7rocprim17ROCPRIM_400000_NS6detail17trampoline_kernelINS0_14default_configENS1_25partition_config_selectorILNS1_17partition_subalgoE8EfNS0_10empty_typeEbEEZZNS1_14partition_implILS5_8ELb0ES3_jPKfPS6_PKS6_NS0_5tupleIJPfS6_EEENSE_IJSB_SB_EEENS0_18inequality_wrapperIN6hipcub16HIPCUB_304000_NS8EqualityEEEPlJS6_EEE10hipError_tPvRmT3_T4_T5_T6_T7_T9_mT8_P12ihipStream_tbDpT10_ENKUlT_T0_E_clISt17integral_constantIbLb1EES16_IbLb0EEEEDaS12_S13_EUlS12_E_NS1_11comp_targetILNS1_3genE8ELNS1_11target_archE1030ELNS1_3gpuE2ELNS1_3repE0EEENS1_30default_config_static_selectorELNS0_4arch9wavefront6targetE0EEEvT1_,comdat
.Lfunc_end364:
	.size	_ZN7rocprim17ROCPRIM_400000_NS6detail17trampoline_kernelINS0_14default_configENS1_25partition_config_selectorILNS1_17partition_subalgoE8EfNS0_10empty_typeEbEEZZNS1_14partition_implILS5_8ELb0ES3_jPKfPS6_PKS6_NS0_5tupleIJPfS6_EEENSE_IJSB_SB_EEENS0_18inequality_wrapperIN6hipcub16HIPCUB_304000_NS8EqualityEEEPlJS6_EEE10hipError_tPvRmT3_T4_T5_T6_T7_T9_mT8_P12ihipStream_tbDpT10_ENKUlT_T0_E_clISt17integral_constantIbLb1EES16_IbLb0EEEEDaS12_S13_EUlS12_E_NS1_11comp_targetILNS1_3genE8ELNS1_11target_archE1030ELNS1_3gpuE2ELNS1_3repE0EEENS1_30default_config_static_selectorELNS0_4arch9wavefront6targetE0EEEvT1_, .Lfunc_end364-_ZN7rocprim17ROCPRIM_400000_NS6detail17trampoline_kernelINS0_14default_configENS1_25partition_config_selectorILNS1_17partition_subalgoE8EfNS0_10empty_typeEbEEZZNS1_14partition_implILS5_8ELb0ES3_jPKfPS6_PKS6_NS0_5tupleIJPfS6_EEENSE_IJSB_SB_EEENS0_18inequality_wrapperIN6hipcub16HIPCUB_304000_NS8EqualityEEEPlJS6_EEE10hipError_tPvRmT3_T4_T5_T6_T7_T9_mT8_P12ihipStream_tbDpT10_ENKUlT_T0_E_clISt17integral_constantIbLb1EES16_IbLb0EEEEDaS12_S13_EUlS12_E_NS1_11comp_targetILNS1_3genE8ELNS1_11target_archE1030ELNS1_3gpuE2ELNS1_3repE0EEENS1_30default_config_static_selectorELNS0_4arch9wavefront6targetE0EEEvT1_
                                        ; -- End function
	.set _ZN7rocprim17ROCPRIM_400000_NS6detail17trampoline_kernelINS0_14default_configENS1_25partition_config_selectorILNS1_17partition_subalgoE8EfNS0_10empty_typeEbEEZZNS1_14partition_implILS5_8ELb0ES3_jPKfPS6_PKS6_NS0_5tupleIJPfS6_EEENSE_IJSB_SB_EEENS0_18inequality_wrapperIN6hipcub16HIPCUB_304000_NS8EqualityEEEPlJS6_EEE10hipError_tPvRmT3_T4_T5_T6_T7_T9_mT8_P12ihipStream_tbDpT10_ENKUlT_T0_E_clISt17integral_constantIbLb1EES16_IbLb0EEEEDaS12_S13_EUlS12_E_NS1_11comp_targetILNS1_3genE8ELNS1_11target_archE1030ELNS1_3gpuE2ELNS1_3repE0EEENS1_30default_config_static_selectorELNS0_4arch9wavefront6targetE0EEEvT1_.num_vgpr, 0
	.set _ZN7rocprim17ROCPRIM_400000_NS6detail17trampoline_kernelINS0_14default_configENS1_25partition_config_selectorILNS1_17partition_subalgoE8EfNS0_10empty_typeEbEEZZNS1_14partition_implILS5_8ELb0ES3_jPKfPS6_PKS6_NS0_5tupleIJPfS6_EEENSE_IJSB_SB_EEENS0_18inequality_wrapperIN6hipcub16HIPCUB_304000_NS8EqualityEEEPlJS6_EEE10hipError_tPvRmT3_T4_T5_T6_T7_T9_mT8_P12ihipStream_tbDpT10_ENKUlT_T0_E_clISt17integral_constantIbLb1EES16_IbLb0EEEEDaS12_S13_EUlS12_E_NS1_11comp_targetILNS1_3genE8ELNS1_11target_archE1030ELNS1_3gpuE2ELNS1_3repE0EEENS1_30default_config_static_selectorELNS0_4arch9wavefront6targetE0EEEvT1_.num_agpr, 0
	.set _ZN7rocprim17ROCPRIM_400000_NS6detail17trampoline_kernelINS0_14default_configENS1_25partition_config_selectorILNS1_17partition_subalgoE8EfNS0_10empty_typeEbEEZZNS1_14partition_implILS5_8ELb0ES3_jPKfPS6_PKS6_NS0_5tupleIJPfS6_EEENSE_IJSB_SB_EEENS0_18inequality_wrapperIN6hipcub16HIPCUB_304000_NS8EqualityEEEPlJS6_EEE10hipError_tPvRmT3_T4_T5_T6_T7_T9_mT8_P12ihipStream_tbDpT10_ENKUlT_T0_E_clISt17integral_constantIbLb1EES16_IbLb0EEEEDaS12_S13_EUlS12_E_NS1_11comp_targetILNS1_3genE8ELNS1_11target_archE1030ELNS1_3gpuE2ELNS1_3repE0EEENS1_30default_config_static_selectorELNS0_4arch9wavefront6targetE0EEEvT1_.numbered_sgpr, 0
	.set _ZN7rocprim17ROCPRIM_400000_NS6detail17trampoline_kernelINS0_14default_configENS1_25partition_config_selectorILNS1_17partition_subalgoE8EfNS0_10empty_typeEbEEZZNS1_14partition_implILS5_8ELb0ES3_jPKfPS6_PKS6_NS0_5tupleIJPfS6_EEENSE_IJSB_SB_EEENS0_18inequality_wrapperIN6hipcub16HIPCUB_304000_NS8EqualityEEEPlJS6_EEE10hipError_tPvRmT3_T4_T5_T6_T7_T9_mT8_P12ihipStream_tbDpT10_ENKUlT_T0_E_clISt17integral_constantIbLb1EES16_IbLb0EEEEDaS12_S13_EUlS12_E_NS1_11comp_targetILNS1_3genE8ELNS1_11target_archE1030ELNS1_3gpuE2ELNS1_3repE0EEENS1_30default_config_static_selectorELNS0_4arch9wavefront6targetE0EEEvT1_.num_named_barrier, 0
	.set _ZN7rocprim17ROCPRIM_400000_NS6detail17trampoline_kernelINS0_14default_configENS1_25partition_config_selectorILNS1_17partition_subalgoE8EfNS0_10empty_typeEbEEZZNS1_14partition_implILS5_8ELb0ES3_jPKfPS6_PKS6_NS0_5tupleIJPfS6_EEENSE_IJSB_SB_EEENS0_18inequality_wrapperIN6hipcub16HIPCUB_304000_NS8EqualityEEEPlJS6_EEE10hipError_tPvRmT3_T4_T5_T6_T7_T9_mT8_P12ihipStream_tbDpT10_ENKUlT_T0_E_clISt17integral_constantIbLb1EES16_IbLb0EEEEDaS12_S13_EUlS12_E_NS1_11comp_targetILNS1_3genE8ELNS1_11target_archE1030ELNS1_3gpuE2ELNS1_3repE0EEENS1_30default_config_static_selectorELNS0_4arch9wavefront6targetE0EEEvT1_.private_seg_size, 0
	.set _ZN7rocprim17ROCPRIM_400000_NS6detail17trampoline_kernelINS0_14default_configENS1_25partition_config_selectorILNS1_17partition_subalgoE8EfNS0_10empty_typeEbEEZZNS1_14partition_implILS5_8ELb0ES3_jPKfPS6_PKS6_NS0_5tupleIJPfS6_EEENSE_IJSB_SB_EEENS0_18inequality_wrapperIN6hipcub16HIPCUB_304000_NS8EqualityEEEPlJS6_EEE10hipError_tPvRmT3_T4_T5_T6_T7_T9_mT8_P12ihipStream_tbDpT10_ENKUlT_T0_E_clISt17integral_constantIbLb1EES16_IbLb0EEEEDaS12_S13_EUlS12_E_NS1_11comp_targetILNS1_3genE8ELNS1_11target_archE1030ELNS1_3gpuE2ELNS1_3repE0EEENS1_30default_config_static_selectorELNS0_4arch9wavefront6targetE0EEEvT1_.uses_vcc, 0
	.set _ZN7rocprim17ROCPRIM_400000_NS6detail17trampoline_kernelINS0_14default_configENS1_25partition_config_selectorILNS1_17partition_subalgoE8EfNS0_10empty_typeEbEEZZNS1_14partition_implILS5_8ELb0ES3_jPKfPS6_PKS6_NS0_5tupleIJPfS6_EEENSE_IJSB_SB_EEENS0_18inequality_wrapperIN6hipcub16HIPCUB_304000_NS8EqualityEEEPlJS6_EEE10hipError_tPvRmT3_T4_T5_T6_T7_T9_mT8_P12ihipStream_tbDpT10_ENKUlT_T0_E_clISt17integral_constantIbLb1EES16_IbLb0EEEEDaS12_S13_EUlS12_E_NS1_11comp_targetILNS1_3genE8ELNS1_11target_archE1030ELNS1_3gpuE2ELNS1_3repE0EEENS1_30default_config_static_selectorELNS0_4arch9wavefront6targetE0EEEvT1_.uses_flat_scratch, 0
	.set _ZN7rocprim17ROCPRIM_400000_NS6detail17trampoline_kernelINS0_14default_configENS1_25partition_config_selectorILNS1_17partition_subalgoE8EfNS0_10empty_typeEbEEZZNS1_14partition_implILS5_8ELb0ES3_jPKfPS6_PKS6_NS0_5tupleIJPfS6_EEENSE_IJSB_SB_EEENS0_18inequality_wrapperIN6hipcub16HIPCUB_304000_NS8EqualityEEEPlJS6_EEE10hipError_tPvRmT3_T4_T5_T6_T7_T9_mT8_P12ihipStream_tbDpT10_ENKUlT_T0_E_clISt17integral_constantIbLb1EES16_IbLb0EEEEDaS12_S13_EUlS12_E_NS1_11comp_targetILNS1_3genE8ELNS1_11target_archE1030ELNS1_3gpuE2ELNS1_3repE0EEENS1_30default_config_static_selectorELNS0_4arch9wavefront6targetE0EEEvT1_.has_dyn_sized_stack, 0
	.set _ZN7rocprim17ROCPRIM_400000_NS6detail17trampoline_kernelINS0_14default_configENS1_25partition_config_selectorILNS1_17partition_subalgoE8EfNS0_10empty_typeEbEEZZNS1_14partition_implILS5_8ELb0ES3_jPKfPS6_PKS6_NS0_5tupleIJPfS6_EEENSE_IJSB_SB_EEENS0_18inequality_wrapperIN6hipcub16HIPCUB_304000_NS8EqualityEEEPlJS6_EEE10hipError_tPvRmT3_T4_T5_T6_T7_T9_mT8_P12ihipStream_tbDpT10_ENKUlT_T0_E_clISt17integral_constantIbLb1EES16_IbLb0EEEEDaS12_S13_EUlS12_E_NS1_11comp_targetILNS1_3genE8ELNS1_11target_archE1030ELNS1_3gpuE2ELNS1_3repE0EEENS1_30default_config_static_selectorELNS0_4arch9wavefront6targetE0EEEvT1_.has_recursion, 0
	.set _ZN7rocprim17ROCPRIM_400000_NS6detail17trampoline_kernelINS0_14default_configENS1_25partition_config_selectorILNS1_17partition_subalgoE8EfNS0_10empty_typeEbEEZZNS1_14partition_implILS5_8ELb0ES3_jPKfPS6_PKS6_NS0_5tupleIJPfS6_EEENSE_IJSB_SB_EEENS0_18inequality_wrapperIN6hipcub16HIPCUB_304000_NS8EqualityEEEPlJS6_EEE10hipError_tPvRmT3_T4_T5_T6_T7_T9_mT8_P12ihipStream_tbDpT10_ENKUlT_T0_E_clISt17integral_constantIbLb1EES16_IbLb0EEEEDaS12_S13_EUlS12_E_NS1_11comp_targetILNS1_3genE8ELNS1_11target_archE1030ELNS1_3gpuE2ELNS1_3repE0EEENS1_30default_config_static_selectorELNS0_4arch9wavefront6targetE0EEEvT1_.has_indirect_call, 0
	.section	.AMDGPU.csdata,"",@progbits
; Kernel info:
; codeLenInByte = 0
; TotalNumSgprs: 0
; NumVgprs: 0
; ScratchSize: 0
; MemoryBound: 0
; FloatMode: 240
; IeeeMode: 1
; LDSByteSize: 0 bytes/workgroup (compile time only)
; SGPRBlocks: 0
; VGPRBlocks: 0
; NumSGPRsForWavesPerEU: 1
; NumVGPRsForWavesPerEU: 1
; NamedBarCnt: 0
; Occupancy: 16
; WaveLimiterHint : 0
; COMPUTE_PGM_RSRC2:SCRATCH_EN: 0
; COMPUTE_PGM_RSRC2:USER_SGPR: 2
; COMPUTE_PGM_RSRC2:TRAP_HANDLER: 0
; COMPUTE_PGM_RSRC2:TGID_X_EN: 1
; COMPUTE_PGM_RSRC2:TGID_Y_EN: 0
; COMPUTE_PGM_RSRC2:TGID_Z_EN: 0
; COMPUTE_PGM_RSRC2:TIDIG_COMP_CNT: 0
	.section	.text._ZN7rocprim17ROCPRIM_400000_NS6detail17trampoline_kernelINS0_14default_configENS1_25partition_config_selectorILNS1_17partition_subalgoE8EfNS0_10empty_typeEbEEZZNS1_14partition_implILS5_8ELb0ES3_jPKfPS6_PKS6_NS0_5tupleIJPfS6_EEENSE_IJSB_SB_EEENS0_18inequality_wrapperIN6hipcub16HIPCUB_304000_NS8EqualityEEEPlJS6_EEE10hipError_tPvRmT3_T4_T5_T6_T7_T9_mT8_P12ihipStream_tbDpT10_ENKUlT_T0_E_clISt17integral_constantIbLb0EES16_IbLb1EEEEDaS12_S13_EUlS12_E_NS1_11comp_targetILNS1_3genE0ELNS1_11target_archE4294967295ELNS1_3gpuE0ELNS1_3repE0EEENS1_30default_config_static_selectorELNS0_4arch9wavefront6targetE0EEEvT1_,"axG",@progbits,_ZN7rocprim17ROCPRIM_400000_NS6detail17trampoline_kernelINS0_14default_configENS1_25partition_config_selectorILNS1_17partition_subalgoE8EfNS0_10empty_typeEbEEZZNS1_14partition_implILS5_8ELb0ES3_jPKfPS6_PKS6_NS0_5tupleIJPfS6_EEENSE_IJSB_SB_EEENS0_18inequality_wrapperIN6hipcub16HIPCUB_304000_NS8EqualityEEEPlJS6_EEE10hipError_tPvRmT3_T4_T5_T6_T7_T9_mT8_P12ihipStream_tbDpT10_ENKUlT_T0_E_clISt17integral_constantIbLb0EES16_IbLb1EEEEDaS12_S13_EUlS12_E_NS1_11comp_targetILNS1_3genE0ELNS1_11target_archE4294967295ELNS1_3gpuE0ELNS1_3repE0EEENS1_30default_config_static_selectorELNS0_4arch9wavefront6targetE0EEEvT1_,comdat
	.protected	_ZN7rocprim17ROCPRIM_400000_NS6detail17trampoline_kernelINS0_14default_configENS1_25partition_config_selectorILNS1_17partition_subalgoE8EfNS0_10empty_typeEbEEZZNS1_14partition_implILS5_8ELb0ES3_jPKfPS6_PKS6_NS0_5tupleIJPfS6_EEENSE_IJSB_SB_EEENS0_18inequality_wrapperIN6hipcub16HIPCUB_304000_NS8EqualityEEEPlJS6_EEE10hipError_tPvRmT3_T4_T5_T6_T7_T9_mT8_P12ihipStream_tbDpT10_ENKUlT_T0_E_clISt17integral_constantIbLb0EES16_IbLb1EEEEDaS12_S13_EUlS12_E_NS1_11comp_targetILNS1_3genE0ELNS1_11target_archE4294967295ELNS1_3gpuE0ELNS1_3repE0EEENS1_30default_config_static_selectorELNS0_4arch9wavefront6targetE0EEEvT1_ ; -- Begin function _ZN7rocprim17ROCPRIM_400000_NS6detail17trampoline_kernelINS0_14default_configENS1_25partition_config_selectorILNS1_17partition_subalgoE8EfNS0_10empty_typeEbEEZZNS1_14partition_implILS5_8ELb0ES3_jPKfPS6_PKS6_NS0_5tupleIJPfS6_EEENSE_IJSB_SB_EEENS0_18inequality_wrapperIN6hipcub16HIPCUB_304000_NS8EqualityEEEPlJS6_EEE10hipError_tPvRmT3_T4_T5_T6_T7_T9_mT8_P12ihipStream_tbDpT10_ENKUlT_T0_E_clISt17integral_constantIbLb0EES16_IbLb1EEEEDaS12_S13_EUlS12_E_NS1_11comp_targetILNS1_3genE0ELNS1_11target_archE4294967295ELNS1_3gpuE0ELNS1_3repE0EEENS1_30default_config_static_selectorELNS0_4arch9wavefront6targetE0EEEvT1_
	.globl	_ZN7rocprim17ROCPRIM_400000_NS6detail17trampoline_kernelINS0_14default_configENS1_25partition_config_selectorILNS1_17partition_subalgoE8EfNS0_10empty_typeEbEEZZNS1_14partition_implILS5_8ELb0ES3_jPKfPS6_PKS6_NS0_5tupleIJPfS6_EEENSE_IJSB_SB_EEENS0_18inequality_wrapperIN6hipcub16HIPCUB_304000_NS8EqualityEEEPlJS6_EEE10hipError_tPvRmT3_T4_T5_T6_T7_T9_mT8_P12ihipStream_tbDpT10_ENKUlT_T0_E_clISt17integral_constantIbLb0EES16_IbLb1EEEEDaS12_S13_EUlS12_E_NS1_11comp_targetILNS1_3genE0ELNS1_11target_archE4294967295ELNS1_3gpuE0ELNS1_3repE0EEENS1_30default_config_static_selectorELNS0_4arch9wavefront6targetE0EEEvT1_
	.p2align	8
	.type	_ZN7rocprim17ROCPRIM_400000_NS6detail17trampoline_kernelINS0_14default_configENS1_25partition_config_selectorILNS1_17partition_subalgoE8EfNS0_10empty_typeEbEEZZNS1_14partition_implILS5_8ELb0ES3_jPKfPS6_PKS6_NS0_5tupleIJPfS6_EEENSE_IJSB_SB_EEENS0_18inequality_wrapperIN6hipcub16HIPCUB_304000_NS8EqualityEEEPlJS6_EEE10hipError_tPvRmT3_T4_T5_T6_T7_T9_mT8_P12ihipStream_tbDpT10_ENKUlT_T0_E_clISt17integral_constantIbLb0EES16_IbLb1EEEEDaS12_S13_EUlS12_E_NS1_11comp_targetILNS1_3genE0ELNS1_11target_archE4294967295ELNS1_3gpuE0ELNS1_3repE0EEENS1_30default_config_static_selectorELNS0_4arch9wavefront6targetE0EEEvT1_,@function
_ZN7rocprim17ROCPRIM_400000_NS6detail17trampoline_kernelINS0_14default_configENS1_25partition_config_selectorILNS1_17partition_subalgoE8EfNS0_10empty_typeEbEEZZNS1_14partition_implILS5_8ELb0ES3_jPKfPS6_PKS6_NS0_5tupleIJPfS6_EEENSE_IJSB_SB_EEENS0_18inequality_wrapperIN6hipcub16HIPCUB_304000_NS8EqualityEEEPlJS6_EEE10hipError_tPvRmT3_T4_T5_T6_T7_T9_mT8_P12ihipStream_tbDpT10_ENKUlT_T0_E_clISt17integral_constantIbLb0EES16_IbLb1EEEEDaS12_S13_EUlS12_E_NS1_11comp_targetILNS1_3genE0ELNS1_11target_archE4294967295ELNS1_3gpuE0ELNS1_3repE0EEENS1_30default_config_static_selectorELNS0_4arch9wavefront6targetE0EEEvT1_: ; @_ZN7rocprim17ROCPRIM_400000_NS6detail17trampoline_kernelINS0_14default_configENS1_25partition_config_selectorILNS1_17partition_subalgoE8EfNS0_10empty_typeEbEEZZNS1_14partition_implILS5_8ELb0ES3_jPKfPS6_PKS6_NS0_5tupleIJPfS6_EEENSE_IJSB_SB_EEENS0_18inequality_wrapperIN6hipcub16HIPCUB_304000_NS8EqualityEEEPlJS6_EEE10hipError_tPvRmT3_T4_T5_T6_T7_T9_mT8_P12ihipStream_tbDpT10_ENKUlT_T0_E_clISt17integral_constantIbLb0EES16_IbLb1EEEEDaS12_S13_EUlS12_E_NS1_11comp_targetILNS1_3genE0ELNS1_11target_archE4294967295ELNS1_3gpuE0ELNS1_3repE0EEENS1_30default_config_static_selectorELNS0_4arch9wavefront6targetE0EEEvT1_
; %bb.0:
	s_clause 0x2
	s_load_b128 s[20:23], s[0:1], 0x40
	s_load_b64 s[8:9], s[0:1], 0x50
	s_load_b64 s[26:27], s[0:1], 0x60
	v_cmp_ne_u32_e64 s3, 0, v0
	v_cmp_eq_u32_e64 s2, 0, v0
	s_and_saveexec_b32 s4, s2
	s_cbranch_execz .LBB365_4
; %bb.1:
	s_mov_b32 s6, exec_lo
	s_mov_b32 s5, exec_lo
	v_mbcnt_lo_u32_b32 v1, s6, 0
                                        ; implicit-def: $vgpr2
	s_delay_alu instid0(VALU_DEP_1)
	v_cmpx_eq_u32_e32 0, v1
	s_cbranch_execz .LBB365_3
; %bb.2:
	s_load_b64 s[10:11], s[0:1], 0x70
	s_bcnt1_i32_b32 s6, s6
	s_delay_alu instid0(SALU_CYCLE_1)
	v_dual_mov_b32 v2, 0 :: v_dual_mov_b32 v3, s6
	s_wait_xcnt 0x0
	s_wait_kmcnt 0x0
	global_atomic_add_u32 v2, v2, v3, s[10:11] th:TH_ATOMIC_RETURN scope:SCOPE_DEV
.LBB365_3:
	s_wait_xcnt 0x0
	s_or_b32 exec_lo, exec_lo, s5
	s_wait_loadcnt 0x0
	v_readfirstlane_b32 s5, v2
	s_delay_alu instid0(VALU_DEP_1)
	v_dual_mov_b32 v2, 0 :: v_dual_add_nc_u32 v1, s5, v1
	ds_store_b32 v2, v1
.LBB365_4:
	s_or_b32 exec_lo, exec_lo, s4
	v_mov_b32_e32 v3, 0
	s_clause 0x2
	s_load_b128 s[4:7], s[0:1], 0x8
	s_load_b64 s[24:25], s[0:1], 0x28
	s_load_b32 s10, s[0:1], 0x68
	s_wait_dscnt 0x0
	s_barrier_signal -1
	s_barrier_wait -1
	ds_load_b32 v1, v3
	s_wait_dscnt 0x0
	s_barrier_signal -1
	s_barrier_wait -1
	s_wait_kmcnt 0x0
	global_load_b64 v[14:15], v3, s[22:23]
	s_mov_b32 s13, 0
	s_lshl_b64 s[0:1], s[6:7], 2
	s_mul_i32 s12, s10, 0x1600
	s_add_co_i32 s14, s10, -1
	s_add_nc_u64 s[10:11], s[6:7], s[12:13]
	s_add_co_i32 s12, s12, s6
	v_cmp_le_u64_e64 s9, s[8:9], s[10:11]
	v_mul_lo_u32 v2, 0x1600, v1
	v_readfirstlane_b32 s28, v1
	s_sub_co_i32 s29, s8, s12
	s_add_nc_u64 s[0:1], s[4:5], s[0:1]
	s_cmp_eq_u32 s28, s14
	s_wait_xcnt 0x0
	s_cselect_b32 s22, -1, 0
	s_delay_alu instid0(SALU_CYCLE_1) | instskip(SKIP_2) | instid1(SALU_CYCLE_1)
	s_and_b32 s30, s9, s22
	v_lshlrev_b64_e32 v[2:3], 2, v[2:3]
	s_xor_b32 s23, s30, -1
	s_and_b32 vcc_lo, exec_lo, s23
	s_delay_alu instid0(VALU_DEP_1)
	v_add_nc_u64_e32 v[26:27], s[0:1], v[2:3]
	s_mov_b32 s0, -1
	s_cbranch_vccz .LBB365_6
; %bb.5:
	s_delay_alu instid0(VALU_DEP_1) | instskip(NEXT) | instid1(VALU_DEP_2)
	v_readfirstlane_b32 s0, v26
	v_readfirstlane_b32 s1, v27
	v_lshlrev_b32_e32 v12, 2, v0
	s_clause 0xa
	global_load_b32 v1, v0, s[0:1] scale_offset
	global_load_b32 v2, v0, s[0:1] offset:2048 scale_offset
	global_load_b32 v3, v0, s[0:1] offset:4096 scale_offset
	;; [unrolled: 1-line block ×10, first 2 shown]
	s_wait_xcnt 0x0
	s_mov_b32 s0, 0
	s_wait_loadcnt 0x9
	ds_store_2addr_stride64_b32 v12, v1, v2 offset1:8
	s_wait_loadcnt 0x7
	ds_store_2addr_stride64_b32 v12, v3, v4 offset0:16 offset1:24
	s_wait_loadcnt 0x5
	ds_store_2addr_stride64_b32 v12, v5, v6 offset0:32 offset1:40
	;; [unrolled: 2-line block ×4, first 2 shown]
	s_wait_loadcnt 0x0
	ds_store_b32 v12, v11 offset:20480
	s_wait_dscnt 0x0
	s_barrier_signal -1
	s_barrier_wait -1
.LBB365_6:
	s_and_not1_b32 vcc_lo, exec_lo, s0
	s_addk_co_i32 s29, 0x1600
	s_cbranch_vccnz .LBB365_30
; %bb.7:
	v_mov_b32_e32 v2, 0
	s_mov_b32 s0, exec_lo
	s_delay_alu instid0(VALU_DEP_1)
	v_dual_mov_b32 v3, v2 :: v_dual_mov_b32 v4, v2
	v_dual_mov_b32 v5, v2 :: v_dual_mov_b32 v6, v2
	;; [unrolled: 1-line block ×5, first 2 shown]
	v_cmpx_gt_u32_e64 s29, v0
	s_cbranch_execz .LBB365_9
; %bb.8:
	v_readfirstlane_b32 s4, v26
	v_readfirstlane_b32 s5, v27
	v_dual_mov_b32 v29, v2 :: v_dual_mov_b32 v30, v2
	v_dual_mov_b32 v31, v2 :: v_dual_mov_b32 v32, v2
	global_load_b32 v28, v0, s[4:5] scale_offset
	v_dual_mov_b32 v33, v2 :: v_dual_mov_b32 v34, v2
	v_dual_mov_b32 v35, v2 :: v_dual_mov_b32 v36, v2
	;; [unrolled: 1-line block ×3, first 2 shown]
	s_wait_loadcnt 0x0
	v_dual_mov_b32 v2, v28 :: v_dual_mov_b32 v3, v29
	v_dual_mov_b32 v4, v30 :: v_dual_mov_b32 v5, v31
	v_dual_mov_b32 v6, v32 :: v_dual_mov_b32 v7, v33
	v_dual_mov_b32 v8, v34 :: v_dual_mov_b32 v9, v35
	v_dual_mov_b32 v10, v36 :: v_dual_mov_b32 v11, v37
	v_mov_b32_e32 v12, v38
.LBB365_9:
	s_or_b32 exec_lo, exec_lo, s0
	v_or_b32_e32 v1, 0x200, v0
	s_mov_b32 s0, exec_lo
	s_delay_alu instid0(VALU_DEP_1)
	v_cmpx_gt_u32_e64 s29, v1
	s_cbranch_execz .LBB365_11
; %bb.10:
	v_readfirstlane_b32 s4, v26
	v_readfirstlane_b32 s5, v27
	global_load_b32 v3, v0, s[4:5] offset:2048 scale_offset
.LBB365_11:
	s_wait_xcnt 0x0
	s_or_b32 exec_lo, exec_lo, s0
	v_or_b32_e32 v1, 0x400, v0
	s_mov_b32 s0, exec_lo
	s_delay_alu instid0(VALU_DEP_1)
	v_cmpx_gt_u32_e64 s29, v1
	s_cbranch_execz .LBB365_13
; %bb.12:
	v_readfirstlane_b32 s4, v26
	v_readfirstlane_b32 s5, v27
	global_load_b32 v4, v0, s[4:5] offset:4096 scale_offset
.LBB365_13:
	s_wait_xcnt 0x0
	;; [unrolled: 12-line block ×10, first 2 shown]
	s_or_b32 exec_lo, exec_lo, s0
	v_lshlrev_b32_e32 v1, 2, v0
	s_wait_loadcnt 0x0
	ds_store_2addr_stride64_b32 v1, v2, v3 offset1:8
	ds_store_2addr_stride64_b32 v1, v4, v5 offset0:16 offset1:24
	ds_store_2addr_stride64_b32 v1, v6, v7 offset0:32 offset1:40
	;; [unrolled: 1-line block ×4, first 2 shown]
	ds_store_b32 v1, v12 offset:20480
	s_wait_dscnt 0x0
	s_barrier_signal -1
	s_barrier_wait -1
.LBB365_30:
	v_mul_u32_u24_e32 v6, 11, v0
	s_wait_loadcnt 0x0
	s_cmp_lg_u32 s28, 0
	s_mov_b32 s18, 0
	s_cselect_b32 s31, -1, 0
	v_lshlrev_b32_e32 v1, 2, v6
	s_cmp_lg_u64 s[6:7], 0
	ds_load_2addr_b32 v[22:23], v1 offset0:2 offset1:3
	ds_load_2addr_b32 v[24:25], v1 offset1:1
	ds_load_2addr_b32 v[12:13], v1 offset0:3 offset1:4
	ds_load_2addr_b32 v[2:3], v1 offset0:1 offset1:2
	;; [unrolled: 1-line block ×5, first 2 shown]
	s_cselect_b32 s0, -1, 0
	s_wait_dscnt 0x0
	s_or_b32 s0, s0, s31
	s_barrier_signal -1
	s_and_b32 vcc_lo, exec_lo, s0
	s_barrier_wait -1
	s_cbranch_vccz .LBB365_35
; %bb.31:
	global_load_b32 v10, v[26:27], off offset:-4
	v_lshlrev_b32_e32 v11, 2, v0
	s_and_b32 vcc_lo, exec_lo, s23
	ds_store_b32 v11, v17
	s_cbranch_vccz .LBB365_37
; %bb.32:
	s_wait_loadcnt 0x0
	v_mov_b32_e32 v4, v10
	s_wait_dscnt 0x0
	s_barrier_signal -1
	s_barrier_wait -1
	s_and_saveexec_b32 s0, s3
; %bb.33:
	v_add_nc_u32_e32 v4, -4, v11
	ds_load_b32 v4, v4
; %bb.34:
	s_or_b32 exec_lo, exec_lo, s0
	v_cmp_neq_f32_e32 vcc_lo, v23, v22
	s_wait_dscnt 0x0
	v_cmp_neq_f32_e64 s0, v4, v24
	v_cndmask_b32_e64 v5, 0, 1, vcc_lo
	v_cmp_neq_f32_e32 vcc_lo, v20, v13
	s_delay_alu instid0(VALU_DEP_2) | instskip(SKIP_2) | instid1(VALU_DEP_2)
	v_lshlrev_b16 v5, 8, v5
	v_cndmask_b32_e64 v7, 0, 1, vcc_lo
	v_cmp_neq_f32_e32 vcc_lo, v25, v24
	v_lshlrev_b16 v7, 8, v7
	v_cndmask_b32_e64 v8, 0, 1, vcc_lo
	v_cmp_neq_f32_e32 vcc_lo, v18, v21
	s_delay_alu instid0(VALU_DEP_3) | instskip(NEXT) | instid1(VALU_DEP_3)
	v_dual_lshrrev_b32 v5, 8, v5 :: v_dual_lshrrev_b32 v26, 8, v7
	v_lshlrev_b16 v8, 8, v8
	v_cndmask_b32_e64 v9, 0, 1, vcc_lo
	v_cmp_neq_f32_e32 vcc_lo, v16, v17
	s_delay_alu instid0(VALU_DEP_4) | instskip(SKIP_1) | instid1(VALU_DEP_4)
	v_lshlrev_b16 v5, 8, v5
	v_lshlrev_b16 v26, 8, v26
	;; [unrolled: 1-line block ×3, first 2 shown]
	v_cndmask_b32_e64 v7, 0, 1, vcc_lo
	v_cmp_neq_f32_e32 vcc_lo, v25, v22
	s_delay_alu instid0(VALU_DEP_2) | instskip(SKIP_2) | instid1(VALU_DEP_2)
	v_lshlrev_b16 v30, 8, v7
	v_cndmask_b32_e64 v27, 0, 1, vcc_lo
	v_cmp_neq_f32_e32 vcc_lo, v23, v13
	v_dual_lshrrev_b32 v8, 8, v8 :: v_dual_bitop2_b32 v5, v27, v5 bitop3:0x54
	v_cndmask_b32_e64 v28, 0, 1, vcc_lo
	v_cmp_neq_f32_e32 vcc_lo, v20, v21
	s_delay_alu instid0(VALU_DEP_3) | instskip(NEXT) | instid1(VALU_DEP_3)
	v_lshlrev_b16 v8, 8, v8
	v_dual_lshlrev_b32 v5, 16, v5 :: v_dual_bitop2_b32 v26, v28, v26 bitop3:0x54
	v_cndmask_b32_e64 v29, 0, 1, vcc_lo
	v_cmp_neq_f32_e32 vcc_lo, v16, v19
	s_delay_alu instid0(VALU_DEP_4) | instskip(NEXT) | instid1(VALU_DEP_4)
	v_and_b32_e32 v28, 0xffff, v8
	v_and_b32_e32 v26, 0xffff, v26
	s_delay_alu instid0(VALU_DEP_4) | instskip(SKIP_3) | instid1(VALU_DEP_3)
	v_or_b32_e32 v9, v29, v9
	v_cndmask_b32_e64 v27, 0, 1, vcc_lo
	v_cmp_neq_f32_e32 vcc_lo, v18, v19
	v_or_b32_e32 v4, v28, v5
	v_dual_lshlrev_b32 v29, 16, v9 :: v_dual_bitop2_b32 v9, v27, v30 bitop3:0x54
	v_cndmask_b32_e64 v8, 0, 1, vcc_lo
	s_delay_alu instid0(VALU_DEP_2)
	v_or_b32_e32 v5, v26, v29
	s_branch .LBB365_41
.LBB365_35:
                                        ; implicit-def: $sgpr0
                                        ; implicit-def: $vgpr7
                                        ; implicit-def: $vgpr9
                                        ; implicit-def: $vgpr8
                                        ; implicit-def: $vgpr5
	s_branch .LBB365_42
.LBB365_36:
                                        ; implicit-def: $vgpr26
                                        ; implicit-def: $vgpr42
                                        ; implicit-def: $vgpr40
                                        ; implicit-def: $vgpr28
                                        ; implicit-def: $vgpr41
                                        ; implicit-def: $vgpr39
                                        ; implicit-def: $vgpr38
                                        ; implicit-def: $vgpr33
                                        ; implicit-def: $vgpr29
                                        ; implicit-def: $vgpr1
	s_branch .LBB365_50
.LBB365_37:
                                        ; implicit-def: $sgpr0
                                        ; implicit-def: $vgpr7
                                        ; implicit-def: $vgpr9
                                        ; implicit-def: $vgpr8
                                        ; implicit-def: $vgpr5
	s_cbranch_execz .LBB365_41
; %bb.38:
	s_wait_loadcnt_dscnt 0x0
	s_barrier_signal -1
	s_barrier_wait -1
	s_and_saveexec_b32 s0, s3
; %bb.39:
	v_add_nc_u32_e32 v4, -4, v11
	ds_load_b32 v10, v4
; %bb.40:
	s_or_b32 exec_lo, exec_lo, s0
	v_dual_add_nc_u32 v4, 10, v6 :: v_dual_add_nc_u32 v5, 9, v6
	v_add_nc_u32_e32 v7, 8, v6
	v_cmp_neq_f32_e64 s11, v20, v13
	v_cmp_neq_f32_e64 s17, v23, v22
	s_delay_alu instid0(VALU_DEP_4)
	v_cmp_gt_u32_e64 s0, s29, v4
	v_add_nc_u32_e32 v4, 7, v6
	v_cmp_gt_u32_e64 s1, s29, v5
	v_add_nc_u32_e32 v5, 5, v6
	;; [unrolled: 2-line block ×6, first 2 shown]
	v_cmp_gt_u32_e64 s13, s29, v4
	s_and_b32 s9, s9, s11
	v_cmp_gt_u32_e64 s14, s29, v5
	v_cmp_neq_f32_e64 s15, v25, v24
	v_add_nc_u32_e32 v4, 2, v6
	s_and_b32 s13, s13, s17
	v_cmp_gt_u32_e64 s16, s29, v7
	v_cndmask_b32_e64 v5, 0, 1, s13
	v_cndmask_b32_e64 v7, 0, 1, s9
	v_cmp_neq_f32_e32 vcc_lo, v16, v17
	v_cmp_neq_f32_e64 s8, v18, v21
	s_and_b32 s14, s14, s15
	v_cmp_gt_u32_e64 s19, s29, v4
	v_cmp_neq_f32_e64 s13, v25, v22
	v_lshlrev_b16 v5, 8, v5
	v_lshlrev_b16 v7, 8, v7
	v_cndmask_b32_e64 v4, 0, 1, s14
	v_cmp_neq_f32_e64 s18, v23, v13
	s_and_b32 s0, s0, vcc_lo
	v_cmp_neq_f32_e64 s12, v20, v21
	s_and_b32 s6, s6, s8
	v_dual_lshrrev_b32 v5, 8, v5 :: v_dual_lshrrev_b32 v11, 8, v7
	v_cndmask_b32_e64 v7, 0, 1, s0
	s_and_b32 s0, s19, s13
	v_lshlrev_b16 v4, 8, v4
	v_cndmask_b32_e64 v9, 0, 1, s6
	v_cndmask_b32_e64 v26, 0, 1, s0
	s_and_b32 s0, s16, s18
	v_lshlrev_b16 v5, 8, v5
	v_cndmask_b32_e64 v27, 0, 1, s0
	s_and_b32 s0, s10, s12
	v_lshlrev_b16 v9, 8, v9
	s_delay_alu instid0(VALU_DEP_3) | instskip(SKIP_3) | instid1(VALU_DEP_4)
	v_dual_lshrrev_b32 v4, 8, v4 :: v_dual_bitop2_b32 v5, v26, v5 bitop3:0x54
	v_lshlrev_b16 v11, 8, v11
	v_cndmask_b32_e64 v28, 0, 1, s0
	v_cmp_neq_f32_e64 s4, v16, v19
	v_lshlrev_b16 v4, 8, v4
	v_cmp_neq_f32_e64 s7, v18, v19
	v_dual_lshlrev_b32 v5, 16, v5 :: v_dual_bitop2_b32 v11, v27, v11 bitop3:0x54
	v_or_b32_e32 v9, v28, v9
	s_and_b32 s0, s1, s4
	v_lshlrev_b16 v29, 8, v7
	v_cndmask_b32_e64 v26, 0, 1, s0
	v_and_b32_e32 v4, 0xffff, v4
	v_and_b32_e32 v11, 0xffff, v11
	v_lshlrev_b32_e32 v27, 16, v9
	s_and_b32 s5, s5, s7
	v_cmp_gt_u32_e32 vcc_lo, s29, v6
	s_wait_dscnt 0x0
	v_cmp_neq_f32_e64 s0, v10, v24
	v_cndmask_b32_e64 v8, 0, 1, s5
	v_or_b32_e32 v9, v26, v29
	v_or_b32_e32 v4, v4, v5
	;; [unrolled: 1-line block ×3, first 2 shown]
	s_and_b32 s0, vcc_lo, s0
.LBB365_41:
	s_mov_b32 s18, -1
	s_cbranch_execnz .LBB365_36
.LBB365_42:
	s_wait_loadcnt 0x0
	v_mad_i32_i24 v10, 0xffffffd8, v0, v1
	v_cmp_neq_f32_e64 s0, v16, v17
	v_cmp_neq_f32_e64 s1, v18, v19
	;; [unrolled: 1-line block ×4, first 2 shown]
	s_and_b32 vcc_lo, exec_lo, s23
	ds_store_b32 v10, v17
	s_cbranch_vccz .LBB365_46
; %bb.43:
	v_cmp_neq_f32_e32 vcc_lo, v25, v22
	v_cndmask_b32_e64 v27, 0, 1, s5
	v_cndmask_b32_e64 v39, 0, 1, s4
	;; [unrolled: 1-line block ×4, first 2 shown]
	v_cndmask_b32_e64 v40, 0, 1, vcc_lo
	v_cmp_neq_f32_e32 vcc_lo, v25, v24
	v_lshlrev_b16 v29, 8, v27
	v_lshlrev_b16 v31, 8, v39
	;; [unrolled: 1-line block ×4, first 2 shown]
	v_cndmask_b32_e64 v11, 0, 1, vcc_lo
	v_cmp_neq_f32_e32 vcc_lo, v23, v22
	v_lshlrev_b16 v36, 8, v1
	v_mov_b32_e32 v26, 1
	s_wait_dscnt 0x0
	s_barrier_signal -1
	v_cndmask_b32_e64 v30, 0, 1, vcc_lo
	v_cmp_neq_f32_e32 vcc_lo, v20, v13
	s_barrier_wait -1
                                        ; implicit-def: $sgpr0
                                        ; implicit-def: $vgpr7
                                        ; implicit-def: $vgpr9
                                        ; implicit-def: $vgpr8
                                        ; implicit-def: $vgpr5
	v_cndmask_b32_e64 v32, 0, 1, vcc_lo
	v_cmp_neq_f32_e32 vcc_lo, v18, v21
	v_cndmask_b32_e64 v35, 0, 1, vcc_lo
	v_cmp_neq_f32_e32 vcc_lo, v16, v19
	v_cndmask_b32_e64 v37, 0, 1, vcc_lo
	s_and_saveexec_b32 s1, s3
	s_delay_alu instid0(SALU_CYCLE_1)
	s_xor_b32 s1, exec_lo, s1
	s_cbranch_execz .LBB365_45
; %bb.44:
	s_delay_alu instid0(VALU_DEP_1) | instskip(SKIP_3) | instid1(VALU_DEP_4)
	v_lshlrev_b16 v5, 8, v37
	v_lshlrev_b16 v4, 8, v32
	;; [unrolled: 1-line block ×4, first 2 shown]
	v_dual_add_nc_u32 v9, -4, v10 :: v_dual_lshrrev_b32 v5, 8, v5
	s_delay_alu instid0(VALU_DEP_3)
	v_dual_lshrrev_b32 v4, 8, v4 :: v_dual_lshrrev_b32 v7, 8, v7
	v_lshlrev_b16 v38, 8, v35
	ds_load_b32 v9, v9
	v_lshlrev_b16 v5, 8, v5
	v_lshrrev_b32_e32 v8, 8, v8
	v_lshlrev_b16 v7, 8, v7
	v_lshlrev_b16 v4, 8, v4
	s_or_b32 s18, s18, exec_lo
	v_or_b32_e32 v5, v33, v5
	v_lshlrev_b16 v8, 8, v8
	s_delay_alu instid0(VALU_DEP_2) | instskip(NEXT) | instid1(VALU_DEP_2)
	v_and_b32_e32 v5, 0xffff, v5
	v_or_b32_e32 v8, 1, v8
	s_delay_alu instid0(VALU_DEP_1) | instskip(NEXT) | instid1(VALU_DEP_3)
	v_and_b32_e32 v41, 0xffff, v8
	v_lshl_or_b32 v8, v1, 16, v5
	v_or_b32_e32 v7, v40, v7
	s_wait_dscnt 0x0
	v_cmp_neq_f32_e64 s0, v9, v24
	s_delay_alu instid0(VALU_DEP_3) | instskip(NEXT) | instid1(VALU_DEP_3)
	v_dual_lshrrev_b32 v9, 8, v8 :: v_dual_bitop2_b32 v38, v39, v38 bitop3:0x54
	v_dual_lshlrev_b32 v7, 16, v7 :: v_dual_bitop2_b32 v4, v27, v4 bitop3:0x54
	s_delay_alu instid0(VALU_DEP_2) | instskip(NEXT) | instid1(VALU_DEP_2)
	v_lshlrev_b32_e32 v38, 16, v38
	v_and_b32_e32 v4, 0xffff, v4
	s_delay_alu instid0(VALU_DEP_1) | instskip(NEXT) | instid1(VALU_DEP_4)
	v_or_b32_e32 v5, v4, v38
	v_dual_lshrrev_b32 v7, 16, v8 :: v_dual_bitop2_b32 v4, v41, v7 bitop3:0x54
.LBB365_45:
	s_or_b32 exec_lo, exec_lo, s1
	v_or_b32_e32 v42, v11, v28
	v_or_b32_e32 v28, v30, v29
	;; [unrolled: 1-line block ×5, first 2 shown]
	s_branch .LBB365_50
.LBB365_46:
                                        ; implicit-def: $sgpr0
                                        ; implicit-def: $vgpr7
                                        ; implicit-def: $vgpr9
                                        ; implicit-def: $vgpr8
                                        ; implicit-def: $vgpr5
                                        ; implicit-def: $vgpr26
                                        ; implicit-def: $vgpr42
                                        ; implicit-def: $vgpr40
                                        ; implicit-def: $vgpr28
                                        ; implicit-def: $vgpr41
                                        ; implicit-def: $vgpr39
                                        ; implicit-def: $vgpr38
                                        ; implicit-def: $vgpr33
                                        ; implicit-def: $vgpr29
                                        ; implicit-def: $vgpr1
	s_cbranch_execz .LBB365_50
; %bb.47:
	v_dual_add_nc_u32 v1, 10, v6 :: v_dual_add_nc_u32 v4, 9, v6
	v_add_nc_u32_e32 v5, 6, v6
	v_cmp_neq_f32_e64 s13, v23, v13
	v_cmp_neq_f32_e64 s11, v18, v19
	s_delay_alu instid0(VALU_DEP_4) | instskip(SKIP_4) | instid1(VALU_DEP_4)
	v_cmp_gt_u32_e64 s0, s29, v1
	v_add_nc_u32_e32 v1, 5, v6
	v_cmp_gt_u32_e64 s1, s29, v4
	v_dual_add_nc_u32 v4, 8, v6 :: v_dual_add_nc_u32 v7, 7, v6
	v_cmp_gt_u32_e64 s5, s29, v5
	v_cmp_gt_u32_e64 s6, s29, v1
	v_dual_add_nc_u32 v1, 4, v6 :: v_dual_add_nc_u32 v5, 3, v6
	s_delay_alu instid0(VALU_DEP_4) | instskip(SKIP_2) | instid1(VALU_DEP_4)
	v_cmp_gt_u32_e64 s7, s29, v4
	v_add_nc_u32_e32 v4, 2, v6
	v_cmp_neq_f32_e64 s9, v20, v21
	v_cmp_gt_u32_e64 s14, s29, v1
	v_cmp_gt_u32_e64 s8, s29, v7
	v_cmp_neq_f32_e64 s12, v21, v18
	v_add_nc_u32_e32 v1, 1, v6
	v_cmp_neq_f32_e64 s15, v25, v3
	s_and_b32 s13, s14, s13
	v_cmp_gt_u32_e64 s17, s29, v4
	v_cndmask_b32_e64 v4, 0, 1, s13
	v_cmp_neq_f32_e64 s13, v22, v12
	v_cmp_gt_u32_e64 s14, s29, v5
	s_and_b32 s7, s7, s11
	s_and_b32 s5, s5, s9
	v_cndmask_b32_e64 v35, 0, 1, s7
	s_and_b32 s15, s17, s15
	s_and_b32 s7, s14, s13
	v_cndmask_b32_e64 v36, 0, 1, s5
	s_and_b32 s5, s8, s12
	v_cndmask_b32_e64 v33, 0, 1, s15
	v_lshlrev_b16 v3, 8, v4
	v_cndmask_b32_e64 v39, 0, 1, s7
	v_lshlrev_b16 v5, 8, v35
	v_cndmask_b32_e64 v37, 0, 1, s5
	v_cmp_neq_f32_e32 vcc_lo, v16, v17
	v_cmp_neq_f32_e64 s16, v24, v2
	v_lshlrev_b16 v2, 8, v33
	v_cmp_neq_f32_e64 s10, v13, v20
	v_or_b32_e32 v38, v37, v5
	v_or_b32_e32 v28, v39, v3
	v_lshlrev_b16 v3, 8, v36
	v_cmp_neq_f32_e64 s4, v19, v16
	v_cmp_gt_u32_e64 s5, s29, v1
	s_and_b32 s0, s0, vcc_lo
	v_and_b32_e32 v5, 0xffff, v2
	v_dual_lshlrev_b32 v27, 16, v38 :: v_dual_lshlrev_b32 v11, 16, v28
	v_and_b32_e32 v7, 0xffff, v3
	v_cndmask_b32_e64 v1, 0, 1, s0
	s_and_b32 s0, s6, s10
	s_and_b32 s5, s5, s16
	v_cndmask_b32_e64 v29, 0, 1, s0
	s_and_b32 s0, s1, s4
	v_cndmask_b32_e64 v12, 0, 1, s5
	v_dual_mov_b32 v26, 1 :: v_dual_bitop2_b32 v30, v5, v11 bitop3:0x54
	v_or_b32_e32 v31, v7, v27
	v_lshlrev_b16 v32, 8, v1
	v_cndmask_b32_e64 v34, 0, 1, s0
	s_wait_dscnt 0x0
	s_barrier_signal -1
	s_barrier_wait -1
                                        ; implicit-def: $sgpr0
                                        ; implicit-def: $vgpr7
                                        ; implicit-def: $vgpr9
                                        ; implicit-def: $vgpr8
                                        ; implicit-def: $vgpr5
	s_and_saveexec_b32 s1, s3
	s_cbranch_execz .LBB365_49
; %bb.48:
	v_lshlrev_b16 v5, 8, v34
	v_lshlrev_b16 v7, 8, v29
	;; [unrolled: 1-line block ×3, first 2 shown]
	v_add_nc_u32_e32 v9, -4, v10
	v_lshlrev_b16 v10, 8, v12
	s_delay_alu instid0(VALU_DEP_4) | instskip(NEXT) | instid1(VALU_DEP_4)
	v_dual_lshrrev_b32 v5, 8, v5 :: v_dual_lshrrev_b32 v7, 8, v7
	v_lshrrev_b32_e32 v8, 8, v8
	ds_load_b32 v9, v9
	v_lshlrev_b16 v37, 8, v37
	v_lshlrev_b16 v5, 8, v5
	v_lshrrev_b32_e32 v10, 8, v10
	v_lshlrev_b16 v7, 8, v7
	v_lshlrev_b16 v8, 8, v8
	v_cmp_gt_u32_e32 vcc_lo, s29, v6
	v_or_b32_e32 v5, v35, v5
	v_lshlrev_b16 v10, 8, v10
	v_or_b32_e32 v4, v4, v7
	v_or_b32_e32 v7, v33, v8
	;; [unrolled: 1-line block ×3, first 2 shown]
	v_and_b32_e32 v5, 0xffff, v5
	v_or_b32_e32 v8, 1, v10
	s_or_b32 s18, s18, exec_lo
	v_lshlrev_b32_e32 v7, 16, v7
	v_lshlrev_b32_e32 v10, 16, v35
	s_delay_alu instid0(VALU_DEP_3) | instskip(SKIP_3) | instid1(VALU_DEP_2)
	v_and_b32_e32 v33, 0xffff, v8
	v_lshl_or_b32 v8, v1, 16, v5
	s_wait_dscnt 0x0
	v_cmp_neq_f32_e64 s0, v9, v24
	v_lshrrev_b32_e32 v9, 8, v8
	v_and_b32_e32 v4, 0xffff, v4
	s_and_b32 s0, vcc_lo, s0
	s_delay_alu instid0(VALU_DEP_1)
	v_or_b32_e32 v5, v4, v10
	v_dual_lshrrev_b32 v7, 16, v8 :: v_dual_bitop2_b32 v4, v33, v7 bitop3:0x54
.LBB365_49:
	s_or_b32 exec_lo, exec_lo, s1
	v_dual_lshrrev_b32 v33, 24, v27 :: v_dual_bitop2_b32 v42, v12, v2 bitop3:0x54
	v_dual_lshrrev_b32 v40, 8, v30 :: v_dual_bitop2_b32 v41, v29, v3 bitop3:0x54
	;; [unrolled: 1-line block ×3, first 2 shown]
	v_lshrrev_b32_e32 v39, 8, v31
.LBB365_50:
	s_wait_xcnt 0x0
	s_and_saveexec_b32 s1, s18
	s_cbranch_execz .LBB365_52
; %bb.51:
	v_lshrrev_b64 v[28:29], 24, v[4:5]
	v_dual_lshrrev_b32 v41, 8, v5 :: v_dual_lshrrev_b32 v39, 16, v5
	v_dual_lshrrev_b32 v38, 24, v5 :: v_dual_lshrrev_b32 v40, 16, v4
	v_dual_mov_b32 v27, v5 :: v_dual_lshrrev_b32 v42, 8, v4
	v_cndmask_b32_e64 v26, 0, 1, s0
	v_dual_mov_b32 v33, v8 :: v_dual_mov_b32 v29, v9
	v_mov_b32_e32 v1, v7
.LBB365_52:
	s_or_b32 exec_lo, exec_lo, s1
	s_delay_alu instid0(SALU_CYCLE_1)
	s_and_not1_b32 vcc_lo, exec_lo, s30
	s_cbranch_vccnz .LBB365_56
; %bb.53:
	v_perm_b32 v2, v26, v42, 0xc0c0004
	v_perm_b32 v3, v40, v28, 0xc0c0004
	v_cmp_gt_u32_e32 vcc_lo, s29, v6
	v_dual_add_nc_u32 v4, 1, v6 :: v_dual_add_nc_u32 v5, 2, v6
	v_perm_b32 v7, v27, v41, 0xc0c0004
	s_delay_alu instid0(VALU_DEP_4) | instskip(SKIP_2) | instid1(VALU_DEP_3)
	v_lshl_or_b32 v2, v3, 16, v2
	v_and_b32_e32 v1, 0xff, v1
	v_perm_b32 v9, v33, v29, 0xc0c0004
	v_cndmask_b32_e32 v3, 0, v2, vcc_lo
	v_cmp_gt_u32_e32 vcc_lo, s29, v4
	v_perm_b32 v4, v39, v38, 0xc0c0004
	s_delay_alu instid0(VALU_DEP_1) | instskip(NEXT) | instid1(VALU_DEP_4)
	v_dual_lshlrev_b32 v1, 16, v1 :: v_dual_lshlrev_b32 v4, 16, v4
	v_and_b32_e32 v3, 0xff, v3
	s_delay_alu instid0(VALU_DEP_2) | instskip(NEXT) | instid1(VALU_DEP_3)
	v_or_b32_e32 v9, v9, v1
	v_or_b32_e32 v8, v7, v4
	v_bitop3_b32 v4, v7, 0xffffff00, v4 bitop3:0xc8
	s_delay_alu instid0(VALU_DEP_4) | instskip(SKIP_2) | instid1(VALU_DEP_3)
	v_cndmask_b32_e32 v3, v3, v2, vcc_lo
	v_cmp_gt_u32_e32 vcc_lo, s29, v5
	v_dual_add_nc_u32 v5, 4, v6 :: v_dual_add_nc_u32 v7, 3, v6
	v_and_b32_e32 v3, 0xffff, v3
	s_delay_alu instid0(VALU_DEP_2) | instskip(SKIP_1) | instid1(VALU_DEP_3)
	v_cmp_gt_u32_e64 s0, s29, v7
	v_lshlrev_b16 v7, 8, v29
	v_cndmask_b32_e32 v3, v3, v2, vcc_lo
	v_cmp_gt_u32_e32 vcc_lo, s29, v5
	v_add_nc_u32_e32 v5, 5, v6
	s_delay_alu instid0(VALU_DEP_3) | instskip(SKIP_1) | instid1(VALU_DEP_1)
	v_and_b32_e32 v3, 0xffffff, v3
	v_cndmask_b32_e32 v4, v4, v8, vcc_lo
	v_and_b32_e32 v4, 0xffff00ff, v4
	s_delay_alu instid0(VALU_DEP_3) | instskip(NEXT) | instid1(VALU_DEP_1)
	v_cndmask_b32_e64 v3, v3, v2, s0
	v_cndmask_b32_e32 v3, v3, v2, vcc_lo
	v_cmp_gt_u32_e32 vcc_lo, s29, v5
	v_and_b32_e32 v5, 0xffff, v7
	v_dual_cndmask_b32 v4, v4, v8 :: v_dual_add_nc_u32 v7, 8, v6
	s_delay_alu instid0(VALU_DEP_2) | instskip(SKIP_1) | instid1(VALU_DEP_3)
	v_dual_add_nc_u32 v5, 6, v6 :: v_dual_bitop2_b32 v1, v5, v1 bitop3:0x54
	v_cndmask_b32_e32 v3, v3, v2, vcc_lo
	v_cmp_gt_u32_e32 vcc_lo, s29, v7
	s_delay_alu instid0(VALU_DEP_4) | instskip(SKIP_4) | instid1(VALU_DEP_3)
	v_and_b32_e32 v4, 0xff00ffff, v4
	v_add_nc_u32_e32 v7, 9, v6
	v_cmp_gt_u32_e64 s0, s29, v5
	s_wait_loadcnt 0x0
	v_dual_cndmask_b32 v1, v1, v9 :: v_dual_add_nc_u32 v10, 7, v6
	v_cmp_gt_u32_e64 s1, s29, v7
	s_delay_alu instid0(VALU_DEP_3) | instskip(NEXT) | instid1(VALU_DEP_3)
	v_cndmask_b32_e64 v4, v4, v8, s0
	v_cmp_gt_u32_e64 s3, s29, v10
	s_delay_alu instid0(VALU_DEP_4) | instskip(NEXT) | instid1(VALU_DEP_3)
	v_and_b32_e32 v1, 0xffff00ff, v1
	v_and_b32_e32 v4, 0xffffff, v4
	s_delay_alu instid0(VALU_DEP_2) | instskip(SKIP_1) | instid1(SALU_CYCLE_1)
	v_cndmask_b32_e64 v33, v1, v9, s1
	s_or_b32 s1, s1, vcc_lo
	s_or_b32 vcc_lo, s1, s3
	s_delay_alu instid0(VALU_DEP_2) | instskip(SKIP_2) | instid1(VALU_DEP_2)
	v_cndmask_b32_e32 v27, v4, v8, vcc_lo
	s_or_b32 vcc_lo, vcc_lo, s0
	v_dual_cndmask_b32 v26, v3, v2 :: v_dual_lshrrev_b32 v1, 16, v33
	v_dual_add_nc_u32 v2, 10, v6 :: v_dual_lshrrev_b32 v39, 16, v27
	v_dual_lshrrev_b32 v38, 24, v27 :: v_dual_lshrrev_b32 v41, 8, v27
	s_delay_alu instid0(VALU_DEP_3)
	v_lshrrev_b64 v[28:29], 24, v[26:27]
	v_dual_lshrrev_b32 v40, 16, v26 :: v_dual_lshrrev_b32 v42, 8, v26
	v_lshrrev_b32_e32 v29, 8, v33
	s_mov_b32 s0, exec_lo
	v_cmpx_le_u32_e64 s29, v2
; %bb.54:
	v_mov_b32_e32 v1, 0
; %bb.55:
	s_or_b32 exec_lo, exec_lo, s0
.LBB365_56:
	v_and_b32_e32 v34, 0xff, v26
	v_and_b32_e32 v35, 0xff, v42
	v_and_b32_e32 v36, 0xff, v40
	v_and_b32_e32 v37, 0xff, v28
	v_and_b32_e32 v43, 0xff, v27
	v_and_b32_e32 v44, 0xff, v41
	v_and_b32_e32 v45, 0xff, v39
	v_add3_u32 v2, v35, v34, v36
	v_and_b32_e32 v46, 0xff, v38
	v_mbcnt_lo_u32_b32 v49, -1, 0
	v_and_b32_e32 v47, 0xff, v33
	v_and_b32_e32 v48, 0xff, v29
	v_add3_u32 v2, v2, v37, v43
	v_and_b32_e32 v4, 0xff, v1
	v_dual_lshrrev_b32 v50, 5, v0 :: v_dual_bitop2_b32 v3, 15, v49 bitop3:0x40
	v_or_b32_e32 v5, 31, v0
	s_delay_alu instid0(VALU_DEP_4) | instskip(SKIP_1) | instid1(VALU_DEP_4)
	v_add3_u32 v2, v2, v44, v45
	v_and_b32_e32 v6, 16, v49
	v_cmp_eq_u32_e64 s4, 0, v3
	v_cmp_lt_u32_e64 s3, 1, v3
	v_cmp_lt_u32_e64 s1, 3, v3
	v_add3_u32 v2, v2, v46, v47
	v_cmp_lt_u32_e64 s0, 7, v3
	v_cmp_eq_u32_e64 s6, 0, v6
	v_cmp_eq_u32_e64 s5, v0, v5
	s_and_b32 vcc_lo, exec_lo, s31
	v_add3_u32 v51, v2, v48, v4
	s_mov_b32 s7, -1
	s_wait_loadcnt_dscnt 0x0
	s_barrier_signal -1
	s_barrier_wait -1
	s_cbranch_vccz .LBB365_78
; %bb.57:
	v_mov_b32_dpp v2, v51 row_shr:1 row_mask:0xf bank_mask:0xf
	s_delay_alu instid0(VALU_DEP_1) | instskip(NEXT) | instid1(VALU_DEP_1)
	v_cndmask_b32_e64 v2, v2, 0, s4
	v_add_nc_u32_e32 v2, v2, v51
	s_delay_alu instid0(VALU_DEP_1) | instskip(NEXT) | instid1(VALU_DEP_1)
	v_mov_b32_dpp v3, v2 row_shr:2 row_mask:0xf bank_mask:0xf
	v_cndmask_b32_e64 v3, 0, v3, s3
	s_delay_alu instid0(VALU_DEP_1) | instskip(NEXT) | instid1(VALU_DEP_1)
	v_add_nc_u32_e32 v2, v2, v3
	v_mov_b32_dpp v3, v2 row_shr:4 row_mask:0xf bank_mask:0xf
	s_delay_alu instid0(VALU_DEP_1) | instskip(NEXT) | instid1(VALU_DEP_1)
	v_cndmask_b32_e64 v3, 0, v3, s1
	v_add_nc_u32_e32 v2, v2, v3
	s_delay_alu instid0(VALU_DEP_1) | instskip(NEXT) | instid1(VALU_DEP_1)
	v_mov_b32_dpp v3, v2 row_shr:8 row_mask:0xf bank_mask:0xf
	v_cndmask_b32_e64 v3, 0, v3, s0
	s_delay_alu instid0(VALU_DEP_1) | instskip(SKIP_3) | instid1(VALU_DEP_1)
	v_add_nc_u32_e32 v2, v2, v3
	ds_swizzle_b32 v3, v2 offset:swizzle(BROADCAST,32,15)
	s_wait_dscnt 0x0
	v_cndmask_b32_e64 v3, v3, 0, s6
	v_add_nc_u32_e32 v2, v2, v3
	s_and_saveexec_b32 s7, s5
; %bb.58:
	v_lshlrev_b32_e32 v3, 2, v50
	ds_store_b32 v3, v2
; %bb.59:
	s_or_b32 exec_lo, exec_lo, s7
	s_delay_alu instid0(SALU_CYCLE_1)
	s_mov_b32 s7, exec_lo
	s_wait_dscnt 0x0
	s_barrier_signal -1
	s_barrier_wait -1
	v_cmpx_gt_u32_e32 16, v0
	s_cbranch_execz .LBB365_61
; %bb.60:
	v_lshlrev_b32_e32 v3, 2, v0
	ds_load_b32 v4, v3
	s_wait_dscnt 0x0
	v_mov_b32_dpp v5, v4 row_shr:1 row_mask:0xf bank_mask:0xf
	s_delay_alu instid0(VALU_DEP_1) | instskip(NEXT) | instid1(VALU_DEP_1)
	v_cndmask_b32_e64 v5, v5, 0, s4
	v_add_nc_u32_e32 v4, v5, v4
	s_delay_alu instid0(VALU_DEP_1) | instskip(NEXT) | instid1(VALU_DEP_1)
	v_mov_b32_dpp v5, v4 row_shr:2 row_mask:0xf bank_mask:0xf
	v_cndmask_b32_e64 v5, 0, v5, s3
	s_delay_alu instid0(VALU_DEP_1) | instskip(NEXT) | instid1(VALU_DEP_1)
	v_add_nc_u32_e32 v4, v4, v5
	v_mov_b32_dpp v5, v4 row_shr:4 row_mask:0xf bank_mask:0xf
	s_delay_alu instid0(VALU_DEP_1) | instskip(NEXT) | instid1(VALU_DEP_1)
	v_cndmask_b32_e64 v5, 0, v5, s1
	v_add_nc_u32_e32 v4, v4, v5
	s_delay_alu instid0(VALU_DEP_1) | instskip(NEXT) | instid1(VALU_DEP_1)
	v_mov_b32_dpp v5, v4 row_shr:8 row_mask:0xf bank_mask:0xf
	v_cndmask_b32_e64 v5, 0, v5, s0
	s_delay_alu instid0(VALU_DEP_1)
	v_add_nc_u32_e32 v4, v4, v5
	ds_store_b32 v3, v4
.LBB365_61:
	s_or_b32 exec_lo, exec_lo, s7
	s_delay_alu instid0(SALU_CYCLE_1)
	s_mov_b32 s8, exec_lo
	v_cmp_gt_u32_e32 vcc_lo, 32, v0
	s_wait_dscnt 0x0
	s_barrier_signal -1
	s_barrier_wait -1
                                        ; implicit-def: $vgpr10
	v_cmpx_lt_u32_e32 31, v0
	s_cbranch_execz .LBB365_63
; %bb.62:
	v_lshl_add_u32 v3, v50, 2, -4
	ds_load_b32 v10, v3
	s_wait_dscnt 0x0
	v_add_nc_u32_e32 v2, v10, v2
.LBB365_63:
	s_or_b32 exec_lo, exec_lo, s8
	v_sub_co_u32 v3, s7, v49, 1
	s_delay_alu instid0(VALU_DEP_1) | instskip(NEXT) | instid1(VALU_DEP_1)
	v_cmp_gt_i32_e64 s8, 0, v3
	v_cndmask_b32_e64 v3, v3, v49, s8
	s_delay_alu instid0(VALU_DEP_1)
	v_lshlrev_b32_e32 v3, 2, v3
	ds_bpermute_b32 v11, v3, v2
	s_and_saveexec_b32 s8, vcc_lo
	s_cbranch_execz .LBB365_83
; %bb.64:
	v_mov_b32_e32 v9, 0
	ds_load_b32 v2, v9 offset:60
	s_and_saveexec_b32 s9, s7
	s_cbranch_execz .LBB365_66
; %bb.65:
	s_add_co_i32 s10, s28, 32
	s_delay_alu instid0(SALU_CYCLE_1)
	v_dual_mov_b32 v3, 1 :: v_dual_mov_b32 v4, s10
	s_wait_dscnt 0x0
	global_store_b64 v4, v[2:3], s[26:27] scale_offset scope:SCOPE_DEV
.LBB365_66:
	s_wait_xcnt 0x0
	s_or_b32 exec_lo, exec_lo, s9
	v_xad_u32 v4, v49, -1, s28
	s_mov_b32 s10, 0
	s_mov_b32 s9, exec_lo
	s_delay_alu instid0(VALU_DEP_1) | instskip(SKIP_4) | instid1(VALU_DEP_1)
	v_add_nc_u32_e32 v8, 32, v4
	global_load_b64 v[6:7], v8, s[26:27] scale_offset scope:SCOPE_DEV
	s_wait_loadcnt 0x0
	v_and_b32_e32 v3, 0xff, v7
	s_wait_xcnt 0x0
	v_cmpx_eq_u16_e32 0, v3
	s_cbranch_execz .LBB365_70
; %bb.67:
	v_lshl_add_u64 v[8:9], v[8:9], 3, s[26:27]
.LBB365_68:                             ; =>This Inner Loop Header: Depth=1
	global_load_b64 v[6:7], v[8:9], off scope:SCOPE_DEV
	s_wait_loadcnt 0x0
	v_and_b32_e32 v3, 0xff, v7
	s_delay_alu instid0(VALU_DEP_1)
	v_cmp_ne_u16_e32 vcc_lo, 0, v3
	s_or_b32 s10, vcc_lo, s10
	s_wait_xcnt 0x0
	s_and_not1_b32 exec_lo, exec_lo, s10
	s_cbranch_execnz .LBB365_68
; %bb.69:
	s_or_b32 exec_lo, exec_lo, s10
.LBB365_70:
	s_delay_alu instid0(SALU_CYCLE_1)
	s_or_b32 exec_lo, exec_lo, s9
	v_cmp_ne_u32_e32 vcc_lo, 31, v49
	v_lshlrev_b32_e64 v30, v49, -1
	v_lshl_or_b32 v56, v49, 2, 64
	v_dual_add_nc_u32 v32, 2, v49 :: v_dual_add_nc_u32 v53, 4, v49
	v_add_co_ci_u32_e64 v3, null, 0, v49, vcc_lo
	v_dual_add_nc_u32 v55, 8, v49 :: v_dual_add_nc_u32 v57, 16, v49
	s_delay_alu instid0(VALU_DEP_2)
	v_lshlrev_b32_e32 v12, 2, v3
	v_and_b32_e32 v3, 0xff, v7
	ds_bpermute_b32 v5, v12, v6
	v_cmp_eq_u16_e32 vcc_lo, 2, v3
	v_and_or_b32 v3, vcc_lo, v30, 0x80000000
	v_cmp_gt_u32_e32 vcc_lo, 30, v49
	s_delay_alu instid0(VALU_DEP_2) | instskip(SKIP_1) | instid1(VALU_DEP_2)
	v_ctz_i32_b32_e32 v3, v3
	v_cndmask_b32_e64 v8, 0, 2, vcc_lo
	v_cmp_lt_u32_e32 vcc_lo, v49, v3
	s_delay_alu instid0(VALU_DEP_2) | instskip(SKIP_3) | instid1(VALU_DEP_2)
	v_add_lshl_u32 v31, v8, v49, 2
	s_wait_dscnt 0x0
	v_cndmask_b32_e32 v5, 0, v5, vcc_lo
	v_cmp_gt_u32_e32 vcc_lo, 28, v49
	v_add_nc_u32_e32 v5, v5, v6
	v_cndmask_b32_e64 v8, 0, 4, vcc_lo
	v_cmp_le_u32_e32 vcc_lo, v32, v3
	ds_bpermute_b32 v6, v31, v5
	v_add_lshl_u32 v52, v8, v49, 2
	s_wait_dscnt 0x0
	v_cndmask_b32_e32 v6, 0, v6, vcc_lo
	v_cmp_gt_u32_e32 vcc_lo, 24, v49
	v_cndmask_b32_e64 v8, 0, 8, vcc_lo
	v_cmp_le_u32_e32 vcc_lo, v53, v3
	s_delay_alu instid0(VALU_DEP_4) | instskip(NEXT) | instid1(VALU_DEP_3)
	v_add_nc_u32_e32 v5, v5, v6
	v_add_lshl_u32 v54, v8, v49, 2
	ds_bpermute_b32 v6, v52, v5
	s_wait_dscnt 0x0
	v_cndmask_b32_e32 v6, 0, v6, vcc_lo
	v_cmp_le_u32_e32 vcc_lo, v55, v3
	s_delay_alu instid0(VALU_DEP_2) | instskip(SKIP_4) | instid1(VALU_DEP_2)
	v_add_nc_u32_e32 v5, v5, v6
	ds_bpermute_b32 v6, v54, v5
	s_wait_dscnt 0x0
	v_cndmask_b32_e32 v6, 0, v6, vcc_lo
	v_cmp_le_u32_e32 vcc_lo, v57, v3
	v_add_nc_u32_e32 v5, v5, v6
	ds_bpermute_b32 v6, v56, v5
	s_wait_dscnt 0x0
	v_cndmask_b32_e32 v3, 0, v6, vcc_lo
	s_delay_alu instid0(VALU_DEP_1)
	v_dual_mov_b32 v5, 0 :: v_dual_add_nc_u32 v6, v5, v3
	s_branch .LBB365_73
.LBB365_71:                             ;   in Loop: Header=BB365_73 Depth=1
	s_or_b32 exec_lo, exec_lo, s9
	v_and_b32_e32 v8, 0xff, v7
	ds_bpermute_b32 v9, v12, v6
	v_subrev_nc_u32_e32 v4, 32, v4
	s_mov_b32 s9, 0
	v_cmp_eq_u16_e32 vcc_lo, 2, v8
	v_and_or_b32 v8, vcc_lo, v30, 0x80000000
	s_delay_alu instid0(VALU_DEP_1) | instskip(NEXT) | instid1(VALU_DEP_1)
	v_ctz_i32_b32_e32 v8, v8
	v_cmp_lt_u32_e32 vcc_lo, v49, v8
	s_wait_dscnt 0x0
	v_cndmask_b32_e32 v9, 0, v9, vcc_lo
	v_cmp_le_u32_e32 vcc_lo, v32, v8
	s_delay_alu instid0(VALU_DEP_2) | instskip(SKIP_4) | instid1(VALU_DEP_2)
	v_add_nc_u32_e32 v6, v9, v6
	ds_bpermute_b32 v9, v31, v6
	s_wait_dscnt 0x0
	v_cndmask_b32_e32 v9, 0, v9, vcc_lo
	v_cmp_le_u32_e32 vcc_lo, v53, v8
	v_add_nc_u32_e32 v6, v6, v9
	ds_bpermute_b32 v9, v52, v6
	s_wait_dscnt 0x0
	v_cndmask_b32_e32 v9, 0, v9, vcc_lo
	v_cmp_le_u32_e32 vcc_lo, v55, v8
	s_delay_alu instid0(VALU_DEP_2) | instskip(SKIP_4) | instid1(VALU_DEP_2)
	v_add_nc_u32_e32 v6, v6, v9
	ds_bpermute_b32 v9, v54, v6
	s_wait_dscnt 0x0
	v_cndmask_b32_e32 v9, 0, v9, vcc_lo
	v_cmp_le_u32_e32 vcc_lo, v57, v8
	v_add_nc_u32_e32 v6, v6, v9
	ds_bpermute_b32 v9, v56, v6
	s_wait_dscnt 0x0
	v_cndmask_b32_e32 v8, 0, v9, vcc_lo
	s_delay_alu instid0(VALU_DEP_1)
	v_add3_u32 v6, v8, v3, v6
.LBB365_72:                             ;   in Loop: Header=BB365_73 Depth=1
	s_and_b32 vcc_lo, exec_lo, s9
	s_cbranch_vccnz .LBB365_79
.LBB365_73:                             ; =>This Loop Header: Depth=1
                                        ;     Child Loop BB365_76 Depth 2
	v_and_b32_e32 v3, 0xff, v7
	s_mov_b32 s9, -1
                                        ; implicit-def: $vgpr7
	s_delay_alu instid0(VALU_DEP_1)
	v_cmp_ne_u16_e32 vcc_lo, 2, v3
	v_mov_b32_e32 v3, v6
                                        ; implicit-def: $vgpr6
	s_cmp_lg_u32 vcc_lo, exec_lo
	s_cbranch_scc1 .LBB365_72
; %bb.74:                               ;   in Loop: Header=BB365_73 Depth=1
	global_load_b64 v[6:7], v4, s[26:27] scale_offset scope:SCOPE_DEV
	s_mov_b32 s9, exec_lo
	s_wait_loadcnt 0x0
	v_and_b32_e32 v8, 0xff, v7
	s_wait_xcnt 0x0
	s_delay_alu instid0(VALU_DEP_1)
	v_cmpx_eq_u16_e32 0, v8
	s_cbranch_execz .LBB365_71
; %bb.75:                               ;   in Loop: Header=BB365_73 Depth=1
	v_lshl_add_u64 v[8:9], v[4:5], 3, s[26:27]
	s_mov_b32 s10, 0
.LBB365_76:                             ;   Parent Loop BB365_73 Depth=1
                                        ; =>  This Inner Loop Header: Depth=2
	global_load_b64 v[6:7], v[8:9], off scope:SCOPE_DEV
	s_wait_loadcnt 0x0
	v_and_b32_e32 v58, 0xff, v7
	s_delay_alu instid0(VALU_DEP_1)
	v_cmp_ne_u16_e32 vcc_lo, 0, v58
	s_or_b32 s10, vcc_lo, s10
	s_wait_xcnt 0x0
	s_and_not1_b32 exec_lo, exec_lo, s10
	s_cbranch_execnz .LBB365_76
; %bb.77:                               ;   in Loop: Header=BB365_73 Depth=1
	s_or_b32 exec_lo, exec_lo, s10
	s_branch .LBB365_71
.LBB365_78:
                                        ; implicit-def: $vgpr32
                                        ; implicit-def: $vgpr30
                                        ; implicit-def: $vgpr2_vgpr3_vgpr4_vgpr5_vgpr6_vgpr7_vgpr8_vgpr9_vgpr10_vgpr11_vgpr12
	s_and_b32 vcc_lo, exec_lo, s7
	s_cbranch_vccnz .LBB365_84
	s_branch .LBB365_93
.LBB365_79:
	s_and_saveexec_b32 s9, s7
	s_cbranch_execz .LBB365_81
; %bb.80:
	s_add_co_i32 s10, s28, 32
	v_dual_mov_b32 v5, 2 :: v_dual_add_nc_u32 v4, v3, v2
	v_dual_mov_b32 v6, s10 :: v_dual_mov_b32 v7, 0
	global_store_b64 v6, v[4:5], s[26:27] scale_offset scope:SCOPE_DEV
	ds_store_b64 v7, v[2:3] offset:22528
.LBB365_81:
	s_wait_xcnt 0x0
	s_or_b32 exec_lo, exec_lo, s9
	s_delay_alu instid0(SALU_CYCLE_1)
	s_and_b32 exec_lo, exec_lo, s2
; %bb.82:
	v_mov_b32_e32 v2, 0
	ds_store_b32 v2, v3 offset:60
.LBB365_83:
	s_or_b32 exec_lo, exec_lo, s8
	s_wait_dscnt 0x0
	v_dual_mov_b32 v9, 0 :: v_dual_cndmask_b32 v3, v11, v10, s7
	s_wait_storecnt 0x0
	s_barrier_signal -1
	s_barrier_wait -1
	ds_load_b32 v2, v9 offset:60
	v_cndmask_b32_e64 v3, v3, 0, s2
	s_wait_dscnt 0x0
	s_barrier_signal -1
	s_barrier_wait -1
	ds_load_b64 v[30:31], v9 offset:22528
	v_add_nc_u32_e32 v2, v2, v3
	s_wait_dscnt 0x0
	s_delay_alu instid0(VALU_DEP_1) | instskip(NEXT) | instid1(VALU_DEP_1)
	v_dual_mov_b32 v32, v31 :: v_dual_add_nc_u32 v3, v2, v34
	v_add_nc_u32_e32 v4, v3, v35
	s_delay_alu instid0(VALU_DEP_1) | instskip(NEXT) | instid1(VALU_DEP_1)
	v_add_nc_u32_e32 v5, v4, v36
	v_add_nc_u32_e32 v6, v5, v37
	s_delay_alu instid0(VALU_DEP_1) | instskip(NEXT) | instid1(VALU_DEP_1)
	v_add_nc_u32_e32 v7, v6, v43
	;; [unrolled: 3-line block ×4, first 2 shown]
	v_add_nc_u32_e32 v12, v11, v48
	s_branch .LBB365_93
.LBB365_84:
	v_mov_b32_dpp v2, v51 row_shr:1 row_mask:0xf bank_mask:0xf
	s_delay_alu instid0(VALU_DEP_1) | instskip(NEXT) | instid1(VALU_DEP_1)
	v_cndmask_b32_e64 v2, v2, 0, s4
	v_add_nc_u32_e32 v2, v2, v51
	s_delay_alu instid0(VALU_DEP_1) | instskip(NEXT) | instid1(VALU_DEP_1)
	v_mov_b32_dpp v3, v2 row_shr:2 row_mask:0xf bank_mask:0xf
	v_cndmask_b32_e64 v3, 0, v3, s3
	s_delay_alu instid0(VALU_DEP_1) | instskip(NEXT) | instid1(VALU_DEP_1)
	v_add_nc_u32_e32 v2, v2, v3
	v_mov_b32_dpp v3, v2 row_shr:4 row_mask:0xf bank_mask:0xf
	s_delay_alu instid0(VALU_DEP_1) | instskip(NEXT) | instid1(VALU_DEP_1)
	v_cndmask_b32_e64 v3, 0, v3, s1
	v_add_nc_u32_e32 v2, v2, v3
	s_delay_alu instid0(VALU_DEP_1) | instskip(NEXT) | instid1(VALU_DEP_1)
	v_mov_b32_dpp v3, v2 row_shr:8 row_mask:0xf bank_mask:0xf
	v_cndmask_b32_e64 v3, 0, v3, s0
	s_delay_alu instid0(VALU_DEP_1) | instskip(SKIP_3) | instid1(VALU_DEP_1)
	v_add_nc_u32_e32 v2, v2, v3
	ds_swizzle_b32 v3, v2 offset:swizzle(BROADCAST,32,15)
	s_wait_dscnt 0x0
	v_cndmask_b32_e64 v3, v3, 0, s6
	v_add_nc_u32_e32 v2, v2, v3
	s_and_saveexec_b32 s6, s5
; %bb.85:
	v_lshlrev_b32_e32 v3, 2, v50
	ds_store_b32 v3, v2
; %bb.86:
	s_or_b32 exec_lo, exec_lo, s6
	s_delay_alu instid0(SALU_CYCLE_1)
	s_mov_b32 s5, exec_lo
	s_wait_dscnt 0x0
	s_barrier_signal -1
	s_barrier_wait -1
	v_cmpx_gt_u32_e32 16, v0
	s_cbranch_execz .LBB365_88
; %bb.87:
	v_lshlrev_b32_e32 v3, 2, v0
	ds_load_b32 v4, v3
	s_wait_dscnt 0x0
	v_mov_b32_dpp v5, v4 row_shr:1 row_mask:0xf bank_mask:0xf
	s_delay_alu instid0(VALU_DEP_1) | instskip(NEXT) | instid1(VALU_DEP_1)
	v_cndmask_b32_e64 v5, v5, 0, s4
	v_add_nc_u32_e32 v4, v5, v4
	s_delay_alu instid0(VALU_DEP_1) | instskip(NEXT) | instid1(VALU_DEP_1)
	v_mov_b32_dpp v5, v4 row_shr:2 row_mask:0xf bank_mask:0xf
	v_cndmask_b32_e64 v5, 0, v5, s3
	s_delay_alu instid0(VALU_DEP_1) | instskip(NEXT) | instid1(VALU_DEP_1)
	v_add_nc_u32_e32 v4, v4, v5
	v_mov_b32_dpp v5, v4 row_shr:4 row_mask:0xf bank_mask:0xf
	s_delay_alu instid0(VALU_DEP_1) | instskip(NEXT) | instid1(VALU_DEP_1)
	v_cndmask_b32_e64 v5, 0, v5, s1
	v_add_nc_u32_e32 v4, v4, v5
	s_delay_alu instid0(VALU_DEP_1) | instskip(NEXT) | instid1(VALU_DEP_1)
	v_mov_b32_dpp v5, v4 row_shr:8 row_mask:0xf bank_mask:0xf
	v_cndmask_b32_e64 v5, 0, v5, s0
	s_delay_alu instid0(VALU_DEP_1)
	v_add_nc_u32_e32 v4, v4, v5
	ds_store_b32 v3, v4
.LBB365_88:
	s_or_b32 exec_lo, exec_lo, s5
	v_dual_mov_b32 v4, 0 :: v_dual_mov_b32 v3, 0
	s_mov_b32 s0, exec_lo
	s_wait_dscnt 0x0
	s_barrier_signal -1
	s_barrier_wait -1
	v_cmpx_lt_u32_e32 31, v0
; %bb.89:
	v_lshl_add_u32 v3, v50, 2, -4
	ds_load_b32 v3, v3
; %bb.90:
	s_or_b32 exec_lo, exec_lo, s0
	v_sub_co_u32 v5, vcc_lo, v49, 1
	ds_load_b32 v30, v4 offset:60
	s_wait_dscnt 0x1
	v_add_nc_u32_e32 v2, v3, v2
	v_cmp_gt_i32_e64 s0, 0, v5
	s_delay_alu instid0(VALU_DEP_1) | instskip(NEXT) | instid1(VALU_DEP_1)
	v_cndmask_b32_e64 v5, v5, v49, s0
	v_lshlrev_b32_e32 v5, 2, v5
	ds_bpermute_b32 v2, v5, v2
	s_and_saveexec_b32 s0, s2
	s_cbranch_execz .LBB365_92
; %bb.91:
	v_dual_mov_b32 v4, 0 :: v_dual_mov_b32 v31, 2
	s_wait_dscnt 0x1
	global_store_b64 v4, v[30:31], s[26:27] offset:256 scope:SCOPE_DEV
.LBB365_92:
	s_wait_xcnt 0x0
	s_or_b32 exec_lo, exec_lo, s0
	s_wait_dscnt 0x0
	v_cndmask_b32_e32 v2, v2, v3, vcc_lo
	s_wait_storecnt 0x0
	s_barrier_signal -1
	s_barrier_wait -1
	s_delay_alu instid0(VALU_DEP_1) | instskip(NEXT) | instid1(VALU_DEP_1)
	v_cndmask_b32_e64 v2, v2, 0, s2
	v_dual_mov_b32 v32, 0 :: v_dual_add_nc_u32 v3, v2, v34
	s_delay_alu instid0(VALU_DEP_1) | instskip(NEXT) | instid1(VALU_DEP_1)
	v_add_nc_u32_e32 v4, v3, v35
	v_add_nc_u32_e32 v5, v4, v36
	s_delay_alu instid0(VALU_DEP_1) | instskip(NEXT) | instid1(VALU_DEP_1)
	v_add_nc_u32_e32 v6, v5, v37
	v_add_nc_u32_e32 v7, v6, v43
	;; [unrolled: 3-line block ×4, first 2 shown]
	s_delay_alu instid0(VALU_DEP_1)
	v_add_nc_u32_e32 v12, v11, v48
.LBB365_93:
	v_and_b32_e32 v26, 1, v26
	v_cmp_gt_u32_e32 vcc_lo, 0x201, v30
	v_lshlrev_b64_e32 v[34:35], 2, v[14:15]
	s_mov_b32 s1, -1
	s_delay_alu instid0(VALU_DEP_3)
	v_cmp_eq_u32_e64 s0, 1, v26
	s_cbranch_vccnz .LBB365_97
; %bb.94:
	s_and_b32 vcc_lo, exec_lo, s1
	s_cbranch_vccnz .LBB365_120
.LBB365_95:
	s_and_b32 s0, s2, s22
	s_delay_alu instid0(SALU_CYCLE_1)
	s_and_saveexec_b32 s1, s0
	s_cbranch_execnz .LBB365_155
.LBB365_96:
	s_endpgm
.LBB365_97:
	v_add_nc_u32_e32 v31, v32, v30
	v_add_nc_u64_e32 v[36:37], s[24:25], v[34:35]
	s_delay_alu instid0(VALU_DEP_2) | instskip(SKIP_1) | instid1(SALU_CYCLE_1)
	v_cmp_lt_u32_e32 vcc_lo, v2, v31
	s_or_b32 s1, s23, vcc_lo
	s_and_b32 s1, s1, s0
	s_delay_alu instid0(SALU_CYCLE_1)
	s_and_saveexec_b32 s0, s1
	s_cbranch_execz .LBB365_99
; %bb.98:
	s_delay_alu instid0(VALU_DEP_2)
	v_readfirstlane_b32 s4, v36
	v_readfirstlane_b32 s5, v37
	global_store_b32 v2, v24, s[4:5] scale_offset
.LBB365_99:
	s_wait_xcnt 0x0
	s_or_b32 exec_lo, exec_lo, s0
	v_and_b32_e32 v43, 1, v42
	v_cmp_lt_u32_e32 vcc_lo, v3, v31
	s_delay_alu instid0(VALU_DEP_2) | instskip(SKIP_1) | instid1(SALU_CYCLE_1)
	v_cmp_eq_u32_e64 s0, 1, v43
	s_or_b32 s1, s23, vcc_lo
	s_and_b32 s1, s1, s0
	s_delay_alu instid0(SALU_CYCLE_1)
	s_and_saveexec_b32 s0, s1
	s_cbranch_execz .LBB365_101
; %bb.100:
	v_readfirstlane_b32 s4, v36
	v_readfirstlane_b32 s5, v37
	global_store_b32 v3, v25, s[4:5] scale_offset
.LBB365_101:
	s_wait_xcnt 0x0
	s_or_b32 exec_lo, exec_lo, s0
	v_and_b32_e32 v43, 1, v40
	v_cmp_lt_u32_e32 vcc_lo, v4, v31
	s_delay_alu instid0(VALU_DEP_2) | instskip(SKIP_1) | instid1(SALU_CYCLE_1)
	v_cmp_eq_u32_e64 s0, 1, v43
	s_or_b32 s1, s23, vcc_lo
	s_and_b32 s1, s1, s0
	s_delay_alu instid0(SALU_CYCLE_1)
	s_and_saveexec_b32 s0, s1
	s_cbranch_execz .LBB365_103
; %bb.102:
	v_readfirstlane_b32 s4, v36
	v_readfirstlane_b32 s5, v37
	global_store_b32 v4, v22, s[4:5] scale_offset
.LBB365_103:
	;; [unrolled: 16-line block ×10, first 2 shown]
	s_wait_xcnt 0x0
	s_or_b32 exec_lo, exec_lo, s0
	s_branch .LBB365_95
.LBB365_120:
	s_mov_b32 s0, exec_lo
	v_cmpx_eq_u32_e32 1, v26
; %bb.121:
	v_sub_nc_u32_e32 v2, v2, v32
	s_delay_alu instid0(VALU_DEP_1)
	v_lshlrev_b32_e32 v2, 2, v2
	ds_store_b32 v2, v24
; %bb.122:
	s_or_b32 exec_lo, exec_lo, s0
	v_and_b32_e32 v2, 1, v42
	s_mov_b32 s0, exec_lo
	s_delay_alu instid0(VALU_DEP_1)
	v_cmpx_eq_u32_e32 1, v2
; %bb.123:
	v_sub_nc_u32_e32 v2, v3, v32
	s_delay_alu instid0(VALU_DEP_1)
	v_lshlrev_b32_e32 v2, 2, v2
	ds_store_b32 v2, v25
; %bb.124:
	s_or_b32 exec_lo, exec_lo, s0
	v_and_b32_e32 v2, 1, v40
	s_mov_b32 s0, exec_lo
	s_delay_alu instid0(VALU_DEP_1)
	;; [unrolled: 11-line block ×10, first 2 shown]
	v_cmpx_eq_u32_e32 1, v1
; %bb.141:
	v_sub_nc_u32_e32 v1, v12, v32
	s_delay_alu instid0(VALU_DEP_1)
	v_lshlrev_b32_e32 v1, 2, v1
	ds_store_b32 v1, v17
; %bb.142:
	s_or_b32 exec_lo, exec_lo, s0
	v_or_b32_e32 v1, 0x200, v0
	v_mov_b32_e32 v33, 0
	s_mov_b32 s1, -1
	s_mov_b32 s0, exec_lo
	s_wait_storecnt_dscnt 0x0
	v_max_u32_e32 v2, v30, v1
	s_barrier_signal -1
	s_barrier_wait -1
	s_delay_alu instid0(VALU_DEP_1) | instskip(SKIP_1) | instid1(VALU_DEP_2)
	v_xad_u32 v4, v0, -1, v2
	v_lshlrev_b64_e32 v[2:3], 2, v[32:33]
	v_cmpx_lt_u32_e32 0x1ff, v4
	s_cbranch_execz .LBB365_151
; %bb.143:
	v_lshrrev_b32_e32 v10, 9, v4
	v_add_nc_u64_e32 v[4:5], s[24:25], v[34:35]
	s_delay_alu instid0(VALU_DEP_2) | instskip(NEXT) | instid1(VALU_DEP_2)
	v_dual_lshlrev_b32 v11, 2, v0 :: v_dual_add_nc_u32 v6, -1, v10
	v_add_nc_u64_e32 v[4:5], v[4:5], v[2:3]
	s_delay_alu instid0(VALU_DEP_2) | instskip(SKIP_1) | instid1(VALU_DEP_2)
	v_lshrrev_b32_e32 v7, 1, v6
	v_cmp_lt_u32_e32 vcc_lo, 13, v6
	v_add_nc_u32_e32 v12, 1, v7
	v_mov_b64_e32 v[6:7], v[0:1]
	s_and_saveexec_b32 s1, vcc_lo
	s_cbranch_execz .LBB365_147
; %bb.144:
	v_mov_b64_e32 v[6:7], v[0:1]
	v_dual_mov_b32 v9, 0 :: v_dual_bitop2_b32 v13, -8, v12 bitop3:0x40
	v_mov_b32_e32 v16, v11
	s_mov_b32 s3, 0
	s_mov_b32 s4, 0
.LBB365_145:                            ; =>This Inner Loop Header: Depth=1
	s_delay_alu instid0(VALU_DEP_2)
	v_dual_mov_b32 v8, v6 :: v_dual_mov_b32 v21, v9
	ds_load_2addr_stride64_b32 v[18:19], v16 offset1:8
	v_add_nc_u32_e32 v13, -8, v13
	ds_load_2addr_stride64_b32 v[22:23], v16 offset0:16 offset1:24
	v_lshl_add_u64 v[54:55], v[8:9], 2, v[4:5]
	v_mov_b32_e32 v8, v7
	ds_load_2addr_stride64_b32 v[26:27], v16 offset0:32 offset1:40
	ds_load_2addr_stride64_b32 v[36:37], v16 offset0:48 offset1:56
	v_dual_mov_b32 v25, v9 :: v_dual_add_nc_u32 v20, 0x400, v7
	v_lshl_add_u64 v[56:57], v[8:9], 2, v[4:5]
	v_add_nc_u32_e32 v8, 0x400, v6
	ds_load_2addr_stride64_b32 v[40:41], v16 offset0:64 offset1:72
	v_lshl_add_u64 v[20:21], v[20:21], 2, v[4:5]
	ds_load_2addr_stride64_b32 v[44:45], v16 offset0:80 offset1:88
	ds_load_2addr_stride64_b32 v[48:49], v16 offset0:96 offset1:104
	v_lshl_add_u64 v[58:59], v[8:9], 2, v[4:5]
	v_add_nc_u32_e32 v8, 0x800, v6
	ds_load_2addr_stride64_b32 v[52:53], v16 offset0:112 offset1:120
	s_wait_dscnt 0x7
	s_clause 0x1
	global_store_b32 v[54:55], v18, off
	global_store_b32 v[56:57], v19, off
	s_wait_dscnt 0x6
	s_clause 0x1
	global_store_b32 v[58:59], v22, off
	global_store_b32 v[20:21], v23, off
	v_lshl_add_u64 v[60:61], v[8:9], 2, v[4:5]
	v_add_nc_u32_e32 v8, 0xc00, v6
	v_dual_mov_b32 v29, v9 :: v_dual_add_nc_u32 v24, 0x800, v7
	v_dual_mov_b32 v39, v9 :: v_dual_add_nc_u32 v28, 0xc00, v7
	s_wait_xcnt 0x2
	s_delay_alu instid0(VALU_DEP_3)
	v_lshl_add_u64 v[18:19], v[8:9], 2, v[4:5]
	v_add_nc_u32_e32 v8, 0x1000, v6
	v_lshl_add_u64 v[24:25], v[24:25], 2, v[4:5]
	v_dual_mov_b32 v43, v9 :: v_dual_add_nc_u32 v38, 0x1000, v7
	v_lshl_add_u64 v[28:29], v[28:29], 2, v[4:5]
	s_wait_xcnt 0x0
	v_lshl_add_u64 v[20:21], v[8:9], 2, v[4:5]
	v_add_nc_u32_e32 v8, 0x1400, v6
	s_wait_dscnt 0x5
	s_clause 0x1
	global_store_b32 v[60:61], v26, off
	global_store_b32 v[24:25], v27, off
	s_wait_dscnt 0x4
	global_store_b32 v[18:19], v36, off
	v_dual_mov_b32 v47, v9 :: v_dual_add_nc_u32 v42, 0x1400, v7
	s_wait_xcnt 0x0
	v_lshl_add_u64 v[18:19], v[8:9], 2, v[4:5]
	v_add_nc_u32_e32 v8, 0x1800, v6
	v_dual_mov_b32 v51, v9 :: v_dual_add_nc_u32 v46, 0x1800, v7
	v_lshl_add_u64 v[38:39], v[38:39], 2, v[4:5]
	global_store_b32 v[28:29], v37, off
	s_wait_dscnt 0x3
	global_store_b32 v[20:21], v40, off
	s_wait_xcnt 0x0
	v_lshl_add_u64 v[20:21], v[8:9], 2, v[4:5]
	v_add_nc_u32_e32 v8, 0x1c00, v6
	s_add_co_i32 s4, s4, 16
	s_delay_alu instid0(SALU_CYCLE_1)
	v_dual_mov_b32 v33, s4 :: v_dual_add_nc_u32 v50, 0x1c00, v7
	v_cmp_eq_u32_e32 vcc_lo, 0, v13
	v_lshl_add_u64 v[42:43], v[42:43], 2, v[4:5]
	v_add_nc_u32_e32 v16, 0x8000, v16
	v_add_nc_u32_e32 v7, 0x2000, v7
	;; [unrolled: 1-line block ×3, first 2 shown]
	v_lshl_add_u64 v[46:47], v[46:47], 2, v[4:5]
	global_store_b32 v[38:39], v41, off
	s_wait_dscnt 0x2
	s_clause 0x1
	global_store_b32 v[18:19], v44, off
	global_store_b32 v[42:43], v45, off
	s_wait_xcnt 0x1
	v_lshl_add_u64 v[18:19], v[8:9], 2, v[4:5]
	v_lshl_add_u64 v[50:51], v[50:51], 2, v[4:5]
	s_or_b32 s3, vcc_lo, s3
	s_wait_dscnt 0x1
	s_clause 0x1
	global_store_b32 v[20:21], v48, off
	global_store_b32 v[46:47], v49, off
	s_wait_dscnt 0x0
	s_clause 0x1
	global_store_b32 v[18:19], v52, off
	global_store_b32 v[50:51], v53, off
	s_wait_xcnt 0x0
	s_and_not1_b32 exec_lo, exec_lo, s3
	s_cbranch_execnz .LBB365_145
; %bb.146:
	s_or_b32 exec_lo, exec_lo, s3
.LBB365_147:
	s_delay_alu instid0(SALU_CYCLE_1) | instskip(SKIP_3) | instid1(VALU_DEP_1)
	s_or_b32 exec_lo, exec_lo, s1
	v_and_b32_e32 v1, 7, v12
	s_mov_b32 s3, 0
	s_mov_b32 s1, exec_lo
	v_cmpx_ne_u32_e32 0, v1
	s_cbranch_execz .LBB365_150
; %bb.148:
	v_lshl_or_b32 v11, v33, 11, v11
	v_mov_b32_e32 v9, 0
.LBB365_149:                            ; =>This Inner Loop Header: Depth=1
	ds_load_2addr_stride64_b32 v[12:13], v11 offset1:8
	v_dual_mov_b32 v8, v6 :: v_dual_add_nc_u32 v1, -1, v1
	v_add_nc_u32_e32 v6, 0x400, v6
	v_add_nc_u32_e32 v11, 0x1000, v11
	s_delay_alu instid0(VALU_DEP_3) | instskip(SKIP_3) | instid1(VALU_DEP_3)
	v_lshl_add_u64 v[16:17], v[8:9], 2, v[4:5]
	v_mov_b32_e32 v8, v7
	v_cmp_eq_u32_e32 vcc_lo, 0, v1
	v_add_nc_u32_e32 v7, 0x400, v7
	v_lshl_add_u64 v[18:19], v[8:9], 2, v[4:5]
	s_or_b32 s3, vcc_lo, s3
	s_wait_dscnt 0x0
	s_clause 0x1
	global_store_b32 v[16:17], v12, off
	global_store_b32 v[18:19], v13, off
	s_wait_xcnt 0x0
	s_and_not1_b32 exec_lo, exec_lo, s3
	s_cbranch_execnz .LBB365_149
.LBB365_150:
	s_or_b32 exec_lo, exec_lo, s1
	v_add_nc_u32_e32 v1, 1, v10
	s_delay_alu instid0(VALU_DEP_1) | instskip(NEXT) | instid1(VALU_DEP_1)
	v_and_b32_e32 v4, 0xfffffe, v1
	v_cmp_ne_u32_e32 vcc_lo, v1, v4
	v_lshl_or_b32 v0, v4, 9, v0
	s_or_not1_b32 s1, vcc_lo, exec_lo
.LBB365_151:
	s_or_b32 exec_lo, exec_lo, s0
	s_and_saveexec_b32 s0, s1
	s_cbranch_execz .LBB365_154
; %bb.152:
	s_delay_alu instid0(VALU_DEP_2) | instskip(SKIP_2) | instid1(VALU_DEP_2)
	v_add_nc_u64_e32 v[2:3], v[34:35], v[2:3]
	v_dual_mov_b32 v1, 0 :: v_dual_lshlrev_b32 v4, 2, v0
	s_mov_b32 s1, 0
	v_add_nc_u64_e32 v[2:3], s[24:25], v[2:3]
	s_delay_alu instid0(VALU_DEP_1)
	v_lshl_add_u64 v[2:3], v[0:1], 2, v[2:3]
.LBB365_153:                            ; =>This Inner Loop Header: Depth=1
	ds_load_b32 v1, v4
	v_add_nc_u32_e32 v0, 0x200, v0
	v_add_nc_u32_e32 v4, 0x800, v4
	s_delay_alu instid0(VALU_DEP_2)
	v_cmp_ge_u32_e32 vcc_lo, v0, v30
	s_or_b32 s1, vcc_lo, s1
	s_wait_dscnt 0x0
	global_store_b32 v[2:3], v1, off
	s_wait_xcnt 0x0
	v_add_nc_u64_e32 v[2:3], 0x800, v[2:3]
	s_and_not1_b32 exec_lo, exec_lo, s1
	s_cbranch_execnz .LBB365_153
.LBB365_154:
	s_or_b32 exec_lo, exec_lo, s0
	s_and_b32 s0, s2, s22
	s_delay_alu instid0(SALU_CYCLE_1)
	s_and_saveexec_b32 s1, s0
	s_cbranch_execz .LBB365_96
.LBB365_155:
	v_mov_b32_e32 v31, 0
	s_delay_alu instid0(VALU_DEP_1) | instskip(SKIP_1) | instid1(VALU_DEP_1)
	v_add_nc_u64_e32 v[0:1], v[14:15], v[30:31]
	v_mov_b32_e32 v33, v31
	v_add_nc_u64_e32 v[0:1], v[0:1], v[32:33]
	global_store_b64 v31, v[0:1], s[20:21]
	s_endpgm
	.section	.rodata,"a",@progbits
	.p2align	6, 0x0
	.amdhsa_kernel _ZN7rocprim17ROCPRIM_400000_NS6detail17trampoline_kernelINS0_14default_configENS1_25partition_config_selectorILNS1_17partition_subalgoE8EfNS0_10empty_typeEbEEZZNS1_14partition_implILS5_8ELb0ES3_jPKfPS6_PKS6_NS0_5tupleIJPfS6_EEENSE_IJSB_SB_EEENS0_18inequality_wrapperIN6hipcub16HIPCUB_304000_NS8EqualityEEEPlJS6_EEE10hipError_tPvRmT3_T4_T5_T6_T7_T9_mT8_P12ihipStream_tbDpT10_ENKUlT_T0_E_clISt17integral_constantIbLb0EES16_IbLb1EEEEDaS12_S13_EUlS12_E_NS1_11comp_targetILNS1_3genE0ELNS1_11target_archE4294967295ELNS1_3gpuE0ELNS1_3repE0EEENS1_30default_config_static_selectorELNS0_4arch9wavefront6targetE0EEEvT1_
		.amdhsa_group_segment_fixed_size 22536
		.amdhsa_private_segment_fixed_size 0
		.amdhsa_kernarg_size 128
		.amdhsa_user_sgpr_count 2
		.amdhsa_user_sgpr_dispatch_ptr 0
		.amdhsa_user_sgpr_queue_ptr 0
		.amdhsa_user_sgpr_kernarg_segment_ptr 1
		.amdhsa_user_sgpr_dispatch_id 0
		.amdhsa_user_sgpr_kernarg_preload_length 0
		.amdhsa_user_sgpr_kernarg_preload_offset 0
		.amdhsa_user_sgpr_private_segment_size 0
		.amdhsa_wavefront_size32 1
		.amdhsa_uses_dynamic_stack 0
		.amdhsa_enable_private_segment 0
		.amdhsa_system_sgpr_workgroup_id_x 1
		.amdhsa_system_sgpr_workgroup_id_y 0
		.amdhsa_system_sgpr_workgroup_id_z 0
		.amdhsa_system_sgpr_workgroup_info 0
		.amdhsa_system_vgpr_workitem_id 0
		.amdhsa_next_free_vgpr 62
		.amdhsa_next_free_sgpr 32
		.amdhsa_named_barrier_count 0
		.amdhsa_reserve_vcc 1
		.amdhsa_float_round_mode_32 0
		.amdhsa_float_round_mode_16_64 0
		.amdhsa_float_denorm_mode_32 3
		.amdhsa_float_denorm_mode_16_64 3
		.amdhsa_fp16_overflow 0
		.amdhsa_memory_ordered 1
		.amdhsa_forward_progress 1
		.amdhsa_inst_pref_size 70
		.amdhsa_round_robin_scheduling 0
		.amdhsa_exception_fp_ieee_invalid_op 0
		.amdhsa_exception_fp_denorm_src 0
		.amdhsa_exception_fp_ieee_div_zero 0
		.amdhsa_exception_fp_ieee_overflow 0
		.amdhsa_exception_fp_ieee_underflow 0
		.amdhsa_exception_fp_ieee_inexact 0
		.amdhsa_exception_int_div_zero 0
	.end_amdhsa_kernel
	.section	.text._ZN7rocprim17ROCPRIM_400000_NS6detail17trampoline_kernelINS0_14default_configENS1_25partition_config_selectorILNS1_17partition_subalgoE8EfNS0_10empty_typeEbEEZZNS1_14partition_implILS5_8ELb0ES3_jPKfPS6_PKS6_NS0_5tupleIJPfS6_EEENSE_IJSB_SB_EEENS0_18inequality_wrapperIN6hipcub16HIPCUB_304000_NS8EqualityEEEPlJS6_EEE10hipError_tPvRmT3_T4_T5_T6_T7_T9_mT8_P12ihipStream_tbDpT10_ENKUlT_T0_E_clISt17integral_constantIbLb0EES16_IbLb1EEEEDaS12_S13_EUlS12_E_NS1_11comp_targetILNS1_3genE0ELNS1_11target_archE4294967295ELNS1_3gpuE0ELNS1_3repE0EEENS1_30default_config_static_selectorELNS0_4arch9wavefront6targetE0EEEvT1_,"axG",@progbits,_ZN7rocprim17ROCPRIM_400000_NS6detail17trampoline_kernelINS0_14default_configENS1_25partition_config_selectorILNS1_17partition_subalgoE8EfNS0_10empty_typeEbEEZZNS1_14partition_implILS5_8ELb0ES3_jPKfPS6_PKS6_NS0_5tupleIJPfS6_EEENSE_IJSB_SB_EEENS0_18inequality_wrapperIN6hipcub16HIPCUB_304000_NS8EqualityEEEPlJS6_EEE10hipError_tPvRmT3_T4_T5_T6_T7_T9_mT8_P12ihipStream_tbDpT10_ENKUlT_T0_E_clISt17integral_constantIbLb0EES16_IbLb1EEEEDaS12_S13_EUlS12_E_NS1_11comp_targetILNS1_3genE0ELNS1_11target_archE4294967295ELNS1_3gpuE0ELNS1_3repE0EEENS1_30default_config_static_selectorELNS0_4arch9wavefront6targetE0EEEvT1_,comdat
.Lfunc_end365:
	.size	_ZN7rocprim17ROCPRIM_400000_NS6detail17trampoline_kernelINS0_14default_configENS1_25partition_config_selectorILNS1_17partition_subalgoE8EfNS0_10empty_typeEbEEZZNS1_14partition_implILS5_8ELb0ES3_jPKfPS6_PKS6_NS0_5tupleIJPfS6_EEENSE_IJSB_SB_EEENS0_18inequality_wrapperIN6hipcub16HIPCUB_304000_NS8EqualityEEEPlJS6_EEE10hipError_tPvRmT3_T4_T5_T6_T7_T9_mT8_P12ihipStream_tbDpT10_ENKUlT_T0_E_clISt17integral_constantIbLb0EES16_IbLb1EEEEDaS12_S13_EUlS12_E_NS1_11comp_targetILNS1_3genE0ELNS1_11target_archE4294967295ELNS1_3gpuE0ELNS1_3repE0EEENS1_30default_config_static_selectorELNS0_4arch9wavefront6targetE0EEEvT1_, .Lfunc_end365-_ZN7rocprim17ROCPRIM_400000_NS6detail17trampoline_kernelINS0_14default_configENS1_25partition_config_selectorILNS1_17partition_subalgoE8EfNS0_10empty_typeEbEEZZNS1_14partition_implILS5_8ELb0ES3_jPKfPS6_PKS6_NS0_5tupleIJPfS6_EEENSE_IJSB_SB_EEENS0_18inequality_wrapperIN6hipcub16HIPCUB_304000_NS8EqualityEEEPlJS6_EEE10hipError_tPvRmT3_T4_T5_T6_T7_T9_mT8_P12ihipStream_tbDpT10_ENKUlT_T0_E_clISt17integral_constantIbLb0EES16_IbLb1EEEEDaS12_S13_EUlS12_E_NS1_11comp_targetILNS1_3genE0ELNS1_11target_archE4294967295ELNS1_3gpuE0ELNS1_3repE0EEENS1_30default_config_static_selectorELNS0_4arch9wavefront6targetE0EEEvT1_
                                        ; -- End function
	.set _ZN7rocprim17ROCPRIM_400000_NS6detail17trampoline_kernelINS0_14default_configENS1_25partition_config_selectorILNS1_17partition_subalgoE8EfNS0_10empty_typeEbEEZZNS1_14partition_implILS5_8ELb0ES3_jPKfPS6_PKS6_NS0_5tupleIJPfS6_EEENSE_IJSB_SB_EEENS0_18inequality_wrapperIN6hipcub16HIPCUB_304000_NS8EqualityEEEPlJS6_EEE10hipError_tPvRmT3_T4_T5_T6_T7_T9_mT8_P12ihipStream_tbDpT10_ENKUlT_T0_E_clISt17integral_constantIbLb0EES16_IbLb1EEEEDaS12_S13_EUlS12_E_NS1_11comp_targetILNS1_3genE0ELNS1_11target_archE4294967295ELNS1_3gpuE0ELNS1_3repE0EEENS1_30default_config_static_selectorELNS0_4arch9wavefront6targetE0EEEvT1_.num_vgpr, 62
	.set _ZN7rocprim17ROCPRIM_400000_NS6detail17trampoline_kernelINS0_14default_configENS1_25partition_config_selectorILNS1_17partition_subalgoE8EfNS0_10empty_typeEbEEZZNS1_14partition_implILS5_8ELb0ES3_jPKfPS6_PKS6_NS0_5tupleIJPfS6_EEENSE_IJSB_SB_EEENS0_18inequality_wrapperIN6hipcub16HIPCUB_304000_NS8EqualityEEEPlJS6_EEE10hipError_tPvRmT3_T4_T5_T6_T7_T9_mT8_P12ihipStream_tbDpT10_ENKUlT_T0_E_clISt17integral_constantIbLb0EES16_IbLb1EEEEDaS12_S13_EUlS12_E_NS1_11comp_targetILNS1_3genE0ELNS1_11target_archE4294967295ELNS1_3gpuE0ELNS1_3repE0EEENS1_30default_config_static_selectorELNS0_4arch9wavefront6targetE0EEEvT1_.num_agpr, 0
	.set _ZN7rocprim17ROCPRIM_400000_NS6detail17trampoline_kernelINS0_14default_configENS1_25partition_config_selectorILNS1_17partition_subalgoE8EfNS0_10empty_typeEbEEZZNS1_14partition_implILS5_8ELb0ES3_jPKfPS6_PKS6_NS0_5tupleIJPfS6_EEENSE_IJSB_SB_EEENS0_18inequality_wrapperIN6hipcub16HIPCUB_304000_NS8EqualityEEEPlJS6_EEE10hipError_tPvRmT3_T4_T5_T6_T7_T9_mT8_P12ihipStream_tbDpT10_ENKUlT_T0_E_clISt17integral_constantIbLb0EES16_IbLb1EEEEDaS12_S13_EUlS12_E_NS1_11comp_targetILNS1_3genE0ELNS1_11target_archE4294967295ELNS1_3gpuE0ELNS1_3repE0EEENS1_30default_config_static_selectorELNS0_4arch9wavefront6targetE0EEEvT1_.numbered_sgpr, 32
	.set _ZN7rocprim17ROCPRIM_400000_NS6detail17trampoline_kernelINS0_14default_configENS1_25partition_config_selectorILNS1_17partition_subalgoE8EfNS0_10empty_typeEbEEZZNS1_14partition_implILS5_8ELb0ES3_jPKfPS6_PKS6_NS0_5tupleIJPfS6_EEENSE_IJSB_SB_EEENS0_18inequality_wrapperIN6hipcub16HIPCUB_304000_NS8EqualityEEEPlJS6_EEE10hipError_tPvRmT3_T4_T5_T6_T7_T9_mT8_P12ihipStream_tbDpT10_ENKUlT_T0_E_clISt17integral_constantIbLb0EES16_IbLb1EEEEDaS12_S13_EUlS12_E_NS1_11comp_targetILNS1_3genE0ELNS1_11target_archE4294967295ELNS1_3gpuE0ELNS1_3repE0EEENS1_30default_config_static_selectorELNS0_4arch9wavefront6targetE0EEEvT1_.num_named_barrier, 0
	.set _ZN7rocprim17ROCPRIM_400000_NS6detail17trampoline_kernelINS0_14default_configENS1_25partition_config_selectorILNS1_17partition_subalgoE8EfNS0_10empty_typeEbEEZZNS1_14partition_implILS5_8ELb0ES3_jPKfPS6_PKS6_NS0_5tupleIJPfS6_EEENSE_IJSB_SB_EEENS0_18inequality_wrapperIN6hipcub16HIPCUB_304000_NS8EqualityEEEPlJS6_EEE10hipError_tPvRmT3_T4_T5_T6_T7_T9_mT8_P12ihipStream_tbDpT10_ENKUlT_T0_E_clISt17integral_constantIbLb0EES16_IbLb1EEEEDaS12_S13_EUlS12_E_NS1_11comp_targetILNS1_3genE0ELNS1_11target_archE4294967295ELNS1_3gpuE0ELNS1_3repE0EEENS1_30default_config_static_selectorELNS0_4arch9wavefront6targetE0EEEvT1_.private_seg_size, 0
	.set _ZN7rocprim17ROCPRIM_400000_NS6detail17trampoline_kernelINS0_14default_configENS1_25partition_config_selectorILNS1_17partition_subalgoE8EfNS0_10empty_typeEbEEZZNS1_14partition_implILS5_8ELb0ES3_jPKfPS6_PKS6_NS0_5tupleIJPfS6_EEENSE_IJSB_SB_EEENS0_18inequality_wrapperIN6hipcub16HIPCUB_304000_NS8EqualityEEEPlJS6_EEE10hipError_tPvRmT3_T4_T5_T6_T7_T9_mT8_P12ihipStream_tbDpT10_ENKUlT_T0_E_clISt17integral_constantIbLb0EES16_IbLb1EEEEDaS12_S13_EUlS12_E_NS1_11comp_targetILNS1_3genE0ELNS1_11target_archE4294967295ELNS1_3gpuE0ELNS1_3repE0EEENS1_30default_config_static_selectorELNS0_4arch9wavefront6targetE0EEEvT1_.uses_vcc, 1
	.set _ZN7rocprim17ROCPRIM_400000_NS6detail17trampoline_kernelINS0_14default_configENS1_25partition_config_selectorILNS1_17partition_subalgoE8EfNS0_10empty_typeEbEEZZNS1_14partition_implILS5_8ELb0ES3_jPKfPS6_PKS6_NS0_5tupleIJPfS6_EEENSE_IJSB_SB_EEENS0_18inequality_wrapperIN6hipcub16HIPCUB_304000_NS8EqualityEEEPlJS6_EEE10hipError_tPvRmT3_T4_T5_T6_T7_T9_mT8_P12ihipStream_tbDpT10_ENKUlT_T0_E_clISt17integral_constantIbLb0EES16_IbLb1EEEEDaS12_S13_EUlS12_E_NS1_11comp_targetILNS1_3genE0ELNS1_11target_archE4294967295ELNS1_3gpuE0ELNS1_3repE0EEENS1_30default_config_static_selectorELNS0_4arch9wavefront6targetE0EEEvT1_.uses_flat_scratch, 0
	.set _ZN7rocprim17ROCPRIM_400000_NS6detail17trampoline_kernelINS0_14default_configENS1_25partition_config_selectorILNS1_17partition_subalgoE8EfNS0_10empty_typeEbEEZZNS1_14partition_implILS5_8ELb0ES3_jPKfPS6_PKS6_NS0_5tupleIJPfS6_EEENSE_IJSB_SB_EEENS0_18inequality_wrapperIN6hipcub16HIPCUB_304000_NS8EqualityEEEPlJS6_EEE10hipError_tPvRmT3_T4_T5_T6_T7_T9_mT8_P12ihipStream_tbDpT10_ENKUlT_T0_E_clISt17integral_constantIbLb0EES16_IbLb1EEEEDaS12_S13_EUlS12_E_NS1_11comp_targetILNS1_3genE0ELNS1_11target_archE4294967295ELNS1_3gpuE0ELNS1_3repE0EEENS1_30default_config_static_selectorELNS0_4arch9wavefront6targetE0EEEvT1_.has_dyn_sized_stack, 0
	.set _ZN7rocprim17ROCPRIM_400000_NS6detail17trampoline_kernelINS0_14default_configENS1_25partition_config_selectorILNS1_17partition_subalgoE8EfNS0_10empty_typeEbEEZZNS1_14partition_implILS5_8ELb0ES3_jPKfPS6_PKS6_NS0_5tupleIJPfS6_EEENSE_IJSB_SB_EEENS0_18inequality_wrapperIN6hipcub16HIPCUB_304000_NS8EqualityEEEPlJS6_EEE10hipError_tPvRmT3_T4_T5_T6_T7_T9_mT8_P12ihipStream_tbDpT10_ENKUlT_T0_E_clISt17integral_constantIbLb0EES16_IbLb1EEEEDaS12_S13_EUlS12_E_NS1_11comp_targetILNS1_3genE0ELNS1_11target_archE4294967295ELNS1_3gpuE0ELNS1_3repE0EEENS1_30default_config_static_selectorELNS0_4arch9wavefront6targetE0EEEvT1_.has_recursion, 0
	.set _ZN7rocprim17ROCPRIM_400000_NS6detail17trampoline_kernelINS0_14default_configENS1_25partition_config_selectorILNS1_17partition_subalgoE8EfNS0_10empty_typeEbEEZZNS1_14partition_implILS5_8ELb0ES3_jPKfPS6_PKS6_NS0_5tupleIJPfS6_EEENSE_IJSB_SB_EEENS0_18inequality_wrapperIN6hipcub16HIPCUB_304000_NS8EqualityEEEPlJS6_EEE10hipError_tPvRmT3_T4_T5_T6_T7_T9_mT8_P12ihipStream_tbDpT10_ENKUlT_T0_E_clISt17integral_constantIbLb0EES16_IbLb1EEEEDaS12_S13_EUlS12_E_NS1_11comp_targetILNS1_3genE0ELNS1_11target_archE4294967295ELNS1_3gpuE0ELNS1_3repE0EEENS1_30default_config_static_selectorELNS0_4arch9wavefront6targetE0EEEvT1_.has_indirect_call, 0
	.section	.AMDGPU.csdata,"",@progbits
; Kernel info:
; codeLenInByte = 8944
; TotalNumSgprs: 34
; NumVgprs: 62
; ScratchSize: 0
; MemoryBound: 0
; FloatMode: 240
; IeeeMode: 1
; LDSByteSize: 22536 bytes/workgroup (compile time only)
; SGPRBlocks: 0
; VGPRBlocks: 3
; NumSGPRsForWavesPerEU: 34
; NumVGPRsForWavesPerEU: 62
; NamedBarCnt: 0
; Occupancy: 16
; WaveLimiterHint : 1
; COMPUTE_PGM_RSRC2:SCRATCH_EN: 0
; COMPUTE_PGM_RSRC2:USER_SGPR: 2
; COMPUTE_PGM_RSRC2:TRAP_HANDLER: 0
; COMPUTE_PGM_RSRC2:TGID_X_EN: 1
; COMPUTE_PGM_RSRC2:TGID_Y_EN: 0
; COMPUTE_PGM_RSRC2:TGID_Z_EN: 0
; COMPUTE_PGM_RSRC2:TIDIG_COMP_CNT: 0
	.section	.text._ZN7rocprim17ROCPRIM_400000_NS6detail17trampoline_kernelINS0_14default_configENS1_25partition_config_selectorILNS1_17partition_subalgoE8EfNS0_10empty_typeEbEEZZNS1_14partition_implILS5_8ELb0ES3_jPKfPS6_PKS6_NS0_5tupleIJPfS6_EEENSE_IJSB_SB_EEENS0_18inequality_wrapperIN6hipcub16HIPCUB_304000_NS8EqualityEEEPlJS6_EEE10hipError_tPvRmT3_T4_T5_T6_T7_T9_mT8_P12ihipStream_tbDpT10_ENKUlT_T0_E_clISt17integral_constantIbLb0EES16_IbLb1EEEEDaS12_S13_EUlS12_E_NS1_11comp_targetILNS1_3genE5ELNS1_11target_archE942ELNS1_3gpuE9ELNS1_3repE0EEENS1_30default_config_static_selectorELNS0_4arch9wavefront6targetE0EEEvT1_,"axG",@progbits,_ZN7rocprim17ROCPRIM_400000_NS6detail17trampoline_kernelINS0_14default_configENS1_25partition_config_selectorILNS1_17partition_subalgoE8EfNS0_10empty_typeEbEEZZNS1_14partition_implILS5_8ELb0ES3_jPKfPS6_PKS6_NS0_5tupleIJPfS6_EEENSE_IJSB_SB_EEENS0_18inequality_wrapperIN6hipcub16HIPCUB_304000_NS8EqualityEEEPlJS6_EEE10hipError_tPvRmT3_T4_T5_T6_T7_T9_mT8_P12ihipStream_tbDpT10_ENKUlT_T0_E_clISt17integral_constantIbLb0EES16_IbLb1EEEEDaS12_S13_EUlS12_E_NS1_11comp_targetILNS1_3genE5ELNS1_11target_archE942ELNS1_3gpuE9ELNS1_3repE0EEENS1_30default_config_static_selectorELNS0_4arch9wavefront6targetE0EEEvT1_,comdat
	.protected	_ZN7rocprim17ROCPRIM_400000_NS6detail17trampoline_kernelINS0_14default_configENS1_25partition_config_selectorILNS1_17partition_subalgoE8EfNS0_10empty_typeEbEEZZNS1_14partition_implILS5_8ELb0ES3_jPKfPS6_PKS6_NS0_5tupleIJPfS6_EEENSE_IJSB_SB_EEENS0_18inequality_wrapperIN6hipcub16HIPCUB_304000_NS8EqualityEEEPlJS6_EEE10hipError_tPvRmT3_T4_T5_T6_T7_T9_mT8_P12ihipStream_tbDpT10_ENKUlT_T0_E_clISt17integral_constantIbLb0EES16_IbLb1EEEEDaS12_S13_EUlS12_E_NS1_11comp_targetILNS1_3genE5ELNS1_11target_archE942ELNS1_3gpuE9ELNS1_3repE0EEENS1_30default_config_static_selectorELNS0_4arch9wavefront6targetE0EEEvT1_ ; -- Begin function _ZN7rocprim17ROCPRIM_400000_NS6detail17trampoline_kernelINS0_14default_configENS1_25partition_config_selectorILNS1_17partition_subalgoE8EfNS0_10empty_typeEbEEZZNS1_14partition_implILS5_8ELb0ES3_jPKfPS6_PKS6_NS0_5tupleIJPfS6_EEENSE_IJSB_SB_EEENS0_18inequality_wrapperIN6hipcub16HIPCUB_304000_NS8EqualityEEEPlJS6_EEE10hipError_tPvRmT3_T4_T5_T6_T7_T9_mT8_P12ihipStream_tbDpT10_ENKUlT_T0_E_clISt17integral_constantIbLb0EES16_IbLb1EEEEDaS12_S13_EUlS12_E_NS1_11comp_targetILNS1_3genE5ELNS1_11target_archE942ELNS1_3gpuE9ELNS1_3repE0EEENS1_30default_config_static_selectorELNS0_4arch9wavefront6targetE0EEEvT1_
	.globl	_ZN7rocprim17ROCPRIM_400000_NS6detail17trampoline_kernelINS0_14default_configENS1_25partition_config_selectorILNS1_17partition_subalgoE8EfNS0_10empty_typeEbEEZZNS1_14partition_implILS5_8ELb0ES3_jPKfPS6_PKS6_NS0_5tupleIJPfS6_EEENSE_IJSB_SB_EEENS0_18inequality_wrapperIN6hipcub16HIPCUB_304000_NS8EqualityEEEPlJS6_EEE10hipError_tPvRmT3_T4_T5_T6_T7_T9_mT8_P12ihipStream_tbDpT10_ENKUlT_T0_E_clISt17integral_constantIbLb0EES16_IbLb1EEEEDaS12_S13_EUlS12_E_NS1_11comp_targetILNS1_3genE5ELNS1_11target_archE942ELNS1_3gpuE9ELNS1_3repE0EEENS1_30default_config_static_selectorELNS0_4arch9wavefront6targetE0EEEvT1_
	.p2align	8
	.type	_ZN7rocprim17ROCPRIM_400000_NS6detail17trampoline_kernelINS0_14default_configENS1_25partition_config_selectorILNS1_17partition_subalgoE8EfNS0_10empty_typeEbEEZZNS1_14partition_implILS5_8ELb0ES3_jPKfPS6_PKS6_NS0_5tupleIJPfS6_EEENSE_IJSB_SB_EEENS0_18inequality_wrapperIN6hipcub16HIPCUB_304000_NS8EqualityEEEPlJS6_EEE10hipError_tPvRmT3_T4_T5_T6_T7_T9_mT8_P12ihipStream_tbDpT10_ENKUlT_T0_E_clISt17integral_constantIbLb0EES16_IbLb1EEEEDaS12_S13_EUlS12_E_NS1_11comp_targetILNS1_3genE5ELNS1_11target_archE942ELNS1_3gpuE9ELNS1_3repE0EEENS1_30default_config_static_selectorELNS0_4arch9wavefront6targetE0EEEvT1_,@function
_ZN7rocprim17ROCPRIM_400000_NS6detail17trampoline_kernelINS0_14default_configENS1_25partition_config_selectorILNS1_17partition_subalgoE8EfNS0_10empty_typeEbEEZZNS1_14partition_implILS5_8ELb0ES3_jPKfPS6_PKS6_NS0_5tupleIJPfS6_EEENSE_IJSB_SB_EEENS0_18inequality_wrapperIN6hipcub16HIPCUB_304000_NS8EqualityEEEPlJS6_EEE10hipError_tPvRmT3_T4_T5_T6_T7_T9_mT8_P12ihipStream_tbDpT10_ENKUlT_T0_E_clISt17integral_constantIbLb0EES16_IbLb1EEEEDaS12_S13_EUlS12_E_NS1_11comp_targetILNS1_3genE5ELNS1_11target_archE942ELNS1_3gpuE9ELNS1_3repE0EEENS1_30default_config_static_selectorELNS0_4arch9wavefront6targetE0EEEvT1_: ; @_ZN7rocprim17ROCPRIM_400000_NS6detail17trampoline_kernelINS0_14default_configENS1_25partition_config_selectorILNS1_17partition_subalgoE8EfNS0_10empty_typeEbEEZZNS1_14partition_implILS5_8ELb0ES3_jPKfPS6_PKS6_NS0_5tupleIJPfS6_EEENSE_IJSB_SB_EEENS0_18inequality_wrapperIN6hipcub16HIPCUB_304000_NS8EqualityEEEPlJS6_EEE10hipError_tPvRmT3_T4_T5_T6_T7_T9_mT8_P12ihipStream_tbDpT10_ENKUlT_T0_E_clISt17integral_constantIbLb0EES16_IbLb1EEEEDaS12_S13_EUlS12_E_NS1_11comp_targetILNS1_3genE5ELNS1_11target_archE942ELNS1_3gpuE9ELNS1_3repE0EEENS1_30default_config_static_selectorELNS0_4arch9wavefront6targetE0EEEvT1_
; %bb.0:
	.section	.rodata,"a",@progbits
	.p2align	6, 0x0
	.amdhsa_kernel _ZN7rocprim17ROCPRIM_400000_NS6detail17trampoline_kernelINS0_14default_configENS1_25partition_config_selectorILNS1_17partition_subalgoE8EfNS0_10empty_typeEbEEZZNS1_14partition_implILS5_8ELb0ES3_jPKfPS6_PKS6_NS0_5tupleIJPfS6_EEENSE_IJSB_SB_EEENS0_18inequality_wrapperIN6hipcub16HIPCUB_304000_NS8EqualityEEEPlJS6_EEE10hipError_tPvRmT3_T4_T5_T6_T7_T9_mT8_P12ihipStream_tbDpT10_ENKUlT_T0_E_clISt17integral_constantIbLb0EES16_IbLb1EEEEDaS12_S13_EUlS12_E_NS1_11comp_targetILNS1_3genE5ELNS1_11target_archE942ELNS1_3gpuE9ELNS1_3repE0EEENS1_30default_config_static_selectorELNS0_4arch9wavefront6targetE0EEEvT1_
		.amdhsa_group_segment_fixed_size 0
		.amdhsa_private_segment_fixed_size 0
		.amdhsa_kernarg_size 128
		.amdhsa_user_sgpr_count 2
		.amdhsa_user_sgpr_dispatch_ptr 0
		.amdhsa_user_sgpr_queue_ptr 0
		.amdhsa_user_sgpr_kernarg_segment_ptr 1
		.amdhsa_user_sgpr_dispatch_id 0
		.amdhsa_user_sgpr_kernarg_preload_length 0
		.amdhsa_user_sgpr_kernarg_preload_offset 0
		.amdhsa_user_sgpr_private_segment_size 0
		.amdhsa_wavefront_size32 1
		.amdhsa_uses_dynamic_stack 0
		.amdhsa_enable_private_segment 0
		.amdhsa_system_sgpr_workgroup_id_x 1
		.amdhsa_system_sgpr_workgroup_id_y 0
		.amdhsa_system_sgpr_workgroup_id_z 0
		.amdhsa_system_sgpr_workgroup_info 0
		.amdhsa_system_vgpr_workitem_id 0
		.amdhsa_next_free_vgpr 1
		.amdhsa_next_free_sgpr 1
		.amdhsa_named_barrier_count 0
		.amdhsa_reserve_vcc 0
		.amdhsa_float_round_mode_32 0
		.amdhsa_float_round_mode_16_64 0
		.amdhsa_float_denorm_mode_32 3
		.amdhsa_float_denorm_mode_16_64 3
		.amdhsa_fp16_overflow 0
		.amdhsa_memory_ordered 1
		.amdhsa_forward_progress 1
		.amdhsa_inst_pref_size 0
		.amdhsa_round_robin_scheduling 0
		.amdhsa_exception_fp_ieee_invalid_op 0
		.amdhsa_exception_fp_denorm_src 0
		.amdhsa_exception_fp_ieee_div_zero 0
		.amdhsa_exception_fp_ieee_overflow 0
		.amdhsa_exception_fp_ieee_underflow 0
		.amdhsa_exception_fp_ieee_inexact 0
		.amdhsa_exception_int_div_zero 0
	.end_amdhsa_kernel
	.section	.text._ZN7rocprim17ROCPRIM_400000_NS6detail17trampoline_kernelINS0_14default_configENS1_25partition_config_selectorILNS1_17partition_subalgoE8EfNS0_10empty_typeEbEEZZNS1_14partition_implILS5_8ELb0ES3_jPKfPS6_PKS6_NS0_5tupleIJPfS6_EEENSE_IJSB_SB_EEENS0_18inequality_wrapperIN6hipcub16HIPCUB_304000_NS8EqualityEEEPlJS6_EEE10hipError_tPvRmT3_T4_T5_T6_T7_T9_mT8_P12ihipStream_tbDpT10_ENKUlT_T0_E_clISt17integral_constantIbLb0EES16_IbLb1EEEEDaS12_S13_EUlS12_E_NS1_11comp_targetILNS1_3genE5ELNS1_11target_archE942ELNS1_3gpuE9ELNS1_3repE0EEENS1_30default_config_static_selectorELNS0_4arch9wavefront6targetE0EEEvT1_,"axG",@progbits,_ZN7rocprim17ROCPRIM_400000_NS6detail17trampoline_kernelINS0_14default_configENS1_25partition_config_selectorILNS1_17partition_subalgoE8EfNS0_10empty_typeEbEEZZNS1_14partition_implILS5_8ELb0ES3_jPKfPS6_PKS6_NS0_5tupleIJPfS6_EEENSE_IJSB_SB_EEENS0_18inequality_wrapperIN6hipcub16HIPCUB_304000_NS8EqualityEEEPlJS6_EEE10hipError_tPvRmT3_T4_T5_T6_T7_T9_mT8_P12ihipStream_tbDpT10_ENKUlT_T0_E_clISt17integral_constantIbLb0EES16_IbLb1EEEEDaS12_S13_EUlS12_E_NS1_11comp_targetILNS1_3genE5ELNS1_11target_archE942ELNS1_3gpuE9ELNS1_3repE0EEENS1_30default_config_static_selectorELNS0_4arch9wavefront6targetE0EEEvT1_,comdat
.Lfunc_end366:
	.size	_ZN7rocprim17ROCPRIM_400000_NS6detail17trampoline_kernelINS0_14default_configENS1_25partition_config_selectorILNS1_17partition_subalgoE8EfNS0_10empty_typeEbEEZZNS1_14partition_implILS5_8ELb0ES3_jPKfPS6_PKS6_NS0_5tupleIJPfS6_EEENSE_IJSB_SB_EEENS0_18inequality_wrapperIN6hipcub16HIPCUB_304000_NS8EqualityEEEPlJS6_EEE10hipError_tPvRmT3_T4_T5_T6_T7_T9_mT8_P12ihipStream_tbDpT10_ENKUlT_T0_E_clISt17integral_constantIbLb0EES16_IbLb1EEEEDaS12_S13_EUlS12_E_NS1_11comp_targetILNS1_3genE5ELNS1_11target_archE942ELNS1_3gpuE9ELNS1_3repE0EEENS1_30default_config_static_selectorELNS0_4arch9wavefront6targetE0EEEvT1_, .Lfunc_end366-_ZN7rocprim17ROCPRIM_400000_NS6detail17trampoline_kernelINS0_14default_configENS1_25partition_config_selectorILNS1_17partition_subalgoE8EfNS0_10empty_typeEbEEZZNS1_14partition_implILS5_8ELb0ES3_jPKfPS6_PKS6_NS0_5tupleIJPfS6_EEENSE_IJSB_SB_EEENS0_18inequality_wrapperIN6hipcub16HIPCUB_304000_NS8EqualityEEEPlJS6_EEE10hipError_tPvRmT3_T4_T5_T6_T7_T9_mT8_P12ihipStream_tbDpT10_ENKUlT_T0_E_clISt17integral_constantIbLb0EES16_IbLb1EEEEDaS12_S13_EUlS12_E_NS1_11comp_targetILNS1_3genE5ELNS1_11target_archE942ELNS1_3gpuE9ELNS1_3repE0EEENS1_30default_config_static_selectorELNS0_4arch9wavefront6targetE0EEEvT1_
                                        ; -- End function
	.set _ZN7rocprim17ROCPRIM_400000_NS6detail17trampoline_kernelINS0_14default_configENS1_25partition_config_selectorILNS1_17partition_subalgoE8EfNS0_10empty_typeEbEEZZNS1_14partition_implILS5_8ELb0ES3_jPKfPS6_PKS6_NS0_5tupleIJPfS6_EEENSE_IJSB_SB_EEENS0_18inequality_wrapperIN6hipcub16HIPCUB_304000_NS8EqualityEEEPlJS6_EEE10hipError_tPvRmT3_T4_T5_T6_T7_T9_mT8_P12ihipStream_tbDpT10_ENKUlT_T0_E_clISt17integral_constantIbLb0EES16_IbLb1EEEEDaS12_S13_EUlS12_E_NS1_11comp_targetILNS1_3genE5ELNS1_11target_archE942ELNS1_3gpuE9ELNS1_3repE0EEENS1_30default_config_static_selectorELNS0_4arch9wavefront6targetE0EEEvT1_.num_vgpr, 0
	.set _ZN7rocprim17ROCPRIM_400000_NS6detail17trampoline_kernelINS0_14default_configENS1_25partition_config_selectorILNS1_17partition_subalgoE8EfNS0_10empty_typeEbEEZZNS1_14partition_implILS5_8ELb0ES3_jPKfPS6_PKS6_NS0_5tupleIJPfS6_EEENSE_IJSB_SB_EEENS0_18inequality_wrapperIN6hipcub16HIPCUB_304000_NS8EqualityEEEPlJS6_EEE10hipError_tPvRmT3_T4_T5_T6_T7_T9_mT8_P12ihipStream_tbDpT10_ENKUlT_T0_E_clISt17integral_constantIbLb0EES16_IbLb1EEEEDaS12_S13_EUlS12_E_NS1_11comp_targetILNS1_3genE5ELNS1_11target_archE942ELNS1_3gpuE9ELNS1_3repE0EEENS1_30default_config_static_selectorELNS0_4arch9wavefront6targetE0EEEvT1_.num_agpr, 0
	.set _ZN7rocprim17ROCPRIM_400000_NS6detail17trampoline_kernelINS0_14default_configENS1_25partition_config_selectorILNS1_17partition_subalgoE8EfNS0_10empty_typeEbEEZZNS1_14partition_implILS5_8ELb0ES3_jPKfPS6_PKS6_NS0_5tupleIJPfS6_EEENSE_IJSB_SB_EEENS0_18inequality_wrapperIN6hipcub16HIPCUB_304000_NS8EqualityEEEPlJS6_EEE10hipError_tPvRmT3_T4_T5_T6_T7_T9_mT8_P12ihipStream_tbDpT10_ENKUlT_T0_E_clISt17integral_constantIbLb0EES16_IbLb1EEEEDaS12_S13_EUlS12_E_NS1_11comp_targetILNS1_3genE5ELNS1_11target_archE942ELNS1_3gpuE9ELNS1_3repE0EEENS1_30default_config_static_selectorELNS0_4arch9wavefront6targetE0EEEvT1_.numbered_sgpr, 0
	.set _ZN7rocprim17ROCPRIM_400000_NS6detail17trampoline_kernelINS0_14default_configENS1_25partition_config_selectorILNS1_17partition_subalgoE8EfNS0_10empty_typeEbEEZZNS1_14partition_implILS5_8ELb0ES3_jPKfPS6_PKS6_NS0_5tupleIJPfS6_EEENSE_IJSB_SB_EEENS0_18inequality_wrapperIN6hipcub16HIPCUB_304000_NS8EqualityEEEPlJS6_EEE10hipError_tPvRmT3_T4_T5_T6_T7_T9_mT8_P12ihipStream_tbDpT10_ENKUlT_T0_E_clISt17integral_constantIbLb0EES16_IbLb1EEEEDaS12_S13_EUlS12_E_NS1_11comp_targetILNS1_3genE5ELNS1_11target_archE942ELNS1_3gpuE9ELNS1_3repE0EEENS1_30default_config_static_selectorELNS0_4arch9wavefront6targetE0EEEvT1_.num_named_barrier, 0
	.set _ZN7rocprim17ROCPRIM_400000_NS6detail17trampoline_kernelINS0_14default_configENS1_25partition_config_selectorILNS1_17partition_subalgoE8EfNS0_10empty_typeEbEEZZNS1_14partition_implILS5_8ELb0ES3_jPKfPS6_PKS6_NS0_5tupleIJPfS6_EEENSE_IJSB_SB_EEENS0_18inequality_wrapperIN6hipcub16HIPCUB_304000_NS8EqualityEEEPlJS6_EEE10hipError_tPvRmT3_T4_T5_T6_T7_T9_mT8_P12ihipStream_tbDpT10_ENKUlT_T0_E_clISt17integral_constantIbLb0EES16_IbLb1EEEEDaS12_S13_EUlS12_E_NS1_11comp_targetILNS1_3genE5ELNS1_11target_archE942ELNS1_3gpuE9ELNS1_3repE0EEENS1_30default_config_static_selectorELNS0_4arch9wavefront6targetE0EEEvT1_.private_seg_size, 0
	.set _ZN7rocprim17ROCPRIM_400000_NS6detail17trampoline_kernelINS0_14default_configENS1_25partition_config_selectorILNS1_17partition_subalgoE8EfNS0_10empty_typeEbEEZZNS1_14partition_implILS5_8ELb0ES3_jPKfPS6_PKS6_NS0_5tupleIJPfS6_EEENSE_IJSB_SB_EEENS0_18inequality_wrapperIN6hipcub16HIPCUB_304000_NS8EqualityEEEPlJS6_EEE10hipError_tPvRmT3_T4_T5_T6_T7_T9_mT8_P12ihipStream_tbDpT10_ENKUlT_T0_E_clISt17integral_constantIbLb0EES16_IbLb1EEEEDaS12_S13_EUlS12_E_NS1_11comp_targetILNS1_3genE5ELNS1_11target_archE942ELNS1_3gpuE9ELNS1_3repE0EEENS1_30default_config_static_selectorELNS0_4arch9wavefront6targetE0EEEvT1_.uses_vcc, 0
	.set _ZN7rocprim17ROCPRIM_400000_NS6detail17trampoline_kernelINS0_14default_configENS1_25partition_config_selectorILNS1_17partition_subalgoE8EfNS0_10empty_typeEbEEZZNS1_14partition_implILS5_8ELb0ES3_jPKfPS6_PKS6_NS0_5tupleIJPfS6_EEENSE_IJSB_SB_EEENS0_18inequality_wrapperIN6hipcub16HIPCUB_304000_NS8EqualityEEEPlJS6_EEE10hipError_tPvRmT3_T4_T5_T6_T7_T9_mT8_P12ihipStream_tbDpT10_ENKUlT_T0_E_clISt17integral_constantIbLb0EES16_IbLb1EEEEDaS12_S13_EUlS12_E_NS1_11comp_targetILNS1_3genE5ELNS1_11target_archE942ELNS1_3gpuE9ELNS1_3repE0EEENS1_30default_config_static_selectorELNS0_4arch9wavefront6targetE0EEEvT1_.uses_flat_scratch, 0
	.set _ZN7rocprim17ROCPRIM_400000_NS6detail17trampoline_kernelINS0_14default_configENS1_25partition_config_selectorILNS1_17partition_subalgoE8EfNS0_10empty_typeEbEEZZNS1_14partition_implILS5_8ELb0ES3_jPKfPS6_PKS6_NS0_5tupleIJPfS6_EEENSE_IJSB_SB_EEENS0_18inequality_wrapperIN6hipcub16HIPCUB_304000_NS8EqualityEEEPlJS6_EEE10hipError_tPvRmT3_T4_T5_T6_T7_T9_mT8_P12ihipStream_tbDpT10_ENKUlT_T0_E_clISt17integral_constantIbLb0EES16_IbLb1EEEEDaS12_S13_EUlS12_E_NS1_11comp_targetILNS1_3genE5ELNS1_11target_archE942ELNS1_3gpuE9ELNS1_3repE0EEENS1_30default_config_static_selectorELNS0_4arch9wavefront6targetE0EEEvT1_.has_dyn_sized_stack, 0
	.set _ZN7rocprim17ROCPRIM_400000_NS6detail17trampoline_kernelINS0_14default_configENS1_25partition_config_selectorILNS1_17partition_subalgoE8EfNS0_10empty_typeEbEEZZNS1_14partition_implILS5_8ELb0ES3_jPKfPS6_PKS6_NS0_5tupleIJPfS6_EEENSE_IJSB_SB_EEENS0_18inequality_wrapperIN6hipcub16HIPCUB_304000_NS8EqualityEEEPlJS6_EEE10hipError_tPvRmT3_T4_T5_T6_T7_T9_mT8_P12ihipStream_tbDpT10_ENKUlT_T0_E_clISt17integral_constantIbLb0EES16_IbLb1EEEEDaS12_S13_EUlS12_E_NS1_11comp_targetILNS1_3genE5ELNS1_11target_archE942ELNS1_3gpuE9ELNS1_3repE0EEENS1_30default_config_static_selectorELNS0_4arch9wavefront6targetE0EEEvT1_.has_recursion, 0
	.set _ZN7rocprim17ROCPRIM_400000_NS6detail17trampoline_kernelINS0_14default_configENS1_25partition_config_selectorILNS1_17partition_subalgoE8EfNS0_10empty_typeEbEEZZNS1_14partition_implILS5_8ELb0ES3_jPKfPS6_PKS6_NS0_5tupleIJPfS6_EEENSE_IJSB_SB_EEENS0_18inequality_wrapperIN6hipcub16HIPCUB_304000_NS8EqualityEEEPlJS6_EEE10hipError_tPvRmT3_T4_T5_T6_T7_T9_mT8_P12ihipStream_tbDpT10_ENKUlT_T0_E_clISt17integral_constantIbLb0EES16_IbLb1EEEEDaS12_S13_EUlS12_E_NS1_11comp_targetILNS1_3genE5ELNS1_11target_archE942ELNS1_3gpuE9ELNS1_3repE0EEENS1_30default_config_static_selectorELNS0_4arch9wavefront6targetE0EEEvT1_.has_indirect_call, 0
	.section	.AMDGPU.csdata,"",@progbits
; Kernel info:
; codeLenInByte = 0
; TotalNumSgprs: 0
; NumVgprs: 0
; ScratchSize: 0
; MemoryBound: 0
; FloatMode: 240
; IeeeMode: 1
; LDSByteSize: 0 bytes/workgroup (compile time only)
; SGPRBlocks: 0
; VGPRBlocks: 0
; NumSGPRsForWavesPerEU: 1
; NumVGPRsForWavesPerEU: 1
; NamedBarCnt: 0
; Occupancy: 16
; WaveLimiterHint : 0
; COMPUTE_PGM_RSRC2:SCRATCH_EN: 0
; COMPUTE_PGM_RSRC2:USER_SGPR: 2
; COMPUTE_PGM_RSRC2:TRAP_HANDLER: 0
; COMPUTE_PGM_RSRC2:TGID_X_EN: 1
; COMPUTE_PGM_RSRC2:TGID_Y_EN: 0
; COMPUTE_PGM_RSRC2:TGID_Z_EN: 0
; COMPUTE_PGM_RSRC2:TIDIG_COMP_CNT: 0
	.section	.text._ZN7rocprim17ROCPRIM_400000_NS6detail17trampoline_kernelINS0_14default_configENS1_25partition_config_selectorILNS1_17partition_subalgoE8EfNS0_10empty_typeEbEEZZNS1_14partition_implILS5_8ELb0ES3_jPKfPS6_PKS6_NS0_5tupleIJPfS6_EEENSE_IJSB_SB_EEENS0_18inequality_wrapperIN6hipcub16HIPCUB_304000_NS8EqualityEEEPlJS6_EEE10hipError_tPvRmT3_T4_T5_T6_T7_T9_mT8_P12ihipStream_tbDpT10_ENKUlT_T0_E_clISt17integral_constantIbLb0EES16_IbLb1EEEEDaS12_S13_EUlS12_E_NS1_11comp_targetILNS1_3genE4ELNS1_11target_archE910ELNS1_3gpuE8ELNS1_3repE0EEENS1_30default_config_static_selectorELNS0_4arch9wavefront6targetE0EEEvT1_,"axG",@progbits,_ZN7rocprim17ROCPRIM_400000_NS6detail17trampoline_kernelINS0_14default_configENS1_25partition_config_selectorILNS1_17partition_subalgoE8EfNS0_10empty_typeEbEEZZNS1_14partition_implILS5_8ELb0ES3_jPKfPS6_PKS6_NS0_5tupleIJPfS6_EEENSE_IJSB_SB_EEENS0_18inequality_wrapperIN6hipcub16HIPCUB_304000_NS8EqualityEEEPlJS6_EEE10hipError_tPvRmT3_T4_T5_T6_T7_T9_mT8_P12ihipStream_tbDpT10_ENKUlT_T0_E_clISt17integral_constantIbLb0EES16_IbLb1EEEEDaS12_S13_EUlS12_E_NS1_11comp_targetILNS1_3genE4ELNS1_11target_archE910ELNS1_3gpuE8ELNS1_3repE0EEENS1_30default_config_static_selectorELNS0_4arch9wavefront6targetE0EEEvT1_,comdat
	.protected	_ZN7rocprim17ROCPRIM_400000_NS6detail17trampoline_kernelINS0_14default_configENS1_25partition_config_selectorILNS1_17partition_subalgoE8EfNS0_10empty_typeEbEEZZNS1_14partition_implILS5_8ELb0ES3_jPKfPS6_PKS6_NS0_5tupleIJPfS6_EEENSE_IJSB_SB_EEENS0_18inequality_wrapperIN6hipcub16HIPCUB_304000_NS8EqualityEEEPlJS6_EEE10hipError_tPvRmT3_T4_T5_T6_T7_T9_mT8_P12ihipStream_tbDpT10_ENKUlT_T0_E_clISt17integral_constantIbLb0EES16_IbLb1EEEEDaS12_S13_EUlS12_E_NS1_11comp_targetILNS1_3genE4ELNS1_11target_archE910ELNS1_3gpuE8ELNS1_3repE0EEENS1_30default_config_static_selectorELNS0_4arch9wavefront6targetE0EEEvT1_ ; -- Begin function _ZN7rocprim17ROCPRIM_400000_NS6detail17trampoline_kernelINS0_14default_configENS1_25partition_config_selectorILNS1_17partition_subalgoE8EfNS0_10empty_typeEbEEZZNS1_14partition_implILS5_8ELb0ES3_jPKfPS6_PKS6_NS0_5tupleIJPfS6_EEENSE_IJSB_SB_EEENS0_18inequality_wrapperIN6hipcub16HIPCUB_304000_NS8EqualityEEEPlJS6_EEE10hipError_tPvRmT3_T4_T5_T6_T7_T9_mT8_P12ihipStream_tbDpT10_ENKUlT_T0_E_clISt17integral_constantIbLb0EES16_IbLb1EEEEDaS12_S13_EUlS12_E_NS1_11comp_targetILNS1_3genE4ELNS1_11target_archE910ELNS1_3gpuE8ELNS1_3repE0EEENS1_30default_config_static_selectorELNS0_4arch9wavefront6targetE0EEEvT1_
	.globl	_ZN7rocprim17ROCPRIM_400000_NS6detail17trampoline_kernelINS0_14default_configENS1_25partition_config_selectorILNS1_17partition_subalgoE8EfNS0_10empty_typeEbEEZZNS1_14partition_implILS5_8ELb0ES3_jPKfPS6_PKS6_NS0_5tupleIJPfS6_EEENSE_IJSB_SB_EEENS0_18inequality_wrapperIN6hipcub16HIPCUB_304000_NS8EqualityEEEPlJS6_EEE10hipError_tPvRmT3_T4_T5_T6_T7_T9_mT8_P12ihipStream_tbDpT10_ENKUlT_T0_E_clISt17integral_constantIbLb0EES16_IbLb1EEEEDaS12_S13_EUlS12_E_NS1_11comp_targetILNS1_3genE4ELNS1_11target_archE910ELNS1_3gpuE8ELNS1_3repE0EEENS1_30default_config_static_selectorELNS0_4arch9wavefront6targetE0EEEvT1_
	.p2align	8
	.type	_ZN7rocprim17ROCPRIM_400000_NS6detail17trampoline_kernelINS0_14default_configENS1_25partition_config_selectorILNS1_17partition_subalgoE8EfNS0_10empty_typeEbEEZZNS1_14partition_implILS5_8ELb0ES3_jPKfPS6_PKS6_NS0_5tupleIJPfS6_EEENSE_IJSB_SB_EEENS0_18inequality_wrapperIN6hipcub16HIPCUB_304000_NS8EqualityEEEPlJS6_EEE10hipError_tPvRmT3_T4_T5_T6_T7_T9_mT8_P12ihipStream_tbDpT10_ENKUlT_T0_E_clISt17integral_constantIbLb0EES16_IbLb1EEEEDaS12_S13_EUlS12_E_NS1_11comp_targetILNS1_3genE4ELNS1_11target_archE910ELNS1_3gpuE8ELNS1_3repE0EEENS1_30default_config_static_selectorELNS0_4arch9wavefront6targetE0EEEvT1_,@function
_ZN7rocprim17ROCPRIM_400000_NS6detail17trampoline_kernelINS0_14default_configENS1_25partition_config_selectorILNS1_17partition_subalgoE8EfNS0_10empty_typeEbEEZZNS1_14partition_implILS5_8ELb0ES3_jPKfPS6_PKS6_NS0_5tupleIJPfS6_EEENSE_IJSB_SB_EEENS0_18inequality_wrapperIN6hipcub16HIPCUB_304000_NS8EqualityEEEPlJS6_EEE10hipError_tPvRmT3_T4_T5_T6_T7_T9_mT8_P12ihipStream_tbDpT10_ENKUlT_T0_E_clISt17integral_constantIbLb0EES16_IbLb1EEEEDaS12_S13_EUlS12_E_NS1_11comp_targetILNS1_3genE4ELNS1_11target_archE910ELNS1_3gpuE8ELNS1_3repE0EEENS1_30default_config_static_selectorELNS0_4arch9wavefront6targetE0EEEvT1_: ; @_ZN7rocprim17ROCPRIM_400000_NS6detail17trampoline_kernelINS0_14default_configENS1_25partition_config_selectorILNS1_17partition_subalgoE8EfNS0_10empty_typeEbEEZZNS1_14partition_implILS5_8ELb0ES3_jPKfPS6_PKS6_NS0_5tupleIJPfS6_EEENSE_IJSB_SB_EEENS0_18inequality_wrapperIN6hipcub16HIPCUB_304000_NS8EqualityEEEPlJS6_EEE10hipError_tPvRmT3_T4_T5_T6_T7_T9_mT8_P12ihipStream_tbDpT10_ENKUlT_T0_E_clISt17integral_constantIbLb0EES16_IbLb1EEEEDaS12_S13_EUlS12_E_NS1_11comp_targetILNS1_3genE4ELNS1_11target_archE910ELNS1_3gpuE8ELNS1_3repE0EEENS1_30default_config_static_selectorELNS0_4arch9wavefront6targetE0EEEvT1_
; %bb.0:
	.section	.rodata,"a",@progbits
	.p2align	6, 0x0
	.amdhsa_kernel _ZN7rocprim17ROCPRIM_400000_NS6detail17trampoline_kernelINS0_14default_configENS1_25partition_config_selectorILNS1_17partition_subalgoE8EfNS0_10empty_typeEbEEZZNS1_14partition_implILS5_8ELb0ES3_jPKfPS6_PKS6_NS0_5tupleIJPfS6_EEENSE_IJSB_SB_EEENS0_18inequality_wrapperIN6hipcub16HIPCUB_304000_NS8EqualityEEEPlJS6_EEE10hipError_tPvRmT3_T4_T5_T6_T7_T9_mT8_P12ihipStream_tbDpT10_ENKUlT_T0_E_clISt17integral_constantIbLb0EES16_IbLb1EEEEDaS12_S13_EUlS12_E_NS1_11comp_targetILNS1_3genE4ELNS1_11target_archE910ELNS1_3gpuE8ELNS1_3repE0EEENS1_30default_config_static_selectorELNS0_4arch9wavefront6targetE0EEEvT1_
		.amdhsa_group_segment_fixed_size 0
		.amdhsa_private_segment_fixed_size 0
		.amdhsa_kernarg_size 128
		.amdhsa_user_sgpr_count 2
		.amdhsa_user_sgpr_dispatch_ptr 0
		.amdhsa_user_sgpr_queue_ptr 0
		.amdhsa_user_sgpr_kernarg_segment_ptr 1
		.amdhsa_user_sgpr_dispatch_id 0
		.amdhsa_user_sgpr_kernarg_preload_length 0
		.amdhsa_user_sgpr_kernarg_preload_offset 0
		.amdhsa_user_sgpr_private_segment_size 0
		.amdhsa_wavefront_size32 1
		.amdhsa_uses_dynamic_stack 0
		.amdhsa_enable_private_segment 0
		.amdhsa_system_sgpr_workgroup_id_x 1
		.amdhsa_system_sgpr_workgroup_id_y 0
		.amdhsa_system_sgpr_workgroup_id_z 0
		.amdhsa_system_sgpr_workgroup_info 0
		.amdhsa_system_vgpr_workitem_id 0
		.amdhsa_next_free_vgpr 1
		.amdhsa_next_free_sgpr 1
		.amdhsa_named_barrier_count 0
		.amdhsa_reserve_vcc 0
		.amdhsa_float_round_mode_32 0
		.amdhsa_float_round_mode_16_64 0
		.amdhsa_float_denorm_mode_32 3
		.amdhsa_float_denorm_mode_16_64 3
		.amdhsa_fp16_overflow 0
		.amdhsa_memory_ordered 1
		.amdhsa_forward_progress 1
		.amdhsa_inst_pref_size 0
		.amdhsa_round_robin_scheduling 0
		.amdhsa_exception_fp_ieee_invalid_op 0
		.amdhsa_exception_fp_denorm_src 0
		.amdhsa_exception_fp_ieee_div_zero 0
		.amdhsa_exception_fp_ieee_overflow 0
		.amdhsa_exception_fp_ieee_underflow 0
		.amdhsa_exception_fp_ieee_inexact 0
		.amdhsa_exception_int_div_zero 0
	.end_amdhsa_kernel
	.section	.text._ZN7rocprim17ROCPRIM_400000_NS6detail17trampoline_kernelINS0_14default_configENS1_25partition_config_selectorILNS1_17partition_subalgoE8EfNS0_10empty_typeEbEEZZNS1_14partition_implILS5_8ELb0ES3_jPKfPS6_PKS6_NS0_5tupleIJPfS6_EEENSE_IJSB_SB_EEENS0_18inequality_wrapperIN6hipcub16HIPCUB_304000_NS8EqualityEEEPlJS6_EEE10hipError_tPvRmT3_T4_T5_T6_T7_T9_mT8_P12ihipStream_tbDpT10_ENKUlT_T0_E_clISt17integral_constantIbLb0EES16_IbLb1EEEEDaS12_S13_EUlS12_E_NS1_11comp_targetILNS1_3genE4ELNS1_11target_archE910ELNS1_3gpuE8ELNS1_3repE0EEENS1_30default_config_static_selectorELNS0_4arch9wavefront6targetE0EEEvT1_,"axG",@progbits,_ZN7rocprim17ROCPRIM_400000_NS6detail17trampoline_kernelINS0_14default_configENS1_25partition_config_selectorILNS1_17partition_subalgoE8EfNS0_10empty_typeEbEEZZNS1_14partition_implILS5_8ELb0ES3_jPKfPS6_PKS6_NS0_5tupleIJPfS6_EEENSE_IJSB_SB_EEENS0_18inequality_wrapperIN6hipcub16HIPCUB_304000_NS8EqualityEEEPlJS6_EEE10hipError_tPvRmT3_T4_T5_T6_T7_T9_mT8_P12ihipStream_tbDpT10_ENKUlT_T0_E_clISt17integral_constantIbLb0EES16_IbLb1EEEEDaS12_S13_EUlS12_E_NS1_11comp_targetILNS1_3genE4ELNS1_11target_archE910ELNS1_3gpuE8ELNS1_3repE0EEENS1_30default_config_static_selectorELNS0_4arch9wavefront6targetE0EEEvT1_,comdat
.Lfunc_end367:
	.size	_ZN7rocprim17ROCPRIM_400000_NS6detail17trampoline_kernelINS0_14default_configENS1_25partition_config_selectorILNS1_17partition_subalgoE8EfNS0_10empty_typeEbEEZZNS1_14partition_implILS5_8ELb0ES3_jPKfPS6_PKS6_NS0_5tupleIJPfS6_EEENSE_IJSB_SB_EEENS0_18inequality_wrapperIN6hipcub16HIPCUB_304000_NS8EqualityEEEPlJS6_EEE10hipError_tPvRmT3_T4_T5_T6_T7_T9_mT8_P12ihipStream_tbDpT10_ENKUlT_T0_E_clISt17integral_constantIbLb0EES16_IbLb1EEEEDaS12_S13_EUlS12_E_NS1_11comp_targetILNS1_3genE4ELNS1_11target_archE910ELNS1_3gpuE8ELNS1_3repE0EEENS1_30default_config_static_selectorELNS0_4arch9wavefront6targetE0EEEvT1_, .Lfunc_end367-_ZN7rocprim17ROCPRIM_400000_NS6detail17trampoline_kernelINS0_14default_configENS1_25partition_config_selectorILNS1_17partition_subalgoE8EfNS0_10empty_typeEbEEZZNS1_14partition_implILS5_8ELb0ES3_jPKfPS6_PKS6_NS0_5tupleIJPfS6_EEENSE_IJSB_SB_EEENS0_18inequality_wrapperIN6hipcub16HIPCUB_304000_NS8EqualityEEEPlJS6_EEE10hipError_tPvRmT3_T4_T5_T6_T7_T9_mT8_P12ihipStream_tbDpT10_ENKUlT_T0_E_clISt17integral_constantIbLb0EES16_IbLb1EEEEDaS12_S13_EUlS12_E_NS1_11comp_targetILNS1_3genE4ELNS1_11target_archE910ELNS1_3gpuE8ELNS1_3repE0EEENS1_30default_config_static_selectorELNS0_4arch9wavefront6targetE0EEEvT1_
                                        ; -- End function
	.set _ZN7rocprim17ROCPRIM_400000_NS6detail17trampoline_kernelINS0_14default_configENS1_25partition_config_selectorILNS1_17partition_subalgoE8EfNS0_10empty_typeEbEEZZNS1_14partition_implILS5_8ELb0ES3_jPKfPS6_PKS6_NS0_5tupleIJPfS6_EEENSE_IJSB_SB_EEENS0_18inequality_wrapperIN6hipcub16HIPCUB_304000_NS8EqualityEEEPlJS6_EEE10hipError_tPvRmT3_T4_T5_T6_T7_T9_mT8_P12ihipStream_tbDpT10_ENKUlT_T0_E_clISt17integral_constantIbLb0EES16_IbLb1EEEEDaS12_S13_EUlS12_E_NS1_11comp_targetILNS1_3genE4ELNS1_11target_archE910ELNS1_3gpuE8ELNS1_3repE0EEENS1_30default_config_static_selectorELNS0_4arch9wavefront6targetE0EEEvT1_.num_vgpr, 0
	.set _ZN7rocprim17ROCPRIM_400000_NS6detail17trampoline_kernelINS0_14default_configENS1_25partition_config_selectorILNS1_17partition_subalgoE8EfNS0_10empty_typeEbEEZZNS1_14partition_implILS5_8ELb0ES3_jPKfPS6_PKS6_NS0_5tupleIJPfS6_EEENSE_IJSB_SB_EEENS0_18inequality_wrapperIN6hipcub16HIPCUB_304000_NS8EqualityEEEPlJS6_EEE10hipError_tPvRmT3_T4_T5_T6_T7_T9_mT8_P12ihipStream_tbDpT10_ENKUlT_T0_E_clISt17integral_constantIbLb0EES16_IbLb1EEEEDaS12_S13_EUlS12_E_NS1_11comp_targetILNS1_3genE4ELNS1_11target_archE910ELNS1_3gpuE8ELNS1_3repE0EEENS1_30default_config_static_selectorELNS0_4arch9wavefront6targetE0EEEvT1_.num_agpr, 0
	.set _ZN7rocprim17ROCPRIM_400000_NS6detail17trampoline_kernelINS0_14default_configENS1_25partition_config_selectorILNS1_17partition_subalgoE8EfNS0_10empty_typeEbEEZZNS1_14partition_implILS5_8ELb0ES3_jPKfPS6_PKS6_NS0_5tupleIJPfS6_EEENSE_IJSB_SB_EEENS0_18inequality_wrapperIN6hipcub16HIPCUB_304000_NS8EqualityEEEPlJS6_EEE10hipError_tPvRmT3_T4_T5_T6_T7_T9_mT8_P12ihipStream_tbDpT10_ENKUlT_T0_E_clISt17integral_constantIbLb0EES16_IbLb1EEEEDaS12_S13_EUlS12_E_NS1_11comp_targetILNS1_3genE4ELNS1_11target_archE910ELNS1_3gpuE8ELNS1_3repE0EEENS1_30default_config_static_selectorELNS0_4arch9wavefront6targetE0EEEvT1_.numbered_sgpr, 0
	.set _ZN7rocprim17ROCPRIM_400000_NS6detail17trampoline_kernelINS0_14default_configENS1_25partition_config_selectorILNS1_17partition_subalgoE8EfNS0_10empty_typeEbEEZZNS1_14partition_implILS5_8ELb0ES3_jPKfPS6_PKS6_NS0_5tupleIJPfS6_EEENSE_IJSB_SB_EEENS0_18inequality_wrapperIN6hipcub16HIPCUB_304000_NS8EqualityEEEPlJS6_EEE10hipError_tPvRmT3_T4_T5_T6_T7_T9_mT8_P12ihipStream_tbDpT10_ENKUlT_T0_E_clISt17integral_constantIbLb0EES16_IbLb1EEEEDaS12_S13_EUlS12_E_NS1_11comp_targetILNS1_3genE4ELNS1_11target_archE910ELNS1_3gpuE8ELNS1_3repE0EEENS1_30default_config_static_selectorELNS0_4arch9wavefront6targetE0EEEvT1_.num_named_barrier, 0
	.set _ZN7rocprim17ROCPRIM_400000_NS6detail17trampoline_kernelINS0_14default_configENS1_25partition_config_selectorILNS1_17partition_subalgoE8EfNS0_10empty_typeEbEEZZNS1_14partition_implILS5_8ELb0ES3_jPKfPS6_PKS6_NS0_5tupleIJPfS6_EEENSE_IJSB_SB_EEENS0_18inequality_wrapperIN6hipcub16HIPCUB_304000_NS8EqualityEEEPlJS6_EEE10hipError_tPvRmT3_T4_T5_T6_T7_T9_mT8_P12ihipStream_tbDpT10_ENKUlT_T0_E_clISt17integral_constantIbLb0EES16_IbLb1EEEEDaS12_S13_EUlS12_E_NS1_11comp_targetILNS1_3genE4ELNS1_11target_archE910ELNS1_3gpuE8ELNS1_3repE0EEENS1_30default_config_static_selectorELNS0_4arch9wavefront6targetE0EEEvT1_.private_seg_size, 0
	.set _ZN7rocprim17ROCPRIM_400000_NS6detail17trampoline_kernelINS0_14default_configENS1_25partition_config_selectorILNS1_17partition_subalgoE8EfNS0_10empty_typeEbEEZZNS1_14partition_implILS5_8ELb0ES3_jPKfPS6_PKS6_NS0_5tupleIJPfS6_EEENSE_IJSB_SB_EEENS0_18inequality_wrapperIN6hipcub16HIPCUB_304000_NS8EqualityEEEPlJS6_EEE10hipError_tPvRmT3_T4_T5_T6_T7_T9_mT8_P12ihipStream_tbDpT10_ENKUlT_T0_E_clISt17integral_constantIbLb0EES16_IbLb1EEEEDaS12_S13_EUlS12_E_NS1_11comp_targetILNS1_3genE4ELNS1_11target_archE910ELNS1_3gpuE8ELNS1_3repE0EEENS1_30default_config_static_selectorELNS0_4arch9wavefront6targetE0EEEvT1_.uses_vcc, 0
	.set _ZN7rocprim17ROCPRIM_400000_NS6detail17trampoline_kernelINS0_14default_configENS1_25partition_config_selectorILNS1_17partition_subalgoE8EfNS0_10empty_typeEbEEZZNS1_14partition_implILS5_8ELb0ES3_jPKfPS6_PKS6_NS0_5tupleIJPfS6_EEENSE_IJSB_SB_EEENS0_18inequality_wrapperIN6hipcub16HIPCUB_304000_NS8EqualityEEEPlJS6_EEE10hipError_tPvRmT3_T4_T5_T6_T7_T9_mT8_P12ihipStream_tbDpT10_ENKUlT_T0_E_clISt17integral_constantIbLb0EES16_IbLb1EEEEDaS12_S13_EUlS12_E_NS1_11comp_targetILNS1_3genE4ELNS1_11target_archE910ELNS1_3gpuE8ELNS1_3repE0EEENS1_30default_config_static_selectorELNS0_4arch9wavefront6targetE0EEEvT1_.uses_flat_scratch, 0
	.set _ZN7rocprim17ROCPRIM_400000_NS6detail17trampoline_kernelINS0_14default_configENS1_25partition_config_selectorILNS1_17partition_subalgoE8EfNS0_10empty_typeEbEEZZNS1_14partition_implILS5_8ELb0ES3_jPKfPS6_PKS6_NS0_5tupleIJPfS6_EEENSE_IJSB_SB_EEENS0_18inequality_wrapperIN6hipcub16HIPCUB_304000_NS8EqualityEEEPlJS6_EEE10hipError_tPvRmT3_T4_T5_T6_T7_T9_mT8_P12ihipStream_tbDpT10_ENKUlT_T0_E_clISt17integral_constantIbLb0EES16_IbLb1EEEEDaS12_S13_EUlS12_E_NS1_11comp_targetILNS1_3genE4ELNS1_11target_archE910ELNS1_3gpuE8ELNS1_3repE0EEENS1_30default_config_static_selectorELNS0_4arch9wavefront6targetE0EEEvT1_.has_dyn_sized_stack, 0
	.set _ZN7rocprim17ROCPRIM_400000_NS6detail17trampoline_kernelINS0_14default_configENS1_25partition_config_selectorILNS1_17partition_subalgoE8EfNS0_10empty_typeEbEEZZNS1_14partition_implILS5_8ELb0ES3_jPKfPS6_PKS6_NS0_5tupleIJPfS6_EEENSE_IJSB_SB_EEENS0_18inequality_wrapperIN6hipcub16HIPCUB_304000_NS8EqualityEEEPlJS6_EEE10hipError_tPvRmT3_T4_T5_T6_T7_T9_mT8_P12ihipStream_tbDpT10_ENKUlT_T0_E_clISt17integral_constantIbLb0EES16_IbLb1EEEEDaS12_S13_EUlS12_E_NS1_11comp_targetILNS1_3genE4ELNS1_11target_archE910ELNS1_3gpuE8ELNS1_3repE0EEENS1_30default_config_static_selectorELNS0_4arch9wavefront6targetE0EEEvT1_.has_recursion, 0
	.set _ZN7rocprim17ROCPRIM_400000_NS6detail17trampoline_kernelINS0_14default_configENS1_25partition_config_selectorILNS1_17partition_subalgoE8EfNS0_10empty_typeEbEEZZNS1_14partition_implILS5_8ELb0ES3_jPKfPS6_PKS6_NS0_5tupleIJPfS6_EEENSE_IJSB_SB_EEENS0_18inequality_wrapperIN6hipcub16HIPCUB_304000_NS8EqualityEEEPlJS6_EEE10hipError_tPvRmT3_T4_T5_T6_T7_T9_mT8_P12ihipStream_tbDpT10_ENKUlT_T0_E_clISt17integral_constantIbLb0EES16_IbLb1EEEEDaS12_S13_EUlS12_E_NS1_11comp_targetILNS1_3genE4ELNS1_11target_archE910ELNS1_3gpuE8ELNS1_3repE0EEENS1_30default_config_static_selectorELNS0_4arch9wavefront6targetE0EEEvT1_.has_indirect_call, 0
	.section	.AMDGPU.csdata,"",@progbits
; Kernel info:
; codeLenInByte = 0
; TotalNumSgprs: 0
; NumVgprs: 0
; ScratchSize: 0
; MemoryBound: 0
; FloatMode: 240
; IeeeMode: 1
; LDSByteSize: 0 bytes/workgroup (compile time only)
; SGPRBlocks: 0
; VGPRBlocks: 0
; NumSGPRsForWavesPerEU: 1
; NumVGPRsForWavesPerEU: 1
; NamedBarCnt: 0
; Occupancy: 16
; WaveLimiterHint : 0
; COMPUTE_PGM_RSRC2:SCRATCH_EN: 0
; COMPUTE_PGM_RSRC2:USER_SGPR: 2
; COMPUTE_PGM_RSRC2:TRAP_HANDLER: 0
; COMPUTE_PGM_RSRC2:TGID_X_EN: 1
; COMPUTE_PGM_RSRC2:TGID_Y_EN: 0
; COMPUTE_PGM_RSRC2:TGID_Z_EN: 0
; COMPUTE_PGM_RSRC2:TIDIG_COMP_CNT: 0
	.section	.text._ZN7rocprim17ROCPRIM_400000_NS6detail17trampoline_kernelINS0_14default_configENS1_25partition_config_selectorILNS1_17partition_subalgoE8EfNS0_10empty_typeEbEEZZNS1_14partition_implILS5_8ELb0ES3_jPKfPS6_PKS6_NS0_5tupleIJPfS6_EEENSE_IJSB_SB_EEENS0_18inequality_wrapperIN6hipcub16HIPCUB_304000_NS8EqualityEEEPlJS6_EEE10hipError_tPvRmT3_T4_T5_T6_T7_T9_mT8_P12ihipStream_tbDpT10_ENKUlT_T0_E_clISt17integral_constantIbLb0EES16_IbLb1EEEEDaS12_S13_EUlS12_E_NS1_11comp_targetILNS1_3genE3ELNS1_11target_archE908ELNS1_3gpuE7ELNS1_3repE0EEENS1_30default_config_static_selectorELNS0_4arch9wavefront6targetE0EEEvT1_,"axG",@progbits,_ZN7rocprim17ROCPRIM_400000_NS6detail17trampoline_kernelINS0_14default_configENS1_25partition_config_selectorILNS1_17partition_subalgoE8EfNS0_10empty_typeEbEEZZNS1_14partition_implILS5_8ELb0ES3_jPKfPS6_PKS6_NS0_5tupleIJPfS6_EEENSE_IJSB_SB_EEENS0_18inequality_wrapperIN6hipcub16HIPCUB_304000_NS8EqualityEEEPlJS6_EEE10hipError_tPvRmT3_T4_T5_T6_T7_T9_mT8_P12ihipStream_tbDpT10_ENKUlT_T0_E_clISt17integral_constantIbLb0EES16_IbLb1EEEEDaS12_S13_EUlS12_E_NS1_11comp_targetILNS1_3genE3ELNS1_11target_archE908ELNS1_3gpuE7ELNS1_3repE0EEENS1_30default_config_static_selectorELNS0_4arch9wavefront6targetE0EEEvT1_,comdat
	.protected	_ZN7rocprim17ROCPRIM_400000_NS6detail17trampoline_kernelINS0_14default_configENS1_25partition_config_selectorILNS1_17partition_subalgoE8EfNS0_10empty_typeEbEEZZNS1_14partition_implILS5_8ELb0ES3_jPKfPS6_PKS6_NS0_5tupleIJPfS6_EEENSE_IJSB_SB_EEENS0_18inequality_wrapperIN6hipcub16HIPCUB_304000_NS8EqualityEEEPlJS6_EEE10hipError_tPvRmT3_T4_T5_T6_T7_T9_mT8_P12ihipStream_tbDpT10_ENKUlT_T0_E_clISt17integral_constantIbLb0EES16_IbLb1EEEEDaS12_S13_EUlS12_E_NS1_11comp_targetILNS1_3genE3ELNS1_11target_archE908ELNS1_3gpuE7ELNS1_3repE0EEENS1_30default_config_static_selectorELNS0_4arch9wavefront6targetE0EEEvT1_ ; -- Begin function _ZN7rocprim17ROCPRIM_400000_NS6detail17trampoline_kernelINS0_14default_configENS1_25partition_config_selectorILNS1_17partition_subalgoE8EfNS0_10empty_typeEbEEZZNS1_14partition_implILS5_8ELb0ES3_jPKfPS6_PKS6_NS0_5tupleIJPfS6_EEENSE_IJSB_SB_EEENS0_18inequality_wrapperIN6hipcub16HIPCUB_304000_NS8EqualityEEEPlJS6_EEE10hipError_tPvRmT3_T4_T5_T6_T7_T9_mT8_P12ihipStream_tbDpT10_ENKUlT_T0_E_clISt17integral_constantIbLb0EES16_IbLb1EEEEDaS12_S13_EUlS12_E_NS1_11comp_targetILNS1_3genE3ELNS1_11target_archE908ELNS1_3gpuE7ELNS1_3repE0EEENS1_30default_config_static_selectorELNS0_4arch9wavefront6targetE0EEEvT1_
	.globl	_ZN7rocprim17ROCPRIM_400000_NS6detail17trampoline_kernelINS0_14default_configENS1_25partition_config_selectorILNS1_17partition_subalgoE8EfNS0_10empty_typeEbEEZZNS1_14partition_implILS5_8ELb0ES3_jPKfPS6_PKS6_NS0_5tupleIJPfS6_EEENSE_IJSB_SB_EEENS0_18inequality_wrapperIN6hipcub16HIPCUB_304000_NS8EqualityEEEPlJS6_EEE10hipError_tPvRmT3_T4_T5_T6_T7_T9_mT8_P12ihipStream_tbDpT10_ENKUlT_T0_E_clISt17integral_constantIbLb0EES16_IbLb1EEEEDaS12_S13_EUlS12_E_NS1_11comp_targetILNS1_3genE3ELNS1_11target_archE908ELNS1_3gpuE7ELNS1_3repE0EEENS1_30default_config_static_selectorELNS0_4arch9wavefront6targetE0EEEvT1_
	.p2align	8
	.type	_ZN7rocprim17ROCPRIM_400000_NS6detail17trampoline_kernelINS0_14default_configENS1_25partition_config_selectorILNS1_17partition_subalgoE8EfNS0_10empty_typeEbEEZZNS1_14partition_implILS5_8ELb0ES3_jPKfPS6_PKS6_NS0_5tupleIJPfS6_EEENSE_IJSB_SB_EEENS0_18inequality_wrapperIN6hipcub16HIPCUB_304000_NS8EqualityEEEPlJS6_EEE10hipError_tPvRmT3_T4_T5_T6_T7_T9_mT8_P12ihipStream_tbDpT10_ENKUlT_T0_E_clISt17integral_constantIbLb0EES16_IbLb1EEEEDaS12_S13_EUlS12_E_NS1_11comp_targetILNS1_3genE3ELNS1_11target_archE908ELNS1_3gpuE7ELNS1_3repE0EEENS1_30default_config_static_selectorELNS0_4arch9wavefront6targetE0EEEvT1_,@function
_ZN7rocprim17ROCPRIM_400000_NS6detail17trampoline_kernelINS0_14default_configENS1_25partition_config_selectorILNS1_17partition_subalgoE8EfNS0_10empty_typeEbEEZZNS1_14partition_implILS5_8ELb0ES3_jPKfPS6_PKS6_NS0_5tupleIJPfS6_EEENSE_IJSB_SB_EEENS0_18inequality_wrapperIN6hipcub16HIPCUB_304000_NS8EqualityEEEPlJS6_EEE10hipError_tPvRmT3_T4_T5_T6_T7_T9_mT8_P12ihipStream_tbDpT10_ENKUlT_T0_E_clISt17integral_constantIbLb0EES16_IbLb1EEEEDaS12_S13_EUlS12_E_NS1_11comp_targetILNS1_3genE3ELNS1_11target_archE908ELNS1_3gpuE7ELNS1_3repE0EEENS1_30default_config_static_selectorELNS0_4arch9wavefront6targetE0EEEvT1_: ; @_ZN7rocprim17ROCPRIM_400000_NS6detail17trampoline_kernelINS0_14default_configENS1_25partition_config_selectorILNS1_17partition_subalgoE8EfNS0_10empty_typeEbEEZZNS1_14partition_implILS5_8ELb0ES3_jPKfPS6_PKS6_NS0_5tupleIJPfS6_EEENSE_IJSB_SB_EEENS0_18inequality_wrapperIN6hipcub16HIPCUB_304000_NS8EqualityEEEPlJS6_EEE10hipError_tPvRmT3_T4_T5_T6_T7_T9_mT8_P12ihipStream_tbDpT10_ENKUlT_T0_E_clISt17integral_constantIbLb0EES16_IbLb1EEEEDaS12_S13_EUlS12_E_NS1_11comp_targetILNS1_3genE3ELNS1_11target_archE908ELNS1_3gpuE7ELNS1_3repE0EEENS1_30default_config_static_selectorELNS0_4arch9wavefront6targetE0EEEvT1_
; %bb.0:
	.section	.rodata,"a",@progbits
	.p2align	6, 0x0
	.amdhsa_kernel _ZN7rocprim17ROCPRIM_400000_NS6detail17trampoline_kernelINS0_14default_configENS1_25partition_config_selectorILNS1_17partition_subalgoE8EfNS0_10empty_typeEbEEZZNS1_14partition_implILS5_8ELb0ES3_jPKfPS6_PKS6_NS0_5tupleIJPfS6_EEENSE_IJSB_SB_EEENS0_18inequality_wrapperIN6hipcub16HIPCUB_304000_NS8EqualityEEEPlJS6_EEE10hipError_tPvRmT3_T4_T5_T6_T7_T9_mT8_P12ihipStream_tbDpT10_ENKUlT_T0_E_clISt17integral_constantIbLb0EES16_IbLb1EEEEDaS12_S13_EUlS12_E_NS1_11comp_targetILNS1_3genE3ELNS1_11target_archE908ELNS1_3gpuE7ELNS1_3repE0EEENS1_30default_config_static_selectorELNS0_4arch9wavefront6targetE0EEEvT1_
		.amdhsa_group_segment_fixed_size 0
		.amdhsa_private_segment_fixed_size 0
		.amdhsa_kernarg_size 128
		.amdhsa_user_sgpr_count 2
		.amdhsa_user_sgpr_dispatch_ptr 0
		.amdhsa_user_sgpr_queue_ptr 0
		.amdhsa_user_sgpr_kernarg_segment_ptr 1
		.amdhsa_user_sgpr_dispatch_id 0
		.amdhsa_user_sgpr_kernarg_preload_length 0
		.amdhsa_user_sgpr_kernarg_preload_offset 0
		.amdhsa_user_sgpr_private_segment_size 0
		.amdhsa_wavefront_size32 1
		.amdhsa_uses_dynamic_stack 0
		.amdhsa_enable_private_segment 0
		.amdhsa_system_sgpr_workgroup_id_x 1
		.amdhsa_system_sgpr_workgroup_id_y 0
		.amdhsa_system_sgpr_workgroup_id_z 0
		.amdhsa_system_sgpr_workgroup_info 0
		.amdhsa_system_vgpr_workitem_id 0
		.amdhsa_next_free_vgpr 1
		.amdhsa_next_free_sgpr 1
		.amdhsa_named_barrier_count 0
		.amdhsa_reserve_vcc 0
		.amdhsa_float_round_mode_32 0
		.amdhsa_float_round_mode_16_64 0
		.amdhsa_float_denorm_mode_32 3
		.amdhsa_float_denorm_mode_16_64 3
		.amdhsa_fp16_overflow 0
		.amdhsa_memory_ordered 1
		.amdhsa_forward_progress 1
		.amdhsa_inst_pref_size 0
		.amdhsa_round_robin_scheduling 0
		.amdhsa_exception_fp_ieee_invalid_op 0
		.amdhsa_exception_fp_denorm_src 0
		.amdhsa_exception_fp_ieee_div_zero 0
		.amdhsa_exception_fp_ieee_overflow 0
		.amdhsa_exception_fp_ieee_underflow 0
		.amdhsa_exception_fp_ieee_inexact 0
		.amdhsa_exception_int_div_zero 0
	.end_amdhsa_kernel
	.section	.text._ZN7rocprim17ROCPRIM_400000_NS6detail17trampoline_kernelINS0_14default_configENS1_25partition_config_selectorILNS1_17partition_subalgoE8EfNS0_10empty_typeEbEEZZNS1_14partition_implILS5_8ELb0ES3_jPKfPS6_PKS6_NS0_5tupleIJPfS6_EEENSE_IJSB_SB_EEENS0_18inequality_wrapperIN6hipcub16HIPCUB_304000_NS8EqualityEEEPlJS6_EEE10hipError_tPvRmT3_T4_T5_T6_T7_T9_mT8_P12ihipStream_tbDpT10_ENKUlT_T0_E_clISt17integral_constantIbLb0EES16_IbLb1EEEEDaS12_S13_EUlS12_E_NS1_11comp_targetILNS1_3genE3ELNS1_11target_archE908ELNS1_3gpuE7ELNS1_3repE0EEENS1_30default_config_static_selectorELNS0_4arch9wavefront6targetE0EEEvT1_,"axG",@progbits,_ZN7rocprim17ROCPRIM_400000_NS6detail17trampoline_kernelINS0_14default_configENS1_25partition_config_selectorILNS1_17partition_subalgoE8EfNS0_10empty_typeEbEEZZNS1_14partition_implILS5_8ELb0ES3_jPKfPS6_PKS6_NS0_5tupleIJPfS6_EEENSE_IJSB_SB_EEENS0_18inequality_wrapperIN6hipcub16HIPCUB_304000_NS8EqualityEEEPlJS6_EEE10hipError_tPvRmT3_T4_T5_T6_T7_T9_mT8_P12ihipStream_tbDpT10_ENKUlT_T0_E_clISt17integral_constantIbLb0EES16_IbLb1EEEEDaS12_S13_EUlS12_E_NS1_11comp_targetILNS1_3genE3ELNS1_11target_archE908ELNS1_3gpuE7ELNS1_3repE0EEENS1_30default_config_static_selectorELNS0_4arch9wavefront6targetE0EEEvT1_,comdat
.Lfunc_end368:
	.size	_ZN7rocprim17ROCPRIM_400000_NS6detail17trampoline_kernelINS0_14default_configENS1_25partition_config_selectorILNS1_17partition_subalgoE8EfNS0_10empty_typeEbEEZZNS1_14partition_implILS5_8ELb0ES3_jPKfPS6_PKS6_NS0_5tupleIJPfS6_EEENSE_IJSB_SB_EEENS0_18inequality_wrapperIN6hipcub16HIPCUB_304000_NS8EqualityEEEPlJS6_EEE10hipError_tPvRmT3_T4_T5_T6_T7_T9_mT8_P12ihipStream_tbDpT10_ENKUlT_T0_E_clISt17integral_constantIbLb0EES16_IbLb1EEEEDaS12_S13_EUlS12_E_NS1_11comp_targetILNS1_3genE3ELNS1_11target_archE908ELNS1_3gpuE7ELNS1_3repE0EEENS1_30default_config_static_selectorELNS0_4arch9wavefront6targetE0EEEvT1_, .Lfunc_end368-_ZN7rocprim17ROCPRIM_400000_NS6detail17trampoline_kernelINS0_14default_configENS1_25partition_config_selectorILNS1_17partition_subalgoE8EfNS0_10empty_typeEbEEZZNS1_14partition_implILS5_8ELb0ES3_jPKfPS6_PKS6_NS0_5tupleIJPfS6_EEENSE_IJSB_SB_EEENS0_18inequality_wrapperIN6hipcub16HIPCUB_304000_NS8EqualityEEEPlJS6_EEE10hipError_tPvRmT3_T4_T5_T6_T7_T9_mT8_P12ihipStream_tbDpT10_ENKUlT_T0_E_clISt17integral_constantIbLb0EES16_IbLb1EEEEDaS12_S13_EUlS12_E_NS1_11comp_targetILNS1_3genE3ELNS1_11target_archE908ELNS1_3gpuE7ELNS1_3repE0EEENS1_30default_config_static_selectorELNS0_4arch9wavefront6targetE0EEEvT1_
                                        ; -- End function
	.set _ZN7rocprim17ROCPRIM_400000_NS6detail17trampoline_kernelINS0_14default_configENS1_25partition_config_selectorILNS1_17partition_subalgoE8EfNS0_10empty_typeEbEEZZNS1_14partition_implILS5_8ELb0ES3_jPKfPS6_PKS6_NS0_5tupleIJPfS6_EEENSE_IJSB_SB_EEENS0_18inequality_wrapperIN6hipcub16HIPCUB_304000_NS8EqualityEEEPlJS6_EEE10hipError_tPvRmT3_T4_T5_T6_T7_T9_mT8_P12ihipStream_tbDpT10_ENKUlT_T0_E_clISt17integral_constantIbLb0EES16_IbLb1EEEEDaS12_S13_EUlS12_E_NS1_11comp_targetILNS1_3genE3ELNS1_11target_archE908ELNS1_3gpuE7ELNS1_3repE0EEENS1_30default_config_static_selectorELNS0_4arch9wavefront6targetE0EEEvT1_.num_vgpr, 0
	.set _ZN7rocprim17ROCPRIM_400000_NS6detail17trampoline_kernelINS0_14default_configENS1_25partition_config_selectorILNS1_17partition_subalgoE8EfNS0_10empty_typeEbEEZZNS1_14partition_implILS5_8ELb0ES3_jPKfPS6_PKS6_NS0_5tupleIJPfS6_EEENSE_IJSB_SB_EEENS0_18inequality_wrapperIN6hipcub16HIPCUB_304000_NS8EqualityEEEPlJS6_EEE10hipError_tPvRmT3_T4_T5_T6_T7_T9_mT8_P12ihipStream_tbDpT10_ENKUlT_T0_E_clISt17integral_constantIbLb0EES16_IbLb1EEEEDaS12_S13_EUlS12_E_NS1_11comp_targetILNS1_3genE3ELNS1_11target_archE908ELNS1_3gpuE7ELNS1_3repE0EEENS1_30default_config_static_selectorELNS0_4arch9wavefront6targetE0EEEvT1_.num_agpr, 0
	.set _ZN7rocprim17ROCPRIM_400000_NS6detail17trampoline_kernelINS0_14default_configENS1_25partition_config_selectorILNS1_17partition_subalgoE8EfNS0_10empty_typeEbEEZZNS1_14partition_implILS5_8ELb0ES3_jPKfPS6_PKS6_NS0_5tupleIJPfS6_EEENSE_IJSB_SB_EEENS0_18inequality_wrapperIN6hipcub16HIPCUB_304000_NS8EqualityEEEPlJS6_EEE10hipError_tPvRmT3_T4_T5_T6_T7_T9_mT8_P12ihipStream_tbDpT10_ENKUlT_T0_E_clISt17integral_constantIbLb0EES16_IbLb1EEEEDaS12_S13_EUlS12_E_NS1_11comp_targetILNS1_3genE3ELNS1_11target_archE908ELNS1_3gpuE7ELNS1_3repE0EEENS1_30default_config_static_selectorELNS0_4arch9wavefront6targetE0EEEvT1_.numbered_sgpr, 0
	.set _ZN7rocprim17ROCPRIM_400000_NS6detail17trampoline_kernelINS0_14default_configENS1_25partition_config_selectorILNS1_17partition_subalgoE8EfNS0_10empty_typeEbEEZZNS1_14partition_implILS5_8ELb0ES3_jPKfPS6_PKS6_NS0_5tupleIJPfS6_EEENSE_IJSB_SB_EEENS0_18inequality_wrapperIN6hipcub16HIPCUB_304000_NS8EqualityEEEPlJS6_EEE10hipError_tPvRmT3_T4_T5_T6_T7_T9_mT8_P12ihipStream_tbDpT10_ENKUlT_T0_E_clISt17integral_constantIbLb0EES16_IbLb1EEEEDaS12_S13_EUlS12_E_NS1_11comp_targetILNS1_3genE3ELNS1_11target_archE908ELNS1_3gpuE7ELNS1_3repE0EEENS1_30default_config_static_selectorELNS0_4arch9wavefront6targetE0EEEvT1_.num_named_barrier, 0
	.set _ZN7rocprim17ROCPRIM_400000_NS6detail17trampoline_kernelINS0_14default_configENS1_25partition_config_selectorILNS1_17partition_subalgoE8EfNS0_10empty_typeEbEEZZNS1_14partition_implILS5_8ELb0ES3_jPKfPS6_PKS6_NS0_5tupleIJPfS6_EEENSE_IJSB_SB_EEENS0_18inequality_wrapperIN6hipcub16HIPCUB_304000_NS8EqualityEEEPlJS6_EEE10hipError_tPvRmT3_T4_T5_T6_T7_T9_mT8_P12ihipStream_tbDpT10_ENKUlT_T0_E_clISt17integral_constantIbLb0EES16_IbLb1EEEEDaS12_S13_EUlS12_E_NS1_11comp_targetILNS1_3genE3ELNS1_11target_archE908ELNS1_3gpuE7ELNS1_3repE0EEENS1_30default_config_static_selectorELNS0_4arch9wavefront6targetE0EEEvT1_.private_seg_size, 0
	.set _ZN7rocprim17ROCPRIM_400000_NS6detail17trampoline_kernelINS0_14default_configENS1_25partition_config_selectorILNS1_17partition_subalgoE8EfNS0_10empty_typeEbEEZZNS1_14partition_implILS5_8ELb0ES3_jPKfPS6_PKS6_NS0_5tupleIJPfS6_EEENSE_IJSB_SB_EEENS0_18inequality_wrapperIN6hipcub16HIPCUB_304000_NS8EqualityEEEPlJS6_EEE10hipError_tPvRmT3_T4_T5_T6_T7_T9_mT8_P12ihipStream_tbDpT10_ENKUlT_T0_E_clISt17integral_constantIbLb0EES16_IbLb1EEEEDaS12_S13_EUlS12_E_NS1_11comp_targetILNS1_3genE3ELNS1_11target_archE908ELNS1_3gpuE7ELNS1_3repE0EEENS1_30default_config_static_selectorELNS0_4arch9wavefront6targetE0EEEvT1_.uses_vcc, 0
	.set _ZN7rocprim17ROCPRIM_400000_NS6detail17trampoline_kernelINS0_14default_configENS1_25partition_config_selectorILNS1_17partition_subalgoE8EfNS0_10empty_typeEbEEZZNS1_14partition_implILS5_8ELb0ES3_jPKfPS6_PKS6_NS0_5tupleIJPfS6_EEENSE_IJSB_SB_EEENS0_18inequality_wrapperIN6hipcub16HIPCUB_304000_NS8EqualityEEEPlJS6_EEE10hipError_tPvRmT3_T4_T5_T6_T7_T9_mT8_P12ihipStream_tbDpT10_ENKUlT_T0_E_clISt17integral_constantIbLb0EES16_IbLb1EEEEDaS12_S13_EUlS12_E_NS1_11comp_targetILNS1_3genE3ELNS1_11target_archE908ELNS1_3gpuE7ELNS1_3repE0EEENS1_30default_config_static_selectorELNS0_4arch9wavefront6targetE0EEEvT1_.uses_flat_scratch, 0
	.set _ZN7rocprim17ROCPRIM_400000_NS6detail17trampoline_kernelINS0_14default_configENS1_25partition_config_selectorILNS1_17partition_subalgoE8EfNS0_10empty_typeEbEEZZNS1_14partition_implILS5_8ELb0ES3_jPKfPS6_PKS6_NS0_5tupleIJPfS6_EEENSE_IJSB_SB_EEENS0_18inequality_wrapperIN6hipcub16HIPCUB_304000_NS8EqualityEEEPlJS6_EEE10hipError_tPvRmT3_T4_T5_T6_T7_T9_mT8_P12ihipStream_tbDpT10_ENKUlT_T0_E_clISt17integral_constantIbLb0EES16_IbLb1EEEEDaS12_S13_EUlS12_E_NS1_11comp_targetILNS1_3genE3ELNS1_11target_archE908ELNS1_3gpuE7ELNS1_3repE0EEENS1_30default_config_static_selectorELNS0_4arch9wavefront6targetE0EEEvT1_.has_dyn_sized_stack, 0
	.set _ZN7rocprim17ROCPRIM_400000_NS6detail17trampoline_kernelINS0_14default_configENS1_25partition_config_selectorILNS1_17partition_subalgoE8EfNS0_10empty_typeEbEEZZNS1_14partition_implILS5_8ELb0ES3_jPKfPS6_PKS6_NS0_5tupleIJPfS6_EEENSE_IJSB_SB_EEENS0_18inequality_wrapperIN6hipcub16HIPCUB_304000_NS8EqualityEEEPlJS6_EEE10hipError_tPvRmT3_T4_T5_T6_T7_T9_mT8_P12ihipStream_tbDpT10_ENKUlT_T0_E_clISt17integral_constantIbLb0EES16_IbLb1EEEEDaS12_S13_EUlS12_E_NS1_11comp_targetILNS1_3genE3ELNS1_11target_archE908ELNS1_3gpuE7ELNS1_3repE0EEENS1_30default_config_static_selectorELNS0_4arch9wavefront6targetE0EEEvT1_.has_recursion, 0
	.set _ZN7rocprim17ROCPRIM_400000_NS6detail17trampoline_kernelINS0_14default_configENS1_25partition_config_selectorILNS1_17partition_subalgoE8EfNS0_10empty_typeEbEEZZNS1_14partition_implILS5_8ELb0ES3_jPKfPS6_PKS6_NS0_5tupleIJPfS6_EEENSE_IJSB_SB_EEENS0_18inequality_wrapperIN6hipcub16HIPCUB_304000_NS8EqualityEEEPlJS6_EEE10hipError_tPvRmT3_T4_T5_T6_T7_T9_mT8_P12ihipStream_tbDpT10_ENKUlT_T0_E_clISt17integral_constantIbLb0EES16_IbLb1EEEEDaS12_S13_EUlS12_E_NS1_11comp_targetILNS1_3genE3ELNS1_11target_archE908ELNS1_3gpuE7ELNS1_3repE0EEENS1_30default_config_static_selectorELNS0_4arch9wavefront6targetE0EEEvT1_.has_indirect_call, 0
	.section	.AMDGPU.csdata,"",@progbits
; Kernel info:
; codeLenInByte = 0
; TotalNumSgprs: 0
; NumVgprs: 0
; ScratchSize: 0
; MemoryBound: 0
; FloatMode: 240
; IeeeMode: 1
; LDSByteSize: 0 bytes/workgroup (compile time only)
; SGPRBlocks: 0
; VGPRBlocks: 0
; NumSGPRsForWavesPerEU: 1
; NumVGPRsForWavesPerEU: 1
; NamedBarCnt: 0
; Occupancy: 16
; WaveLimiterHint : 0
; COMPUTE_PGM_RSRC2:SCRATCH_EN: 0
; COMPUTE_PGM_RSRC2:USER_SGPR: 2
; COMPUTE_PGM_RSRC2:TRAP_HANDLER: 0
; COMPUTE_PGM_RSRC2:TGID_X_EN: 1
; COMPUTE_PGM_RSRC2:TGID_Y_EN: 0
; COMPUTE_PGM_RSRC2:TGID_Z_EN: 0
; COMPUTE_PGM_RSRC2:TIDIG_COMP_CNT: 0
	.section	.text._ZN7rocprim17ROCPRIM_400000_NS6detail17trampoline_kernelINS0_14default_configENS1_25partition_config_selectorILNS1_17partition_subalgoE8EfNS0_10empty_typeEbEEZZNS1_14partition_implILS5_8ELb0ES3_jPKfPS6_PKS6_NS0_5tupleIJPfS6_EEENSE_IJSB_SB_EEENS0_18inequality_wrapperIN6hipcub16HIPCUB_304000_NS8EqualityEEEPlJS6_EEE10hipError_tPvRmT3_T4_T5_T6_T7_T9_mT8_P12ihipStream_tbDpT10_ENKUlT_T0_E_clISt17integral_constantIbLb0EES16_IbLb1EEEEDaS12_S13_EUlS12_E_NS1_11comp_targetILNS1_3genE2ELNS1_11target_archE906ELNS1_3gpuE6ELNS1_3repE0EEENS1_30default_config_static_selectorELNS0_4arch9wavefront6targetE0EEEvT1_,"axG",@progbits,_ZN7rocprim17ROCPRIM_400000_NS6detail17trampoline_kernelINS0_14default_configENS1_25partition_config_selectorILNS1_17partition_subalgoE8EfNS0_10empty_typeEbEEZZNS1_14partition_implILS5_8ELb0ES3_jPKfPS6_PKS6_NS0_5tupleIJPfS6_EEENSE_IJSB_SB_EEENS0_18inequality_wrapperIN6hipcub16HIPCUB_304000_NS8EqualityEEEPlJS6_EEE10hipError_tPvRmT3_T4_T5_T6_T7_T9_mT8_P12ihipStream_tbDpT10_ENKUlT_T0_E_clISt17integral_constantIbLb0EES16_IbLb1EEEEDaS12_S13_EUlS12_E_NS1_11comp_targetILNS1_3genE2ELNS1_11target_archE906ELNS1_3gpuE6ELNS1_3repE0EEENS1_30default_config_static_selectorELNS0_4arch9wavefront6targetE0EEEvT1_,comdat
	.protected	_ZN7rocprim17ROCPRIM_400000_NS6detail17trampoline_kernelINS0_14default_configENS1_25partition_config_selectorILNS1_17partition_subalgoE8EfNS0_10empty_typeEbEEZZNS1_14partition_implILS5_8ELb0ES3_jPKfPS6_PKS6_NS0_5tupleIJPfS6_EEENSE_IJSB_SB_EEENS0_18inequality_wrapperIN6hipcub16HIPCUB_304000_NS8EqualityEEEPlJS6_EEE10hipError_tPvRmT3_T4_T5_T6_T7_T9_mT8_P12ihipStream_tbDpT10_ENKUlT_T0_E_clISt17integral_constantIbLb0EES16_IbLb1EEEEDaS12_S13_EUlS12_E_NS1_11comp_targetILNS1_3genE2ELNS1_11target_archE906ELNS1_3gpuE6ELNS1_3repE0EEENS1_30default_config_static_selectorELNS0_4arch9wavefront6targetE0EEEvT1_ ; -- Begin function _ZN7rocprim17ROCPRIM_400000_NS6detail17trampoline_kernelINS0_14default_configENS1_25partition_config_selectorILNS1_17partition_subalgoE8EfNS0_10empty_typeEbEEZZNS1_14partition_implILS5_8ELb0ES3_jPKfPS6_PKS6_NS0_5tupleIJPfS6_EEENSE_IJSB_SB_EEENS0_18inequality_wrapperIN6hipcub16HIPCUB_304000_NS8EqualityEEEPlJS6_EEE10hipError_tPvRmT3_T4_T5_T6_T7_T9_mT8_P12ihipStream_tbDpT10_ENKUlT_T0_E_clISt17integral_constantIbLb0EES16_IbLb1EEEEDaS12_S13_EUlS12_E_NS1_11comp_targetILNS1_3genE2ELNS1_11target_archE906ELNS1_3gpuE6ELNS1_3repE0EEENS1_30default_config_static_selectorELNS0_4arch9wavefront6targetE0EEEvT1_
	.globl	_ZN7rocprim17ROCPRIM_400000_NS6detail17trampoline_kernelINS0_14default_configENS1_25partition_config_selectorILNS1_17partition_subalgoE8EfNS0_10empty_typeEbEEZZNS1_14partition_implILS5_8ELb0ES3_jPKfPS6_PKS6_NS0_5tupleIJPfS6_EEENSE_IJSB_SB_EEENS0_18inequality_wrapperIN6hipcub16HIPCUB_304000_NS8EqualityEEEPlJS6_EEE10hipError_tPvRmT3_T4_T5_T6_T7_T9_mT8_P12ihipStream_tbDpT10_ENKUlT_T0_E_clISt17integral_constantIbLb0EES16_IbLb1EEEEDaS12_S13_EUlS12_E_NS1_11comp_targetILNS1_3genE2ELNS1_11target_archE906ELNS1_3gpuE6ELNS1_3repE0EEENS1_30default_config_static_selectorELNS0_4arch9wavefront6targetE0EEEvT1_
	.p2align	8
	.type	_ZN7rocprim17ROCPRIM_400000_NS6detail17trampoline_kernelINS0_14default_configENS1_25partition_config_selectorILNS1_17partition_subalgoE8EfNS0_10empty_typeEbEEZZNS1_14partition_implILS5_8ELb0ES3_jPKfPS6_PKS6_NS0_5tupleIJPfS6_EEENSE_IJSB_SB_EEENS0_18inequality_wrapperIN6hipcub16HIPCUB_304000_NS8EqualityEEEPlJS6_EEE10hipError_tPvRmT3_T4_T5_T6_T7_T9_mT8_P12ihipStream_tbDpT10_ENKUlT_T0_E_clISt17integral_constantIbLb0EES16_IbLb1EEEEDaS12_S13_EUlS12_E_NS1_11comp_targetILNS1_3genE2ELNS1_11target_archE906ELNS1_3gpuE6ELNS1_3repE0EEENS1_30default_config_static_selectorELNS0_4arch9wavefront6targetE0EEEvT1_,@function
_ZN7rocprim17ROCPRIM_400000_NS6detail17trampoline_kernelINS0_14default_configENS1_25partition_config_selectorILNS1_17partition_subalgoE8EfNS0_10empty_typeEbEEZZNS1_14partition_implILS5_8ELb0ES3_jPKfPS6_PKS6_NS0_5tupleIJPfS6_EEENSE_IJSB_SB_EEENS0_18inequality_wrapperIN6hipcub16HIPCUB_304000_NS8EqualityEEEPlJS6_EEE10hipError_tPvRmT3_T4_T5_T6_T7_T9_mT8_P12ihipStream_tbDpT10_ENKUlT_T0_E_clISt17integral_constantIbLb0EES16_IbLb1EEEEDaS12_S13_EUlS12_E_NS1_11comp_targetILNS1_3genE2ELNS1_11target_archE906ELNS1_3gpuE6ELNS1_3repE0EEENS1_30default_config_static_selectorELNS0_4arch9wavefront6targetE0EEEvT1_: ; @_ZN7rocprim17ROCPRIM_400000_NS6detail17trampoline_kernelINS0_14default_configENS1_25partition_config_selectorILNS1_17partition_subalgoE8EfNS0_10empty_typeEbEEZZNS1_14partition_implILS5_8ELb0ES3_jPKfPS6_PKS6_NS0_5tupleIJPfS6_EEENSE_IJSB_SB_EEENS0_18inequality_wrapperIN6hipcub16HIPCUB_304000_NS8EqualityEEEPlJS6_EEE10hipError_tPvRmT3_T4_T5_T6_T7_T9_mT8_P12ihipStream_tbDpT10_ENKUlT_T0_E_clISt17integral_constantIbLb0EES16_IbLb1EEEEDaS12_S13_EUlS12_E_NS1_11comp_targetILNS1_3genE2ELNS1_11target_archE906ELNS1_3gpuE6ELNS1_3repE0EEENS1_30default_config_static_selectorELNS0_4arch9wavefront6targetE0EEEvT1_
; %bb.0:
	.section	.rodata,"a",@progbits
	.p2align	6, 0x0
	.amdhsa_kernel _ZN7rocprim17ROCPRIM_400000_NS6detail17trampoline_kernelINS0_14default_configENS1_25partition_config_selectorILNS1_17partition_subalgoE8EfNS0_10empty_typeEbEEZZNS1_14partition_implILS5_8ELb0ES3_jPKfPS6_PKS6_NS0_5tupleIJPfS6_EEENSE_IJSB_SB_EEENS0_18inequality_wrapperIN6hipcub16HIPCUB_304000_NS8EqualityEEEPlJS6_EEE10hipError_tPvRmT3_T4_T5_T6_T7_T9_mT8_P12ihipStream_tbDpT10_ENKUlT_T0_E_clISt17integral_constantIbLb0EES16_IbLb1EEEEDaS12_S13_EUlS12_E_NS1_11comp_targetILNS1_3genE2ELNS1_11target_archE906ELNS1_3gpuE6ELNS1_3repE0EEENS1_30default_config_static_selectorELNS0_4arch9wavefront6targetE0EEEvT1_
		.amdhsa_group_segment_fixed_size 0
		.amdhsa_private_segment_fixed_size 0
		.amdhsa_kernarg_size 128
		.amdhsa_user_sgpr_count 2
		.amdhsa_user_sgpr_dispatch_ptr 0
		.amdhsa_user_sgpr_queue_ptr 0
		.amdhsa_user_sgpr_kernarg_segment_ptr 1
		.amdhsa_user_sgpr_dispatch_id 0
		.amdhsa_user_sgpr_kernarg_preload_length 0
		.amdhsa_user_sgpr_kernarg_preload_offset 0
		.amdhsa_user_sgpr_private_segment_size 0
		.amdhsa_wavefront_size32 1
		.amdhsa_uses_dynamic_stack 0
		.amdhsa_enable_private_segment 0
		.amdhsa_system_sgpr_workgroup_id_x 1
		.amdhsa_system_sgpr_workgroup_id_y 0
		.amdhsa_system_sgpr_workgroup_id_z 0
		.amdhsa_system_sgpr_workgroup_info 0
		.amdhsa_system_vgpr_workitem_id 0
		.amdhsa_next_free_vgpr 1
		.amdhsa_next_free_sgpr 1
		.amdhsa_named_barrier_count 0
		.amdhsa_reserve_vcc 0
		.amdhsa_float_round_mode_32 0
		.amdhsa_float_round_mode_16_64 0
		.amdhsa_float_denorm_mode_32 3
		.amdhsa_float_denorm_mode_16_64 3
		.amdhsa_fp16_overflow 0
		.amdhsa_memory_ordered 1
		.amdhsa_forward_progress 1
		.amdhsa_inst_pref_size 0
		.amdhsa_round_robin_scheduling 0
		.amdhsa_exception_fp_ieee_invalid_op 0
		.amdhsa_exception_fp_denorm_src 0
		.amdhsa_exception_fp_ieee_div_zero 0
		.amdhsa_exception_fp_ieee_overflow 0
		.amdhsa_exception_fp_ieee_underflow 0
		.amdhsa_exception_fp_ieee_inexact 0
		.amdhsa_exception_int_div_zero 0
	.end_amdhsa_kernel
	.section	.text._ZN7rocprim17ROCPRIM_400000_NS6detail17trampoline_kernelINS0_14default_configENS1_25partition_config_selectorILNS1_17partition_subalgoE8EfNS0_10empty_typeEbEEZZNS1_14partition_implILS5_8ELb0ES3_jPKfPS6_PKS6_NS0_5tupleIJPfS6_EEENSE_IJSB_SB_EEENS0_18inequality_wrapperIN6hipcub16HIPCUB_304000_NS8EqualityEEEPlJS6_EEE10hipError_tPvRmT3_T4_T5_T6_T7_T9_mT8_P12ihipStream_tbDpT10_ENKUlT_T0_E_clISt17integral_constantIbLb0EES16_IbLb1EEEEDaS12_S13_EUlS12_E_NS1_11comp_targetILNS1_3genE2ELNS1_11target_archE906ELNS1_3gpuE6ELNS1_3repE0EEENS1_30default_config_static_selectorELNS0_4arch9wavefront6targetE0EEEvT1_,"axG",@progbits,_ZN7rocprim17ROCPRIM_400000_NS6detail17trampoline_kernelINS0_14default_configENS1_25partition_config_selectorILNS1_17partition_subalgoE8EfNS0_10empty_typeEbEEZZNS1_14partition_implILS5_8ELb0ES3_jPKfPS6_PKS6_NS0_5tupleIJPfS6_EEENSE_IJSB_SB_EEENS0_18inequality_wrapperIN6hipcub16HIPCUB_304000_NS8EqualityEEEPlJS6_EEE10hipError_tPvRmT3_T4_T5_T6_T7_T9_mT8_P12ihipStream_tbDpT10_ENKUlT_T0_E_clISt17integral_constantIbLb0EES16_IbLb1EEEEDaS12_S13_EUlS12_E_NS1_11comp_targetILNS1_3genE2ELNS1_11target_archE906ELNS1_3gpuE6ELNS1_3repE0EEENS1_30default_config_static_selectorELNS0_4arch9wavefront6targetE0EEEvT1_,comdat
.Lfunc_end369:
	.size	_ZN7rocprim17ROCPRIM_400000_NS6detail17trampoline_kernelINS0_14default_configENS1_25partition_config_selectorILNS1_17partition_subalgoE8EfNS0_10empty_typeEbEEZZNS1_14partition_implILS5_8ELb0ES3_jPKfPS6_PKS6_NS0_5tupleIJPfS6_EEENSE_IJSB_SB_EEENS0_18inequality_wrapperIN6hipcub16HIPCUB_304000_NS8EqualityEEEPlJS6_EEE10hipError_tPvRmT3_T4_T5_T6_T7_T9_mT8_P12ihipStream_tbDpT10_ENKUlT_T0_E_clISt17integral_constantIbLb0EES16_IbLb1EEEEDaS12_S13_EUlS12_E_NS1_11comp_targetILNS1_3genE2ELNS1_11target_archE906ELNS1_3gpuE6ELNS1_3repE0EEENS1_30default_config_static_selectorELNS0_4arch9wavefront6targetE0EEEvT1_, .Lfunc_end369-_ZN7rocprim17ROCPRIM_400000_NS6detail17trampoline_kernelINS0_14default_configENS1_25partition_config_selectorILNS1_17partition_subalgoE8EfNS0_10empty_typeEbEEZZNS1_14partition_implILS5_8ELb0ES3_jPKfPS6_PKS6_NS0_5tupleIJPfS6_EEENSE_IJSB_SB_EEENS0_18inequality_wrapperIN6hipcub16HIPCUB_304000_NS8EqualityEEEPlJS6_EEE10hipError_tPvRmT3_T4_T5_T6_T7_T9_mT8_P12ihipStream_tbDpT10_ENKUlT_T0_E_clISt17integral_constantIbLb0EES16_IbLb1EEEEDaS12_S13_EUlS12_E_NS1_11comp_targetILNS1_3genE2ELNS1_11target_archE906ELNS1_3gpuE6ELNS1_3repE0EEENS1_30default_config_static_selectorELNS0_4arch9wavefront6targetE0EEEvT1_
                                        ; -- End function
	.set _ZN7rocprim17ROCPRIM_400000_NS6detail17trampoline_kernelINS0_14default_configENS1_25partition_config_selectorILNS1_17partition_subalgoE8EfNS0_10empty_typeEbEEZZNS1_14partition_implILS5_8ELb0ES3_jPKfPS6_PKS6_NS0_5tupleIJPfS6_EEENSE_IJSB_SB_EEENS0_18inequality_wrapperIN6hipcub16HIPCUB_304000_NS8EqualityEEEPlJS6_EEE10hipError_tPvRmT3_T4_T5_T6_T7_T9_mT8_P12ihipStream_tbDpT10_ENKUlT_T0_E_clISt17integral_constantIbLb0EES16_IbLb1EEEEDaS12_S13_EUlS12_E_NS1_11comp_targetILNS1_3genE2ELNS1_11target_archE906ELNS1_3gpuE6ELNS1_3repE0EEENS1_30default_config_static_selectorELNS0_4arch9wavefront6targetE0EEEvT1_.num_vgpr, 0
	.set _ZN7rocprim17ROCPRIM_400000_NS6detail17trampoline_kernelINS0_14default_configENS1_25partition_config_selectorILNS1_17partition_subalgoE8EfNS0_10empty_typeEbEEZZNS1_14partition_implILS5_8ELb0ES3_jPKfPS6_PKS6_NS0_5tupleIJPfS6_EEENSE_IJSB_SB_EEENS0_18inequality_wrapperIN6hipcub16HIPCUB_304000_NS8EqualityEEEPlJS6_EEE10hipError_tPvRmT3_T4_T5_T6_T7_T9_mT8_P12ihipStream_tbDpT10_ENKUlT_T0_E_clISt17integral_constantIbLb0EES16_IbLb1EEEEDaS12_S13_EUlS12_E_NS1_11comp_targetILNS1_3genE2ELNS1_11target_archE906ELNS1_3gpuE6ELNS1_3repE0EEENS1_30default_config_static_selectorELNS0_4arch9wavefront6targetE0EEEvT1_.num_agpr, 0
	.set _ZN7rocprim17ROCPRIM_400000_NS6detail17trampoline_kernelINS0_14default_configENS1_25partition_config_selectorILNS1_17partition_subalgoE8EfNS0_10empty_typeEbEEZZNS1_14partition_implILS5_8ELb0ES3_jPKfPS6_PKS6_NS0_5tupleIJPfS6_EEENSE_IJSB_SB_EEENS0_18inequality_wrapperIN6hipcub16HIPCUB_304000_NS8EqualityEEEPlJS6_EEE10hipError_tPvRmT3_T4_T5_T6_T7_T9_mT8_P12ihipStream_tbDpT10_ENKUlT_T0_E_clISt17integral_constantIbLb0EES16_IbLb1EEEEDaS12_S13_EUlS12_E_NS1_11comp_targetILNS1_3genE2ELNS1_11target_archE906ELNS1_3gpuE6ELNS1_3repE0EEENS1_30default_config_static_selectorELNS0_4arch9wavefront6targetE0EEEvT1_.numbered_sgpr, 0
	.set _ZN7rocprim17ROCPRIM_400000_NS6detail17trampoline_kernelINS0_14default_configENS1_25partition_config_selectorILNS1_17partition_subalgoE8EfNS0_10empty_typeEbEEZZNS1_14partition_implILS5_8ELb0ES3_jPKfPS6_PKS6_NS0_5tupleIJPfS6_EEENSE_IJSB_SB_EEENS0_18inequality_wrapperIN6hipcub16HIPCUB_304000_NS8EqualityEEEPlJS6_EEE10hipError_tPvRmT3_T4_T5_T6_T7_T9_mT8_P12ihipStream_tbDpT10_ENKUlT_T0_E_clISt17integral_constantIbLb0EES16_IbLb1EEEEDaS12_S13_EUlS12_E_NS1_11comp_targetILNS1_3genE2ELNS1_11target_archE906ELNS1_3gpuE6ELNS1_3repE0EEENS1_30default_config_static_selectorELNS0_4arch9wavefront6targetE0EEEvT1_.num_named_barrier, 0
	.set _ZN7rocprim17ROCPRIM_400000_NS6detail17trampoline_kernelINS0_14default_configENS1_25partition_config_selectorILNS1_17partition_subalgoE8EfNS0_10empty_typeEbEEZZNS1_14partition_implILS5_8ELb0ES3_jPKfPS6_PKS6_NS0_5tupleIJPfS6_EEENSE_IJSB_SB_EEENS0_18inequality_wrapperIN6hipcub16HIPCUB_304000_NS8EqualityEEEPlJS6_EEE10hipError_tPvRmT3_T4_T5_T6_T7_T9_mT8_P12ihipStream_tbDpT10_ENKUlT_T0_E_clISt17integral_constantIbLb0EES16_IbLb1EEEEDaS12_S13_EUlS12_E_NS1_11comp_targetILNS1_3genE2ELNS1_11target_archE906ELNS1_3gpuE6ELNS1_3repE0EEENS1_30default_config_static_selectorELNS0_4arch9wavefront6targetE0EEEvT1_.private_seg_size, 0
	.set _ZN7rocprim17ROCPRIM_400000_NS6detail17trampoline_kernelINS0_14default_configENS1_25partition_config_selectorILNS1_17partition_subalgoE8EfNS0_10empty_typeEbEEZZNS1_14partition_implILS5_8ELb0ES3_jPKfPS6_PKS6_NS0_5tupleIJPfS6_EEENSE_IJSB_SB_EEENS0_18inequality_wrapperIN6hipcub16HIPCUB_304000_NS8EqualityEEEPlJS6_EEE10hipError_tPvRmT3_T4_T5_T6_T7_T9_mT8_P12ihipStream_tbDpT10_ENKUlT_T0_E_clISt17integral_constantIbLb0EES16_IbLb1EEEEDaS12_S13_EUlS12_E_NS1_11comp_targetILNS1_3genE2ELNS1_11target_archE906ELNS1_3gpuE6ELNS1_3repE0EEENS1_30default_config_static_selectorELNS0_4arch9wavefront6targetE0EEEvT1_.uses_vcc, 0
	.set _ZN7rocprim17ROCPRIM_400000_NS6detail17trampoline_kernelINS0_14default_configENS1_25partition_config_selectorILNS1_17partition_subalgoE8EfNS0_10empty_typeEbEEZZNS1_14partition_implILS5_8ELb0ES3_jPKfPS6_PKS6_NS0_5tupleIJPfS6_EEENSE_IJSB_SB_EEENS0_18inequality_wrapperIN6hipcub16HIPCUB_304000_NS8EqualityEEEPlJS6_EEE10hipError_tPvRmT3_T4_T5_T6_T7_T9_mT8_P12ihipStream_tbDpT10_ENKUlT_T0_E_clISt17integral_constantIbLb0EES16_IbLb1EEEEDaS12_S13_EUlS12_E_NS1_11comp_targetILNS1_3genE2ELNS1_11target_archE906ELNS1_3gpuE6ELNS1_3repE0EEENS1_30default_config_static_selectorELNS0_4arch9wavefront6targetE0EEEvT1_.uses_flat_scratch, 0
	.set _ZN7rocprim17ROCPRIM_400000_NS6detail17trampoline_kernelINS0_14default_configENS1_25partition_config_selectorILNS1_17partition_subalgoE8EfNS0_10empty_typeEbEEZZNS1_14partition_implILS5_8ELb0ES3_jPKfPS6_PKS6_NS0_5tupleIJPfS6_EEENSE_IJSB_SB_EEENS0_18inequality_wrapperIN6hipcub16HIPCUB_304000_NS8EqualityEEEPlJS6_EEE10hipError_tPvRmT3_T4_T5_T6_T7_T9_mT8_P12ihipStream_tbDpT10_ENKUlT_T0_E_clISt17integral_constantIbLb0EES16_IbLb1EEEEDaS12_S13_EUlS12_E_NS1_11comp_targetILNS1_3genE2ELNS1_11target_archE906ELNS1_3gpuE6ELNS1_3repE0EEENS1_30default_config_static_selectorELNS0_4arch9wavefront6targetE0EEEvT1_.has_dyn_sized_stack, 0
	.set _ZN7rocprim17ROCPRIM_400000_NS6detail17trampoline_kernelINS0_14default_configENS1_25partition_config_selectorILNS1_17partition_subalgoE8EfNS0_10empty_typeEbEEZZNS1_14partition_implILS5_8ELb0ES3_jPKfPS6_PKS6_NS0_5tupleIJPfS6_EEENSE_IJSB_SB_EEENS0_18inequality_wrapperIN6hipcub16HIPCUB_304000_NS8EqualityEEEPlJS6_EEE10hipError_tPvRmT3_T4_T5_T6_T7_T9_mT8_P12ihipStream_tbDpT10_ENKUlT_T0_E_clISt17integral_constantIbLb0EES16_IbLb1EEEEDaS12_S13_EUlS12_E_NS1_11comp_targetILNS1_3genE2ELNS1_11target_archE906ELNS1_3gpuE6ELNS1_3repE0EEENS1_30default_config_static_selectorELNS0_4arch9wavefront6targetE0EEEvT1_.has_recursion, 0
	.set _ZN7rocprim17ROCPRIM_400000_NS6detail17trampoline_kernelINS0_14default_configENS1_25partition_config_selectorILNS1_17partition_subalgoE8EfNS0_10empty_typeEbEEZZNS1_14partition_implILS5_8ELb0ES3_jPKfPS6_PKS6_NS0_5tupleIJPfS6_EEENSE_IJSB_SB_EEENS0_18inequality_wrapperIN6hipcub16HIPCUB_304000_NS8EqualityEEEPlJS6_EEE10hipError_tPvRmT3_T4_T5_T6_T7_T9_mT8_P12ihipStream_tbDpT10_ENKUlT_T0_E_clISt17integral_constantIbLb0EES16_IbLb1EEEEDaS12_S13_EUlS12_E_NS1_11comp_targetILNS1_3genE2ELNS1_11target_archE906ELNS1_3gpuE6ELNS1_3repE0EEENS1_30default_config_static_selectorELNS0_4arch9wavefront6targetE0EEEvT1_.has_indirect_call, 0
	.section	.AMDGPU.csdata,"",@progbits
; Kernel info:
; codeLenInByte = 0
; TotalNumSgprs: 0
; NumVgprs: 0
; ScratchSize: 0
; MemoryBound: 0
; FloatMode: 240
; IeeeMode: 1
; LDSByteSize: 0 bytes/workgroup (compile time only)
; SGPRBlocks: 0
; VGPRBlocks: 0
; NumSGPRsForWavesPerEU: 1
; NumVGPRsForWavesPerEU: 1
; NamedBarCnt: 0
; Occupancy: 16
; WaveLimiterHint : 0
; COMPUTE_PGM_RSRC2:SCRATCH_EN: 0
; COMPUTE_PGM_RSRC2:USER_SGPR: 2
; COMPUTE_PGM_RSRC2:TRAP_HANDLER: 0
; COMPUTE_PGM_RSRC2:TGID_X_EN: 1
; COMPUTE_PGM_RSRC2:TGID_Y_EN: 0
; COMPUTE_PGM_RSRC2:TGID_Z_EN: 0
; COMPUTE_PGM_RSRC2:TIDIG_COMP_CNT: 0
	.section	.text._ZN7rocprim17ROCPRIM_400000_NS6detail17trampoline_kernelINS0_14default_configENS1_25partition_config_selectorILNS1_17partition_subalgoE8EfNS0_10empty_typeEbEEZZNS1_14partition_implILS5_8ELb0ES3_jPKfPS6_PKS6_NS0_5tupleIJPfS6_EEENSE_IJSB_SB_EEENS0_18inequality_wrapperIN6hipcub16HIPCUB_304000_NS8EqualityEEEPlJS6_EEE10hipError_tPvRmT3_T4_T5_T6_T7_T9_mT8_P12ihipStream_tbDpT10_ENKUlT_T0_E_clISt17integral_constantIbLb0EES16_IbLb1EEEEDaS12_S13_EUlS12_E_NS1_11comp_targetILNS1_3genE10ELNS1_11target_archE1200ELNS1_3gpuE4ELNS1_3repE0EEENS1_30default_config_static_selectorELNS0_4arch9wavefront6targetE0EEEvT1_,"axG",@progbits,_ZN7rocprim17ROCPRIM_400000_NS6detail17trampoline_kernelINS0_14default_configENS1_25partition_config_selectorILNS1_17partition_subalgoE8EfNS0_10empty_typeEbEEZZNS1_14partition_implILS5_8ELb0ES3_jPKfPS6_PKS6_NS0_5tupleIJPfS6_EEENSE_IJSB_SB_EEENS0_18inequality_wrapperIN6hipcub16HIPCUB_304000_NS8EqualityEEEPlJS6_EEE10hipError_tPvRmT3_T4_T5_T6_T7_T9_mT8_P12ihipStream_tbDpT10_ENKUlT_T0_E_clISt17integral_constantIbLb0EES16_IbLb1EEEEDaS12_S13_EUlS12_E_NS1_11comp_targetILNS1_3genE10ELNS1_11target_archE1200ELNS1_3gpuE4ELNS1_3repE0EEENS1_30default_config_static_selectorELNS0_4arch9wavefront6targetE0EEEvT1_,comdat
	.protected	_ZN7rocprim17ROCPRIM_400000_NS6detail17trampoline_kernelINS0_14default_configENS1_25partition_config_selectorILNS1_17partition_subalgoE8EfNS0_10empty_typeEbEEZZNS1_14partition_implILS5_8ELb0ES3_jPKfPS6_PKS6_NS0_5tupleIJPfS6_EEENSE_IJSB_SB_EEENS0_18inequality_wrapperIN6hipcub16HIPCUB_304000_NS8EqualityEEEPlJS6_EEE10hipError_tPvRmT3_T4_T5_T6_T7_T9_mT8_P12ihipStream_tbDpT10_ENKUlT_T0_E_clISt17integral_constantIbLb0EES16_IbLb1EEEEDaS12_S13_EUlS12_E_NS1_11comp_targetILNS1_3genE10ELNS1_11target_archE1200ELNS1_3gpuE4ELNS1_3repE0EEENS1_30default_config_static_selectorELNS0_4arch9wavefront6targetE0EEEvT1_ ; -- Begin function _ZN7rocprim17ROCPRIM_400000_NS6detail17trampoline_kernelINS0_14default_configENS1_25partition_config_selectorILNS1_17partition_subalgoE8EfNS0_10empty_typeEbEEZZNS1_14partition_implILS5_8ELb0ES3_jPKfPS6_PKS6_NS0_5tupleIJPfS6_EEENSE_IJSB_SB_EEENS0_18inequality_wrapperIN6hipcub16HIPCUB_304000_NS8EqualityEEEPlJS6_EEE10hipError_tPvRmT3_T4_T5_T6_T7_T9_mT8_P12ihipStream_tbDpT10_ENKUlT_T0_E_clISt17integral_constantIbLb0EES16_IbLb1EEEEDaS12_S13_EUlS12_E_NS1_11comp_targetILNS1_3genE10ELNS1_11target_archE1200ELNS1_3gpuE4ELNS1_3repE0EEENS1_30default_config_static_selectorELNS0_4arch9wavefront6targetE0EEEvT1_
	.globl	_ZN7rocprim17ROCPRIM_400000_NS6detail17trampoline_kernelINS0_14default_configENS1_25partition_config_selectorILNS1_17partition_subalgoE8EfNS0_10empty_typeEbEEZZNS1_14partition_implILS5_8ELb0ES3_jPKfPS6_PKS6_NS0_5tupleIJPfS6_EEENSE_IJSB_SB_EEENS0_18inequality_wrapperIN6hipcub16HIPCUB_304000_NS8EqualityEEEPlJS6_EEE10hipError_tPvRmT3_T4_T5_T6_T7_T9_mT8_P12ihipStream_tbDpT10_ENKUlT_T0_E_clISt17integral_constantIbLb0EES16_IbLb1EEEEDaS12_S13_EUlS12_E_NS1_11comp_targetILNS1_3genE10ELNS1_11target_archE1200ELNS1_3gpuE4ELNS1_3repE0EEENS1_30default_config_static_selectorELNS0_4arch9wavefront6targetE0EEEvT1_
	.p2align	8
	.type	_ZN7rocprim17ROCPRIM_400000_NS6detail17trampoline_kernelINS0_14default_configENS1_25partition_config_selectorILNS1_17partition_subalgoE8EfNS0_10empty_typeEbEEZZNS1_14partition_implILS5_8ELb0ES3_jPKfPS6_PKS6_NS0_5tupleIJPfS6_EEENSE_IJSB_SB_EEENS0_18inequality_wrapperIN6hipcub16HIPCUB_304000_NS8EqualityEEEPlJS6_EEE10hipError_tPvRmT3_T4_T5_T6_T7_T9_mT8_P12ihipStream_tbDpT10_ENKUlT_T0_E_clISt17integral_constantIbLb0EES16_IbLb1EEEEDaS12_S13_EUlS12_E_NS1_11comp_targetILNS1_3genE10ELNS1_11target_archE1200ELNS1_3gpuE4ELNS1_3repE0EEENS1_30default_config_static_selectorELNS0_4arch9wavefront6targetE0EEEvT1_,@function
_ZN7rocprim17ROCPRIM_400000_NS6detail17trampoline_kernelINS0_14default_configENS1_25partition_config_selectorILNS1_17partition_subalgoE8EfNS0_10empty_typeEbEEZZNS1_14partition_implILS5_8ELb0ES3_jPKfPS6_PKS6_NS0_5tupleIJPfS6_EEENSE_IJSB_SB_EEENS0_18inequality_wrapperIN6hipcub16HIPCUB_304000_NS8EqualityEEEPlJS6_EEE10hipError_tPvRmT3_T4_T5_T6_T7_T9_mT8_P12ihipStream_tbDpT10_ENKUlT_T0_E_clISt17integral_constantIbLb0EES16_IbLb1EEEEDaS12_S13_EUlS12_E_NS1_11comp_targetILNS1_3genE10ELNS1_11target_archE1200ELNS1_3gpuE4ELNS1_3repE0EEENS1_30default_config_static_selectorELNS0_4arch9wavefront6targetE0EEEvT1_: ; @_ZN7rocprim17ROCPRIM_400000_NS6detail17trampoline_kernelINS0_14default_configENS1_25partition_config_selectorILNS1_17partition_subalgoE8EfNS0_10empty_typeEbEEZZNS1_14partition_implILS5_8ELb0ES3_jPKfPS6_PKS6_NS0_5tupleIJPfS6_EEENSE_IJSB_SB_EEENS0_18inequality_wrapperIN6hipcub16HIPCUB_304000_NS8EqualityEEEPlJS6_EEE10hipError_tPvRmT3_T4_T5_T6_T7_T9_mT8_P12ihipStream_tbDpT10_ENKUlT_T0_E_clISt17integral_constantIbLb0EES16_IbLb1EEEEDaS12_S13_EUlS12_E_NS1_11comp_targetILNS1_3genE10ELNS1_11target_archE1200ELNS1_3gpuE4ELNS1_3repE0EEENS1_30default_config_static_selectorELNS0_4arch9wavefront6targetE0EEEvT1_
; %bb.0:
	.section	.rodata,"a",@progbits
	.p2align	6, 0x0
	.amdhsa_kernel _ZN7rocprim17ROCPRIM_400000_NS6detail17trampoline_kernelINS0_14default_configENS1_25partition_config_selectorILNS1_17partition_subalgoE8EfNS0_10empty_typeEbEEZZNS1_14partition_implILS5_8ELb0ES3_jPKfPS6_PKS6_NS0_5tupleIJPfS6_EEENSE_IJSB_SB_EEENS0_18inequality_wrapperIN6hipcub16HIPCUB_304000_NS8EqualityEEEPlJS6_EEE10hipError_tPvRmT3_T4_T5_T6_T7_T9_mT8_P12ihipStream_tbDpT10_ENKUlT_T0_E_clISt17integral_constantIbLb0EES16_IbLb1EEEEDaS12_S13_EUlS12_E_NS1_11comp_targetILNS1_3genE10ELNS1_11target_archE1200ELNS1_3gpuE4ELNS1_3repE0EEENS1_30default_config_static_selectorELNS0_4arch9wavefront6targetE0EEEvT1_
		.amdhsa_group_segment_fixed_size 0
		.amdhsa_private_segment_fixed_size 0
		.amdhsa_kernarg_size 128
		.amdhsa_user_sgpr_count 2
		.amdhsa_user_sgpr_dispatch_ptr 0
		.amdhsa_user_sgpr_queue_ptr 0
		.amdhsa_user_sgpr_kernarg_segment_ptr 1
		.amdhsa_user_sgpr_dispatch_id 0
		.amdhsa_user_sgpr_kernarg_preload_length 0
		.amdhsa_user_sgpr_kernarg_preload_offset 0
		.amdhsa_user_sgpr_private_segment_size 0
		.amdhsa_wavefront_size32 1
		.amdhsa_uses_dynamic_stack 0
		.amdhsa_enable_private_segment 0
		.amdhsa_system_sgpr_workgroup_id_x 1
		.amdhsa_system_sgpr_workgroup_id_y 0
		.amdhsa_system_sgpr_workgroup_id_z 0
		.amdhsa_system_sgpr_workgroup_info 0
		.amdhsa_system_vgpr_workitem_id 0
		.amdhsa_next_free_vgpr 1
		.amdhsa_next_free_sgpr 1
		.amdhsa_named_barrier_count 0
		.amdhsa_reserve_vcc 0
		.amdhsa_float_round_mode_32 0
		.amdhsa_float_round_mode_16_64 0
		.amdhsa_float_denorm_mode_32 3
		.amdhsa_float_denorm_mode_16_64 3
		.amdhsa_fp16_overflow 0
		.amdhsa_memory_ordered 1
		.amdhsa_forward_progress 1
		.amdhsa_inst_pref_size 0
		.amdhsa_round_robin_scheduling 0
		.amdhsa_exception_fp_ieee_invalid_op 0
		.amdhsa_exception_fp_denorm_src 0
		.amdhsa_exception_fp_ieee_div_zero 0
		.amdhsa_exception_fp_ieee_overflow 0
		.amdhsa_exception_fp_ieee_underflow 0
		.amdhsa_exception_fp_ieee_inexact 0
		.amdhsa_exception_int_div_zero 0
	.end_amdhsa_kernel
	.section	.text._ZN7rocprim17ROCPRIM_400000_NS6detail17trampoline_kernelINS0_14default_configENS1_25partition_config_selectorILNS1_17partition_subalgoE8EfNS0_10empty_typeEbEEZZNS1_14partition_implILS5_8ELb0ES3_jPKfPS6_PKS6_NS0_5tupleIJPfS6_EEENSE_IJSB_SB_EEENS0_18inequality_wrapperIN6hipcub16HIPCUB_304000_NS8EqualityEEEPlJS6_EEE10hipError_tPvRmT3_T4_T5_T6_T7_T9_mT8_P12ihipStream_tbDpT10_ENKUlT_T0_E_clISt17integral_constantIbLb0EES16_IbLb1EEEEDaS12_S13_EUlS12_E_NS1_11comp_targetILNS1_3genE10ELNS1_11target_archE1200ELNS1_3gpuE4ELNS1_3repE0EEENS1_30default_config_static_selectorELNS0_4arch9wavefront6targetE0EEEvT1_,"axG",@progbits,_ZN7rocprim17ROCPRIM_400000_NS6detail17trampoline_kernelINS0_14default_configENS1_25partition_config_selectorILNS1_17partition_subalgoE8EfNS0_10empty_typeEbEEZZNS1_14partition_implILS5_8ELb0ES3_jPKfPS6_PKS6_NS0_5tupleIJPfS6_EEENSE_IJSB_SB_EEENS0_18inequality_wrapperIN6hipcub16HIPCUB_304000_NS8EqualityEEEPlJS6_EEE10hipError_tPvRmT3_T4_T5_T6_T7_T9_mT8_P12ihipStream_tbDpT10_ENKUlT_T0_E_clISt17integral_constantIbLb0EES16_IbLb1EEEEDaS12_S13_EUlS12_E_NS1_11comp_targetILNS1_3genE10ELNS1_11target_archE1200ELNS1_3gpuE4ELNS1_3repE0EEENS1_30default_config_static_selectorELNS0_4arch9wavefront6targetE0EEEvT1_,comdat
.Lfunc_end370:
	.size	_ZN7rocprim17ROCPRIM_400000_NS6detail17trampoline_kernelINS0_14default_configENS1_25partition_config_selectorILNS1_17partition_subalgoE8EfNS0_10empty_typeEbEEZZNS1_14partition_implILS5_8ELb0ES3_jPKfPS6_PKS6_NS0_5tupleIJPfS6_EEENSE_IJSB_SB_EEENS0_18inequality_wrapperIN6hipcub16HIPCUB_304000_NS8EqualityEEEPlJS6_EEE10hipError_tPvRmT3_T4_T5_T6_T7_T9_mT8_P12ihipStream_tbDpT10_ENKUlT_T0_E_clISt17integral_constantIbLb0EES16_IbLb1EEEEDaS12_S13_EUlS12_E_NS1_11comp_targetILNS1_3genE10ELNS1_11target_archE1200ELNS1_3gpuE4ELNS1_3repE0EEENS1_30default_config_static_selectorELNS0_4arch9wavefront6targetE0EEEvT1_, .Lfunc_end370-_ZN7rocprim17ROCPRIM_400000_NS6detail17trampoline_kernelINS0_14default_configENS1_25partition_config_selectorILNS1_17partition_subalgoE8EfNS0_10empty_typeEbEEZZNS1_14partition_implILS5_8ELb0ES3_jPKfPS6_PKS6_NS0_5tupleIJPfS6_EEENSE_IJSB_SB_EEENS0_18inequality_wrapperIN6hipcub16HIPCUB_304000_NS8EqualityEEEPlJS6_EEE10hipError_tPvRmT3_T4_T5_T6_T7_T9_mT8_P12ihipStream_tbDpT10_ENKUlT_T0_E_clISt17integral_constantIbLb0EES16_IbLb1EEEEDaS12_S13_EUlS12_E_NS1_11comp_targetILNS1_3genE10ELNS1_11target_archE1200ELNS1_3gpuE4ELNS1_3repE0EEENS1_30default_config_static_selectorELNS0_4arch9wavefront6targetE0EEEvT1_
                                        ; -- End function
	.set _ZN7rocprim17ROCPRIM_400000_NS6detail17trampoline_kernelINS0_14default_configENS1_25partition_config_selectorILNS1_17partition_subalgoE8EfNS0_10empty_typeEbEEZZNS1_14partition_implILS5_8ELb0ES3_jPKfPS6_PKS6_NS0_5tupleIJPfS6_EEENSE_IJSB_SB_EEENS0_18inequality_wrapperIN6hipcub16HIPCUB_304000_NS8EqualityEEEPlJS6_EEE10hipError_tPvRmT3_T4_T5_T6_T7_T9_mT8_P12ihipStream_tbDpT10_ENKUlT_T0_E_clISt17integral_constantIbLb0EES16_IbLb1EEEEDaS12_S13_EUlS12_E_NS1_11comp_targetILNS1_3genE10ELNS1_11target_archE1200ELNS1_3gpuE4ELNS1_3repE0EEENS1_30default_config_static_selectorELNS0_4arch9wavefront6targetE0EEEvT1_.num_vgpr, 0
	.set _ZN7rocprim17ROCPRIM_400000_NS6detail17trampoline_kernelINS0_14default_configENS1_25partition_config_selectorILNS1_17partition_subalgoE8EfNS0_10empty_typeEbEEZZNS1_14partition_implILS5_8ELb0ES3_jPKfPS6_PKS6_NS0_5tupleIJPfS6_EEENSE_IJSB_SB_EEENS0_18inequality_wrapperIN6hipcub16HIPCUB_304000_NS8EqualityEEEPlJS6_EEE10hipError_tPvRmT3_T4_T5_T6_T7_T9_mT8_P12ihipStream_tbDpT10_ENKUlT_T0_E_clISt17integral_constantIbLb0EES16_IbLb1EEEEDaS12_S13_EUlS12_E_NS1_11comp_targetILNS1_3genE10ELNS1_11target_archE1200ELNS1_3gpuE4ELNS1_3repE0EEENS1_30default_config_static_selectorELNS0_4arch9wavefront6targetE0EEEvT1_.num_agpr, 0
	.set _ZN7rocprim17ROCPRIM_400000_NS6detail17trampoline_kernelINS0_14default_configENS1_25partition_config_selectorILNS1_17partition_subalgoE8EfNS0_10empty_typeEbEEZZNS1_14partition_implILS5_8ELb0ES3_jPKfPS6_PKS6_NS0_5tupleIJPfS6_EEENSE_IJSB_SB_EEENS0_18inequality_wrapperIN6hipcub16HIPCUB_304000_NS8EqualityEEEPlJS6_EEE10hipError_tPvRmT3_T4_T5_T6_T7_T9_mT8_P12ihipStream_tbDpT10_ENKUlT_T0_E_clISt17integral_constantIbLb0EES16_IbLb1EEEEDaS12_S13_EUlS12_E_NS1_11comp_targetILNS1_3genE10ELNS1_11target_archE1200ELNS1_3gpuE4ELNS1_3repE0EEENS1_30default_config_static_selectorELNS0_4arch9wavefront6targetE0EEEvT1_.numbered_sgpr, 0
	.set _ZN7rocprim17ROCPRIM_400000_NS6detail17trampoline_kernelINS0_14default_configENS1_25partition_config_selectorILNS1_17partition_subalgoE8EfNS0_10empty_typeEbEEZZNS1_14partition_implILS5_8ELb0ES3_jPKfPS6_PKS6_NS0_5tupleIJPfS6_EEENSE_IJSB_SB_EEENS0_18inequality_wrapperIN6hipcub16HIPCUB_304000_NS8EqualityEEEPlJS6_EEE10hipError_tPvRmT3_T4_T5_T6_T7_T9_mT8_P12ihipStream_tbDpT10_ENKUlT_T0_E_clISt17integral_constantIbLb0EES16_IbLb1EEEEDaS12_S13_EUlS12_E_NS1_11comp_targetILNS1_3genE10ELNS1_11target_archE1200ELNS1_3gpuE4ELNS1_3repE0EEENS1_30default_config_static_selectorELNS0_4arch9wavefront6targetE0EEEvT1_.num_named_barrier, 0
	.set _ZN7rocprim17ROCPRIM_400000_NS6detail17trampoline_kernelINS0_14default_configENS1_25partition_config_selectorILNS1_17partition_subalgoE8EfNS0_10empty_typeEbEEZZNS1_14partition_implILS5_8ELb0ES3_jPKfPS6_PKS6_NS0_5tupleIJPfS6_EEENSE_IJSB_SB_EEENS0_18inequality_wrapperIN6hipcub16HIPCUB_304000_NS8EqualityEEEPlJS6_EEE10hipError_tPvRmT3_T4_T5_T6_T7_T9_mT8_P12ihipStream_tbDpT10_ENKUlT_T0_E_clISt17integral_constantIbLb0EES16_IbLb1EEEEDaS12_S13_EUlS12_E_NS1_11comp_targetILNS1_3genE10ELNS1_11target_archE1200ELNS1_3gpuE4ELNS1_3repE0EEENS1_30default_config_static_selectorELNS0_4arch9wavefront6targetE0EEEvT1_.private_seg_size, 0
	.set _ZN7rocprim17ROCPRIM_400000_NS6detail17trampoline_kernelINS0_14default_configENS1_25partition_config_selectorILNS1_17partition_subalgoE8EfNS0_10empty_typeEbEEZZNS1_14partition_implILS5_8ELb0ES3_jPKfPS6_PKS6_NS0_5tupleIJPfS6_EEENSE_IJSB_SB_EEENS0_18inequality_wrapperIN6hipcub16HIPCUB_304000_NS8EqualityEEEPlJS6_EEE10hipError_tPvRmT3_T4_T5_T6_T7_T9_mT8_P12ihipStream_tbDpT10_ENKUlT_T0_E_clISt17integral_constantIbLb0EES16_IbLb1EEEEDaS12_S13_EUlS12_E_NS1_11comp_targetILNS1_3genE10ELNS1_11target_archE1200ELNS1_3gpuE4ELNS1_3repE0EEENS1_30default_config_static_selectorELNS0_4arch9wavefront6targetE0EEEvT1_.uses_vcc, 0
	.set _ZN7rocprim17ROCPRIM_400000_NS6detail17trampoline_kernelINS0_14default_configENS1_25partition_config_selectorILNS1_17partition_subalgoE8EfNS0_10empty_typeEbEEZZNS1_14partition_implILS5_8ELb0ES3_jPKfPS6_PKS6_NS0_5tupleIJPfS6_EEENSE_IJSB_SB_EEENS0_18inequality_wrapperIN6hipcub16HIPCUB_304000_NS8EqualityEEEPlJS6_EEE10hipError_tPvRmT3_T4_T5_T6_T7_T9_mT8_P12ihipStream_tbDpT10_ENKUlT_T0_E_clISt17integral_constantIbLb0EES16_IbLb1EEEEDaS12_S13_EUlS12_E_NS1_11comp_targetILNS1_3genE10ELNS1_11target_archE1200ELNS1_3gpuE4ELNS1_3repE0EEENS1_30default_config_static_selectorELNS0_4arch9wavefront6targetE0EEEvT1_.uses_flat_scratch, 0
	.set _ZN7rocprim17ROCPRIM_400000_NS6detail17trampoline_kernelINS0_14default_configENS1_25partition_config_selectorILNS1_17partition_subalgoE8EfNS0_10empty_typeEbEEZZNS1_14partition_implILS5_8ELb0ES3_jPKfPS6_PKS6_NS0_5tupleIJPfS6_EEENSE_IJSB_SB_EEENS0_18inequality_wrapperIN6hipcub16HIPCUB_304000_NS8EqualityEEEPlJS6_EEE10hipError_tPvRmT3_T4_T5_T6_T7_T9_mT8_P12ihipStream_tbDpT10_ENKUlT_T0_E_clISt17integral_constantIbLb0EES16_IbLb1EEEEDaS12_S13_EUlS12_E_NS1_11comp_targetILNS1_3genE10ELNS1_11target_archE1200ELNS1_3gpuE4ELNS1_3repE0EEENS1_30default_config_static_selectorELNS0_4arch9wavefront6targetE0EEEvT1_.has_dyn_sized_stack, 0
	.set _ZN7rocprim17ROCPRIM_400000_NS6detail17trampoline_kernelINS0_14default_configENS1_25partition_config_selectorILNS1_17partition_subalgoE8EfNS0_10empty_typeEbEEZZNS1_14partition_implILS5_8ELb0ES3_jPKfPS6_PKS6_NS0_5tupleIJPfS6_EEENSE_IJSB_SB_EEENS0_18inequality_wrapperIN6hipcub16HIPCUB_304000_NS8EqualityEEEPlJS6_EEE10hipError_tPvRmT3_T4_T5_T6_T7_T9_mT8_P12ihipStream_tbDpT10_ENKUlT_T0_E_clISt17integral_constantIbLb0EES16_IbLb1EEEEDaS12_S13_EUlS12_E_NS1_11comp_targetILNS1_3genE10ELNS1_11target_archE1200ELNS1_3gpuE4ELNS1_3repE0EEENS1_30default_config_static_selectorELNS0_4arch9wavefront6targetE0EEEvT1_.has_recursion, 0
	.set _ZN7rocprim17ROCPRIM_400000_NS6detail17trampoline_kernelINS0_14default_configENS1_25partition_config_selectorILNS1_17partition_subalgoE8EfNS0_10empty_typeEbEEZZNS1_14partition_implILS5_8ELb0ES3_jPKfPS6_PKS6_NS0_5tupleIJPfS6_EEENSE_IJSB_SB_EEENS0_18inequality_wrapperIN6hipcub16HIPCUB_304000_NS8EqualityEEEPlJS6_EEE10hipError_tPvRmT3_T4_T5_T6_T7_T9_mT8_P12ihipStream_tbDpT10_ENKUlT_T0_E_clISt17integral_constantIbLb0EES16_IbLb1EEEEDaS12_S13_EUlS12_E_NS1_11comp_targetILNS1_3genE10ELNS1_11target_archE1200ELNS1_3gpuE4ELNS1_3repE0EEENS1_30default_config_static_selectorELNS0_4arch9wavefront6targetE0EEEvT1_.has_indirect_call, 0
	.section	.AMDGPU.csdata,"",@progbits
; Kernel info:
; codeLenInByte = 0
; TotalNumSgprs: 0
; NumVgprs: 0
; ScratchSize: 0
; MemoryBound: 0
; FloatMode: 240
; IeeeMode: 1
; LDSByteSize: 0 bytes/workgroup (compile time only)
; SGPRBlocks: 0
; VGPRBlocks: 0
; NumSGPRsForWavesPerEU: 1
; NumVGPRsForWavesPerEU: 1
; NamedBarCnt: 0
; Occupancy: 16
; WaveLimiterHint : 0
; COMPUTE_PGM_RSRC2:SCRATCH_EN: 0
; COMPUTE_PGM_RSRC2:USER_SGPR: 2
; COMPUTE_PGM_RSRC2:TRAP_HANDLER: 0
; COMPUTE_PGM_RSRC2:TGID_X_EN: 1
; COMPUTE_PGM_RSRC2:TGID_Y_EN: 0
; COMPUTE_PGM_RSRC2:TGID_Z_EN: 0
; COMPUTE_PGM_RSRC2:TIDIG_COMP_CNT: 0
	.section	.text._ZN7rocprim17ROCPRIM_400000_NS6detail17trampoline_kernelINS0_14default_configENS1_25partition_config_selectorILNS1_17partition_subalgoE8EfNS0_10empty_typeEbEEZZNS1_14partition_implILS5_8ELb0ES3_jPKfPS6_PKS6_NS0_5tupleIJPfS6_EEENSE_IJSB_SB_EEENS0_18inequality_wrapperIN6hipcub16HIPCUB_304000_NS8EqualityEEEPlJS6_EEE10hipError_tPvRmT3_T4_T5_T6_T7_T9_mT8_P12ihipStream_tbDpT10_ENKUlT_T0_E_clISt17integral_constantIbLb0EES16_IbLb1EEEEDaS12_S13_EUlS12_E_NS1_11comp_targetILNS1_3genE9ELNS1_11target_archE1100ELNS1_3gpuE3ELNS1_3repE0EEENS1_30default_config_static_selectorELNS0_4arch9wavefront6targetE0EEEvT1_,"axG",@progbits,_ZN7rocprim17ROCPRIM_400000_NS6detail17trampoline_kernelINS0_14default_configENS1_25partition_config_selectorILNS1_17partition_subalgoE8EfNS0_10empty_typeEbEEZZNS1_14partition_implILS5_8ELb0ES3_jPKfPS6_PKS6_NS0_5tupleIJPfS6_EEENSE_IJSB_SB_EEENS0_18inequality_wrapperIN6hipcub16HIPCUB_304000_NS8EqualityEEEPlJS6_EEE10hipError_tPvRmT3_T4_T5_T6_T7_T9_mT8_P12ihipStream_tbDpT10_ENKUlT_T0_E_clISt17integral_constantIbLb0EES16_IbLb1EEEEDaS12_S13_EUlS12_E_NS1_11comp_targetILNS1_3genE9ELNS1_11target_archE1100ELNS1_3gpuE3ELNS1_3repE0EEENS1_30default_config_static_selectorELNS0_4arch9wavefront6targetE0EEEvT1_,comdat
	.protected	_ZN7rocprim17ROCPRIM_400000_NS6detail17trampoline_kernelINS0_14default_configENS1_25partition_config_selectorILNS1_17partition_subalgoE8EfNS0_10empty_typeEbEEZZNS1_14partition_implILS5_8ELb0ES3_jPKfPS6_PKS6_NS0_5tupleIJPfS6_EEENSE_IJSB_SB_EEENS0_18inequality_wrapperIN6hipcub16HIPCUB_304000_NS8EqualityEEEPlJS6_EEE10hipError_tPvRmT3_T4_T5_T6_T7_T9_mT8_P12ihipStream_tbDpT10_ENKUlT_T0_E_clISt17integral_constantIbLb0EES16_IbLb1EEEEDaS12_S13_EUlS12_E_NS1_11comp_targetILNS1_3genE9ELNS1_11target_archE1100ELNS1_3gpuE3ELNS1_3repE0EEENS1_30default_config_static_selectorELNS0_4arch9wavefront6targetE0EEEvT1_ ; -- Begin function _ZN7rocprim17ROCPRIM_400000_NS6detail17trampoline_kernelINS0_14default_configENS1_25partition_config_selectorILNS1_17partition_subalgoE8EfNS0_10empty_typeEbEEZZNS1_14partition_implILS5_8ELb0ES3_jPKfPS6_PKS6_NS0_5tupleIJPfS6_EEENSE_IJSB_SB_EEENS0_18inequality_wrapperIN6hipcub16HIPCUB_304000_NS8EqualityEEEPlJS6_EEE10hipError_tPvRmT3_T4_T5_T6_T7_T9_mT8_P12ihipStream_tbDpT10_ENKUlT_T0_E_clISt17integral_constantIbLb0EES16_IbLb1EEEEDaS12_S13_EUlS12_E_NS1_11comp_targetILNS1_3genE9ELNS1_11target_archE1100ELNS1_3gpuE3ELNS1_3repE0EEENS1_30default_config_static_selectorELNS0_4arch9wavefront6targetE0EEEvT1_
	.globl	_ZN7rocprim17ROCPRIM_400000_NS6detail17trampoline_kernelINS0_14default_configENS1_25partition_config_selectorILNS1_17partition_subalgoE8EfNS0_10empty_typeEbEEZZNS1_14partition_implILS5_8ELb0ES3_jPKfPS6_PKS6_NS0_5tupleIJPfS6_EEENSE_IJSB_SB_EEENS0_18inequality_wrapperIN6hipcub16HIPCUB_304000_NS8EqualityEEEPlJS6_EEE10hipError_tPvRmT3_T4_T5_T6_T7_T9_mT8_P12ihipStream_tbDpT10_ENKUlT_T0_E_clISt17integral_constantIbLb0EES16_IbLb1EEEEDaS12_S13_EUlS12_E_NS1_11comp_targetILNS1_3genE9ELNS1_11target_archE1100ELNS1_3gpuE3ELNS1_3repE0EEENS1_30default_config_static_selectorELNS0_4arch9wavefront6targetE0EEEvT1_
	.p2align	8
	.type	_ZN7rocprim17ROCPRIM_400000_NS6detail17trampoline_kernelINS0_14default_configENS1_25partition_config_selectorILNS1_17partition_subalgoE8EfNS0_10empty_typeEbEEZZNS1_14partition_implILS5_8ELb0ES3_jPKfPS6_PKS6_NS0_5tupleIJPfS6_EEENSE_IJSB_SB_EEENS0_18inequality_wrapperIN6hipcub16HIPCUB_304000_NS8EqualityEEEPlJS6_EEE10hipError_tPvRmT3_T4_T5_T6_T7_T9_mT8_P12ihipStream_tbDpT10_ENKUlT_T0_E_clISt17integral_constantIbLb0EES16_IbLb1EEEEDaS12_S13_EUlS12_E_NS1_11comp_targetILNS1_3genE9ELNS1_11target_archE1100ELNS1_3gpuE3ELNS1_3repE0EEENS1_30default_config_static_selectorELNS0_4arch9wavefront6targetE0EEEvT1_,@function
_ZN7rocprim17ROCPRIM_400000_NS6detail17trampoline_kernelINS0_14default_configENS1_25partition_config_selectorILNS1_17partition_subalgoE8EfNS0_10empty_typeEbEEZZNS1_14partition_implILS5_8ELb0ES3_jPKfPS6_PKS6_NS0_5tupleIJPfS6_EEENSE_IJSB_SB_EEENS0_18inequality_wrapperIN6hipcub16HIPCUB_304000_NS8EqualityEEEPlJS6_EEE10hipError_tPvRmT3_T4_T5_T6_T7_T9_mT8_P12ihipStream_tbDpT10_ENKUlT_T0_E_clISt17integral_constantIbLb0EES16_IbLb1EEEEDaS12_S13_EUlS12_E_NS1_11comp_targetILNS1_3genE9ELNS1_11target_archE1100ELNS1_3gpuE3ELNS1_3repE0EEENS1_30default_config_static_selectorELNS0_4arch9wavefront6targetE0EEEvT1_: ; @_ZN7rocprim17ROCPRIM_400000_NS6detail17trampoline_kernelINS0_14default_configENS1_25partition_config_selectorILNS1_17partition_subalgoE8EfNS0_10empty_typeEbEEZZNS1_14partition_implILS5_8ELb0ES3_jPKfPS6_PKS6_NS0_5tupleIJPfS6_EEENSE_IJSB_SB_EEENS0_18inequality_wrapperIN6hipcub16HIPCUB_304000_NS8EqualityEEEPlJS6_EEE10hipError_tPvRmT3_T4_T5_T6_T7_T9_mT8_P12ihipStream_tbDpT10_ENKUlT_T0_E_clISt17integral_constantIbLb0EES16_IbLb1EEEEDaS12_S13_EUlS12_E_NS1_11comp_targetILNS1_3genE9ELNS1_11target_archE1100ELNS1_3gpuE3ELNS1_3repE0EEENS1_30default_config_static_selectorELNS0_4arch9wavefront6targetE0EEEvT1_
; %bb.0:
	.section	.rodata,"a",@progbits
	.p2align	6, 0x0
	.amdhsa_kernel _ZN7rocprim17ROCPRIM_400000_NS6detail17trampoline_kernelINS0_14default_configENS1_25partition_config_selectorILNS1_17partition_subalgoE8EfNS0_10empty_typeEbEEZZNS1_14partition_implILS5_8ELb0ES3_jPKfPS6_PKS6_NS0_5tupleIJPfS6_EEENSE_IJSB_SB_EEENS0_18inequality_wrapperIN6hipcub16HIPCUB_304000_NS8EqualityEEEPlJS6_EEE10hipError_tPvRmT3_T4_T5_T6_T7_T9_mT8_P12ihipStream_tbDpT10_ENKUlT_T0_E_clISt17integral_constantIbLb0EES16_IbLb1EEEEDaS12_S13_EUlS12_E_NS1_11comp_targetILNS1_3genE9ELNS1_11target_archE1100ELNS1_3gpuE3ELNS1_3repE0EEENS1_30default_config_static_selectorELNS0_4arch9wavefront6targetE0EEEvT1_
		.amdhsa_group_segment_fixed_size 0
		.amdhsa_private_segment_fixed_size 0
		.amdhsa_kernarg_size 128
		.amdhsa_user_sgpr_count 2
		.amdhsa_user_sgpr_dispatch_ptr 0
		.amdhsa_user_sgpr_queue_ptr 0
		.amdhsa_user_sgpr_kernarg_segment_ptr 1
		.amdhsa_user_sgpr_dispatch_id 0
		.amdhsa_user_sgpr_kernarg_preload_length 0
		.amdhsa_user_sgpr_kernarg_preload_offset 0
		.amdhsa_user_sgpr_private_segment_size 0
		.amdhsa_wavefront_size32 1
		.amdhsa_uses_dynamic_stack 0
		.amdhsa_enable_private_segment 0
		.amdhsa_system_sgpr_workgroup_id_x 1
		.amdhsa_system_sgpr_workgroup_id_y 0
		.amdhsa_system_sgpr_workgroup_id_z 0
		.amdhsa_system_sgpr_workgroup_info 0
		.amdhsa_system_vgpr_workitem_id 0
		.amdhsa_next_free_vgpr 1
		.amdhsa_next_free_sgpr 1
		.amdhsa_named_barrier_count 0
		.amdhsa_reserve_vcc 0
		.amdhsa_float_round_mode_32 0
		.amdhsa_float_round_mode_16_64 0
		.amdhsa_float_denorm_mode_32 3
		.amdhsa_float_denorm_mode_16_64 3
		.amdhsa_fp16_overflow 0
		.amdhsa_memory_ordered 1
		.amdhsa_forward_progress 1
		.amdhsa_inst_pref_size 0
		.amdhsa_round_robin_scheduling 0
		.amdhsa_exception_fp_ieee_invalid_op 0
		.amdhsa_exception_fp_denorm_src 0
		.amdhsa_exception_fp_ieee_div_zero 0
		.amdhsa_exception_fp_ieee_overflow 0
		.amdhsa_exception_fp_ieee_underflow 0
		.amdhsa_exception_fp_ieee_inexact 0
		.amdhsa_exception_int_div_zero 0
	.end_amdhsa_kernel
	.section	.text._ZN7rocprim17ROCPRIM_400000_NS6detail17trampoline_kernelINS0_14default_configENS1_25partition_config_selectorILNS1_17partition_subalgoE8EfNS0_10empty_typeEbEEZZNS1_14partition_implILS5_8ELb0ES3_jPKfPS6_PKS6_NS0_5tupleIJPfS6_EEENSE_IJSB_SB_EEENS0_18inequality_wrapperIN6hipcub16HIPCUB_304000_NS8EqualityEEEPlJS6_EEE10hipError_tPvRmT3_T4_T5_T6_T7_T9_mT8_P12ihipStream_tbDpT10_ENKUlT_T0_E_clISt17integral_constantIbLb0EES16_IbLb1EEEEDaS12_S13_EUlS12_E_NS1_11comp_targetILNS1_3genE9ELNS1_11target_archE1100ELNS1_3gpuE3ELNS1_3repE0EEENS1_30default_config_static_selectorELNS0_4arch9wavefront6targetE0EEEvT1_,"axG",@progbits,_ZN7rocprim17ROCPRIM_400000_NS6detail17trampoline_kernelINS0_14default_configENS1_25partition_config_selectorILNS1_17partition_subalgoE8EfNS0_10empty_typeEbEEZZNS1_14partition_implILS5_8ELb0ES3_jPKfPS6_PKS6_NS0_5tupleIJPfS6_EEENSE_IJSB_SB_EEENS0_18inequality_wrapperIN6hipcub16HIPCUB_304000_NS8EqualityEEEPlJS6_EEE10hipError_tPvRmT3_T4_T5_T6_T7_T9_mT8_P12ihipStream_tbDpT10_ENKUlT_T0_E_clISt17integral_constantIbLb0EES16_IbLb1EEEEDaS12_S13_EUlS12_E_NS1_11comp_targetILNS1_3genE9ELNS1_11target_archE1100ELNS1_3gpuE3ELNS1_3repE0EEENS1_30default_config_static_selectorELNS0_4arch9wavefront6targetE0EEEvT1_,comdat
.Lfunc_end371:
	.size	_ZN7rocprim17ROCPRIM_400000_NS6detail17trampoline_kernelINS0_14default_configENS1_25partition_config_selectorILNS1_17partition_subalgoE8EfNS0_10empty_typeEbEEZZNS1_14partition_implILS5_8ELb0ES3_jPKfPS6_PKS6_NS0_5tupleIJPfS6_EEENSE_IJSB_SB_EEENS0_18inequality_wrapperIN6hipcub16HIPCUB_304000_NS8EqualityEEEPlJS6_EEE10hipError_tPvRmT3_T4_T5_T6_T7_T9_mT8_P12ihipStream_tbDpT10_ENKUlT_T0_E_clISt17integral_constantIbLb0EES16_IbLb1EEEEDaS12_S13_EUlS12_E_NS1_11comp_targetILNS1_3genE9ELNS1_11target_archE1100ELNS1_3gpuE3ELNS1_3repE0EEENS1_30default_config_static_selectorELNS0_4arch9wavefront6targetE0EEEvT1_, .Lfunc_end371-_ZN7rocprim17ROCPRIM_400000_NS6detail17trampoline_kernelINS0_14default_configENS1_25partition_config_selectorILNS1_17partition_subalgoE8EfNS0_10empty_typeEbEEZZNS1_14partition_implILS5_8ELb0ES3_jPKfPS6_PKS6_NS0_5tupleIJPfS6_EEENSE_IJSB_SB_EEENS0_18inequality_wrapperIN6hipcub16HIPCUB_304000_NS8EqualityEEEPlJS6_EEE10hipError_tPvRmT3_T4_T5_T6_T7_T9_mT8_P12ihipStream_tbDpT10_ENKUlT_T0_E_clISt17integral_constantIbLb0EES16_IbLb1EEEEDaS12_S13_EUlS12_E_NS1_11comp_targetILNS1_3genE9ELNS1_11target_archE1100ELNS1_3gpuE3ELNS1_3repE0EEENS1_30default_config_static_selectorELNS0_4arch9wavefront6targetE0EEEvT1_
                                        ; -- End function
	.set _ZN7rocprim17ROCPRIM_400000_NS6detail17trampoline_kernelINS0_14default_configENS1_25partition_config_selectorILNS1_17partition_subalgoE8EfNS0_10empty_typeEbEEZZNS1_14partition_implILS5_8ELb0ES3_jPKfPS6_PKS6_NS0_5tupleIJPfS6_EEENSE_IJSB_SB_EEENS0_18inequality_wrapperIN6hipcub16HIPCUB_304000_NS8EqualityEEEPlJS6_EEE10hipError_tPvRmT3_T4_T5_T6_T7_T9_mT8_P12ihipStream_tbDpT10_ENKUlT_T0_E_clISt17integral_constantIbLb0EES16_IbLb1EEEEDaS12_S13_EUlS12_E_NS1_11comp_targetILNS1_3genE9ELNS1_11target_archE1100ELNS1_3gpuE3ELNS1_3repE0EEENS1_30default_config_static_selectorELNS0_4arch9wavefront6targetE0EEEvT1_.num_vgpr, 0
	.set _ZN7rocprim17ROCPRIM_400000_NS6detail17trampoline_kernelINS0_14default_configENS1_25partition_config_selectorILNS1_17partition_subalgoE8EfNS0_10empty_typeEbEEZZNS1_14partition_implILS5_8ELb0ES3_jPKfPS6_PKS6_NS0_5tupleIJPfS6_EEENSE_IJSB_SB_EEENS0_18inequality_wrapperIN6hipcub16HIPCUB_304000_NS8EqualityEEEPlJS6_EEE10hipError_tPvRmT3_T4_T5_T6_T7_T9_mT8_P12ihipStream_tbDpT10_ENKUlT_T0_E_clISt17integral_constantIbLb0EES16_IbLb1EEEEDaS12_S13_EUlS12_E_NS1_11comp_targetILNS1_3genE9ELNS1_11target_archE1100ELNS1_3gpuE3ELNS1_3repE0EEENS1_30default_config_static_selectorELNS0_4arch9wavefront6targetE0EEEvT1_.num_agpr, 0
	.set _ZN7rocprim17ROCPRIM_400000_NS6detail17trampoline_kernelINS0_14default_configENS1_25partition_config_selectorILNS1_17partition_subalgoE8EfNS0_10empty_typeEbEEZZNS1_14partition_implILS5_8ELb0ES3_jPKfPS6_PKS6_NS0_5tupleIJPfS6_EEENSE_IJSB_SB_EEENS0_18inequality_wrapperIN6hipcub16HIPCUB_304000_NS8EqualityEEEPlJS6_EEE10hipError_tPvRmT3_T4_T5_T6_T7_T9_mT8_P12ihipStream_tbDpT10_ENKUlT_T0_E_clISt17integral_constantIbLb0EES16_IbLb1EEEEDaS12_S13_EUlS12_E_NS1_11comp_targetILNS1_3genE9ELNS1_11target_archE1100ELNS1_3gpuE3ELNS1_3repE0EEENS1_30default_config_static_selectorELNS0_4arch9wavefront6targetE0EEEvT1_.numbered_sgpr, 0
	.set _ZN7rocprim17ROCPRIM_400000_NS6detail17trampoline_kernelINS0_14default_configENS1_25partition_config_selectorILNS1_17partition_subalgoE8EfNS0_10empty_typeEbEEZZNS1_14partition_implILS5_8ELb0ES3_jPKfPS6_PKS6_NS0_5tupleIJPfS6_EEENSE_IJSB_SB_EEENS0_18inequality_wrapperIN6hipcub16HIPCUB_304000_NS8EqualityEEEPlJS6_EEE10hipError_tPvRmT3_T4_T5_T6_T7_T9_mT8_P12ihipStream_tbDpT10_ENKUlT_T0_E_clISt17integral_constantIbLb0EES16_IbLb1EEEEDaS12_S13_EUlS12_E_NS1_11comp_targetILNS1_3genE9ELNS1_11target_archE1100ELNS1_3gpuE3ELNS1_3repE0EEENS1_30default_config_static_selectorELNS0_4arch9wavefront6targetE0EEEvT1_.num_named_barrier, 0
	.set _ZN7rocprim17ROCPRIM_400000_NS6detail17trampoline_kernelINS0_14default_configENS1_25partition_config_selectorILNS1_17partition_subalgoE8EfNS0_10empty_typeEbEEZZNS1_14partition_implILS5_8ELb0ES3_jPKfPS6_PKS6_NS0_5tupleIJPfS6_EEENSE_IJSB_SB_EEENS0_18inequality_wrapperIN6hipcub16HIPCUB_304000_NS8EqualityEEEPlJS6_EEE10hipError_tPvRmT3_T4_T5_T6_T7_T9_mT8_P12ihipStream_tbDpT10_ENKUlT_T0_E_clISt17integral_constantIbLb0EES16_IbLb1EEEEDaS12_S13_EUlS12_E_NS1_11comp_targetILNS1_3genE9ELNS1_11target_archE1100ELNS1_3gpuE3ELNS1_3repE0EEENS1_30default_config_static_selectorELNS0_4arch9wavefront6targetE0EEEvT1_.private_seg_size, 0
	.set _ZN7rocprim17ROCPRIM_400000_NS6detail17trampoline_kernelINS0_14default_configENS1_25partition_config_selectorILNS1_17partition_subalgoE8EfNS0_10empty_typeEbEEZZNS1_14partition_implILS5_8ELb0ES3_jPKfPS6_PKS6_NS0_5tupleIJPfS6_EEENSE_IJSB_SB_EEENS0_18inequality_wrapperIN6hipcub16HIPCUB_304000_NS8EqualityEEEPlJS6_EEE10hipError_tPvRmT3_T4_T5_T6_T7_T9_mT8_P12ihipStream_tbDpT10_ENKUlT_T0_E_clISt17integral_constantIbLb0EES16_IbLb1EEEEDaS12_S13_EUlS12_E_NS1_11comp_targetILNS1_3genE9ELNS1_11target_archE1100ELNS1_3gpuE3ELNS1_3repE0EEENS1_30default_config_static_selectorELNS0_4arch9wavefront6targetE0EEEvT1_.uses_vcc, 0
	.set _ZN7rocprim17ROCPRIM_400000_NS6detail17trampoline_kernelINS0_14default_configENS1_25partition_config_selectorILNS1_17partition_subalgoE8EfNS0_10empty_typeEbEEZZNS1_14partition_implILS5_8ELb0ES3_jPKfPS6_PKS6_NS0_5tupleIJPfS6_EEENSE_IJSB_SB_EEENS0_18inequality_wrapperIN6hipcub16HIPCUB_304000_NS8EqualityEEEPlJS6_EEE10hipError_tPvRmT3_T4_T5_T6_T7_T9_mT8_P12ihipStream_tbDpT10_ENKUlT_T0_E_clISt17integral_constantIbLb0EES16_IbLb1EEEEDaS12_S13_EUlS12_E_NS1_11comp_targetILNS1_3genE9ELNS1_11target_archE1100ELNS1_3gpuE3ELNS1_3repE0EEENS1_30default_config_static_selectorELNS0_4arch9wavefront6targetE0EEEvT1_.uses_flat_scratch, 0
	.set _ZN7rocprim17ROCPRIM_400000_NS6detail17trampoline_kernelINS0_14default_configENS1_25partition_config_selectorILNS1_17partition_subalgoE8EfNS0_10empty_typeEbEEZZNS1_14partition_implILS5_8ELb0ES3_jPKfPS6_PKS6_NS0_5tupleIJPfS6_EEENSE_IJSB_SB_EEENS0_18inequality_wrapperIN6hipcub16HIPCUB_304000_NS8EqualityEEEPlJS6_EEE10hipError_tPvRmT3_T4_T5_T6_T7_T9_mT8_P12ihipStream_tbDpT10_ENKUlT_T0_E_clISt17integral_constantIbLb0EES16_IbLb1EEEEDaS12_S13_EUlS12_E_NS1_11comp_targetILNS1_3genE9ELNS1_11target_archE1100ELNS1_3gpuE3ELNS1_3repE0EEENS1_30default_config_static_selectorELNS0_4arch9wavefront6targetE0EEEvT1_.has_dyn_sized_stack, 0
	.set _ZN7rocprim17ROCPRIM_400000_NS6detail17trampoline_kernelINS0_14default_configENS1_25partition_config_selectorILNS1_17partition_subalgoE8EfNS0_10empty_typeEbEEZZNS1_14partition_implILS5_8ELb0ES3_jPKfPS6_PKS6_NS0_5tupleIJPfS6_EEENSE_IJSB_SB_EEENS0_18inequality_wrapperIN6hipcub16HIPCUB_304000_NS8EqualityEEEPlJS6_EEE10hipError_tPvRmT3_T4_T5_T6_T7_T9_mT8_P12ihipStream_tbDpT10_ENKUlT_T0_E_clISt17integral_constantIbLb0EES16_IbLb1EEEEDaS12_S13_EUlS12_E_NS1_11comp_targetILNS1_3genE9ELNS1_11target_archE1100ELNS1_3gpuE3ELNS1_3repE0EEENS1_30default_config_static_selectorELNS0_4arch9wavefront6targetE0EEEvT1_.has_recursion, 0
	.set _ZN7rocprim17ROCPRIM_400000_NS6detail17trampoline_kernelINS0_14default_configENS1_25partition_config_selectorILNS1_17partition_subalgoE8EfNS0_10empty_typeEbEEZZNS1_14partition_implILS5_8ELb0ES3_jPKfPS6_PKS6_NS0_5tupleIJPfS6_EEENSE_IJSB_SB_EEENS0_18inequality_wrapperIN6hipcub16HIPCUB_304000_NS8EqualityEEEPlJS6_EEE10hipError_tPvRmT3_T4_T5_T6_T7_T9_mT8_P12ihipStream_tbDpT10_ENKUlT_T0_E_clISt17integral_constantIbLb0EES16_IbLb1EEEEDaS12_S13_EUlS12_E_NS1_11comp_targetILNS1_3genE9ELNS1_11target_archE1100ELNS1_3gpuE3ELNS1_3repE0EEENS1_30default_config_static_selectorELNS0_4arch9wavefront6targetE0EEEvT1_.has_indirect_call, 0
	.section	.AMDGPU.csdata,"",@progbits
; Kernel info:
; codeLenInByte = 0
; TotalNumSgprs: 0
; NumVgprs: 0
; ScratchSize: 0
; MemoryBound: 0
; FloatMode: 240
; IeeeMode: 1
; LDSByteSize: 0 bytes/workgroup (compile time only)
; SGPRBlocks: 0
; VGPRBlocks: 0
; NumSGPRsForWavesPerEU: 1
; NumVGPRsForWavesPerEU: 1
; NamedBarCnt: 0
; Occupancy: 16
; WaveLimiterHint : 0
; COMPUTE_PGM_RSRC2:SCRATCH_EN: 0
; COMPUTE_PGM_RSRC2:USER_SGPR: 2
; COMPUTE_PGM_RSRC2:TRAP_HANDLER: 0
; COMPUTE_PGM_RSRC2:TGID_X_EN: 1
; COMPUTE_PGM_RSRC2:TGID_Y_EN: 0
; COMPUTE_PGM_RSRC2:TGID_Z_EN: 0
; COMPUTE_PGM_RSRC2:TIDIG_COMP_CNT: 0
	.section	.text._ZN7rocprim17ROCPRIM_400000_NS6detail17trampoline_kernelINS0_14default_configENS1_25partition_config_selectorILNS1_17partition_subalgoE8EfNS0_10empty_typeEbEEZZNS1_14partition_implILS5_8ELb0ES3_jPKfPS6_PKS6_NS0_5tupleIJPfS6_EEENSE_IJSB_SB_EEENS0_18inequality_wrapperIN6hipcub16HIPCUB_304000_NS8EqualityEEEPlJS6_EEE10hipError_tPvRmT3_T4_T5_T6_T7_T9_mT8_P12ihipStream_tbDpT10_ENKUlT_T0_E_clISt17integral_constantIbLb0EES16_IbLb1EEEEDaS12_S13_EUlS12_E_NS1_11comp_targetILNS1_3genE8ELNS1_11target_archE1030ELNS1_3gpuE2ELNS1_3repE0EEENS1_30default_config_static_selectorELNS0_4arch9wavefront6targetE0EEEvT1_,"axG",@progbits,_ZN7rocprim17ROCPRIM_400000_NS6detail17trampoline_kernelINS0_14default_configENS1_25partition_config_selectorILNS1_17partition_subalgoE8EfNS0_10empty_typeEbEEZZNS1_14partition_implILS5_8ELb0ES3_jPKfPS6_PKS6_NS0_5tupleIJPfS6_EEENSE_IJSB_SB_EEENS0_18inequality_wrapperIN6hipcub16HIPCUB_304000_NS8EqualityEEEPlJS6_EEE10hipError_tPvRmT3_T4_T5_T6_T7_T9_mT8_P12ihipStream_tbDpT10_ENKUlT_T0_E_clISt17integral_constantIbLb0EES16_IbLb1EEEEDaS12_S13_EUlS12_E_NS1_11comp_targetILNS1_3genE8ELNS1_11target_archE1030ELNS1_3gpuE2ELNS1_3repE0EEENS1_30default_config_static_selectorELNS0_4arch9wavefront6targetE0EEEvT1_,comdat
	.protected	_ZN7rocprim17ROCPRIM_400000_NS6detail17trampoline_kernelINS0_14default_configENS1_25partition_config_selectorILNS1_17partition_subalgoE8EfNS0_10empty_typeEbEEZZNS1_14partition_implILS5_8ELb0ES3_jPKfPS6_PKS6_NS0_5tupleIJPfS6_EEENSE_IJSB_SB_EEENS0_18inequality_wrapperIN6hipcub16HIPCUB_304000_NS8EqualityEEEPlJS6_EEE10hipError_tPvRmT3_T4_T5_T6_T7_T9_mT8_P12ihipStream_tbDpT10_ENKUlT_T0_E_clISt17integral_constantIbLb0EES16_IbLb1EEEEDaS12_S13_EUlS12_E_NS1_11comp_targetILNS1_3genE8ELNS1_11target_archE1030ELNS1_3gpuE2ELNS1_3repE0EEENS1_30default_config_static_selectorELNS0_4arch9wavefront6targetE0EEEvT1_ ; -- Begin function _ZN7rocprim17ROCPRIM_400000_NS6detail17trampoline_kernelINS0_14default_configENS1_25partition_config_selectorILNS1_17partition_subalgoE8EfNS0_10empty_typeEbEEZZNS1_14partition_implILS5_8ELb0ES3_jPKfPS6_PKS6_NS0_5tupleIJPfS6_EEENSE_IJSB_SB_EEENS0_18inequality_wrapperIN6hipcub16HIPCUB_304000_NS8EqualityEEEPlJS6_EEE10hipError_tPvRmT3_T4_T5_T6_T7_T9_mT8_P12ihipStream_tbDpT10_ENKUlT_T0_E_clISt17integral_constantIbLb0EES16_IbLb1EEEEDaS12_S13_EUlS12_E_NS1_11comp_targetILNS1_3genE8ELNS1_11target_archE1030ELNS1_3gpuE2ELNS1_3repE0EEENS1_30default_config_static_selectorELNS0_4arch9wavefront6targetE0EEEvT1_
	.globl	_ZN7rocprim17ROCPRIM_400000_NS6detail17trampoline_kernelINS0_14default_configENS1_25partition_config_selectorILNS1_17partition_subalgoE8EfNS0_10empty_typeEbEEZZNS1_14partition_implILS5_8ELb0ES3_jPKfPS6_PKS6_NS0_5tupleIJPfS6_EEENSE_IJSB_SB_EEENS0_18inequality_wrapperIN6hipcub16HIPCUB_304000_NS8EqualityEEEPlJS6_EEE10hipError_tPvRmT3_T4_T5_T6_T7_T9_mT8_P12ihipStream_tbDpT10_ENKUlT_T0_E_clISt17integral_constantIbLb0EES16_IbLb1EEEEDaS12_S13_EUlS12_E_NS1_11comp_targetILNS1_3genE8ELNS1_11target_archE1030ELNS1_3gpuE2ELNS1_3repE0EEENS1_30default_config_static_selectorELNS0_4arch9wavefront6targetE0EEEvT1_
	.p2align	8
	.type	_ZN7rocprim17ROCPRIM_400000_NS6detail17trampoline_kernelINS0_14default_configENS1_25partition_config_selectorILNS1_17partition_subalgoE8EfNS0_10empty_typeEbEEZZNS1_14partition_implILS5_8ELb0ES3_jPKfPS6_PKS6_NS0_5tupleIJPfS6_EEENSE_IJSB_SB_EEENS0_18inequality_wrapperIN6hipcub16HIPCUB_304000_NS8EqualityEEEPlJS6_EEE10hipError_tPvRmT3_T4_T5_T6_T7_T9_mT8_P12ihipStream_tbDpT10_ENKUlT_T0_E_clISt17integral_constantIbLb0EES16_IbLb1EEEEDaS12_S13_EUlS12_E_NS1_11comp_targetILNS1_3genE8ELNS1_11target_archE1030ELNS1_3gpuE2ELNS1_3repE0EEENS1_30default_config_static_selectorELNS0_4arch9wavefront6targetE0EEEvT1_,@function
_ZN7rocprim17ROCPRIM_400000_NS6detail17trampoline_kernelINS0_14default_configENS1_25partition_config_selectorILNS1_17partition_subalgoE8EfNS0_10empty_typeEbEEZZNS1_14partition_implILS5_8ELb0ES3_jPKfPS6_PKS6_NS0_5tupleIJPfS6_EEENSE_IJSB_SB_EEENS0_18inequality_wrapperIN6hipcub16HIPCUB_304000_NS8EqualityEEEPlJS6_EEE10hipError_tPvRmT3_T4_T5_T6_T7_T9_mT8_P12ihipStream_tbDpT10_ENKUlT_T0_E_clISt17integral_constantIbLb0EES16_IbLb1EEEEDaS12_S13_EUlS12_E_NS1_11comp_targetILNS1_3genE8ELNS1_11target_archE1030ELNS1_3gpuE2ELNS1_3repE0EEENS1_30default_config_static_selectorELNS0_4arch9wavefront6targetE0EEEvT1_: ; @_ZN7rocprim17ROCPRIM_400000_NS6detail17trampoline_kernelINS0_14default_configENS1_25partition_config_selectorILNS1_17partition_subalgoE8EfNS0_10empty_typeEbEEZZNS1_14partition_implILS5_8ELb0ES3_jPKfPS6_PKS6_NS0_5tupleIJPfS6_EEENSE_IJSB_SB_EEENS0_18inequality_wrapperIN6hipcub16HIPCUB_304000_NS8EqualityEEEPlJS6_EEE10hipError_tPvRmT3_T4_T5_T6_T7_T9_mT8_P12ihipStream_tbDpT10_ENKUlT_T0_E_clISt17integral_constantIbLb0EES16_IbLb1EEEEDaS12_S13_EUlS12_E_NS1_11comp_targetILNS1_3genE8ELNS1_11target_archE1030ELNS1_3gpuE2ELNS1_3repE0EEENS1_30default_config_static_selectorELNS0_4arch9wavefront6targetE0EEEvT1_
; %bb.0:
	.section	.rodata,"a",@progbits
	.p2align	6, 0x0
	.amdhsa_kernel _ZN7rocprim17ROCPRIM_400000_NS6detail17trampoline_kernelINS0_14default_configENS1_25partition_config_selectorILNS1_17partition_subalgoE8EfNS0_10empty_typeEbEEZZNS1_14partition_implILS5_8ELb0ES3_jPKfPS6_PKS6_NS0_5tupleIJPfS6_EEENSE_IJSB_SB_EEENS0_18inequality_wrapperIN6hipcub16HIPCUB_304000_NS8EqualityEEEPlJS6_EEE10hipError_tPvRmT3_T4_T5_T6_T7_T9_mT8_P12ihipStream_tbDpT10_ENKUlT_T0_E_clISt17integral_constantIbLb0EES16_IbLb1EEEEDaS12_S13_EUlS12_E_NS1_11comp_targetILNS1_3genE8ELNS1_11target_archE1030ELNS1_3gpuE2ELNS1_3repE0EEENS1_30default_config_static_selectorELNS0_4arch9wavefront6targetE0EEEvT1_
		.amdhsa_group_segment_fixed_size 0
		.amdhsa_private_segment_fixed_size 0
		.amdhsa_kernarg_size 128
		.amdhsa_user_sgpr_count 2
		.amdhsa_user_sgpr_dispatch_ptr 0
		.amdhsa_user_sgpr_queue_ptr 0
		.amdhsa_user_sgpr_kernarg_segment_ptr 1
		.amdhsa_user_sgpr_dispatch_id 0
		.amdhsa_user_sgpr_kernarg_preload_length 0
		.amdhsa_user_sgpr_kernarg_preload_offset 0
		.amdhsa_user_sgpr_private_segment_size 0
		.amdhsa_wavefront_size32 1
		.amdhsa_uses_dynamic_stack 0
		.amdhsa_enable_private_segment 0
		.amdhsa_system_sgpr_workgroup_id_x 1
		.amdhsa_system_sgpr_workgroup_id_y 0
		.amdhsa_system_sgpr_workgroup_id_z 0
		.amdhsa_system_sgpr_workgroup_info 0
		.amdhsa_system_vgpr_workitem_id 0
		.amdhsa_next_free_vgpr 1
		.amdhsa_next_free_sgpr 1
		.amdhsa_named_barrier_count 0
		.amdhsa_reserve_vcc 0
		.amdhsa_float_round_mode_32 0
		.amdhsa_float_round_mode_16_64 0
		.amdhsa_float_denorm_mode_32 3
		.amdhsa_float_denorm_mode_16_64 3
		.amdhsa_fp16_overflow 0
		.amdhsa_memory_ordered 1
		.amdhsa_forward_progress 1
		.amdhsa_inst_pref_size 0
		.amdhsa_round_robin_scheduling 0
		.amdhsa_exception_fp_ieee_invalid_op 0
		.amdhsa_exception_fp_denorm_src 0
		.amdhsa_exception_fp_ieee_div_zero 0
		.amdhsa_exception_fp_ieee_overflow 0
		.amdhsa_exception_fp_ieee_underflow 0
		.amdhsa_exception_fp_ieee_inexact 0
		.amdhsa_exception_int_div_zero 0
	.end_amdhsa_kernel
	.section	.text._ZN7rocprim17ROCPRIM_400000_NS6detail17trampoline_kernelINS0_14default_configENS1_25partition_config_selectorILNS1_17partition_subalgoE8EfNS0_10empty_typeEbEEZZNS1_14partition_implILS5_8ELb0ES3_jPKfPS6_PKS6_NS0_5tupleIJPfS6_EEENSE_IJSB_SB_EEENS0_18inequality_wrapperIN6hipcub16HIPCUB_304000_NS8EqualityEEEPlJS6_EEE10hipError_tPvRmT3_T4_T5_T6_T7_T9_mT8_P12ihipStream_tbDpT10_ENKUlT_T0_E_clISt17integral_constantIbLb0EES16_IbLb1EEEEDaS12_S13_EUlS12_E_NS1_11comp_targetILNS1_3genE8ELNS1_11target_archE1030ELNS1_3gpuE2ELNS1_3repE0EEENS1_30default_config_static_selectorELNS0_4arch9wavefront6targetE0EEEvT1_,"axG",@progbits,_ZN7rocprim17ROCPRIM_400000_NS6detail17trampoline_kernelINS0_14default_configENS1_25partition_config_selectorILNS1_17partition_subalgoE8EfNS0_10empty_typeEbEEZZNS1_14partition_implILS5_8ELb0ES3_jPKfPS6_PKS6_NS0_5tupleIJPfS6_EEENSE_IJSB_SB_EEENS0_18inequality_wrapperIN6hipcub16HIPCUB_304000_NS8EqualityEEEPlJS6_EEE10hipError_tPvRmT3_T4_T5_T6_T7_T9_mT8_P12ihipStream_tbDpT10_ENKUlT_T0_E_clISt17integral_constantIbLb0EES16_IbLb1EEEEDaS12_S13_EUlS12_E_NS1_11comp_targetILNS1_3genE8ELNS1_11target_archE1030ELNS1_3gpuE2ELNS1_3repE0EEENS1_30default_config_static_selectorELNS0_4arch9wavefront6targetE0EEEvT1_,comdat
.Lfunc_end372:
	.size	_ZN7rocprim17ROCPRIM_400000_NS6detail17trampoline_kernelINS0_14default_configENS1_25partition_config_selectorILNS1_17partition_subalgoE8EfNS0_10empty_typeEbEEZZNS1_14partition_implILS5_8ELb0ES3_jPKfPS6_PKS6_NS0_5tupleIJPfS6_EEENSE_IJSB_SB_EEENS0_18inequality_wrapperIN6hipcub16HIPCUB_304000_NS8EqualityEEEPlJS6_EEE10hipError_tPvRmT3_T4_T5_T6_T7_T9_mT8_P12ihipStream_tbDpT10_ENKUlT_T0_E_clISt17integral_constantIbLb0EES16_IbLb1EEEEDaS12_S13_EUlS12_E_NS1_11comp_targetILNS1_3genE8ELNS1_11target_archE1030ELNS1_3gpuE2ELNS1_3repE0EEENS1_30default_config_static_selectorELNS0_4arch9wavefront6targetE0EEEvT1_, .Lfunc_end372-_ZN7rocprim17ROCPRIM_400000_NS6detail17trampoline_kernelINS0_14default_configENS1_25partition_config_selectorILNS1_17partition_subalgoE8EfNS0_10empty_typeEbEEZZNS1_14partition_implILS5_8ELb0ES3_jPKfPS6_PKS6_NS0_5tupleIJPfS6_EEENSE_IJSB_SB_EEENS0_18inequality_wrapperIN6hipcub16HIPCUB_304000_NS8EqualityEEEPlJS6_EEE10hipError_tPvRmT3_T4_T5_T6_T7_T9_mT8_P12ihipStream_tbDpT10_ENKUlT_T0_E_clISt17integral_constantIbLb0EES16_IbLb1EEEEDaS12_S13_EUlS12_E_NS1_11comp_targetILNS1_3genE8ELNS1_11target_archE1030ELNS1_3gpuE2ELNS1_3repE0EEENS1_30default_config_static_selectorELNS0_4arch9wavefront6targetE0EEEvT1_
                                        ; -- End function
	.set _ZN7rocprim17ROCPRIM_400000_NS6detail17trampoline_kernelINS0_14default_configENS1_25partition_config_selectorILNS1_17partition_subalgoE8EfNS0_10empty_typeEbEEZZNS1_14partition_implILS5_8ELb0ES3_jPKfPS6_PKS6_NS0_5tupleIJPfS6_EEENSE_IJSB_SB_EEENS0_18inequality_wrapperIN6hipcub16HIPCUB_304000_NS8EqualityEEEPlJS6_EEE10hipError_tPvRmT3_T4_T5_T6_T7_T9_mT8_P12ihipStream_tbDpT10_ENKUlT_T0_E_clISt17integral_constantIbLb0EES16_IbLb1EEEEDaS12_S13_EUlS12_E_NS1_11comp_targetILNS1_3genE8ELNS1_11target_archE1030ELNS1_3gpuE2ELNS1_3repE0EEENS1_30default_config_static_selectorELNS0_4arch9wavefront6targetE0EEEvT1_.num_vgpr, 0
	.set _ZN7rocprim17ROCPRIM_400000_NS6detail17trampoline_kernelINS0_14default_configENS1_25partition_config_selectorILNS1_17partition_subalgoE8EfNS0_10empty_typeEbEEZZNS1_14partition_implILS5_8ELb0ES3_jPKfPS6_PKS6_NS0_5tupleIJPfS6_EEENSE_IJSB_SB_EEENS0_18inequality_wrapperIN6hipcub16HIPCUB_304000_NS8EqualityEEEPlJS6_EEE10hipError_tPvRmT3_T4_T5_T6_T7_T9_mT8_P12ihipStream_tbDpT10_ENKUlT_T0_E_clISt17integral_constantIbLb0EES16_IbLb1EEEEDaS12_S13_EUlS12_E_NS1_11comp_targetILNS1_3genE8ELNS1_11target_archE1030ELNS1_3gpuE2ELNS1_3repE0EEENS1_30default_config_static_selectorELNS0_4arch9wavefront6targetE0EEEvT1_.num_agpr, 0
	.set _ZN7rocprim17ROCPRIM_400000_NS6detail17trampoline_kernelINS0_14default_configENS1_25partition_config_selectorILNS1_17partition_subalgoE8EfNS0_10empty_typeEbEEZZNS1_14partition_implILS5_8ELb0ES3_jPKfPS6_PKS6_NS0_5tupleIJPfS6_EEENSE_IJSB_SB_EEENS0_18inequality_wrapperIN6hipcub16HIPCUB_304000_NS8EqualityEEEPlJS6_EEE10hipError_tPvRmT3_T4_T5_T6_T7_T9_mT8_P12ihipStream_tbDpT10_ENKUlT_T0_E_clISt17integral_constantIbLb0EES16_IbLb1EEEEDaS12_S13_EUlS12_E_NS1_11comp_targetILNS1_3genE8ELNS1_11target_archE1030ELNS1_3gpuE2ELNS1_3repE0EEENS1_30default_config_static_selectorELNS0_4arch9wavefront6targetE0EEEvT1_.numbered_sgpr, 0
	.set _ZN7rocprim17ROCPRIM_400000_NS6detail17trampoline_kernelINS0_14default_configENS1_25partition_config_selectorILNS1_17partition_subalgoE8EfNS0_10empty_typeEbEEZZNS1_14partition_implILS5_8ELb0ES3_jPKfPS6_PKS6_NS0_5tupleIJPfS6_EEENSE_IJSB_SB_EEENS0_18inequality_wrapperIN6hipcub16HIPCUB_304000_NS8EqualityEEEPlJS6_EEE10hipError_tPvRmT3_T4_T5_T6_T7_T9_mT8_P12ihipStream_tbDpT10_ENKUlT_T0_E_clISt17integral_constantIbLb0EES16_IbLb1EEEEDaS12_S13_EUlS12_E_NS1_11comp_targetILNS1_3genE8ELNS1_11target_archE1030ELNS1_3gpuE2ELNS1_3repE0EEENS1_30default_config_static_selectorELNS0_4arch9wavefront6targetE0EEEvT1_.num_named_barrier, 0
	.set _ZN7rocprim17ROCPRIM_400000_NS6detail17trampoline_kernelINS0_14default_configENS1_25partition_config_selectorILNS1_17partition_subalgoE8EfNS0_10empty_typeEbEEZZNS1_14partition_implILS5_8ELb0ES3_jPKfPS6_PKS6_NS0_5tupleIJPfS6_EEENSE_IJSB_SB_EEENS0_18inequality_wrapperIN6hipcub16HIPCUB_304000_NS8EqualityEEEPlJS6_EEE10hipError_tPvRmT3_T4_T5_T6_T7_T9_mT8_P12ihipStream_tbDpT10_ENKUlT_T0_E_clISt17integral_constantIbLb0EES16_IbLb1EEEEDaS12_S13_EUlS12_E_NS1_11comp_targetILNS1_3genE8ELNS1_11target_archE1030ELNS1_3gpuE2ELNS1_3repE0EEENS1_30default_config_static_selectorELNS0_4arch9wavefront6targetE0EEEvT1_.private_seg_size, 0
	.set _ZN7rocprim17ROCPRIM_400000_NS6detail17trampoline_kernelINS0_14default_configENS1_25partition_config_selectorILNS1_17partition_subalgoE8EfNS0_10empty_typeEbEEZZNS1_14partition_implILS5_8ELb0ES3_jPKfPS6_PKS6_NS0_5tupleIJPfS6_EEENSE_IJSB_SB_EEENS0_18inequality_wrapperIN6hipcub16HIPCUB_304000_NS8EqualityEEEPlJS6_EEE10hipError_tPvRmT3_T4_T5_T6_T7_T9_mT8_P12ihipStream_tbDpT10_ENKUlT_T0_E_clISt17integral_constantIbLb0EES16_IbLb1EEEEDaS12_S13_EUlS12_E_NS1_11comp_targetILNS1_3genE8ELNS1_11target_archE1030ELNS1_3gpuE2ELNS1_3repE0EEENS1_30default_config_static_selectorELNS0_4arch9wavefront6targetE0EEEvT1_.uses_vcc, 0
	.set _ZN7rocprim17ROCPRIM_400000_NS6detail17trampoline_kernelINS0_14default_configENS1_25partition_config_selectorILNS1_17partition_subalgoE8EfNS0_10empty_typeEbEEZZNS1_14partition_implILS5_8ELb0ES3_jPKfPS6_PKS6_NS0_5tupleIJPfS6_EEENSE_IJSB_SB_EEENS0_18inequality_wrapperIN6hipcub16HIPCUB_304000_NS8EqualityEEEPlJS6_EEE10hipError_tPvRmT3_T4_T5_T6_T7_T9_mT8_P12ihipStream_tbDpT10_ENKUlT_T0_E_clISt17integral_constantIbLb0EES16_IbLb1EEEEDaS12_S13_EUlS12_E_NS1_11comp_targetILNS1_3genE8ELNS1_11target_archE1030ELNS1_3gpuE2ELNS1_3repE0EEENS1_30default_config_static_selectorELNS0_4arch9wavefront6targetE0EEEvT1_.uses_flat_scratch, 0
	.set _ZN7rocprim17ROCPRIM_400000_NS6detail17trampoline_kernelINS0_14default_configENS1_25partition_config_selectorILNS1_17partition_subalgoE8EfNS0_10empty_typeEbEEZZNS1_14partition_implILS5_8ELb0ES3_jPKfPS6_PKS6_NS0_5tupleIJPfS6_EEENSE_IJSB_SB_EEENS0_18inequality_wrapperIN6hipcub16HIPCUB_304000_NS8EqualityEEEPlJS6_EEE10hipError_tPvRmT3_T4_T5_T6_T7_T9_mT8_P12ihipStream_tbDpT10_ENKUlT_T0_E_clISt17integral_constantIbLb0EES16_IbLb1EEEEDaS12_S13_EUlS12_E_NS1_11comp_targetILNS1_3genE8ELNS1_11target_archE1030ELNS1_3gpuE2ELNS1_3repE0EEENS1_30default_config_static_selectorELNS0_4arch9wavefront6targetE0EEEvT1_.has_dyn_sized_stack, 0
	.set _ZN7rocprim17ROCPRIM_400000_NS6detail17trampoline_kernelINS0_14default_configENS1_25partition_config_selectorILNS1_17partition_subalgoE8EfNS0_10empty_typeEbEEZZNS1_14partition_implILS5_8ELb0ES3_jPKfPS6_PKS6_NS0_5tupleIJPfS6_EEENSE_IJSB_SB_EEENS0_18inequality_wrapperIN6hipcub16HIPCUB_304000_NS8EqualityEEEPlJS6_EEE10hipError_tPvRmT3_T4_T5_T6_T7_T9_mT8_P12ihipStream_tbDpT10_ENKUlT_T0_E_clISt17integral_constantIbLb0EES16_IbLb1EEEEDaS12_S13_EUlS12_E_NS1_11comp_targetILNS1_3genE8ELNS1_11target_archE1030ELNS1_3gpuE2ELNS1_3repE0EEENS1_30default_config_static_selectorELNS0_4arch9wavefront6targetE0EEEvT1_.has_recursion, 0
	.set _ZN7rocprim17ROCPRIM_400000_NS6detail17trampoline_kernelINS0_14default_configENS1_25partition_config_selectorILNS1_17partition_subalgoE8EfNS0_10empty_typeEbEEZZNS1_14partition_implILS5_8ELb0ES3_jPKfPS6_PKS6_NS0_5tupleIJPfS6_EEENSE_IJSB_SB_EEENS0_18inequality_wrapperIN6hipcub16HIPCUB_304000_NS8EqualityEEEPlJS6_EEE10hipError_tPvRmT3_T4_T5_T6_T7_T9_mT8_P12ihipStream_tbDpT10_ENKUlT_T0_E_clISt17integral_constantIbLb0EES16_IbLb1EEEEDaS12_S13_EUlS12_E_NS1_11comp_targetILNS1_3genE8ELNS1_11target_archE1030ELNS1_3gpuE2ELNS1_3repE0EEENS1_30default_config_static_selectorELNS0_4arch9wavefront6targetE0EEEvT1_.has_indirect_call, 0
	.section	.AMDGPU.csdata,"",@progbits
; Kernel info:
; codeLenInByte = 0
; TotalNumSgprs: 0
; NumVgprs: 0
; ScratchSize: 0
; MemoryBound: 0
; FloatMode: 240
; IeeeMode: 1
; LDSByteSize: 0 bytes/workgroup (compile time only)
; SGPRBlocks: 0
; VGPRBlocks: 0
; NumSGPRsForWavesPerEU: 1
; NumVGPRsForWavesPerEU: 1
; NamedBarCnt: 0
; Occupancy: 16
; WaveLimiterHint : 0
; COMPUTE_PGM_RSRC2:SCRATCH_EN: 0
; COMPUTE_PGM_RSRC2:USER_SGPR: 2
; COMPUTE_PGM_RSRC2:TRAP_HANDLER: 0
; COMPUTE_PGM_RSRC2:TGID_X_EN: 1
; COMPUTE_PGM_RSRC2:TGID_Y_EN: 0
; COMPUTE_PGM_RSRC2:TGID_Z_EN: 0
; COMPUTE_PGM_RSRC2:TIDIG_COMP_CNT: 0
	.section	.text._ZN7rocprim17ROCPRIM_400000_NS6detail17trampoline_kernelINS0_14default_configENS1_33run_length_encode_config_selectorIfjNS0_4plusIjEEEEZZNS1_33reduce_by_key_impl_wrapped_configILNS1_25lookback_scan_determinismE0ES3_S7_PKfNS0_17constant_iteratorIjlEEPfPlSF_S6_NS0_8equal_toIfEEEE10hipError_tPvRmT2_T3_mT4_T5_T6_T7_T8_P12ihipStream_tbENKUlT_T0_E_clISt17integral_constantIbLb0EESZ_EEDaSU_SV_EUlSU_E_NS1_11comp_targetILNS1_3genE0ELNS1_11target_archE4294967295ELNS1_3gpuE0ELNS1_3repE0EEENS1_30default_config_static_selectorELNS0_4arch9wavefront6targetE0EEEvT1_,"axG",@progbits,_ZN7rocprim17ROCPRIM_400000_NS6detail17trampoline_kernelINS0_14default_configENS1_33run_length_encode_config_selectorIfjNS0_4plusIjEEEEZZNS1_33reduce_by_key_impl_wrapped_configILNS1_25lookback_scan_determinismE0ES3_S7_PKfNS0_17constant_iteratorIjlEEPfPlSF_S6_NS0_8equal_toIfEEEE10hipError_tPvRmT2_T3_mT4_T5_T6_T7_T8_P12ihipStream_tbENKUlT_T0_E_clISt17integral_constantIbLb0EESZ_EEDaSU_SV_EUlSU_E_NS1_11comp_targetILNS1_3genE0ELNS1_11target_archE4294967295ELNS1_3gpuE0ELNS1_3repE0EEENS1_30default_config_static_selectorELNS0_4arch9wavefront6targetE0EEEvT1_,comdat
	.protected	_ZN7rocprim17ROCPRIM_400000_NS6detail17trampoline_kernelINS0_14default_configENS1_33run_length_encode_config_selectorIfjNS0_4plusIjEEEEZZNS1_33reduce_by_key_impl_wrapped_configILNS1_25lookback_scan_determinismE0ES3_S7_PKfNS0_17constant_iteratorIjlEEPfPlSF_S6_NS0_8equal_toIfEEEE10hipError_tPvRmT2_T3_mT4_T5_T6_T7_T8_P12ihipStream_tbENKUlT_T0_E_clISt17integral_constantIbLb0EESZ_EEDaSU_SV_EUlSU_E_NS1_11comp_targetILNS1_3genE0ELNS1_11target_archE4294967295ELNS1_3gpuE0ELNS1_3repE0EEENS1_30default_config_static_selectorELNS0_4arch9wavefront6targetE0EEEvT1_ ; -- Begin function _ZN7rocprim17ROCPRIM_400000_NS6detail17trampoline_kernelINS0_14default_configENS1_33run_length_encode_config_selectorIfjNS0_4plusIjEEEEZZNS1_33reduce_by_key_impl_wrapped_configILNS1_25lookback_scan_determinismE0ES3_S7_PKfNS0_17constant_iteratorIjlEEPfPlSF_S6_NS0_8equal_toIfEEEE10hipError_tPvRmT2_T3_mT4_T5_T6_T7_T8_P12ihipStream_tbENKUlT_T0_E_clISt17integral_constantIbLb0EESZ_EEDaSU_SV_EUlSU_E_NS1_11comp_targetILNS1_3genE0ELNS1_11target_archE4294967295ELNS1_3gpuE0ELNS1_3repE0EEENS1_30default_config_static_selectorELNS0_4arch9wavefront6targetE0EEEvT1_
	.globl	_ZN7rocprim17ROCPRIM_400000_NS6detail17trampoline_kernelINS0_14default_configENS1_33run_length_encode_config_selectorIfjNS0_4plusIjEEEEZZNS1_33reduce_by_key_impl_wrapped_configILNS1_25lookback_scan_determinismE0ES3_S7_PKfNS0_17constant_iteratorIjlEEPfPlSF_S6_NS0_8equal_toIfEEEE10hipError_tPvRmT2_T3_mT4_T5_T6_T7_T8_P12ihipStream_tbENKUlT_T0_E_clISt17integral_constantIbLb0EESZ_EEDaSU_SV_EUlSU_E_NS1_11comp_targetILNS1_3genE0ELNS1_11target_archE4294967295ELNS1_3gpuE0ELNS1_3repE0EEENS1_30default_config_static_selectorELNS0_4arch9wavefront6targetE0EEEvT1_
	.p2align	8
	.type	_ZN7rocprim17ROCPRIM_400000_NS6detail17trampoline_kernelINS0_14default_configENS1_33run_length_encode_config_selectorIfjNS0_4plusIjEEEEZZNS1_33reduce_by_key_impl_wrapped_configILNS1_25lookback_scan_determinismE0ES3_S7_PKfNS0_17constant_iteratorIjlEEPfPlSF_S6_NS0_8equal_toIfEEEE10hipError_tPvRmT2_T3_mT4_T5_T6_T7_T8_P12ihipStream_tbENKUlT_T0_E_clISt17integral_constantIbLb0EESZ_EEDaSU_SV_EUlSU_E_NS1_11comp_targetILNS1_3genE0ELNS1_11target_archE4294967295ELNS1_3gpuE0ELNS1_3repE0EEENS1_30default_config_static_selectorELNS0_4arch9wavefront6targetE0EEEvT1_,@function
_ZN7rocprim17ROCPRIM_400000_NS6detail17trampoline_kernelINS0_14default_configENS1_33run_length_encode_config_selectorIfjNS0_4plusIjEEEEZZNS1_33reduce_by_key_impl_wrapped_configILNS1_25lookback_scan_determinismE0ES3_S7_PKfNS0_17constant_iteratorIjlEEPfPlSF_S6_NS0_8equal_toIfEEEE10hipError_tPvRmT2_T3_mT4_T5_T6_T7_T8_P12ihipStream_tbENKUlT_T0_E_clISt17integral_constantIbLb0EESZ_EEDaSU_SV_EUlSU_E_NS1_11comp_targetILNS1_3genE0ELNS1_11target_archE4294967295ELNS1_3gpuE0ELNS1_3repE0EEENS1_30default_config_static_selectorELNS0_4arch9wavefront6targetE0EEEvT1_: ; @_ZN7rocprim17ROCPRIM_400000_NS6detail17trampoline_kernelINS0_14default_configENS1_33run_length_encode_config_selectorIfjNS0_4plusIjEEEEZZNS1_33reduce_by_key_impl_wrapped_configILNS1_25lookback_scan_determinismE0ES3_S7_PKfNS0_17constant_iteratorIjlEEPfPlSF_S6_NS0_8equal_toIfEEEE10hipError_tPvRmT2_T3_mT4_T5_T6_T7_T8_P12ihipStream_tbENKUlT_T0_E_clISt17integral_constantIbLb0EESZ_EEDaSU_SV_EUlSU_E_NS1_11comp_targetILNS1_3genE0ELNS1_11target_archE4294967295ELNS1_3gpuE0ELNS1_3repE0EEENS1_30default_config_static_selectorELNS0_4arch9wavefront6targetE0EEEvT1_
; %bb.0:
	s_clause 0x1
	s_load_b128 s[8:11], s[0:1], 0x0
	s_load_b256 s[24:31], s[0:1], 0x40
	s_bfe_u32 s5, ttmp6, 0x4000c
	s_clause 0x1
	s_load_b32 s4, s[0:1], 0x10
	s_load_b128 s[20:23], s[0:1], 0x60
	s_add_co_i32 s5, s5, 1
	s_and_b32 s2, ttmp6, 15
	s_mul_i32 s5, ttmp9, s5
	s_getreg_b32 s12, hwreg(HW_REG_IB_STS2, 6, 4)
	s_add_co_i32 s2, s2, s5
	s_mov_b32 s3, 0
	s_delay_alu instid0(SALU_CYCLE_1)
	s_mov_b32 s35, s3
	s_wait_kmcnt 0x0
	s_lshl_b64 s[6:7], s[10:11], 2
	s_cmp_eq_u32 s12, 0
	s_mul_u64 s[10:11], s[28:29], s[26:27]
	s_cselect_b32 s34, ttmp9, s2
	s_add_nc_u64 s[12:13], s[30:31], -1
	s_mul_i32 s2, s34, 0xe00
	s_add_nc_u64 s[18:19], s[10:11], s[34:35]
	s_lshl_b64 s[10:11], s[2:3], 2
	s_cmp_eq_u64 s[18:19], s[12:13]
	s_add_nc_u64 s[6:7], s[8:9], s[6:7]
	s_cselect_b32 s33, -1, 0
	s_cmp_lg_u64 s[18:19], s[12:13]
	s_add_nc_u64 s[16:17], s[6:7], s[10:11]
	s_cselect_b32 s2, -1, 0
	s_and_b32 vcc_lo, exec_lo, s33
	s_mul_i32 s35, s12, 0xfffff200
	s_cbranch_vccnz .LBB373_2
; %bb.1:
	s_clause 0xd
	global_load_b32 v1, v0, s[16:17] scale_offset
	global_load_b32 v2, v0, s[16:17] offset:1024 scale_offset
	global_load_b32 v3, v0, s[16:17] offset:2048 scale_offset
	;; [unrolled: 1-line block ×13, first 2 shown]
	v_lshlrev_b32_e32 v15, 2, v0
	s_mov_b32 s5, 0
	s_mov_b32 s3, -1
	s_wait_loadcnt 0xc
	ds_store_2addr_stride64_b32 v15, v1, v2 offset1:4
	s_wait_loadcnt 0xa
	ds_store_2addr_stride64_b32 v15, v3, v4 offset0:8 offset1:12
	s_wait_loadcnt 0x8
	ds_store_2addr_stride64_b32 v15, v5, v6 offset0:16 offset1:20
	s_wait_loadcnt 0x6
	ds_store_2addr_stride64_b32 v15, v7, v8 offset0:24 offset1:28
	s_wait_loadcnt 0x4
	ds_store_2addr_stride64_b32 v15, v9, v10 offset0:32 offset1:36
	s_wait_loadcnt 0x2
	ds_store_2addr_stride64_b32 v15, v11, v12 offset0:40 offset1:44
	s_wait_loadcnt 0x0
	ds_store_2addr_stride64_b32 v15, v13, v14 offset0:48 offset1:52
	v_mad_u32_u24 v16, v0, 52, v15
	s_wait_dscnt 0x0
	s_barrier_signal -1
	s_barrier_wait -1
	ds_load_2addr_b64 v[10:13], v16 offset1:1
	ds_load_2addr_b64 v[6:9], v16 offset0:2 offset1:3
	ds_load_2addr_b64 v[2:5], v16 offset0:4 offset1:5
	ds_load_b64 v[22:23], v16 offset:48
	s_wait_dscnt 0x3
	v_dual_mov_b32 v14, v10 :: v_dual_mov_b32 v15, v12
	s_wait_dscnt 0x2
	v_dual_mov_b32 v16, v6 :: v_dual_mov_b32 v17, v8
	;; [unrolled: 2-line block ×3, first 2 shown]
	s_branch .LBB373_3
.LBB373_2:
	s_mov_b32 s5, -1
                                        ; implicit-def: $vgpr4
                                        ; implicit-def: $vgpr8
                                        ; implicit-def: $vgpr12
                                        ; implicit-def: $vgpr22_vgpr23
                                        ; implicit-def: $vgpr18_vgpr19
                                        ; implicit-def: $vgpr16_vgpr17
                                        ; implicit-def: $vgpr14_vgpr15
.LBB373_3:
	v_dual_mov_b32 v1, s4 :: v_dual_mov_b32 v50, s4
	v_dual_mov_b32 v51, s4 :: v_dual_mov_b32 v53, s4
	v_dual_mov_b32 v69, s4 :: v_dual_mov_b32 v73, s4
	v_dual_mov_b32 v75, s4 :: v_dual_mov_b32 v71, s4
	v_dual_mov_b32 v70, s4 :: v_dual_mov_b32 v74, s4
	v_dual_mov_b32 v72, s4 :: v_dual_mov_b32 v68, s4
	v_mov_b32_e32 v52, s4
	s_and_not1_b32 vcc_lo, exec_lo, s5
	s_add_co_i32 s35, s35, s20
                                        ; implicit-def: $vgpr76
	s_cbranch_vccnz .LBB373_33
; %bb.4:
	s_mov_b32 s3, exec_lo
                                        ; implicit-def: $vgpr1
	v_cmpx_gt_u32_e64 s35, v0
	s_cbranch_execz .LBB373_6
; %bb.5:
	global_load_b32 v1, v0, s[16:17] scale_offset
.LBB373_6:
	s_wait_xcnt 0x0
	s_or_b32 exec_lo, exec_lo, s3
	v_or_b32_e32 v2, 0x100, v0
	s_delay_alu instid0(VALU_DEP_1)
	v_cmp_gt_u32_e32 vcc_lo, s35, v2
                                        ; implicit-def: $vgpr2
	s_and_saveexec_b32 s3, vcc_lo
	s_cbranch_execz .LBB373_8
; %bb.7:
	global_load_b32 v2, v0, s[16:17] offset:1024 scale_offset
.LBB373_8:
	s_wait_xcnt 0x0
	s_or_b32 exec_lo, exec_lo, s3
	v_or_b32_e32 v3, 0x200, v0
	s_delay_alu instid0(VALU_DEP_1)
	v_cmp_gt_u32_e32 vcc_lo, s35, v3
                                        ; implicit-def: $vgpr3
	s_and_saveexec_b32 s3, vcc_lo
	s_cbranch_execz .LBB373_10
; %bb.9:
	global_load_b32 v3, v0, s[16:17] offset:2048 scale_offset
.LBB373_10:
	s_wait_xcnt 0x0
	s_or_b32 exec_lo, exec_lo, s3
	v_or_b32_e32 v4, 0x300, v0
	s_delay_alu instid0(VALU_DEP_1)
	v_cmp_gt_u32_e32 vcc_lo, s35, v4
                                        ; implicit-def: $vgpr4
	s_and_saveexec_b32 s3, vcc_lo
	s_cbranch_execz .LBB373_12
; %bb.11:
	global_load_b32 v4, v0, s[16:17] offset:3072 scale_offset
.LBB373_12:
	s_wait_xcnt 0x0
	s_or_b32 exec_lo, exec_lo, s3
	v_or_b32_e32 v5, 0x400, v0
	s_delay_alu instid0(VALU_DEP_1)
	v_cmp_gt_u32_e32 vcc_lo, s35, v5
                                        ; implicit-def: $vgpr5
	s_and_saveexec_b32 s3, vcc_lo
	s_cbranch_execz .LBB373_14
; %bb.13:
	global_load_b32 v5, v0, s[16:17] offset:4096 scale_offset
.LBB373_14:
	s_wait_xcnt 0x0
	s_or_b32 exec_lo, exec_lo, s3
	v_or_b32_e32 v6, 0x500, v0
	s_delay_alu instid0(VALU_DEP_1)
	v_cmp_gt_u32_e32 vcc_lo, s35, v6
                                        ; implicit-def: $vgpr6
	s_and_saveexec_b32 s3, vcc_lo
	s_cbranch_execz .LBB373_16
; %bb.15:
	global_load_b32 v6, v0, s[16:17] offset:5120 scale_offset
.LBB373_16:
	s_wait_xcnt 0x0
	s_or_b32 exec_lo, exec_lo, s3
	v_or_b32_e32 v7, 0x600, v0
	s_delay_alu instid0(VALU_DEP_1)
	v_cmp_gt_u32_e32 vcc_lo, s35, v7
                                        ; implicit-def: $vgpr7
	s_and_saveexec_b32 s3, vcc_lo
	s_cbranch_execz .LBB373_18
; %bb.17:
	global_load_b32 v7, v0, s[16:17] offset:6144 scale_offset
.LBB373_18:
	s_wait_xcnt 0x0
	s_or_b32 exec_lo, exec_lo, s3
	v_or_b32_e32 v8, 0x700, v0
	s_delay_alu instid0(VALU_DEP_1)
	v_cmp_gt_u32_e32 vcc_lo, s35, v8
                                        ; implicit-def: $vgpr8
	s_and_saveexec_b32 s3, vcc_lo
	s_cbranch_execz .LBB373_20
; %bb.19:
	global_load_b32 v8, v0, s[16:17] offset:7168 scale_offset
.LBB373_20:
	s_wait_xcnt 0x0
	s_or_b32 exec_lo, exec_lo, s3
	v_or_b32_e32 v9, 0x800, v0
	s_delay_alu instid0(VALU_DEP_1)
	v_cmp_gt_u32_e32 vcc_lo, s35, v9
                                        ; implicit-def: $vgpr9
	s_and_saveexec_b32 s3, vcc_lo
	s_cbranch_execz .LBB373_22
; %bb.21:
	global_load_b32 v9, v0, s[16:17] offset:8192 scale_offset
.LBB373_22:
	s_wait_xcnt 0x0
	s_or_b32 exec_lo, exec_lo, s3
	v_or_b32_e32 v10, 0x900, v0
	s_delay_alu instid0(VALU_DEP_1)
	v_cmp_gt_u32_e32 vcc_lo, s35, v10
                                        ; implicit-def: $vgpr10
	s_and_saveexec_b32 s3, vcc_lo
	s_cbranch_execz .LBB373_24
; %bb.23:
	global_load_b32 v10, v0, s[16:17] offset:9216 scale_offset
.LBB373_24:
	s_wait_xcnt 0x0
	s_or_b32 exec_lo, exec_lo, s3
	v_or_b32_e32 v11, 0xa00, v0
	s_delay_alu instid0(VALU_DEP_1)
	v_cmp_gt_u32_e32 vcc_lo, s35, v11
                                        ; implicit-def: $vgpr11
	s_and_saveexec_b32 s3, vcc_lo
	s_cbranch_execz .LBB373_26
; %bb.25:
	global_load_b32 v11, v0, s[16:17] offset:10240 scale_offset
.LBB373_26:
	s_wait_xcnt 0x0
	s_or_b32 exec_lo, exec_lo, s3
	v_or_b32_e32 v12, 0xb00, v0
	s_delay_alu instid0(VALU_DEP_1)
	v_cmp_gt_u32_e32 vcc_lo, s35, v12
                                        ; implicit-def: $vgpr12
	s_and_saveexec_b32 s3, vcc_lo
	s_cbranch_execz .LBB373_28
; %bb.27:
	global_load_b32 v12, v0, s[16:17] offset:11264 scale_offset
.LBB373_28:
	s_wait_xcnt 0x0
	s_or_b32 exec_lo, exec_lo, s3
	v_or_b32_e32 v13, 0xc00, v0
	s_delay_alu instid0(VALU_DEP_1)
	v_cmp_gt_u32_e32 vcc_lo, s35, v13
                                        ; implicit-def: $vgpr13
	s_and_saveexec_b32 s3, vcc_lo
	s_cbranch_execz .LBB373_30
; %bb.29:
	global_load_b32 v13, v0, s[16:17] offset:12288 scale_offset
.LBB373_30:
	s_wait_xcnt 0x0
	s_or_b32 exec_lo, exec_lo, s3
	v_or_b32_e32 v14, 0xd00, v0
	s_delay_alu instid0(VALU_DEP_1)
	v_cmp_gt_u32_e32 vcc_lo, s35, v14
                                        ; implicit-def: $vgpr14
	s_and_saveexec_b32 s3, vcc_lo
	s_cbranch_execz .LBB373_32
; %bb.31:
	global_load_b32 v14, v0, s[16:17] offset:13312 scale_offset
.LBB373_32:
	s_wait_xcnt 0x0
	s_or_b32 exec_lo, exec_lo, s3
	v_lshlrev_b32_e32 v15, 2, v0
	v_mad_u32_u24 v16, v0, 14, 13
	v_mov_b32_e32 v76, 0
	s_wait_loadcnt 0x0
	ds_store_2addr_stride64_b32 v15, v1, v2 offset1:4
	ds_store_2addr_stride64_b32 v15, v3, v4 offset0:8 offset1:12
	ds_store_2addr_stride64_b32 v15, v5, v6 offset0:16 offset1:20
	;; [unrolled: 1-line block ×6, first 2 shown]
	v_mad_u32_u24 v1, v0, 52, v15
	s_wait_dscnt 0x0
	s_barrier_signal -1
	s_barrier_wait -1
	ds_load_2addr_b64 v[10:13], v1 offset1:1
	ds_load_2addr_b64 v[6:9], v1 offset0:2 offset1:3
	v_mul_u32_u24_e32 v14, 14, v0
	ds_load_2addr_b64 v[2:5], v1 offset0:4 offset1:5
	ds_load_b64 v[22:23], v1 offset:48
	v_mad_u32_u24 v1, v0, 14, 2
	v_cmp_gt_u32_e64 s3, s35, v16
	v_or_b32_e32 v15, 1, v14
	v_cmp_gt_u32_e32 vcc_lo, s35, v14
	v_mad_u32_u24 v14, v0, 14, 3
	v_cndmask_b32_e64 v52, 0, s4, vcc_lo
	s_wait_dscnt 0x2
	v_mov_b32_e32 v16, v6
	v_cmp_gt_u32_e32 vcc_lo, s35, v15
	v_mad_u32_u24 v15, v0, 14, 4
	s_wait_dscnt 0x1
	v_dual_mov_b32 v18, v2 :: v_dual_mov_b32 v19, v4
	v_mov_b32_e32 v17, v8
	v_cndmask_b32_e64 v68, 0, s4, vcc_lo
	v_cmp_gt_u32_e32 vcc_lo, s35, v1
	v_mad_u32_u24 v1, v0, 14, 5
	v_cndmask_b32_e64 v72, 0, s4, vcc_lo
	v_cmp_gt_u32_e32 vcc_lo, s35, v14
	v_mad_u32_u24 v14, v0, 14, 6
	;; [unrolled: 3-line block ×8, first 2 shown]
	v_cndmask_b32_e64 v53, 0, s4, vcc_lo
	v_cmp_gt_u32_e32 vcc_lo, s35, v1
	v_cndmask_b32_e64 v51, 0, s4, vcc_lo
	s_delay_alu instid0(VALU_DEP_4)
	v_cmp_gt_u32_e32 vcc_lo, s35, v14
	v_mov_b32_e32 v14, v10
	v_cndmask_b32_e64 v50, 0, s4, vcc_lo
	v_cmp_gt_u32_e32 vcc_lo, s35, v15
	v_mov_b32_e32 v15, v12
	v_cndmask_b32_e64 v1, 0, s4, vcc_lo
.LBB373_33:
	s_and_saveexec_b32 s5, s3
; %bb.34:
	v_mov_b32_e32 v76, s4
; %bb.35:
	s_or_b32 exec_lo, exec_lo, s5
	s_load_b64 s[28:29], s[0:1], 0x70
	s_cmp_eq_u64 s[18:19], 0
	s_wait_dscnt 0x0
	s_cselect_b32 s36, -1, 0
	s_cmp_lg_u64 s[18:19], 0
	s_barrier_signal -1
	s_cselect_b32 s30, -1, 0
	s_and_b32 vcc_lo, exec_lo, s2
	s_barrier_wait -1
	s_cbranch_vccz .LBB373_40
; %bb.36:
	s_and_b32 vcc_lo, exec_lo, s30
	s_cbranch_vccz .LBB373_41
; %bb.37:
	s_add_nc_u64 s[2:3], s[16:17], -4
	s_load_b32 s2, s[2:3], 0x0
	v_lshlrev_b32_e32 v21, 2, v0
	s_wait_xcnt 0x0
	s_mov_b32 s3, exec_lo
	s_wait_kmcnt 0x0
	v_mov_b32_e32 v20, s2
	s_mov_b32 s2, 0
	ds_store_b32 v21, v23
	s_wait_dscnt 0x0
	s_barrier_signal -1
	s_barrier_wait -1
	v_cmpx_ne_u32_e32 0, v0
; %bb.38:
	v_add_nc_u32_e32 v20, -4, v21
	ds_load_b32 v20, v20
; %bb.39:
	s_or_b32 exec_lo, exec_lo, s3
	v_cmp_neq_f32_e32 vcc_lo, v22, v23
	s_wait_dscnt 0x0
	v_cmp_neq_f32_e64 s15, v20, v10
	s_mov_b32 s37, -1
	v_cndmask_b32_e64 v57, 0, 1, vcc_lo
	v_cmp_neq_f32_e32 vcc_lo, v14, v11
	v_cndmask_b32_e64 v66, 0, 1, vcc_lo
	v_cmp_neq_f32_e32 vcc_lo, v15, v11
	;; [unrolled: 2-line block ×12, first 2 shown]
	v_cndmask_b32_e64 v62, 0, 1, vcc_lo
	s_and_b32 vcc_lo, exec_lo, s2
	s_cbranch_vccnz .LBB373_42
	s_branch .LBB373_45
.LBB373_40:
	s_mov_b32 s37, 0
                                        ; implicit-def: $sgpr15
                                        ; implicit-def: $vgpr57
                                        ; implicit-def: $vgpr62
                                        ; implicit-def: $vgpr56
                                        ; implicit-def: $vgpr54
                                        ; implicit-def: $vgpr55
                                        ; implicit-def: $vgpr58
                                        ; implicit-def: $vgpr59
                                        ; implicit-def: $vgpr60
                                        ; implicit-def: $vgpr65
                                        ; implicit-def: $vgpr61
                                        ; implicit-def: $vgpr63
                                        ; implicit-def: $vgpr64
                                        ; implicit-def: $vgpr66
	s_cbranch_execnz .LBB373_46
	s_branch .LBB373_54
.LBB373_41:
	s_mov_b32 s37, 0
                                        ; implicit-def: $sgpr15
                                        ; implicit-def: $vgpr57
                                        ; implicit-def: $vgpr62
                                        ; implicit-def: $vgpr56
                                        ; implicit-def: $vgpr54
                                        ; implicit-def: $vgpr55
                                        ; implicit-def: $vgpr58
                                        ; implicit-def: $vgpr59
                                        ; implicit-def: $vgpr60
                                        ; implicit-def: $vgpr65
                                        ; implicit-def: $vgpr61
                                        ; implicit-def: $vgpr63
                                        ; implicit-def: $vgpr64
                                        ; implicit-def: $vgpr66
	s_cbranch_execz .LBB373_45
.LBB373_42:
	v_lshlrev_b32_e32 v20, 2, v0
	v_cmp_neq_f32_e64 s6, v22, v23
	v_cmp_neq_f32_e64 s2, v19, v5
	;; [unrolled: 1-line block ×12, first 2 shown]
	v_cmp_ne_u32_e64 s14, 0, v0
	v_cmp_neq_f32_e32 vcc_lo, v22, v5
	ds_store_b32 v20, v23
	s_wait_dscnt 0x0
	s_barrier_signal -1
	s_barrier_wait -1
                                        ; implicit-def: $sgpr15
	s_and_saveexec_b32 s31, s14
	s_delay_alu instid0(SALU_CYCLE_1)
	s_xor_b32 s14, exec_lo, s31
	s_cbranch_execz .LBB373_44
; %bb.43:
	v_add_nc_u32_e32 v14, -4, v20
	s_or_b32 s37, s37, exec_lo
	ds_load_b32 v14, v14
	s_wait_dscnt 0x0
	v_cmp_neq_f32_e64 s15, v14, v10
.LBB373_44:
	s_or_b32 exec_lo, exec_lo, s14
	v_cndmask_b32_e64 v57, 0, 1, s6
	v_cndmask_b32_e64 v66, 0, 1, s13
	;; [unrolled: 1-line block ×12, first 2 shown]
	v_cndmask_b32_e64 v62, 0, 1, vcc_lo
.LBB373_45:
	s_branch .LBB373_54
.LBB373_46:
	s_mov_b64 s[2:3], 0xfffffffffffff200
	v_cmp_neq_f32_e64 s13, v22, v23
	s_mul_u64 s[18:19], s[18:19], s[2:3]
	v_cmp_neq_f32_e64 s14, v5, v22
	v_cmp_neq_f32_e64 s15, v4, v5
	;; [unrolled: 1-line block ×12, first 2 shown]
	v_mul_u32_u24_e32 v14, 14, v0
	v_mad_u32_u24 v16, v0, 14, 13
	v_mad_u32_u24 v40, v0, 14, 12
	;; [unrolled: 1-line block ×12, first 2 shown]
	v_cmp_ne_u32_e64 s9, 0, v0
	s_and_b32 vcc_lo, exec_lo, s30
	s_add_nc_u64 s[30:31], s[18:19], s[20:21]
	s_cbranch_vccz .LBB373_50
; %bb.47:
	s_add_nc_u64 s[16:17], s[16:17], -4
	v_dual_mov_b32 v17, 0 :: v_dual_lshlrev_b32 v15, 2, v0
	s_load_b32 s38, s[16:17], 0x0
	s_delay_alu instid0(VALU_DEP_1)
	v_dual_mov_b32 v19, v17 :: v_dual_bitop2_b32 v42, 1, v14 bitop3:0x54
	v_dual_mov_b32 v41, v17 :: v_dual_mov_b32 v39, v17
	v_dual_mov_b32 v37, v17 :: v_dual_mov_b32 v35, v17
	;; [unrolled: 1-line block ×3, first 2 shown]
	v_cmp_gt_u64_e32 vcc_lo, s[30:31], v[16:17]
	s_wait_xcnt 0x0
	v_cmp_gt_u64_e64 s16, s[30:31], v[40:41]
	v_cmp_gt_u64_e64 s17, s[30:31], v[38:39]
	;; [unrolled: 1-line block ×5, first 2 shown]
	v_dual_mov_b32 v29, v17 :: v_dual_mov_b32 v27, v17
	v_dual_mov_b32 v25, v17 :: v_dual_mov_b32 v21, v17
	v_mov_b32_e32 v43, v17
	s_and_b32 s21, vcc_lo, s13
	s_and_b32 s37, s16, s14
	s_and_b32 s17, s17, s15
	;; [unrolled: 1-line block ×5, first 2 shown]
	v_cmp_gt_u64_e32 vcc_lo, s[30:31], v[30:31]
	v_cmp_gt_u64_e64 s10, s[30:31], v[28:29]
	v_cmp_gt_u64_e64 s11, s[30:31], v[26:27]
	;; [unrolled: 1-line block ×5, first 2 shown]
	s_wait_kmcnt 0x0
	v_mov_b32_e32 v19, s38
	v_cmp_gt_u64_e64 s15, s[30:31], v[42:43]
	s_and_b32 s20, vcc_lo, s2
	s_and_b32 s10, s10, s3
	s_and_b32 s11, s11, s4
	;; [unrolled: 1-line block ×6, first 2 shown]
	s_mov_b32 s3, 0
	ds_store_b32 v15, v23
	s_wait_dscnt 0x0
	s_barrier_signal -1
	s_barrier_wait -1
	s_and_saveexec_b32 s7, s9
; %bb.48:
	v_add_nc_u32_e32 v15, -4, v15
	ds_load_b32 v19, v15
; %bb.49:
	s_or_b32 exec_lo, exec_lo, s7
	v_mov_b32_e32 v15, v17
	v_cndmask_b32_e64 v61, 0, 1, s2
	s_wait_dscnt 0x0
	v_cmp_neq_f32_e64 s2, v19, v10
	v_cndmask_b32_e64 v57, 0, 1, s21
	v_cndmask_b32_e64 v62, 0, 1, s37
	v_cmp_gt_u64_e32 vcc_lo, s[30:31], v[14:15]
	v_cndmask_b32_e64 v56, 0, 1, s17
	v_cndmask_b32_e64 v54, 0, 1, s18
	;; [unrolled: 1-line block ×10, first 2 shown]
	s_and_b32 s15, vcc_lo, s2
	s_mov_b32 s37, -1
	s_and_b32 vcc_lo, exec_lo, s3
	s_cbranch_vccnz .LBB373_51
	s_branch .LBB373_54
.LBB373_50:
                                        ; implicit-def: $sgpr15
                                        ; implicit-def: $vgpr57
                                        ; implicit-def: $vgpr62
                                        ; implicit-def: $vgpr56
                                        ; implicit-def: $vgpr54
                                        ; implicit-def: $vgpr55
                                        ; implicit-def: $vgpr58
                                        ; implicit-def: $vgpr59
                                        ; implicit-def: $vgpr60
                                        ; implicit-def: $vgpr65
                                        ; implicit-def: $vgpr61
                                        ; implicit-def: $vgpr63
                                        ; implicit-def: $vgpr64
                                        ; implicit-def: $vgpr66
	s_cbranch_execz .LBB373_54
.LBB373_51:
	v_dual_mov_b32 v17, 0 :: v_dual_lshlrev_b32 v15, 2, v0
	v_cmp_neq_f32_e32 vcc_lo, v22, v23
	v_cmp_neq_f32_e64 s2, v5, v22
	v_cmp_neq_f32_e64 s3, v4, v5
	s_delay_alu instid0(VALU_DEP_4) | instskip(SKIP_2) | instid1(VALU_DEP_3)
	v_dual_mov_b32 v41, v17 :: v_dual_mov_b32 v39, v17
	v_dual_mov_b32 v37, v17 :: v_dual_mov_b32 v35, v17
	v_cmp_gt_u64_e64 s4, s[30:31], v[16:17]
	v_cmp_gt_u64_e64 s5, s[30:31], v[40:41]
	s_delay_alu instid0(VALU_DEP_4) | instskip(NEXT) | instid1(VALU_DEP_4)
	v_cmp_gt_u64_e64 s6, s[30:31], v[38:39]
	v_cmp_gt_u64_e64 s7, s[30:31], v[36:37]
	v_cmp_neq_f32_e64 s8, v3, v4
	v_dual_mov_b32 v33, v17 :: v_dual_mov_b32 v31, v17
	s_and_b32 s11, s4, vcc_lo
	v_cmp_gt_u64_e32 vcc_lo, s[30:31], v[34:35]
	v_dual_mov_b32 v29, v17 :: v_dual_mov_b32 v27, v17
	s_and_b32 s12, s5, s2
	v_cmp_neq_f32_e64 s2, v2, v3
	s_and_b32 s13, s6, s3
	s_and_b32 s14, s7, s8
	v_cmp_gt_u64_e64 s3, s[30:31], v[32:33]
	v_cmp_gt_u64_e64 s5, s[30:31], v[30:31]
	;; [unrolled: 1-line block ×3, first 2 shown]
	v_cmp_neq_f32_e64 s4, v9, v2
	v_cmp_neq_f32_e64 s6, v8, v9
	s_and_b32 s16, vcc_lo, s2
	v_cmp_neq_f32_e32 vcc_lo, v7, v8
	v_dual_mov_b32 v25, v17 :: v_dual_mov_b32 v21, v17
	v_dual_mov_b32 v19, v17 :: v_dual_bitop2_b32 v16, 1, v14 bitop3:0x54
	s_and_b32 s17, s3, s4
	s_and_b32 s18, s5, s6
	s_and_b32 s19, s7, vcc_lo
	v_cmp_gt_u64_e32 vcc_lo, s[30:31], v[26:27]
	v_cmp_gt_u64_e64 s3, s[30:31], v[24:25]
	v_cmp_gt_u64_e64 s5, s[30:31], v[20:21]
	;; [unrolled: 1-line block ×4, first 2 shown]
	v_cmp_neq_f32_e64 s2, v6, v7
	v_cmp_neq_f32_e64 s4, v13, v6
	;; [unrolled: 1-line block ×5, first 2 shown]
	s_and_b32 s20, vcc_lo, s2
	s_and_b32 s3, s3, s4
	s_and_b32 s4, s5, s6
	;; [unrolled: 1-line block ×4, first 2 shown]
	s_mov_b32 s7, exec_lo
	ds_store_b32 v15, v23
	s_wait_dscnt 0x0
	s_barrier_signal -1
	s_barrier_wait -1
                                        ; implicit-def: $sgpr15
	v_cmpx_ne_u32_e32 0, v0
	s_cbranch_execz .LBB373_53
; %bb.52:
	v_add_nc_u32_e32 v15, -4, v15
	s_or_b32 s37, s37, exec_lo
	ds_load_b32 v16, v15
	v_mov_b32_e32 v15, v17
	s_delay_alu instid0(VALU_DEP_1)
	v_cmp_gt_u64_e32 vcc_lo, s[30:31], v[14:15]
	s_wait_dscnt 0x0
	v_cmp_neq_f32_e64 s2, v16, v10
	s_and_b32 s15, vcc_lo, s2
.LBB373_53:
	s_or_b32 exec_lo, exec_lo, s7
	v_cndmask_b32_e64 v57, 0, 1, s11
	v_cndmask_b32_e64 v62, 0, 1, s12
	;; [unrolled: 1-line block ×13, first 2 shown]
.LBB373_54:
	v_mov_b32_e32 v67, 1
	s_and_saveexec_b32 s2, s37
; %bb.55:
	v_cndmask_b32_e64 v67, 0, 1, s15
; %bb.56:
	s_or_b32 exec_lo, exec_lo, s2
	s_clause 0x1
	s_load_b128 s[16:19], s[0:1], 0x20
	s_load_b64 s[20:21], s[0:1], 0x30
	v_dual_add_nc_u32 v14, v66, v67 :: v_dual_lshrrev_b32 v78, 5, v0
	v_cmp_eq_u32_e64 s11, 0, v66
	v_cmp_eq_u32_e64 s10, 0, v64
	;; [unrolled: 1-line block ×3, first 2 shown]
	s_delay_alu instid0(VALU_DEP_4)
	v_add3_u32 v80, v14, v64, v63
	v_cmp_eq_u32_e64 s8, 0, v61
	v_cmp_eq_u32_e64 s7, 0, v65
	;; [unrolled: 1-line block ×7, first 2 shown]
	s_wait_xcnt 0x0
	v_cmp_eq_u32_e64 s1, 0, v56
	v_cmp_eq_u32_e64 s0, 0, v62
	v_mbcnt_lo_u32_b32 v77, -1, 0
	v_or_b32_e32 v79, 31, v0
	s_cmp_eq_u64 s[26:27], 0
	v_cmp_eq_u32_e32 vcc_lo, 0, v57
	s_cselect_b32 s15, -1, 0
	s_cmp_lg_u32 s34, 0
	s_cbranch_scc0 .LBB373_77
; %bb.57:
	v_dual_cndmask_b32 v14, 0, v52, s11 :: v_dual_bitop2_b32 v17, 15, v77 bitop3:0x40
	v_add3_u32 v15, v80, v61, v65
	s_delay_alu instid0(VALU_DEP_2) | instskip(NEXT) | instid1(VALU_DEP_2)
	v_add_nc_u32_e32 v14, v14, v68
	v_add3_u32 v15, v15, v60, v59
	s_delay_alu instid0(VALU_DEP_2) | instskip(NEXT) | instid1(VALU_DEP_2)
	v_cndmask_b32_e64 v14, 0, v14, s10
	v_add3_u32 v15, v15, v58, v55
	s_delay_alu instid0(VALU_DEP_2) | instskip(NEXT) | instid1(VALU_DEP_2)
	v_add_nc_u32_e32 v14, v14, v72
	v_add3_u32 v15, v15, v54, v56
	s_delay_alu instid0(VALU_DEP_1) | instskip(NEXT) | instid1(VALU_DEP_3)
	v_add3_u32 v15, v15, v62, v57
	v_cndmask_b32_e64 v14, 0, v14, s9
	s_delay_alu instid0(VALU_DEP_2) | instskip(NEXT) | instid1(VALU_DEP_2)
	v_mov_b32_dpp v18, v15 row_shr:1 row_mask:0xf bank_mask:0xf
	v_add_nc_u32_e32 v14, v14, v74
	s_delay_alu instid0(VALU_DEP_1) | instskip(NEXT) | instid1(VALU_DEP_1)
	v_cndmask_b32_e64 v14, 0, v14, s8
	v_add_nc_u32_e32 v14, v14, v70
	s_delay_alu instid0(VALU_DEP_1) | instskip(NEXT) | instid1(VALU_DEP_1)
	v_cndmask_b32_e64 v14, 0, v14, s7
	v_add_nc_u32_e32 v14, v14, v71
	s_delay_alu instid0(VALU_DEP_1) | instskip(NEXT) | instid1(VALU_DEP_1)
	v_cndmask_b32_e64 v14, 0, v14, s6
	v_add_nc_u32_e32 v14, v14, v75
	s_delay_alu instid0(VALU_DEP_1) | instskip(NEXT) | instid1(VALU_DEP_1)
	v_cndmask_b32_e64 v14, 0, v14, s5
	v_add_nc_u32_e32 v14, v14, v73
	s_delay_alu instid0(VALU_DEP_1) | instskip(NEXT) | instid1(VALU_DEP_1)
	v_cndmask_b32_e64 v14, 0, v14, s4
	v_add_nc_u32_e32 v14, v14, v69
	s_delay_alu instid0(VALU_DEP_1) | instskip(NEXT) | instid1(VALU_DEP_1)
	v_cndmask_b32_e64 v14, 0, v14, s3
	v_add_nc_u32_e32 v14, v14, v53
	s_delay_alu instid0(VALU_DEP_1) | instskip(NEXT) | instid1(VALU_DEP_1)
	v_cndmask_b32_e64 v14, 0, v14, s2
	v_add_nc_u32_e32 v14, v14, v51
	s_delay_alu instid0(VALU_DEP_1) | instskip(NEXT) | instid1(VALU_DEP_1)
	v_cndmask_b32_e64 v14, 0, v14, s1
	v_add_nc_u32_e32 v14, v14, v50
	s_delay_alu instid0(VALU_DEP_1) | instskip(NEXT) | instid1(VALU_DEP_1)
	v_cndmask_b32_e64 v14, 0, v14, s0
	v_add_nc_u32_e32 v14, v14, v1
	s_delay_alu instid0(VALU_DEP_1) | instskip(SKIP_1) | instid1(VALU_DEP_2)
	v_cndmask_b32_e32 v14, 0, v14, vcc_lo
	v_cmp_eq_u32_e32 vcc_lo, 0, v15
	v_add_nc_u32_e32 v14, v14, v76
	s_delay_alu instid0(VALU_DEP_1) | instskip(NEXT) | instid1(VALU_DEP_1)
	v_mov_b32_dpp v16, v14 row_shr:1 row_mask:0xf bank_mask:0xf
	v_cndmask_b32_e32 v16, 0, v16, vcc_lo
	v_cmp_eq_u32_e32 vcc_lo, 0, v17
	v_cndmask_b32_e64 v18, v18, 0, vcc_lo
	s_delay_alu instid0(VALU_DEP_3) | instskip(SKIP_1) | instid1(VALU_DEP_2)
	v_cndmask_b32_e64 v16, v16, 0, vcc_lo
	v_cmp_lt_u32_e32 vcc_lo, 1, v17
	v_dual_add_nc_u32 v15, v18, v15 :: v_dual_add_nc_u32 v14, v16, v14
	s_delay_alu instid0(VALU_DEP_1) | instskip(SKIP_1) | instid1(VALU_DEP_3)
	v_mov_b32_dpp v16, v15 row_shr:2 row_mask:0xf bank_mask:0xf
	v_cmp_eq_u32_e64 s12, 0, v15
	v_mov_b32_dpp v18, v14 row_shr:2 row_mask:0xf bank_mask:0xf
	s_delay_alu instid0(VALU_DEP_3) | instskip(SKIP_1) | instid1(VALU_DEP_2)
	v_cndmask_b32_e32 v16, 0, v16, vcc_lo
	s_and_b32 vcc_lo, vcc_lo, s12
	v_cndmask_b32_e32 v18, 0, v18, vcc_lo
	v_cmp_lt_u32_e32 vcc_lo, 3, v17
	s_delay_alu instid0(VALU_DEP_2) | instskip(NEXT) | instid1(VALU_DEP_1)
	v_dual_add_nc_u32 v15, v15, v16 :: v_dual_add_nc_u32 v14, v18, v14
	v_mov_b32_dpp v16, v15 row_shr:4 row_mask:0xf bank_mask:0xf
	v_cmp_eq_u32_e64 s12, 0, v15
	s_delay_alu instid0(VALU_DEP_3) | instskip(NEXT) | instid1(VALU_DEP_3)
	v_mov_b32_dpp v18, v14 row_shr:4 row_mask:0xf bank_mask:0xf
	v_cndmask_b32_e32 v16, 0, v16, vcc_lo
	s_and_b32 vcc_lo, vcc_lo, s12
	s_delay_alu instid0(VALU_DEP_2) | instskip(SKIP_1) | instid1(VALU_DEP_2)
	v_cndmask_b32_e32 v18, 0, v18, vcc_lo
	v_cmp_lt_u32_e32 vcc_lo, 7, v17
	v_dual_add_nc_u32 v15, v16, v15 :: v_dual_add_nc_u32 v14, v14, v18
	v_bfe_i32 v18, v77, 4, 1
	s_delay_alu instid0(VALU_DEP_2) | instskip(SKIP_1) | instid1(VALU_DEP_4)
	v_mov_b32_dpp v16, v15 row_shr:8 row_mask:0xf bank_mask:0xf
	v_cmp_eq_u32_e64 s12, 0, v15
	v_mov_b32_dpp v17, v14 row_shr:8 row_mask:0xf bank_mask:0xf
	s_delay_alu instid0(VALU_DEP_3) | instskip(SKIP_2) | instid1(VALU_DEP_2)
	v_cndmask_b32_e32 v16, 0, v16, vcc_lo
	s_and_b32 vcc_lo, vcc_lo, s12
	s_mov_b32 s12, exec_lo
	v_cndmask_b32_e32 v17, 0, v17, vcc_lo
	s_delay_alu instid0(VALU_DEP_1)
	v_dual_add_nc_u32 v17, v17, v14 :: v_dual_add_nc_u32 v14, v16, v15
	ds_swizzle_b32 v15, v17 offset:swizzle(BROADCAST,32,15)
	ds_swizzle_b32 v16, v14 offset:swizzle(BROADCAST,32,15)
	v_cmp_eq_u32_e32 vcc_lo, 0, v14
	s_wait_dscnt 0x0
	v_dual_cndmask_b32 v15, 0, v15, vcc_lo :: v_dual_bitop2_b32 v16, v18, v16 bitop3:0x40
	s_delay_alu instid0(VALU_DEP_1) | instskip(NEXT) | instid1(VALU_DEP_1)
	v_dual_add_nc_u32 v14, v16, v14 :: v_dual_bitop2_b32 v15, v18, v15 bitop3:0x40
	v_dual_lshlrev_b32 v16, 3, v78 :: v_dual_add_nc_u32 v15, v15, v17
	v_cmpx_eq_u32_e64 v0, v79
; %bb.58:
	ds_store_b64 v16, v[14:15] offset:2064
; %bb.59:
	s_or_b32 exec_lo, exec_lo, s12
	s_delay_alu instid0(SALU_CYCLE_1)
	s_mov_b32 s13, exec_lo
	s_wait_dscnt 0x0
	s_barrier_signal -1
	s_barrier_wait -1
	v_cmpx_gt_u32_e32 8, v0
	s_cbranch_execz .LBB373_61
; %bb.60:
	v_dual_lshlrev_b32 v17, 3, v0 :: v_dual_bitop2_b32 v21, 7, v77 bitop3:0x40
	ds_load_b64 v[18:19], v17 offset:2064
	s_wait_dscnt 0x0
	v_mov_b32_dpp v20, v19 row_shr:1 row_mask:0xf bank_mask:0xf
	v_cmp_eq_u32_e32 vcc_lo, 0, v18
	v_mov_b32_dpp v24, v18 row_shr:1 row_mask:0xf bank_mask:0xf
	s_delay_alu instid0(VALU_DEP_3) | instskip(SKIP_1) | instid1(VALU_DEP_3)
	v_cndmask_b32_e32 v20, 0, v20, vcc_lo
	v_cmp_eq_u32_e32 vcc_lo, 0, v21
	v_cndmask_b32_e64 v24, v24, 0, vcc_lo
	s_delay_alu instid0(VALU_DEP_1) | instskip(NEXT) | instid1(VALU_DEP_4)
	v_add_nc_u32_e32 v18, v24, v18
	v_cndmask_b32_e64 v20, v20, 0, vcc_lo
	v_cmp_lt_u32_e32 vcc_lo, 1, v21
	s_delay_alu instid0(VALU_DEP_3) | instskip(NEXT) | instid1(VALU_DEP_3)
	v_cmp_eq_u32_e64 s12, 0, v18
	v_add_nc_u32_e32 v19, v20, v19
	v_mov_b32_dpp v20, v18 row_shr:2 row_mask:0xf bank_mask:0xf
	s_delay_alu instid0(VALU_DEP_1) | instskip(NEXT) | instid1(VALU_DEP_3)
	v_cndmask_b32_e32 v20, 0, v20, vcc_lo
	v_mov_b32_dpp v24, v19 row_shr:2 row_mask:0xf bank_mask:0xf
	s_and_b32 vcc_lo, vcc_lo, s12
	s_delay_alu instid0(VALU_DEP_1) | instid1(SALU_CYCLE_1)
	v_dual_add_nc_u32 v18, v20, v18 :: v_dual_cndmask_b32 v24, 0, v24, vcc_lo
	v_cmp_lt_u32_e32 vcc_lo, 3, v21
	s_delay_alu instid0(VALU_DEP_2) | instskip(NEXT) | instid1(VALU_DEP_3)
	v_mov_b32_dpp v20, v18 row_shr:4 row_mask:0xf bank_mask:0xf
	v_add_nc_u32_e32 v19, v24, v19
	v_cmp_eq_u32_e64 s12, 0, v18
	s_delay_alu instid0(VALU_DEP_3) | instskip(NEXT) | instid1(VALU_DEP_3)
	v_cndmask_b32_e32 v20, 0, v20, vcc_lo
	v_mov_b32_dpp v21, v19 row_shr:4 row_mask:0xf bank_mask:0xf
	s_and_b32 vcc_lo, vcc_lo, s12
	s_delay_alu instid0(VALU_DEP_1) | instskip(NEXT) | instid1(VALU_DEP_1)
	v_dual_cndmask_b32 v21, 0, v21 :: v_dual_add_nc_u32 v18, v20, v18
	v_add_nc_u32_e32 v19, v21, v19
	ds_store_b64 v17, v[18:19] offset:2064
.LBB373_61:
	s_or_b32 exec_lo, exec_lo, s13
	v_dual_mov_b32 v24, 0 :: v_dual_mov_b32 v25, 0
	s_mov_b32 s13, exec_lo
	v_cmp_gt_u32_e32 vcc_lo, 32, v0
	s_wait_dscnt 0x0
	s_barrier_signal -1
	s_barrier_wait -1
	v_cmpx_lt_u32_e32 31, v0
	s_cbranch_execz .LBB373_63
; %bb.62:
	ds_load_b64 v[24:25], v16 offset:2056
	v_cmp_eq_u32_e64 s12, 0, v14
	s_wait_dscnt 0x0
	s_delay_alu instid0(VALU_DEP_1) | instskip(NEXT) | instid1(VALU_DEP_1)
	v_dual_cndmask_b32 v16, 0, v25, s12 :: v_dual_add_nc_u32 v14, v24, v14
	v_add_nc_u32_e32 v15, v16, v15
.LBB373_63:
	s_or_b32 exec_lo, exec_lo, s13
	v_sub_co_u32 v16, s12, v77, 1
	s_delay_alu instid0(VALU_DEP_1) | instskip(NEXT) | instid1(VALU_DEP_1)
	v_cmp_gt_i32_e64 s13, 0, v16
	v_cndmask_b32_e64 v16, v16, v77, s13
	s_delay_alu instid0(VALU_DEP_1)
	v_lshlrev_b32_e32 v16, 2, v16
	ds_bpermute_b32 v30, v16, v14
	ds_bpermute_b32 v31, v16, v15
	s_and_saveexec_b32 s26, vcc_lo
	s_cbranch_execz .LBB373_82
; %bb.64:
	v_mov_b32_e32 v17, 0
	ds_load_b64 v[14:15], v17 offset:2120
	s_and_saveexec_b32 s13, s12
	s_cbranch_execz .LBB373_66
; %bb.65:
	s_add_co_i32 s30, s34, 32
	s_mov_b32 s31, 0
	v_mov_b32_e32 v16, 1
	s_lshl_b64 s[30:31], s[30:31], 4
	s_delay_alu instid0(SALU_CYCLE_1) | instskip(NEXT) | instid1(SALU_CYCLE_1)
	s_add_nc_u64 s[30:31], s[24:25], s[30:31]
	v_mov_b64_e32 v[18:19], s[30:31]
	s_wait_dscnt 0x0
	;;#ASMSTART
	global_store_b128 v[18:19], v[14:17] off scope:SCOPE_DEV	
s_wait_storecnt 0x0
	;;#ASMEND
.LBB373_66:
	s_or_b32 exec_lo, exec_lo, s13
	v_xad_u32 v26, v77, -1, s34
	s_mov_b32 s14, 0
	s_mov_b32 s13, exec_lo
	s_delay_alu instid0(VALU_DEP_1) | instskip(NEXT) | instid1(VALU_DEP_1)
	v_add_nc_u32_e32 v16, 32, v26
	v_lshl_add_u64 v[16:17], v[16:17], 4, s[24:25]
	;;#ASMSTART
	global_load_b128 v[18:21], v[16:17] off scope:SCOPE_DEV	
s_wait_loadcnt 0x0
	;;#ASMEND
	v_and_b32_e32 v21, 0xff, v20
	s_delay_alu instid0(VALU_DEP_1)
	v_cmpx_eq_u16_e32 0, v21
	s_cbranch_execz .LBB373_69
.LBB373_67:                             ; =>This Inner Loop Header: Depth=1
	;;#ASMSTART
	global_load_b128 v[18:21], v[16:17] off scope:SCOPE_DEV	
s_wait_loadcnt 0x0
	;;#ASMEND
	v_and_b32_e32 v21, 0xff, v20
	s_delay_alu instid0(VALU_DEP_1) | instskip(SKIP_1) | instid1(SALU_CYCLE_1)
	v_cmp_ne_u16_e32 vcc_lo, 0, v21
	s_or_b32 s14, vcc_lo, s14
	s_and_not1_b32 exec_lo, exec_lo, s14
	s_cbranch_execnz .LBB373_67
; %bb.68:
	s_or_b32 exec_lo, exec_lo, s14
.LBB373_69:
	s_delay_alu instid0(SALU_CYCLE_1)
	s_or_b32 exec_lo, exec_lo, s13
	v_cmp_ne_u32_e32 vcc_lo, 31, v77
	v_lshlrev_b32_e64 v33, v77, -1
	v_cmp_gt_u32_e64 s14, 30, v77
	v_lshl_or_b32 v40, v77, 2, 64
	v_add_nc_u32_e32 v35, 2, v77
	v_add_co_ci_u32_e64 v16, null, 0, v77, vcc_lo
	s_delay_alu instid0(VALU_DEP_4) | instskip(SKIP_1) | instid1(VALU_DEP_3)
	v_cndmask_b32_e64 v27, 0, 2, s14
	v_dual_add_nc_u32 v37, 4, v77 :: v_dual_add_nc_u32 v39, 8, v77
	v_lshlrev_b32_e32 v32, 2, v16
	v_and_b32_e32 v16, 0xff, v20
	s_delay_alu instid0(VALU_DEP_4)
	v_add_lshl_u32 v34, v27, v77, 2
	v_add_nc_u32_e32 v41, 16, v77
	ds_bpermute_b32 v17, v32, v18
	v_cmp_eq_u16_e32 vcc_lo, 2, v16
	v_and_or_b32 v21, vcc_lo, v33, 0x80000000
	v_cmp_eq_u32_e32 vcc_lo, 0, v18
	s_delay_alu instid0(VALU_DEP_2) | instskip(NEXT) | instid1(VALU_DEP_1)
	v_ctz_i32_b32_e32 v21, v21
	v_cmp_lt_u32_e64 s13, v77, v21
	s_wait_dscnt 0x0
	s_delay_alu instid0(VALU_DEP_1) | instskip(SKIP_4) | instid1(VALU_DEP_1)
	v_cndmask_b32_e64 v17, 0, v17, s13
	ds_bpermute_b32 v16, v32, v19
	s_and_b32 vcc_lo, s13, vcc_lo
	s_wait_dscnt 0x0
	v_dual_cndmask_b32 v16, 0, v16 :: v_dual_add_nc_u32 v17, v17, v18
	v_cmp_eq_u32_e32 vcc_lo, 0, v17
	s_delay_alu instid0(VALU_DEP_2)
	v_add_nc_u32_e32 v16, v16, v19
	ds_bpermute_b32 v19, v34, v16
	s_wait_dscnt 0x0
	v_cndmask_b32_e32 v18, 0, v19, vcc_lo
	ds_bpermute_b32 v19, v34, v17
	v_cmp_gt_u32_e32 vcc_lo, 28, v77
	v_cndmask_b32_e64 v27, 0, 4, vcc_lo
	v_cmp_gt_u32_e32 vcc_lo, v35, v21
	s_delay_alu instid0(VALU_DEP_2) | instskip(SKIP_2) | instid1(VALU_DEP_1)
	v_add_lshl_u32 v36, v27, v77, 2
	s_wait_dscnt 0x0
	v_cndmask_b32_e64 v19, v19, 0, vcc_lo
	v_add_nc_u32_e32 v17, v17, v19
	v_cndmask_b32_e64 v18, v18, 0, vcc_lo
	ds_bpermute_b32 v19, v36, v17
	v_add_nc_u32_e32 v16, v18, v16
	v_cmp_eq_u32_e32 vcc_lo, 0, v17
	ds_bpermute_b32 v18, v36, v16
	s_wait_dscnt 0x0
	v_cndmask_b32_e32 v18, 0, v18, vcc_lo
	v_cmp_gt_u32_e32 vcc_lo, 24, v77
	v_cndmask_b32_e64 v27, 0, 8, vcc_lo
	v_cmp_gt_u32_e32 vcc_lo, v37, v21
	s_delay_alu instid0(VALU_DEP_2) | instskip(SKIP_1) | instid1(VALU_DEP_1)
	v_add_lshl_u32 v38, v27, v77, 2
	v_cndmask_b32_e64 v19, v19, 0, vcc_lo
	v_dual_mov_b32 v27, 0 :: v_dual_add_nc_u32 v17, v17, v19
	v_cndmask_b32_e64 v18, v18, 0, vcc_lo
	ds_bpermute_b32 v19, v38, v17
	v_add_nc_u32_e32 v16, v16, v18
	v_cmp_eq_u32_e32 vcc_lo, 0, v17
	ds_bpermute_b32 v18, v38, v16
	s_wait_dscnt 0x0
	v_cndmask_b32_e32 v18, 0, v18, vcc_lo
	v_cmp_gt_u32_e32 vcc_lo, v39, v21
	s_delay_alu instid0(VALU_DEP_2) | instskip(NEXT) | instid1(VALU_DEP_1)
	v_cndmask_b32_e64 v18, v18, 0, vcc_lo
	v_add_nc_u32_e32 v16, v16, v18
	v_cndmask_b32_e64 v18, v19, 0, vcc_lo
	s_delay_alu instid0(VALU_DEP_1)
	v_add_nc_u32_e32 v17, v17, v18
	ds_bpermute_b32 v19, v40, v16
	ds_bpermute_b32 v18, v40, v17
	v_cmp_eq_u32_e32 vcc_lo, 0, v17
	s_wait_dscnt 0x1
	v_cndmask_b32_e32 v19, 0, v19, vcc_lo
	v_cmp_gt_u32_e32 vcc_lo, v41, v21
	s_wait_dscnt 0x0
	v_cndmask_b32_e64 v18, v18, 0, vcc_lo
	s_delay_alu instid0(VALU_DEP_1) | instskip(SKIP_1) | instid1(VALU_DEP_1)
	v_add_nc_u32_e32 v18, v18, v17
	v_cndmask_b32_e64 v19, v19, 0, vcc_lo
	v_add_nc_u32_e32 v19, v19, v16
	s_branch .LBB373_73
.LBB373_70:                             ;   in Loop: Header=BB373_73 Depth=1
	s_or_b32 exec_lo, exec_lo, s14
.LBB373_71:                             ;   in Loop: Header=BB373_73 Depth=1
	s_delay_alu instid0(SALU_CYCLE_1)
	s_or_b32 exec_lo, exec_lo, s13
	v_and_b32_e32 v21, 0xff, v20
	ds_bpermute_b32 v28, v32, v18
	v_subrev_nc_u32_e32 v26, 32, v26
	v_cmp_eq_u16_e32 vcc_lo, 2, v21
	ds_bpermute_b32 v21, v32, v19
	v_and_or_b32 v29, vcc_lo, v33, 0x80000000
	v_cmp_eq_u32_e32 vcc_lo, 0, v18
	s_delay_alu instid0(VALU_DEP_2) | instskip(NEXT) | instid1(VALU_DEP_1)
	v_ctz_i32_b32_e32 v29, v29
	v_cmp_lt_u32_e64 s13, v77, v29
	s_and_b32 vcc_lo, s13, vcc_lo
	s_wait_dscnt 0x0
	v_dual_cndmask_b32 v28, 0, v28, s13 :: v_dual_cndmask_b32 v21, 0, v21, vcc_lo
	s_mov_b32 s13, 0
	s_delay_alu instid0(VALU_DEP_1)
	v_dual_add_nc_u32 v18, v28, v18 :: v_dual_add_nc_u32 v19, v21, v19
	ds_bpermute_b32 v28, v34, v18
	ds_bpermute_b32 v21, v34, v19
	v_cmp_eq_u32_e32 vcc_lo, 0, v18
	s_wait_dscnt 0x0
	v_cndmask_b32_e32 v21, 0, v21, vcc_lo
	v_cmp_gt_u32_e32 vcc_lo, v35, v29
	v_cndmask_b32_e64 v28, v28, 0, vcc_lo
	s_delay_alu instid0(VALU_DEP_1) | instskip(NEXT) | instid1(VALU_DEP_4)
	v_add_nc_u32_e32 v18, v18, v28
	v_cndmask_b32_e64 v21, v21, 0, vcc_lo
	s_delay_alu instid0(VALU_DEP_2) | instskip(NEXT) | instid1(VALU_DEP_2)
	v_cmp_eq_u32_e32 vcc_lo, 0, v18
	v_add_nc_u32_e32 v19, v21, v19
	ds_bpermute_b32 v28, v36, v18
	ds_bpermute_b32 v21, v36, v19
	s_wait_dscnt 0x0
	v_cndmask_b32_e32 v21, 0, v21, vcc_lo
	v_cmp_gt_u32_e32 vcc_lo, v37, v29
	s_delay_alu instid0(VALU_DEP_2) | instskip(SKIP_1) | instid1(VALU_DEP_1)
	v_cndmask_b32_e64 v21, v21, 0, vcc_lo
	v_cndmask_b32_e64 v28, v28, 0, vcc_lo
	v_dual_add_nc_u32 v19, v19, v21 :: v_dual_add_nc_u32 v18, v18, v28
	ds_bpermute_b32 v21, v38, v19
	ds_bpermute_b32 v28, v38, v18
	v_cmp_eq_u32_e32 vcc_lo, 0, v18
	s_wait_dscnt 0x1
	v_cndmask_b32_e32 v21, 0, v21, vcc_lo
	v_cmp_gt_u32_e32 vcc_lo, v39, v29
	s_wait_dscnt 0x0
	v_cndmask_b32_e64 v28, v28, 0, vcc_lo
	s_delay_alu instid0(VALU_DEP_1) | instskip(SKIP_1) | instid1(VALU_DEP_2)
	v_add_nc_u32_e32 v18, v18, v28
	v_cndmask_b32_e64 v21, v21, 0, vcc_lo
	v_cmp_eq_u32_e32 vcc_lo, 0, v18
	s_delay_alu instid0(VALU_DEP_2)
	v_add_nc_u32_e32 v19, v19, v21
	ds_bpermute_b32 v28, v40, v18
	ds_bpermute_b32 v21, v40, v19
	s_wait_dscnt 0x0
	v_cndmask_b32_e32 v21, 0, v21, vcc_lo
	v_cmp_gt_u32_e32 vcc_lo, v41, v29
	s_delay_alu instid0(VALU_DEP_2) | instskip(NEXT) | instid1(VALU_DEP_1)
	v_cndmask_b32_e64 v21, v21, 0, vcc_lo
	v_add_nc_u32_e32 v19, v21, v19
	v_cndmask_b32_e64 v21, v28, 0, vcc_lo
	v_cmp_eq_u32_e32 vcc_lo, 0, v16
	s_delay_alu instid0(VALU_DEP_2) | instskip(NEXT) | instid1(VALU_DEP_4)
	v_add3_u32 v18, v18, v16, v21
	v_cndmask_b32_e32 v19, 0, v19, vcc_lo
	s_delay_alu instid0(VALU_DEP_1)
	v_add_nc_u32_e32 v19, v19, v17
.LBB373_72:                             ;   in Loop: Header=BB373_73 Depth=1
	s_and_b32 vcc_lo, exec_lo, s13
	s_cbranch_vccnz .LBB373_78
.LBB373_73:                             ; =>This Loop Header: Depth=1
                                        ;     Child Loop BB373_76 Depth 2
	v_and_b32_e32 v16, 0xff, v20
	s_delay_alu instid0(VALU_DEP_2) | instskip(SKIP_1) | instid1(VALU_DEP_2)
	v_mov_b32_e32 v17, v19
	s_mov_b32 s13, -1
                                        ; implicit-def: $vgpr19
                                        ; implicit-def: $vgpr20
	v_cmp_ne_u16_e32 vcc_lo, 2, v16
	v_mov_b32_e32 v16, v18
                                        ; implicit-def: $vgpr18
	s_cmp_lg_u32 vcc_lo, exec_lo
	s_cbranch_scc1 .LBB373_72
; %bb.74:                               ;   in Loop: Header=BB373_73 Depth=1
	v_lshl_add_u64 v[28:29], v[26:27], 4, s[24:25]
	;;#ASMSTART
	global_load_b128 v[18:21], v[28:29] off scope:SCOPE_DEV	
s_wait_loadcnt 0x0
	;;#ASMEND
	v_and_b32_e32 v21, 0xff, v20
	s_mov_b32 s13, exec_lo
	s_delay_alu instid0(VALU_DEP_1)
	v_cmpx_eq_u16_e32 0, v21
	s_cbranch_execz .LBB373_71
; %bb.75:                               ;   in Loop: Header=BB373_73 Depth=1
	s_mov_b32 s14, 0
.LBB373_76:                             ;   Parent Loop BB373_73 Depth=1
                                        ; =>  This Inner Loop Header: Depth=2
	;;#ASMSTART
	global_load_b128 v[18:21], v[28:29] off scope:SCOPE_DEV	
s_wait_loadcnt 0x0
	;;#ASMEND
	v_and_b32_e32 v21, 0xff, v20
	s_delay_alu instid0(VALU_DEP_1) | instskip(SKIP_1) | instid1(SALU_CYCLE_1)
	v_cmp_ne_u16_e32 vcc_lo, 0, v21
	s_or_b32 s14, vcc_lo, s14
	s_and_not1_b32 exec_lo, exec_lo, s14
	s_cbranch_execnz .LBB373_76
	s_branch .LBB373_70
.LBB373_77:
                                        ; implicit-def: $vgpr14
                                        ; implicit-def: $vgpr18
                                        ; implicit-def: $vgpr20_vgpr21
                                        ; implicit-def: $vgpr28_vgpr29
                                        ; implicit-def: $vgpr36_vgpr37
                                        ; implicit-def: $vgpr30_vgpr31
                                        ; implicit-def: $vgpr44_vgpr45
                                        ; implicit-def: $vgpr48_vgpr49
                                        ; implicit-def: $vgpr46_vgpr47
                                        ; implicit-def: $vgpr42_vgpr43
                                        ; implicit-def: $vgpr38_vgpr39
                                        ; implicit-def: $vgpr32_vgpr33
                                        ; implicit-def: $vgpr34_vgpr35
                                        ; implicit-def: $vgpr40_vgpr41
                                        ; implicit-def: $vgpr24_vgpr25
                                        ; implicit-def: $vgpr26_vgpr27
	s_cbranch_execnz .LBB373_83
	s_branch .LBB373_94
.LBB373_78:
	s_and_saveexec_b32 s13, s12
	s_cbranch_execz .LBB373_80
; %bb.79:
	v_cmp_eq_u32_e32 vcc_lo, 0, v14
	s_mov_b32 s31, 0
	s_add_co_i32 s30, s34, 32
	v_mov_b32_e32 v21, 0
	s_lshl_b64 s[30:31], s[30:31], 4
	v_dual_cndmask_b32 v19, 0, v17 :: v_dual_add_nc_u32 v18, v16, v14
	s_add_nc_u64 s[30:31], s[24:25], s[30:31]
	v_mov_b32_e32 v20, 2
	v_mov_b64_e32 v[26:27], s[30:31]
	s_delay_alu instid0(VALU_DEP_3)
	v_add_nc_u32_e32 v19, v19, v15
	;;#ASMSTART
	global_store_b128 v[26:27], v[18:21] off scope:SCOPE_DEV	
s_wait_storecnt 0x0
	;;#ASMEND
	ds_store_b128 v21, v[14:17] offset:2048
.LBB373_80:
	s_or_b32 exec_lo, exec_lo, s13
	v_cmp_eq_u32_e32 vcc_lo, 0, v0
	s_and_b32 exec_lo, exec_lo, vcc_lo
; %bb.81:
	v_mov_b32_e32 v14, 0
	ds_store_b64 v14, v[16:17] offset:2120
.LBB373_82:
	s_or_b32 exec_lo, exec_lo, s26
	s_wait_dscnt 0x1
	v_dual_mov_b32 v16, 0 :: v_dual_cndmask_b32 v17, v30, v24, s12
	s_wait_dscnt 0x0
	s_barrier_signal -1
	s_barrier_wait -1
	ds_load_b64 v[14:15], v16 offset:2120
	v_cmp_eq_u32_e32 vcc_lo, 0, v17
	v_cndmask_b32_e64 v18, v31, v25, s12
	v_cmp_eq_u32_e64 s12, 0, v67
	s_wait_dscnt 0x0
	s_barrier_signal -1
	s_barrier_wait -1
	v_cndmask_b32_e32 v19, 0, v15, vcc_lo
	v_cmp_eq_u32_e32 vcc_lo, 0, v0
	s_delay_alu instid0(VALU_DEP_2) | instskip(SKIP_1) | instid1(VALU_DEP_2)
	v_add_nc_u32_e32 v18, v19, v18
	v_cndmask_b32_e64 v17, v17, 0, vcc_lo
	v_cndmask_b32_e32 v45, v18, v15, vcc_lo
	s_delay_alu instid0(VALU_DEP_2) | instskip(NEXT) | instid1(VALU_DEP_1)
	v_add_nc_u32_e32 v44, v14, v17
	v_dual_cndmask_b32 v15, 0, v45, s12 :: v_dual_add_nc_u32 v48, v44, v67
	s_delay_alu instid0(VALU_DEP_1) | instskip(NEXT) | instid1(VALU_DEP_1)
	v_dual_add_nc_u32 v49, v15, v52 :: v_dual_add_nc_u32 v46, v48, v66
	v_cndmask_b32_e64 v15, 0, v49, s11
	s_delay_alu instid0(VALU_DEP_1) | instskip(NEXT) | instid1(VALU_DEP_1)
	v_add_nc_u32_e32 v47, v15, v68
	v_cndmask_b32_e64 v15, 0, v47, s10
	s_delay_alu instid0(VALU_DEP_1) | instskip(NEXT) | instid1(VALU_DEP_1)
	v_add_nc_u32_e32 v43, v15, v72
	;; [unrolled: 3-line block ×7, first 2 shown]
	v_dual_add_nc_u32 v42, v46, v64 :: v_dual_cndmask_b32 v14, 0, v25, s4
	s_delay_alu instid0(VALU_DEP_1) | instskip(NEXT) | instid1(VALU_DEP_2)
	v_add_nc_u32_e32 v38, v42, v63
	v_add_nc_u32_e32 v27, v14, v69
	s_delay_alu instid0(VALU_DEP_1) | instskip(NEXT) | instid1(VALU_DEP_1)
	v_dual_add_nc_u32 v32, v38, v61 :: v_dual_cndmask_b32 v14, 0, v27, s3
	v_add_nc_u32_e32 v34, v32, v65
	s_delay_alu instid0(VALU_DEP_1) | instskip(NEXT) | instid1(VALU_DEP_1)
	v_add_nc_u32_e32 v40, v34, v60
	v_add_nc_u32_e32 v24, v40, v59
	s_delay_alu instid0(VALU_DEP_1) | instskip(NEXT) | instid1(VALU_DEP_1)
	v_add_nc_u32_e32 v26, v24, v58
	v_add_nc_u32_e32 v30, v26, v55
	s_delay_alu instid0(VALU_DEP_1) | instskip(SKIP_3) | instid1(VALU_DEP_1)
	v_add_nc_u32_e32 v36, v30, v54
	v_add_nc_u32_e32 v31, v14, v53
	ds_load_b128 v[14:17], v16 offset:2048
	v_dual_add_nc_u32 v28, v36, v56 :: v_dual_cndmask_b32 v18, 0, v31, s2
	v_dual_add_nc_u32 v20, v28, v62 :: v_dual_add_nc_u32 v37, v18, v51
	s_delay_alu instid0(VALU_DEP_1) | instskip(NEXT) | instid1(VALU_DEP_1)
	v_cndmask_b32_e64 v18, 0, v37, s1
	v_add_nc_u32_e32 v29, v18, v50
	s_wait_dscnt 0x0
	v_cmp_eq_u32_e32 vcc_lo, 0, v14
	s_delay_alu instid0(VALU_DEP_2) | instskip(SKIP_1) | instid1(VALU_DEP_1)
	v_cndmask_b32_e64 v18, 0, v29, s0
	v_cndmask_b32_e32 v17, 0, v17, vcc_lo
	v_dual_add_nc_u32 v21, v18, v1 :: v_dual_add_nc_u32 v18, v17, v15
	s_branch .LBB373_94
.LBB373_83:
	s_wait_kmcnt 0x0
	s_cmp_eq_u64 s[28:29], 0
	v_mov_b32_e32 v18, v52
	s_cselect_b32 s0, -1, 0
	s_delay_alu instid0(SALU_CYCLE_1) | instskip(NEXT) | instid1(SALU_CYCLE_1)
	s_or_b32 s0, s15, s0
	s_and_b32 vcc_lo, exec_lo, s0
	s_cbranch_vccnz .LBB373_85
; %bb.84:
	v_mov_b32_e32 v14, 0
	global_load_b32 v18, v14, s[28:29]
.LBB373_85:
	v_add3_u32 v15, v80, v61, v65
	v_cmp_eq_u32_e64 s5, 0, v66
	v_cmp_eq_u32_e64 s6, 0, v64
	;; [unrolled: 1-line block ×4, first 2 shown]
	v_add3_u32 v15, v15, v60, v59
	s_wait_xcnt 0x0
	v_dual_cndmask_b32 v14, 0, v52, s5 :: v_dual_bitop2_b32 v17, 15, v77 bitop3:0x40
	v_cmp_eq_u32_e64 s10, 0, v65
	v_cmp_eq_u32_e64 s9, 0, v60
	v_add3_u32 v15, v15, v58, v55
	v_cmp_eq_u32_e64 s4, 0, v59
	v_cmp_eq_u32_e64 s3, 0, v58
	;; [unrolled: 1-line block ×4, first 2 shown]
	v_add3_u32 v15, v15, v54, v56
	v_cmp_eq_u32_e32 vcc_lo, 0, v56
	v_cmp_eq_u32_e64 s0, 0, v62
	v_cmp_eq_u32_e64 s11, 0, v57
	s_delay_alu instid0(VALU_DEP_4) | instskip(SKIP_1) | instid1(VALU_DEP_2)
	v_add3_u32 v15, v15, v62, v57
	v_add_nc_u32_e32 v14, v14, v68
	v_mov_b32_dpp v19, v15 row_shr:1 row_mask:0xf bank_mask:0xf
	s_delay_alu instid0(VALU_DEP_2) | instskip(NEXT) | instid1(VALU_DEP_1)
	v_cndmask_b32_e64 v14, 0, v14, s6
	v_add_nc_u32_e32 v14, v14, v72
	s_delay_alu instid0(VALU_DEP_1) | instskip(NEXT) | instid1(VALU_DEP_1)
	v_cndmask_b32_e64 v14, 0, v14, s7
	v_add_nc_u32_e32 v14, v14, v74
	s_delay_alu instid0(VALU_DEP_1) | instskip(NEXT) | instid1(VALU_DEP_1)
	;; [unrolled: 3-line block ×9, first 2 shown]
	v_cndmask_b32_e32 v14, 0, v14, vcc_lo
	v_add_nc_u32_e32 v14, v14, v50
	s_delay_alu instid0(VALU_DEP_1) | instskip(NEXT) | instid1(VALU_DEP_1)
	v_cndmask_b32_e64 v14, 0, v14, s0
	v_add_nc_u32_e32 v14, v14, v1
	s_delay_alu instid0(VALU_DEP_1) | instskip(SKIP_1) | instid1(VALU_DEP_2)
	v_cndmask_b32_e64 v14, 0, v14, s11
	v_cmp_eq_u32_e64 s11, 0, v15
	v_add_nc_u32_e32 v14, v14, v76
	s_delay_alu instid0(VALU_DEP_1) | instskip(NEXT) | instid1(VALU_DEP_1)
	v_mov_b32_dpp v16, v14 row_shr:1 row_mask:0xf bank_mask:0xf
	v_cndmask_b32_e64 v16, 0, v16, s11
	v_cmp_eq_u32_e64 s11, 0, v17
	s_delay_alu instid0(VALU_DEP_1) | instskip(NEXT) | instid1(VALU_DEP_3)
	v_cndmask_b32_e64 v19, v19, 0, s11
	v_cndmask_b32_e64 v16, v16, 0, s11
	v_cmp_lt_u32_e64 s11, 1, v17
	s_delay_alu instid0(VALU_DEP_2) | instskip(NEXT) | instid1(VALU_DEP_1)
	v_dual_add_nc_u32 v15, v19, v15 :: v_dual_add_nc_u32 v14, v16, v14
	v_mov_b32_dpp v16, v15 row_shr:2 row_mask:0xf bank_mask:0xf
	v_cmp_eq_u32_e64 s12, 0, v15
	s_delay_alu instid0(VALU_DEP_3) | instskip(NEXT) | instid1(VALU_DEP_3)
	v_mov_b32_dpp v19, v14 row_shr:2 row_mask:0xf bank_mask:0xf
	v_cndmask_b32_e64 v16, 0, v16, s11
	s_and_b32 s11, s11, s12
	s_delay_alu instid0(VALU_DEP_2) | instid1(SALU_CYCLE_1)
	v_cndmask_b32_e64 v19, 0, v19, s11
	v_cmp_lt_u32_e64 s11, 3, v17
	s_delay_alu instid0(VALU_DEP_3) | instskip(NEXT) | instid1(VALU_DEP_3)
	v_add_nc_u32_e32 v15, v15, v16
	v_add_nc_u32_e32 v14, v19, v14
	s_delay_alu instid0(VALU_DEP_2) | instskip(SKIP_1) | instid1(VALU_DEP_3)
	v_mov_b32_dpp v16, v15 row_shr:4 row_mask:0xf bank_mask:0xf
	v_cmp_eq_u32_e64 s12, 0, v15
	v_mov_b32_dpp v19, v14 row_shr:4 row_mask:0xf bank_mask:0xf
	s_delay_alu instid0(VALU_DEP_3)
	v_cndmask_b32_e64 v16, 0, v16, s11
	s_and_b32 s11, s11, s12
	s_delay_alu instid0(VALU_DEP_2) | instid1(SALU_CYCLE_1)
	v_cndmask_b32_e64 v19, 0, v19, s11
	v_cmp_lt_u32_e64 s11, 7, v17
	s_delay_alu instid0(VALU_DEP_3) | instskip(NEXT) | instid1(VALU_DEP_3)
	v_add_nc_u32_e32 v15, v16, v15
	v_add_nc_u32_e32 v14, v14, v19
	v_bfe_i32 v19, v77, 4, 1
	s_delay_alu instid0(VALU_DEP_3) | instskip(SKIP_1) | instid1(VALU_DEP_4)
	v_mov_b32_dpp v16, v15 row_shr:8 row_mask:0xf bank_mask:0xf
	v_cmp_eq_u32_e64 s12, 0, v15
	v_mov_b32_dpp v17, v14 row_shr:8 row_mask:0xf bank_mask:0xf
	s_delay_alu instid0(VALU_DEP_3) | instskip(SKIP_2) | instid1(VALU_DEP_2)
	v_cndmask_b32_e64 v16, 0, v16, s11
	s_and_b32 s11, s11, s12
	s_mov_b32 s12, exec_lo
	v_cndmask_b32_e64 v17, 0, v17, s11
	s_delay_alu instid0(VALU_DEP_1) | instskip(SKIP_4) | instid1(VALU_DEP_1)
	v_dual_add_nc_u32 v17, v17, v14 :: v_dual_add_nc_u32 v14, v16, v15
	ds_swizzle_b32 v15, v17 offset:swizzle(BROADCAST,32,15)
	ds_swizzle_b32 v16, v14 offset:swizzle(BROADCAST,32,15)
	v_cmp_eq_u32_e64 s11, 0, v14
	s_wait_dscnt 0x0
	v_dual_cndmask_b32 v15, 0, v15, s11 :: v_dual_bitop2_b32 v16, v19, v16 bitop3:0x40
	s_delay_alu instid0(VALU_DEP_1) | instskip(NEXT) | instid1(VALU_DEP_1)
	v_dual_add_nc_u32 v14, v16, v14 :: v_dual_bitop2_b32 v15, v19, v15 bitop3:0x40
	v_dual_add_nc_u32 v15, v15, v17 :: v_dual_lshlrev_b32 v17, 3, v78
	v_cmpx_eq_u32_e64 v0, v79
; %bb.86:
	ds_store_b64 v17, v[14:15] offset:2064
; %bb.87:
	s_or_b32 exec_lo, exec_lo, s12
	s_delay_alu instid0(SALU_CYCLE_1)
	s_mov_b32 s13, exec_lo
	s_wait_loadcnt_dscnt 0x0
	s_barrier_signal -1
	s_barrier_wait -1
	v_cmpx_gt_u32_e32 8, v0
	s_cbranch_execz .LBB373_89
; %bb.88:
	v_dual_lshlrev_b32 v16, 3, v0 :: v_dual_bitop2_b32 v24, 7, v77 bitop3:0x40
	ds_load_b64 v[20:21], v16 offset:2064
	s_wait_dscnt 0x0
	v_mov_b32_dpp v19, v21 row_shr:1 row_mask:0xf bank_mask:0xf
	v_cmp_eq_u32_e64 s11, 0, v20
	v_mov_b32_dpp v25, v20 row_shr:1 row_mask:0xf bank_mask:0xf
	s_delay_alu instid0(VALU_DEP_2) | instskip(SKIP_1) | instid1(VALU_DEP_1)
	v_cndmask_b32_e64 v19, 0, v19, s11
	v_cmp_eq_u32_e64 s11, 0, v24
	v_cndmask_b32_e64 v25, v25, 0, s11
	s_delay_alu instid0(VALU_DEP_1) | instskip(NEXT) | instid1(VALU_DEP_4)
	v_add_nc_u32_e32 v20, v25, v20
	v_cndmask_b32_e64 v19, v19, 0, s11
	v_cmp_lt_u32_e64 s11, 1, v24
	s_delay_alu instid0(VALU_DEP_3) | instskip(NEXT) | instid1(VALU_DEP_3)
	v_cmp_eq_u32_e64 s12, 0, v20
	v_add_nc_u32_e32 v19, v19, v21
	v_mov_b32_dpp v21, v20 row_shr:2 row_mask:0xf bank_mask:0xf
	s_delay_alu instid0(VALU_DEP_1) | instskip(NEXT) | instid1(VALU_DEP_3)
	v_cndmask_b32_e64 v21, 0, v21, s11
	v_mov_b32_dpp v25, v19 row_shr:2 row_mask:0xf bank_mask:0xf
	s_and_b32 s11, s11, s12
	s_delay_alu instid0(VALU_DEP_1) | instid1(SALU_CYCLE_1)
	v_dual_add_nc_u32 v20, v21, v20 :: v_dual_cndmask_b32 v25, 0, v25, s11
	v_cmp_lt_u32_e64 s11, 3, v24
	s_delay_alu instid0(VALU_DEP_2) | instskip(NEXT) | instid1(VALU_DEP_3)
	v_mov_b32_dpp v21, v20 row_shr:4 row_mask:0xf bank_mask:0xf
	v_add_nc_u32_e32 v19, v25, v19
	v_cmp_eq_u32_e64 s12, 0, v20
	s_delay_alu instid0(VALU_DEP_3) | instskip(NEXT) | instid1(VALU_DEP_3)
	v_cndmask_b32_e64 v21, 0, v21, s11
	v_mov_b32_dpp v24, v19 row_shr:4 row_mask:0xf bank_mask:0xf
	s_and_b32 s11, s11, s12
	s_delay_alu instid0(VALU_DEP_1) | instid1(SALU_CYCLE_1)
	v_cndmask_b32_e64 v24, 0, v24, s11
	s_delay_alu instid0(VALU_DEP_1)
	v_dual_add_nc_u32 v20, v21, v20 :: v_dual_add_nc_u32 v21, v24, v19
	ds_store_b64 v16, v[20:21] offset:2064
.LBB373_89:
	s_or_b32 exec_lo, exec_lo, s13
	v_dual_mov_b32 v19, 0 :: v_dual_mov_b32 v16, 0
	v_mov_b32_e32 v20, v18
	s_mov_b32 s12, exec_lo
	s_wait_dscnt 0x0
	s_barrier_signal -1
	s_barrier_wait -1
	v_cmpx_lt_u32_e32 31, v0
	s_cbranch_execz .LBB373_91
; %bb.90:
	ds_load_b64 v[16:17], v17 offset:2056
	s_wait_dscnt 0x0
	v_cmp_eq_u32_e64 s11, 0, v16
	s_delay_alu instid0(VALU_DEP_1) | instskip(NEXT) | instid1(VALU_DEP_1)
	v_cndmask_b32_e64 v20, 0, v18, s11
	v_add_nc_u32_e32 v20, v20, v17
.LBB373_91:
	s_or_b32 exec_lo, exec_lo, s12
	v_sub_co_u32 v17, s11, v77, 1
	s_delay_alu instid0(VALU_DEP_1) | instskip(NEXT) | instid1(VALU_DEP_1)
	v_cmp_gt_i32_e64 s12, 0, v17
	v_cndmask_b32_e64 v17, v17, v77, s12
	v_cmp_eq_u32_e64 s12, 0, v14
	s_delay_alu instid0(VALU_DEP_1) | instskip(NEXT) | instid1(VALU_DEP_3)
	v_dual_cndmask_b32 v21, 0, v20, s12 :: v_dual_add_nc_u32 v14, v16, v14
	v_lshlrev_b32_e32 v17, 2, v17
	v_cmp_eq_u32_e64 s12, 0, v67
	ds_bpermute_b32 v14, v17, v14
	s_wait_dscnt 0x0
	v_dual_add_nc_u32 v15, v21, v15 :: v_dual_cndmask_b32 v14, v14, v16, s11
	ds_bpermute_b32 v15, v17, v15
	s_wait_dscnt 0x0
	v_cndmask_b32_e64 v15, v15, v20, s11
	v_cmp_eq_u32_e64 s11, 0, v0
	s_delay_alu instid0(VALU_DEP_1) | instskip(SKIP_1) | instid1(VALU_DEP_1)
	v_cndmask_b32_e64 v45, v15, v18, s11
	v_cndmask_b32_e64 v44, v14, 0, s11
	v_dual_cndmask_b32 v15, 0, v45, s12 :: v_dual_add_nc_u32 v48, v44, v67
	s_delay_alu instid0(VALU_DEP_1) | instskip(NEXT) | instid1(VALU_DEP_1)
	v_dual_add_nc_u32 v49, v15, v52 :: v_dual_add_nc_u32 v46, v48, v66
	v_dual_cndmask_b32 v15, 0, v49, s5 :: v_dual_add_nc_u32 v42, v46, v64
	s_delay_alu instid0(VALU_DEP_1) | instskip(NEXT) | instid1(VALU_DEP_1)
	v_add_nc_u32_e32 v47, v15, v68
	v_cndmask_b32_e64 v15, 0, v47, s6
	s_delay_alu instid0(VALU_DEP_1) | instskip(NEXT) | instid1(VALU_DEP_1)
	v_add_nc_u32_e32 v43, v15, v72
	v_cndmask_b32_e64 v15, 0, v43, s7
	;; [unrolled: 3-line block ×6, first 2 shown]
	s_delay_alu instid0(VALU_DEP_1) | instskip(NEXT) | instid1(VALU_DEP_1)
	v_add_nc_u32_e32 v25, v14, v73
	v_dual_add_nc_u32 v38, v42, v63 :: v_dual_cndmask_b32 v14, 0, v25, s3
	s_delay_alu instid0(VALU_DEP_1) | instskip(NEXT) | instid1(VALU_DEP_2)
	v_add_nc_u32_e32 v32, v38, v61
	v_add_nc_u32_e32 v27, v14, v69
	s_delay_alu instid0(VALU_DEP_1) | instskip(NEXT) | instid1(VALU_DEP_1)
	v_dual_add_nc_u32 v34, v32, v65 :: v_dual_cndmask_b32 v14, 0, v27, s2
	v_add_nc_u32_e32 v40, v34, v60
	s_delay_alu instid0(VALU_DEP_2) | instskip(SKIP_2) | instid1(VALU_DEP_1)
	v_add_nc_u32_e32 v31, v14, v53
	ds_load_b64 v[14:15], v19 offset:2120
	v_add_nc_u32_e32 v24, v40, v59
	v_dual_cndmask_b32 v16, 0, v31, s1 :: v_dual_add_nc_u32 v26, v24, v58
	s_delay_alu instid0(VALU_DEP_1) | instskip(NEXT) | instid1(VALU_DEP_1)
	v_add_nc_u32_e32 v37, v16, v51
	v_dual_add_nc_u32 v30, v26, v55 :: v_dual_cndmask_b32 v16, 0, v37, vcc_lo
	s_delay_alu instid0(VALU_DEP_1) | instskip(NEXT) | instid1(VALU_DEP_2)
	v_add_nc_u32_e32 v36, v30, v54
	v_add_nc_u32_e32 v29, v16, v50
	s_wait_dscnt 0x0
	v_cmp_eq_u32_e32 vcc_lo, 0, v14
	s_delay_alu instid0(VALU_DEP_2) | instskip(SKIP_1) | instid1(VALU_DEP_2)
	v_dual_add_nc_u32 v28, v36, v56 :: v_dual_cndmask_b32 v16, 0, v29, s0
	v_cndmask_b32_e32 v17, 0, v18, vcc_lo
	v_add_nc_u32_e32 v20, v28, v62
	s_delay_alu instid0(VALU_DEP_2)
	v_dual_add_nc_u32 v21, v16, v1 :: v_dual_add_nc_u32 v18, v17, v15
	s_and_saveexec_b32 s0, s11
	s_cbranch_execz .LBB373_93
; %bb.92:
	s_add_nc_u64 s[2:3], s[24:25], 0x200
	v_dual_mov_b32 v16, 2 :: v_dual_mov_b32 v17, 0
	v_mov_b32_e32 v15, v18
	v_mov_b64_e32 v[50:51], s[2:3]
	;;#ASMSTART
	global_store_b128 v[50:51], v[14:17] off scope:SCOPE_DEV	
s_wait_storecnt 0x0
	;;#ASMEND
.LBB373_93:
	s_or_b32 exec_lo, exec_lo, s0
	v_mov_b32_e32 v16, 0
.LBB373_94:
	s_cmp_eq_u64 s[22:23], 0
	v_mov_b64_e32 v[50:51], 0
	s_cselect_b32 s0, -1, 0
	s_delay_alu instid0(SALU_CYCLE_1)
	s_or_b32 s0, s15, s0
	s_barrier_signal -1
	s_and_b32 vcc_lo, exec_lo, s0
	s_barrier_wait -1
	s_cbranch_vccnz .LBB373_96
; %bb.95:
	v_mov_b32_e32 v1, 0
	global_load_b64 v[50:51], v1, s[22:23]
.LBB373_96:
	v_cmp_eq_u32_e32 vcc_lo, 0, v67
	s_wait_loadcnt 0x0
	v_lshlrev_b64_e32 v[52:53], 2, v[50:51]
	v_cmp_ne_u32_e64 s13, 0, v67
	v_cmp_ne_u32_e64 s12, 0, v66
	;; [unrolled: 1-line block ×3, first 2 shown]
	v_cndmask_b32_e64 v1, 1, 2, vcc_lo
	v_cmp_eq_u32_e32 vcc_lo, 0, v66
	v_cmp_ne_u32_e64 s10, 0, v63
	s_wait_kmcnt 0x0
	v_add_nc_u64_e32 v[52:53], s[16:17], v[52:53]
	v_cmp_ne_u32_e64 s9, 0, v61
	v_cmp_ne_u32_e64 s8, 0, v65
	v_cndmask_b32_e64 v15, 1, 2, vcc_lo
	v_cmp_eq_u32_e32 vcc_lo, 0, v64
	v_cmp_ne_u32_e64 s7, 0, v60
	v_cmp_ne_u32_e64 s6, 0, v59
	;; [unrolled: 1-line block ×3, first 2 shown]
	v_and_b32_e32 v1, v15, v1
	v_cndmask_b32_e64 v17, 1, 2, vcc_lo
	v_cmp_eq_u32_e32 vcc_lo, 0, v63
	v_cmp_ne_u32_e64 s4, 0, v55
	v_cmp_ne_u32_e64 s3, 0, v54
	;; [unrolled: 1-line block ×4, first 2 shown]
	v_cndmask_b32_e64 v19, 1, 2, vcc_lo
	v_cmp_eq_u32_e32 vcc_lo, 0, v61
	v_cmp_ne_u32_e64 s0, 0, v57
	s_mov_b32 s15, -1
	v_bitop3_b16 v1, v1, v19, v17 bitop3:0x80
	v_cndmask_b32_e64 v15, 1, 2, vcc_lo
	v_cmp_eq_u32_e32 vcc_lo, 0, v65
	v_mov_b32_e32 v17, 0
	v_cndmask_b32_e64 v19, 1, 2, vcc_lo
	v_cmp_eq_u32_e32 vcc_lo, 0, v60
	s_delay_alu instid0(VALU_DEP_3) | instskip(NEXT) | instid1(VALU_DEP_3)
	v_lshlrev_b64_e32 v[68:69], 2, v[16:17]
	v_bitop3_b16 v1, v1, v19, v15 bitop3:0x80
	v_cndmask_b32_e64 v15, 1, 2, vcc_lo
	v_cmp_eq_u32_e32 vcc_lo, 0, v59
	s_delay_alu instid0(VALU_DEP_4) | instskip(SKIP_2) | instid1(VALU_DEP_2)
	v_add_nc_u64_e32 v[52:53], v[52:53], v[68:69]
	v_cndmask_b32_e64 v19, 1, 2, vcc_lo
	v_cmp_eq_u32_e32 vcc_lo, 0, v58
	v_bitop3_b16 v1, v1, v19, v15 bitop3:0x80
	v_cndmask_b32_e64 v15, 1, 2, vcc_lo
	v_cmp_eq_u32_e32 vcc_lo, 0, v55
	v_cndmask_b32_e64 v19, 1, 2, vcc_lo
	v_cmp_eq_u32_e32 vcc_lo, 0, v54
	s_delay_alu instid0(VALU_DEP_2) | instskip(SKIP_4) | instid1(VALU_DEP_2)
	v_bitop3_b16 v1, v1, v19, v15 bitop3:0x80
	v_cndmask_b32_e64 v15, 1, 2, vcc_lo
	v_cmp_eq_u32_e32 vcc_lo, 0, v56
	v_cndmask_b32_e64 v19, 1, 2, vcc_lo
	v_cmp_eq_u32_e32 vcc_lo, 0, v62
	v_bitop3_b16 v1, v1, v19, v15 bitop3:0x80
	v_cndmask_b32_e64 v15, 1, 2, vcc_lo
	v_cmp_eq_u32_e32 vcc_lo, 0, v57
	v_cndmask_b32_e64 v19, 1, 2, vcc_lo
	v_cmp_gt_u32_e32 vcc_lo, 0x100, v14
	s_delay_alu instid0(VALU_DEP_2) | instskip(NEXT) | instid1(VALU_DEP_1)
	v_bitop3_b16 v1, v1, v19, v15 bitop3:0x80
	v_cmp_gt_i16_e64 s14, 2, v1
	s_cbranch_vccz .LBB373_103
; %bb.97:
	s_and_saveexec_b32 s15, s14
	s_cbranch_execz .LBB373_102
; %bb.98:
	s_mov_b32 s16, 0
	s_mov_b32 s14, exec_lo
	v_cmpx_ne_u16_e32 1, v1
	s_xor_b32 s14, exec_lo, s14
	s_cbranch_execnz .LBB373_146
; %bb.99:
	s_and_not1_saveexec_b32 s14, s14
	s_cbranch_execnz .LBB373_161
.LBB373_100:
	s_or_b32 exec_lo, exec_lo, s14
	s_delay_alu instid0(SALU_CYCLE_1)
	s_and_b32 exec_lo, exec_lo, s16
	s_cbranch_execz .LBB373_102
.LBB373_101:
	v_sub_nc_u32_e32 v15, v20, v16
	v_readfirstlane_b32 s16, v52
	v_readfirstlane_b32 s17, v53
	global_store_b32 v15, v23, s[16:17] scale_offset
.LBB373_102:
	s_wait_xcnt 0x0
	s_or_b32 exec_lo, exec_lo, s15
	s_mov_b32 s15, 0
.LBB373_103:
	s_delay_alu instid0(SALU_CYCLE_1)
	s_and_b32 vcc_lo, exec_lo, s15
	s_cbranch_vccz .LBB373_125
; %bb.104:
	s_mov_b32 s14, exec_lo
	v_cmpx_gt_i16_e32 2, v1
	s_cbranch_execz .LBB373_109
; %bb.105:
	s_mov_b32 s16, 0
	s_mov_b32 s15, exec_lo
	v_cmpx_ne_u16_e32 1, v1
	s_xor_b32 s15, exec_lo, s15
	s_cbranch_execnz .LBB373_162
; %bb.106:
	s_and_not1_saveexec_b32 s0, s15
	s_cbranch_execnz .LBB373_177
.LBB373_107:
	s_or_b32 exec_lo, exec_lo, s0
	s_delay_alu instid0(SALU_CYCLE_1)
	s_and_b32 exec_lo, exec_lo, s16
.LBB373_108:
	v_sub_nc_u32_e32 v1, v20, v16
	s_delay_alu instid0(VALU_DEP_1)
	v_lshlrev_b32_e32 v1, 2, v1
	ds_store_b32 v1, v23
.LBB373_109:
	s_or_b32 exec_lo, exec_lo, s14
	s_delay_alu instid0(SALU_CYCLE_1)
	s_mov_b32 s0, exec_lo
	s_wait_storecnt_dscnt 0x0
	s_barrier_signal -1
	s_barrier_wait -1
	v_cmpx_lt_u32_e64 v0, v14
	s_cbranch_execz .LBB373_124
; %bb.110:
	v_xad_u32 v2, v0, -1, v14
	v_mov_b32_e32 v1, v0
	s_mov_b32 s4, -1
	s_mov_b32 s2, exec_lo
	s_delay_alu instid0(VALU_DEP_2)
	v_cmp_gt_u32_e64 s1, 0x1900, v2
	v_cmpx_lt_u32_e32 0x18ff, v2
	s_cbranch_execz .LBB373_121
; %bb.111:
	v_sub_nc_u32_e32 v1, v0, v14
	s_delay_alu instid0(VALU_DEP_1) | instskip(NEXT) | instid1(VALU_DEP_1)
	v_or_b32_e32 v1, 0xff, v1
	v_cmp_ge_u32_e32 vcc_lo, v1, v0
	v_mov_b32_e32 v1, v0
	s_and_saveexec_b32 s3, vcc_lo
	s_cbranch_execz .LBB373_120
; %bb.112:
	v_lshrrev_b32_e32 v6, 8, v2
	v_or_b32_e32 v1, 0x100, v0
	s_delay_alu instid0(VALU_DEP_2) | instskip(NEXT) | instid1(VALU_DEP_1)
	v_dual_mov_b32 v10, 0 :: v_dual_add_nc_u32 v2, -1, v6
	v_lshrrev_b32_e32 v3, 1, v2
	v_cmp_lt_u32_e32 vcc_lo, 13, v2
	s_delay_alu instid0(VALU_DEP_2)
	v_add_nc_u32_e32 v7, 1, v3
	v_mov_b64_e32 v[2:3], v[0:1]
	s_and_saveexec_b32 s4, vcc_lo
	s_cbranch_execz .LBB373_116
; %bb.113:
	v_mov_b64_e32 v[2:3], v[0:1]
	v_dual_lshlrev_b32 v9, 2, v0 :: v_dual_bitop2_b32 v8, -8, v7 bitop3:0x40
	v_mov_b32_e32 v5, 0
	s_mov_b32 s5, 0
	s_mov_b32 s6, 0
.LBB373_114:                            ; =>This Inner Loop Header: Depth=1
	s_delay_alu instid0(VALU_DEP_1)
	v_dual_mov_b32 v4, v2 :: v_dual_mov_b32 v23, v5
	ds_load_2addr_stride64_b32 v[12:13], v9 offset1:4
	v_add_nc_u32_e32 v8, -8, v8
	ds_load_2addr_stride64_b32 v[68:69], v9 offset0:8 offset1:12
	v_lshl_add_u64 v[94:95], v[4:5], 2, v[52:53]
	v_mov_b32_e32 v4, v3
	ds_load_2addr_stride64_b32 v[72:73], v9 offset0:16 offset1:20
	ds_load_2addr_stride64_b32 v[76:77], v9 offset0:24 offset1:28
	v_dual_mov_b32 v71, v5 :: v_dual_add_nc_u32 v22, 0x200, v3
	v_lshl_add_u64 v[96:97], v[4:5], 2, v[52:53]
	v_add_nc_u32_e32 v4, 0x200, v2
	ds_load_2addr_stride64_b32 v[80:81], v9 offset0:32 offset1:36
	v_lshl_add_u64 v[22:23], v[22:23], 2, v[52:53]
	ds_load_2addr_stride64_b32 v[84:85], v9 offset0:40 offset1:44
	ds_load_2addr_stride64_b32 v[88:89], v9 offset0:48 offset1:52
	v_lshl_add_u64 v[98:99], v[4:5], 2, v[52:53]
	v_add_nc_u32_e32 v4, 0x400, v2
	ds_load_2addr_stride64_b32 v[92:93], v9 offset0:56 offset1:60
	s_wait_dscnt 0x7
	s_clause 0x1
	global_store_b32 v[94:95], v12, off
	global_store_b32 v[96:97], v13, off
	s_wait_dscnt 0x6
	s_clause 0x1
	global_store_b32 v[98:99], v68, off
	global_store_b32 v[22:23], v69, off
	v_lshl_add_u64 v[100:101], v[4:5], 2, v[52:53]
	v_add_nc_u32_e32 v4, 0x600, v2
	v_dual_mov_b32 v75, v5 :: v_dual_add_nc_u32 v70, 0x400, v3
	v_dual_mov_b32 v79, v5 :: v_dual_add_nc_u32 v74, 0x600, v3
	s_wait_xcnt 0x2
	s_delay_alu instid0(VALU_DEP_3)
	v_lshl_add_u64 v[12:13], v[4:5], 2, v[52:53]
	v_add_nc_u32_e32 v4, 0x800, v2
	v_lshl_add_u64 v[70:71], v[70:71], 2, v[52:53]
	v_dual_mov_b32 v83, v5 :: v_dual_add_nc_u32 v78, 0x800, v3
	v_lshl_add_u64 v[74:75], v[74:75], 2, v[52:53]
	s_wait_xcnt 0x0
	v_lshl_add_u64 v[22:23], v[4:5], 2, v[52:53]
	v_add_nc_u32_e32 v4, 0xa00, v2
	s_wait_dscnt 0x5
	s_clause 0x1
	global_store_b32 v[100:101], v72, off
	global_store_b32 v[70:71], v73, off
	s_wait_dscnt 0x4
	global_store_b32 v[12:13], v76, off
	v_dual_mov_b32 v87, v5 :: v_dual_add_nc_u32 v82, 0xa00, v3
	s_wait_xcnt 0x0
	v_lshl_add_u64 v[12:13], v[4:5], 2, v[52:53]
	v_add_nc_u32_e32 v4, 0xc00, v2
	v_dual_mov_b32 v91, v5 :: v_dual_add_nc_u32 v86, 0xc00, v3
	v_lshl_add_u64 v[78:79], v[78:79], 2, v[52:53]
	global_store_b32 v[74:75], v77, off
	s_wait_dscnt 0x3
	global_store_b32 v[22:23], v80, off
	s_wait_xcnt 0x0
	v_lshl_add_u64 v[22:23], v[4:5], 2, v[52:53]
	v_add_nc_u32_e32 v4, 0xe00, v2
	v_add_nc_u32_e32 v90, 0xe00, v3
	s_add_co_i32 s6, s6, 16
	v_cmp_eq_u32_e32 vcc_lo, 0, v8
	v_lshl_add_u64 v[82:83], v[82:83], 2, v[52:53]
	v_dual_mov_b32 v10, s6 :: v_dual_add_nc_u32 v9, 0x4000, v9
	v_add_nc_u32_e32 v3, 0x1000, v3
	v_add_nc_u32_e32 v2, 0x1000, v2
	v_lshl_add_u64 v[86:87], v[86:87], 2, v[52:53]
	global_store_b32 v[78:79], v81, off
	s_wait_dscnt 0x2
	s_clause 0x1
	global_store_b32 v[12:13], v84, off
	global_store_b32 v[82:83], v85, off
	s_wait_xcnt 0x1
	v_lshl_add_u64 v[12:13], v[4:5], 2, v[52:53]
	v_lshl_add_u64 v[90:91], v[90:91], 2, v[52:53]
	s_or_b32 s5, vcc_lo, s5
	s_wait_dscnt 0x1
	s_clause 0x1
	global_store_b32 v[22:23], v88, off
	global_store_b32 v[86:87], v89, off
	s_wait_dscnt 0x0
	s_clause 0x1
	global_store_b32 v[12:13], v92, off
	global_store_b32 v[90:91], v93, off
	s_wait_xcnt 0x0
	s_and_not1_b32 exec_lo, exec_lo, s5
	s_cbranch_execnz .LBB373_114
; %bb.115:
	s_or_b32 exec_lo, exec_lo, s5
.LBB373_116:
	s_delay_alu instid0(SALU_CYCLE_1) | instskip(SKIP_3) | instid1(VALU_DEP_1)
	s_or_b32 exec_lo, exec_lo, s4
	v_and_b32_e32 v1, 7, v7
	s_mov_b32 s5, 0
	s_mov_b32 s4, exec_lo
	v_cmpx_ne_u32_e32 0, v1
	s_cbranch_execz .LBB373_119
; %bb.117:
	v_dual_mov_b32 v5, 0 :: v_dual_lshlrev_b32 v4, 2, v0
	s_delay_alu instid0(VALU_DEP_1)
	v_lshl_or_b32 v7, v10, 10, v4
.LBB373_118:                            ; =>This Inner Loop Header: Depth=1
	ds_load_2addr_stride64_b32 v[8:9], v7 offset1:4
	v_dual_mov_b32 v4, v2 :: v_dual_add_nc_u32 v1, -1, v1
	v_add_nc_u32_e32 v2, 0x200, v2
	v_add_nc_u32_e32 v7, 0x800, v7
	s_delay_alu instid0(VALU_DEP_3) | instskip(SKIP_3) | instid1(VALU_DEP_3)
	v_lshl_add_u64 v[10:11], v[4:5], 2, v[52:53]
	v_mov_b32_e32 v4, v3
	v_cmp_eq_u32_e32 vcc_lo, 0, v1
	v_add_nc_u32_e32 v3, 0x200, v3
	v_lshl_add_u64 v[12:13], v[4:5], 2, v[52:53]
	s_or_b32 s5, vcc_lo, s5
	s_wait_dscnt 0x0
	s_clause 0x1
	global_store_b32 v[10:11], v8, off
	global_store_b32 v[12:13], v9, off
	s_wait_xcnt 0x0
	s_and_not1_b32 exec_lo, exec_lo, s5
	s_cbranch_execnz .LBB373_118
.LBB373_119:
	s_or_b32 exec_lo, exec_lo, s4
	v_add_nc_u32_e32 v1, 1, v6
	s_delay_alu instid0(VALU_DEP_1) | instskip(NEXT) | instid1(VALU_DEP_1)
	v_and_b32_e32 v2, 0x1fffffe, v1
	v_cmp_ne_u32_e32 vcc_lo, v1, v2
	v_lshl_or_b32 v1, v2, 8, v0
	s_or_not1_b32 s4, vcc_lo, exec_lo
.LBB373_120:
	s_or_b32 exec_lo, exec_lo, s3
	s_delay_alu instid0(SALU_CYCLE_1) | instskip(SKIP_1) | instid1(SALU_CYCLE_1)
	s_and_not1_b32 s1, s1, exec_lo
	s_and_b32 s3, s4, exec_lo
	s_or_b32 s1, s1, s3
.LBB373_121:
	s_or_b32 exec_lo, exec_lo, s2
	s_delay_alu instid0(SALU_CYCLE_1)
	s_and_b32 exec_lo, exec_lo, s1
	s_cbranch_execz .LBB373_124
; %bb.122:
	v_lshlrev_b32_e32 v2, 2, v1
	s_mov_b32 s1, 0
.LBB373_123:                            ; =>This Inner Loop Header: Depth=1
	ds_load_b32 v3, v2
	v_readfirstlane_b32 s2, v52
	v_readfirstlane_b32 s3, v53
	v_add_nc_u32_e32 v2, 0x400, v2
	s_wait_dscnt 0x0
	global_store_b32 v1, v3, s[2:3] scale_offset
	s_wait_xcnt 0x0
	v_add_nc_u32_e32 v1, 0x100, v1
	s_delay_alu instid0(VALU_DEP_1) | instskip(SKIP_1) | instid1(SALU_CYCLE_1)
	v_cmp_ge_u32_e32 vcc_lo, v1, v14
	s_or_b32 s1, vcc_lo, s1
	s_and_not1_b32 exec_lo, exec_lo, s1
	s_cbranch_execnz .LBB373_123
.LBB373_124:
	s_or_b32 exec_lo, exec_lo, s0
.LBB373_125:
	s_cmp_lg_u32 s35, 0xe00
	v_cmp_eq_u32_e32 vcc_lo, 0, v0
	s_cselect_b32 s0, -1, 0
	s_lshr_b32 s1, s35, 1
	s_and_b32 s0, s33, s0
	v_cndmask_b32_e64 v6, 0, 1, s36
	v_mad_i32_i24 v3, v0, -14, s35
	v_cndmask_b32_e64 v2, 0, 1, s0
	s_mul_hi_u32 s0, s1, 0x92492493
	s_and_b32 s1, vcc_lo, s36
	s_lshr_b32 s0, s0, 2
	v_cndmask_b32_e64 v4, v67, 0, s1
	v_cmp_eq_u32_e32 vcc_lo, s0, v0
	v_cmp_ne_u32_e64 s0, 0, v3
	v_sub_nc_u32_e32 v1, v14, v6
	s_mov_b32 s15, -1
	s_wait_storecnt 0x0
	s_and_b32 vcc_lo, s33, vcc_lo
	s_barrier_signal -1
	v_dual_add_nc_u32 v1, v1, v2 :: v_dual_cndmask_b32 v2, 1, v4, s0
	v_cmp_ne_u32_e64 s0, 1, v3
	s_barrier_wait -1
	s_delay_alu instid0(VALU_DEP_1) | instskip(SKIP_1) | instid1(VALU_DEP_1)
	v_cndmask_b32_e64 v5, 1, v66, s0
	v_cmp_ne_u32_e64 s0, 2, v3
	v_cndmask_b32_e64 v7, 1, v64, s0
	v_cmp_ne_u32_e64 s0, 3, v3
	s_delay_alu instid0(VALU_DEP_2) | instskip(NEXT) | instid1(VALU_DEP_2)
	v_cndmask_b32_e32 v7, v64, v7, vcc_lo
	v_cndmask_b32_e64 v8, 1, v63, s0
	v_cmp_ne_u32_e64 s0, 4, v3
	v_cndmask_b32_e32 v53, v4, v2, vcc_lo
	s_delay_alu instid0(VALU_DEP_4) | instskip(NEXT) | instid1(VALU_DEP_3)
	v_cmp_ne_u32_e64 s11, 0, v7
	v_cndmask_b32_e64 v9, 1, v61, s0
	v_cmp_ne_u32_e64 s0, 5, v3
	s_delay_alu instid0(VALU_DEP_1) | instskip(SKIP_1) | instid1(VALU_DEP_1)
	v_cndmask_b32_e64 v10, 1, v65, s0
	v_cmp_ne_u32_e64 s0, 6, v3
	v_cndmask_b32_e64 v11, 1, v60, s0
	v_cmp_ne_u32_e64 s0, 7, v3
	s_delay_alu instid0(VALU_DEP_2) | instskip(NEXT) | instid1(VALU_DEP_2)
	v_dual_cndmask_b32 v9, v61, v9, vcc_lo :: v_dual_cndmask_b32 v11, v60, v11, vcc_lo
	v_cndmask_b32_e64 v12, 1, v59, s0
	v_cmp_ne_u32_e64 s0, 8, v3
	v_cndmask_b32_e32 v10, v65, v10, vcc_lo
	s_delay_alu instid0(VALU_DEP_4) | instskip(NEXT) | instid1(VALU_DEP_3)
	v_cmp_ne_u32_e64 s7, 0, v11
	v_cndmask_b32_e64 v13, 1, v58, s0
	v_cmp_ne_u32_e64 s0, 9, v3
	s_delay_alu instid0(VALU_DEP_4) | instskip(NEXT) | instid1(VALU_DEP_2)
	v_cmp_ne_u32_e64 s8, 0, v10
	v_cndmask_b32_e64 v15, 1, v55, s0
	v_cmp_ne_u32_e64 s0, 10, v3
	s_delay_alu instid0(VALU_DEP_2) | instskip(NEXT) | instid1(VALU_DEP_2)
	v_dual_cndmask_b32 v13, v58, v13, vcc_lo :: v_dual_cndmask_b32 v15, v55, v15, vcc_lo
	v_cndmask_b32_e64 v19, 1, v54, s0
	v_cmp_ne_u32_e64 s0, 13, v3
	s_delay_alu instid0(VALU_DEP_3) | instskip(NEXT) | instid1(VALU_DEP_2)
	v_cmp_ne_u32_e64 s5, 0, v13
	v_cndmask_b32_e64 v22, 1, v57, s0
	v_cmp_ne_u32_e64 s0, 12, v3
	v_dual_cndmask_b32 v12, v59, v12 :: v_dual_cndmask_b32 v19, v54, v19
	s_delay_alu instid0(VALU_DEP_2) | instskip(SKIP_2) | instid1(VALU_DEP_4)
	v_cndmask_b32_e64 v23, 1, v62, s0
	v_cmp_ne_u32_e64 s0, 11, v3
	v_lshlrev_b64_e32 v[2:3], 3, v[50:51]
	v_cmp_ne_u32_e64 s6, 0, v12
	v_cmp_ne_u32_e64 s3, 0, v19
	s_delay_alu instid0(VALU_DEP_4)
	v_dual_cndmask_b32 v52, 1, v56, s0 :: v_dual_cndmask_b32 v22, v57, v22, vcc_lo
	v_cndmask_b32_e32 v23, v62, v23, vcc_lo
	v_cndmask_b32_e32 v57, v66, v5, vcc_lo
	v_cmp_eq_u32_e64 s0, 0, v53
	v_add_nc_u64_e32 v[2:3], s[18:19], v[2:3]
	v_lshlrev_b64_e32 v[4:5], 3, v[16:17]
	v_cndmask_b32_e32 v52, v56, v52, vcc_lo
	v_cmp_ne_u32_e64 s13, 0, v53
	v_cndmask_b32_e64 v62, 1, 2, s0
	v_cmp_eq_u32_e64 s0, 0, v57
	v_cmp_ne_u32_e64 s12, 0, v57
	v_cmp_ne_u32_e64 s2, 0, v52
	v_add_nc_u64_e32 v[2:3], v[2:3], v[4:5]
	v_lshlrev_b32_e32 v4, 3, v6
	v_cndmask_b32_e64 v65, 1, 2, s0
	v_cndmask_b32_e32 v8, v63, v8, vcc_lo
	v_cmp_eq_u32_e64 s0, 0, v7
	v_mov_b32_e32 v5, 0
	v_cmp_eq_u32_e32 vcc_lo, 0, v13
	v_and_b32_e32 v62, v65, v62
	v_add_nc_u32_e32 v6, v16, v6
	v_cndmask_b32_e64 v63, 1, 2, s0
	v_cmp_eq_u32_e64 s0, 0, v8
	v_cndmask_b32_e64 v55, 1, 2, vcc_lo
	v_cmp_eq_u32_e32 vcc_lo, 0, v15
	v_cmp_ne_u32_e64 s10, 0, v8
	v_cmp_ne_u32_e64 s9, 0, v9
	v_cndmask_b32_e64 v64, 1, 2, s0
	v_cmp_eq_u32_e64 s0, 0, v9
	v_add_nc_u64_e32 v[4:5], v[2:3], v[4:5]
	v_cmp_ne_u32_e64 s4, 0, v15
	v_cmp_ne_u32_e64 s1, 0, v23
	v_bitop3_b16 v61, v62, v64, v63 bitop3:0x80
	v_cndmask_b32_e64 v62, 1, 2, s0
	v_cmp_eq_u32_e64 s0, 0, v10
	v_add_nc_u64_e32 v[4:5], -8, v[4:5]
	s_delay_alu instid0(VALU_DEP_2) | instskip(SKIP_1) | instid1(VALU_DEP_2)
	v_cndmask_b32_e64 v63, 1, 2, s0
	v_cmp_eq_u32_e64 s0, 0, v11
	v_bitop3_b16 v56, v61, v63, v62 bitop3:0x80
	s_delay_alu instid0(VALU_DEP_2) | instskip(SKIP_1) | instid1(VALU_DEP_1)
	v_cndmask_b32_e64 v59, 1, 2, s0
	v_cmp_eq_u32_e64 s0, 0, v12
	v_cndmask_b32_e64 v60, 1, 2, s0
	v_cmp_ne_u32_e64 s0, 0, v22
	s_delay_alu instid0(VALU_DEP_2) | instskip(SKIP_2) | instid1(VALU_DEP_2)
	v_bitop3_b16 v54, v56, v60, v59 bitop3:0x80
	v_cndmask_b32_e64 v56, 1, 2, vcc_lo
	v_cmp_eq_u32_e32 vcc_lo, 0, v19
	v_bitop3_b16 v7, v54, v56, v55 bitop3:0x80
	v_cndmask_b32_e64 v53, 1, 2, vcc_lo
	v_cmp_eq_u32_e32 vcc_lo, 0, v52
	v_cndmask_b32_e64 v54, 1, 2, vcc_lo
	v_cmp_eq_u32_e32 vcc_lo, 0, v23
	s_delay_alu instid0(VALU_DEP_2) | instskip(SKIP_4) | instid1(VALU_DEP_2)
	v_bitop3_b16 v7, v7, v54, v53 bitop3:0x80
	v_cndmask_b32_e64 v8, 1, 2, vcc_lo
	v_cmp_eq_u32_e32 vcc_lo, 0, v22
	v_cndmask_b32_e64 v9, 1, 2, vcc_lo
	v_cmp_gt_u32_e32 vcc_lo, 0x100, v1
	v_bitop3_b16 v7, v7, v9, v8 bitop3:0x80
	s_delay_alu instid0(VALU_DEP_1)
	v_cmp_gt_i16_e64 s14, 2, v7
	s_cbranch_vccnz .LBB373_129
; %bb.126:
	s_and_b32 vcc_lo, exec_lo, s15
	s_cbranch_vccnz .LBB373_135
.LBB373_127:
	v_cmp_eq_u32_e32 vcc_lo, 0xff, v0
	s_and_b32 s0, vcc_lo, s33
	s_delay_alu instid0(SALU_CYCLE_1)
	s_and_saveexec_b32 s1, s0
	s_cbranch_execnz .LBB373_144
.LBB373_128:
	s_sendmsg sendmsg(MSG_DEALLOC_VGPRS)
	s_endpgm
.LBB373_129:
	s_and_saveexec_b32 s15, s14
	s_cbranch_execz .LBB373_134
; %bb.130:
	s_mov_b32 s16, 0
	s_mov_b32 s14, exec_lo
	v_cmpx_ne_u16_e32 1, v7
	s_xor_b32 s14, exec_lo, s14
	s_cbranch_execnz .LBB373_178
; %bb.131:
	s_and_not1_saveexec_b32 s14, s14
	s_cbranch_execnz .LBB373_193
.LBB373_132:
	s_or_b32 exec_lo, exec_lo, s14
	s_delay_alu instid0(SALU_CYCLE_1)
	s_and_b32 exec_lo, exec_lo, s16
	s_cbranch_execz .LBB373_134
.LBB373_133:
	v_dual_mov_b32 v9, 0 :: v_dual_mov_b32 v8, v21
	v_sub_nc_u32_e32 v10, v20, v6
	v_readfirstlane_b32 s16, v4
	v_readfirstlane_b32 s17, v5
	global_store_b64 v10, v[8:9], s[16:17] scale_offset
.LBB373_134:
	s_wait_xcnt 0x0
	s_or_b32 exec_lo, exec_lo, s15
	s_branch .LBB373_127
.LBB373_135:
	s_mov_b32 s14, exec_lo
	v_cmpx_gt_i16_e32 2, v7
	s_cbranch_execz .LBB373_140
; %bb.136:
	s_mov_b32 s16, 0
	s_mov_b32 s15, exec_lo
	v_cmpx_ne_u16_e32 1, v7
	s_xor_b32 s15, exec_lo, s15
	s_cbranch_execnz .LBB373_194
; %bb.137:
	s_and_not1_saveexec_b32 s0, s15
	s_cbranch_execnz .LBB373_209
.LBB373_138:
	s_or_b32 exec_lo, exec_lo, s0
	s_delay_alu instid0(SALU_CYCLE_1)
	s_and_b32 exec_lo, exec_lo, s16
.LBB373_139:
	v_sub_nc_u32_e32 v6, v20, v6
	s_delay_alu instid0(VALU_DEP_1)
	v_lshlrev_b32_e32 v6, 2, v6
	ds_store_b32 v6, v21
.LBB373_140:
	s_or_b32 exec_lo, exec_lo, s14
	s_delay_alu instid0(SALU_CYCLE_1)
	s_mov_b32 s0, exec_lo
	s_wait_storecnt_dscnt 0x0
	s_barrier_signal -1
	s_barrier_wait -1
	v_cmpx_lt_u32_e64 v0, v1
	s_cbranch_execz .LBB373_143
; %bb.141:
	v_dual_mov_b32 v7, 0 :: v_dual_lshlrev_b32 v8, 2, v0
	v_mov_b32_e32 v9, v0
	s_mov_b32 s1, 0
.LBB373_142:                            ; =>This Inner Loop Header: Depth=1
	ds_load_b32 v6, v8
	v_readfirstlane_b32 s2, v4
	v_readfirstlane_b32 s3, v5
	v_add_nc_u32_e32 v8, 0x400, v8
	s_wait_dscnt 0x0
	global_store_b64 v9, v[6:7], s[2:3] scale_offset
	s_wait_xcnt 0x0
	v_add_nc_u32_e32 v9, 0x100, v9
	s_delay_alu instid0(VALU_DEP_1) | instskip(SKIP_1) | instid1(SALU_CYCLE_1)
	v_cmp_ge_u32_e32 vcc_lo, v9, v1
	s_or_b32 s1, vcc_lo, s1
	s_and_not1_b32 exec_lo, exec_lo, s1
	s_cbranch_execnz .LBB373_142
.LBB373_143:
	s_or_b32 exec_lo, exec_lo, s0
	v_cmp_eq_u32_e32 vcc_lo, 0xff, v0
	s_and_b32 s0, vcc_lo, s33
	s_delay_alu instid0(SALU_CYCLE_1)
	s_and_saveexec_b32 s1, s0
	s_cbranch_execz .LBB373_128
.LBB373_144:
	v_mov_b32_e32 v15, 0
	s_cmp_lg_u32 s35, 0xe00
	s_delay_alu instid0(VALU_DEP_1) | instskip(NEXT) | instid1(VALU_DEP_1)
	v_add_nc_u64_e32 v[0:1], v[14:15], v[16:17]
	v_add_nc_u64_e32 v[0:1], v[0:1], v[50:51]
	global_store_b64 v15, v[0:1], s[20:21]
	s_cbranch_scc1 .LBB373_128
; %bb.145:
	s_wait_xcnt 0x0
	v_lshlrev_b64_e32 v[0:1], 3, v[14:15]
	v_mov_b32_e32 v19, v15
	s_delay_alu instid0(VALU_DEP_2)
	v_add_nc_u64_e32 v[0:1], v[2:3], v[0:1]
	global_store_b64 v[0:1], v[18:19], off offset:-8
	s_sendmsg sendmsg(MSG_DEALLOC_VGPRS)
	s_endpgm
.LBB373_146:
	s_and_saveexec_b32 s16, s13
	s_cbranch_execnz .LBB373_210
; %bb.147:
	s_or_b32 exec_lo, exec_lo, s16
	s_and_saveexec_b32 s16, s12
	s_cbranch_execnz .LBB373_211
.LBB373_148:
	s_or_b32 exec_lo, exec_lo, s16
	s_and_saveexec_b32 s16, s11
	s_cbranch_execnz .LBB373_212
.LBB373_149:
	s_or_b32 exec_lo, exec_lo, s16
	s_and_saveexec_b32 s16, s10
	s_cbranch_execnz .LBB373_213
.LBB373_150:
	s_or_b32 exec_lo, exec_lo, s16
	s_and_saveexec_b32 s16, s9
	s_cbranch_execnz .LBB373_214
.LBB373_151:
	s_or_b32 exec_lo, exec_lo, s16
	s_and_saveexec_b32 s16, s8
	s_cbranch_execnz .LBB373_215
.LBB373_152:
	s_or_b32 exec_lo, exec_lo, s16
	s_and_saveexec_b32 s16, s7
	s_cbranch_execnz .LBB373_216
.LBB373_153:
	s_or_b32 exec_lo, exec_lo, s16
	s_and_saveexec_b32 s16, s6
	s_cbranch_execnz .LBB373_217
.LBB373_154:
	s_or_b32 exec_lo, exec_lo, s16
	s_and_saveexec_b32 s16, s5
	s_cbranch_execnz .LBB373_218
.LBB373_155:
	s_or_b32 exec_lo, exec_lo, s16
	s_and_saveexec_b32 s16, s4
	s_cbranch_execnz .LBB373_219
.LBB373_156:
	s_or_b32 exec_lo, exec_lo, s16
	s_and_saveexec_b32 s16, s3
	s_cbranch_execnz .LBB373_220
.LBB373_157:
	s_or_b32 exec_lo, exec_lo, s16
	s_and_saveexec_b32 s16, s2
	s_cbranch_execnz .LBB373_221
.LBB373_158:
	s_or_b32 exec_lo, exec_lo, s16
	s_and_saveexec_b32 s16, s1
	s_cbranch_execz .LBB373_160
.LBB373_159:
	v_sub_nc_u32_e32 v15, v28, v16
	v_readfirstlane_b32 s22, v52
	v_readfirstlane_b32 s23, v53
	global_store_b32 v15, v22, s[22:23] scale_offset
.LBB373_160:
	s_wait_xcnt 0x0
	s_or_b32 exec_lo, exec_lo, s16
	s_delay_alu instid0(SALU_CYCLE_1)
	s_and_b32 s16, s0, exec_lo
	s_and_not1_saveexec_b32 s14, s14
	s_cbranch_execz .LBB373_100
.LBB373_161:
	v_dual_sub_nc_u32 v15, v44, v16 :: v_dual_sub_nc_u32 v68, v46, v16
	v_readfirstlane_b32 s22, v52
	v_readfirstlane_b32 s23, v53
	v_sub_nc_u32_e32 v19, v48, v16
	s_clause 0x1
	global_store_b32 v15, v10, s[22:23] scale_offset
	global_store_b32 v19, v11, s[22:23] scale_offset
	s_wait_xcnt 0x1
	v_sub_nc_u32_e32 v15, v42, v16
	s_wait_xcnt 0x0
	v_sub_nc_u32_e32 v19, v38, v16
	global_store_b32 v68, v12, s[22:23] scale_offset
	s_wait_xcnt 0x0
	v_dual_sub_nc_u32 v68, v32, v16 :: v_dual_sub_nc_u32 v69, v34, v16
	global_store_b32 v15, v13, s[22:23] scale_offset
	s_wait_xcnt 0x0
	v_sub_nc_u32_e32 v15, v40, v16
	s_clause 0x2
	global_store_b32 v19, v6, s[22:23] scale_offset
	global_store_b32 v68, v7, s[22:23] scale_offset
	;; [unrolled: 1-line block ×3, first 2 shown]
	s_wait_xcnt 0x1
	v_dual_sub_nc_u32 v19, v24, v16 :: v_dual_sub_nc_u32 v68, v30, v16
	s_wait_xcnt 0x0
	v_sub_nc_u32_e32 v69, v36, v16
	global_store_b32 v15, v9, s[22:23] scale_offset
	s_wait_xcnt 0x0
	v_sub_nc_u32_e32 v15, v26, v16
	global_store_b32 v19, v2, s[22:23] scale_offset
	s_wait_xcnt 0x0
	v_sub_nc_u32_e32 v19, v28, v16
	s_or_b32 s16, s16, exec_lo
	s_clause 0x3
	global_store_b32 v15, v3, s[22:23] scale_offset
	global_store_b32 v68, v4, s[22:23] scale_offset
	;; [unrolled: 1-line block ×4, first 2 shown]
	s_wait_xcnt 0x0
	s_or_b32 exec_lo, exec_lo, s14
	s_delay_alu instid0(SALU_CYCLE_1)
	s_and_b32 exec_lo, exec_lo, s16
	s_cbranch_execnz .LBB373_101
	s_branch .LBB373_102
.LBB373_162:
	s_and_saveexec_b32 s16, s13
	s_cbranch_execnz .LBB373_222
; %bb.163:
	s_or_b32 exec_lo, exec_lo, s16
	s_and_saveexec_b32 s13, s12
	s_cbranch_execnz .LBB373_223
.LBB373_164:
	s_or_b32 exec_lo, exec_lo, s13
	s_and_saveexec_b32 s12, s11
	s_cbranch_execnz .LBB373_224
.LBB373_165:
	s_or_b32 exec_lo, exec_lo, s12
	s_and_saveexec_b32 s11, s10
	s_cbranch_execnz .LBB373_225
.LBB373_166:
	s_or_b32 exec_lo, exec_lo, s11
	s_and_saveexec_b32 s10, s9
	s_cbranch_execnz .LBB373_226
.LBB373_167:
	s_or_b32 exec_lo, exec_lo, s10
	s_and_saveexec_b32 s9, s8
	s_cbranch_execnz .LBB373_227
.LBB373_168:
	s_or_b32 exec_lo, exec_lo, s9
	s_and_saveexec_b32 s8, s7
	s_cbranch_execnz .LBB373_228
.LBB373_169:
	s_or_b32 exec_lo, exec_lo, s8
	s_and_saveexec_b32 s7, s6
	s_cbranch_execnz .LBB373_229
.LBB373_170:
	s_or_b32 exec_lo, exec_lo, s7
	s_and_saveexec_b32 s6, s5
	s_cbranch_execnz .LBB373_230
.LBB373_171:
	s_or_b32 exec_lo, exec_lo, s6
	s_and_saveexec_b32 s5, s4
	s_cbranch_execnz .LBB373_231
.LBB373_172:
	s_or_b32 exec_lo, exec_lo, s5
	s_and_saveexec_b32 s4, s3
	s_cbranch_execnz .LBB373_232
.LBB373_173:
	s_or_b32 exec_lo, exec_lo, s4
	s_and_saveexec_b32 s3, s2
	s_cbranch_execnz .LBB373_233
.LBB373_174:
	s_or_b32 exec_lo, exec_lo, s3
	s_and_saveexec_b32 s2, s1
.LBB373_175:
	v_sub_nc_u32_e32 v1, v28, v16
	s_delay_alu instid0(VALU_DEP_1)
	v_lshlrev_b32_e32 v1, 2, v1
	ds_store_b32 v1, v22
.LBB373_176:
	s_or_b32 exec_lo, exec_lo, s2
	s_delay_alu instid0(SALU_CYCLE_1)
	s_and_b32 s16, s0, exec_lo
                                        ; implicit-def: $vgpr4
                                        ; implicit-def: $vgpr8
                                        ; implicit-def: $vgpr12
	s_and_not1_saveexec_b32 s0, s15
	s_cbranch_execz .LBB373_107
.LBB373_177:
	v_dual_sub_nc_u32 v1, v44, v16 :: v_dual_sub_nc_u32 v19, v46, v16
	v_sub_nc_u32_e32 v15, v48, v16
	s_or_b32 s16, s16, exec_lo
	s_delay_alu instid0(VALU_DEP_2) | instskip(NEXT) | instid1(VALU_DEP_3)
	v_dual_sub_nc_u32 v68, v42, v16 :: v_dual_lshlrev_b32 v1, 2, v1
	v_dual_lshlrev_b32 v19, 2, v19 :: v_dual_sub_nc_u32 v69, v38, v16
	s_delay_alu instid0(VALU_DEP_3)
	v_lshlrev_b32_e32 v15, 2, v15
	ds_store_b32 v1, v10
	ds_store_b32 v15, v11
	;; [unrolled: 1-line block ×3, first 2 shown]
	v_dual_sub_nc_u32 v1, v32, v16 :: v_dual_sub_nc_u32 v10, v34, v16
	v_dual_lshlrev_b32 v11, 2, v68 :: v_dual_lshlrev_b32 v15, 2, v69
	s_delay_alu instid0(VALU_DEP_2) | instskip(NEXT) | instid1(VALU_DEP_3)
	v_dual_sub_nc_u32 v12, v40, v16 :: v_dual_lshlrev_b32 v1, 2, v1
	v_lshlrev_b32_e32 v10, 2, v10
	ds_store_b32 v11, v13
	v_lshlrev_b32_e32 v11, 2, v12
	ds_store_b32 v15, v6
	ds_store_b32 v1, v7
	;; [unrolled: 1-line block ×3, first 2 shown]
	v_dual_sub_nc_u32 v1, v24, v16 :: v_dual_sub_nc_u32 v6, v26, v16
	v_dual_sub_nc_u32 v7, v30, v16 :: v_dual_sub_nc_u32 v8, v36, v16
	ds_store_b32 v11, v9
	v_dual_lshlrev_b32 v1, 2, v1 :: v_dual_sub_nc_u32 v9, v28, v16
	v_dual_lshlrev_b32 v6, 2, v6 :: v_dual_lshlrev_b32 v7, 2, v7
	v_lshlrev_b32_e32 v8, 2, v8
	ds_store_b32 v1, v2
	v_lshlrev_b32_e32 v1, 2, v9
	ds_store_b32 v6, v3
	ds_store_b32 v7, v4
	;; [unrolled: 1-line block ×4, first 2 shown]
	s_or_b32 exec_lo, exec_lo, s0
	s_delay_alu instid0(SALU_CYCLE_1)
	s_and_b32 exec_lo, exec_lo, s16
	s_cbranch_execnz .LBB373_108
	s_branch .LBB373_109
.LBB373_178:
	s_and_saveexec_b32 s16, s13
	s_cbranch_execnz .LBB373_234
; %bb.179:
	s_or_b32 exec_lo, exec_lo, s16
	s_and_saveexec_b32 s16, s12
	s_cbranch_execnz .LBB373_235
.LBB373_180:
	s_or_b32 exec_lo, exec_lo, s16
	s_and_saveexec_b32 s16, s11
	s_cbranch_execnz .LBB373_236
.LBB373_181:
	s_or_b32 exec_lo, exec_lo, s16
	s_and_saveexec_b32 s16, s10
	s_cbranch_execnz .LBB373_237
.LBB373_182:
	s_or_b32 exec_lo, exec_lo, s16
	s_and_saveexec_b32 s16, s9
	s_cbranch_execnz .LBB373_238
.LBB373_183:
	s_or_b32 exec_lo, exec_lo, s16
	s_and_saveexec_b32 s16, s8
	s_cbranch_execnz .LBB373_239
.LBB373_184:
	s_or_b32 exec_lo, exec_lo, s16
	s_and_saveexec_b32 s16, s7
	s_cbranch_execnz .LBB373_240
.LBB373_185:
	s_or_b32 exec_lo, exec_lo, s16
	s_and_saveexec_b32 s16, s6
	s_cbranch_execnz .LBB373_241
.LBB373_186:
	s_or_b32 exec_lo, exec_lo, s16
	s_and_saveexec_b32 s16, s5
	s_cbranch_execnz .LBB373_242
.LBB373_187:
	s_or_b32 exec_lo, exec_lo, s16
	s_and_saveexec_b32 s16, s4
	s_cbranch_execnz .LBB373_243
.LBB373_188:
	s_or_b32 exec_lo, exec_lo, s16
	s_and_saveexec_b32 s16, s3
	s_cbranch_execnz .LBB373_244
.LBB373_189:
	s_or_b32 exec_lo, exec_lo, s16
	s_and_saveexec_b32 s16, s2
	s_cbranch_execnz .LBB373_245
.LBB373_190:
	s_or_b32 exec_lo, exec_lo, s16
	s_and_saveexec_b32 s16, s1
	s_cbranch_execz .LBB373_192
.LBB373_191:
	v_dual_mov_b32 v9, 0 :: v_dual_sub_nc_u32 v10, v28, v6
	v_mov_b32_e32 v8, v29
	v_readfirstlane_b32 s18, v4
	v_readfirstlane_b32 s19, v5
	global_store_b64 v10, v[8:9], s[18:19] scale_offset
.LBB373_192:
	s_wait_xcnt 0x0
	s_or_b32 exec_lo, exec_lo, s16
	s_delay_alu instid0(SALU_CYCLE_1)
	s_and_b32 s16, s0, exec_lo
	s_and_not1_saveexec_b32 s14, s14
	s_cbranch_execz .LBB373_132
.LBB373_193:
	v_dual_mov_b32 v9, 0 :: v_dual_mov_b32 v8, v45
	v_sub_nc_u32_e32 v10, v44, v6
	v_readfirstlane_b32 s18, v4
	v_readfirstlane_b32 s19, v5
	v_sub_nc_u32_e32 v11, v46, v6
	s_or_b32 s16, s16, exec_lo
	global_store_b64 v10, v[8:9], s[18:19] scale_offset
	s_wait_xcnt 0x0
	v_dual_sub_nc_u32 v10, v48, v6 :: v_dual_mov_b32 v8, v49
	global_store_b64 v10, v[8:9], s[18:19] scale_offset
	s_wait_xcnt 0x0
	v_dual_mov_b32 v8, v47 :: v_dual_sub_nc_u32 v10, v42, v6
	global_store_b64 v11, v[8:9], s[18:19] scale_offset
	s_wait_xcnt 0x0
	v_dual_mov_b32 v8, v43 :: v_dual_sub_nc_u32 v11, v38, v6
	;; [unrolled: 3-line block ×9, first 2 shown]
	global_store_b64 v11, v[8:9], s[18:19] scale_offset
	s_wait_xcnt 0x0
	v_mov_b32_e32 v8, v37
	global_store_b64 v10, v[8:9], s[18:19] scale_offset
	s_wait_xcnt 0x0
	v_dual_mov_b32 v8, v29 :: v_dual_sub_nc_u32 v10, v28, v6
	global_store_b64 v10, v[8:9], s[18:19] scale_offset
	s_wait_xcnt 0x0
	s_or_b32 exec_lo, exec_lo, s14
	s_delay_alu instid0(SALU_CYCLE_1)
	s_and_b32 exec_lo, exec_lo, s16
	s_cbranch_execnz .LBB373_133
	s_branch .LBB373_134
.LBB373_194:
	s_and_saveexec_b32 s16, s13
	s_cbranch_execnz .LBB373_246
; %bb.195:
	s_or_b32 exec_lo, exec_lo, s16
	s_and_saveexec_b32 s13, s12
	s_cbranch_execnz .LBB373_247
.LBB373_196:
	s_or_b32 exec_lo, exec_lo, s13
	s_and_saveexec_b32 s12, s11
	s_cbranch_execnz .LBB373_248
.LBB373_197:
	s_or_b32 exec_lo, exec_lo, s12
	s_and_saveexec_b32 s11, s10
	s_cbranch_execnz .LBB373_249
.LBB373_198:
	s_or_b32 exec_lo, exec_lo, s11
	s_and_saveexec_b32 s10, s9
	s_cbranch_execnz .LBB373_250
.LBB373_199:
	s_or_b32 exec_lo, exec_lo, s10
	s_and_saveexec_b32 s9, s8
	s_cbranch_execnz .LBB373_251
.LBB373_200:
	s_or_b32 exec_lo, exec_lo, s9
	s_and_saveexec_b32 s8, s7
	s_cbranch_execnz .LBB373_252
.LBB373_201:
	s_or_b32 exec_lo, exec_lo, s8
	s_and_saveexec_b32 s7, s6
	s_cbranch_execnz .LBB373_253
.LBB373_202:
	s_or_b32 exec_lo, exec_lo, s7
	s_and_saveexec_b32 s6, s5
	s_cbranch_execnz .LBB373_254
.LBB373_203:
	s_or_b32 exec_lo, exec_lo, s6
	s_and_saveexec_b32 s5, s4
	s_cbranch_execnz .LBB373_255
.LBB373_204:
	s_or_b32 exec_lo, exec_lo, s5
	s_and_saveexec_b32 s4, s3
	s_cbranch_execnz .LBB373_256
.LBB373_205:
	s_or_b32 exec_lo, exec_lo, s4
	s_and_saveexec_b32 s3, s2
	s_cbranch_execnz .LBB373_257
.LBB373_206:
	s_or_b32 exec_lo, exec_lo, s3
	s_and_saveexec_b32 s2, s1
.LBB373_207:
	v_sub_nc_u32_e32 v7, v28, v6
	s_delay_alu instid0(VALU_DEP_1)
	v_lshlrev_b32_e32 v7, 2, v7
	ds_store_b32 v7, v29
.LBB373_208:
	s_or_b32 exec_lo, exec_lo, s2
	s_delay_alu instid0(SALU_CYCLE_1)
	s_and_b32 s16, s0, exec_lo
                                        ; implicit-def: $vgpr28_vgpr29
                                        ; implicit-def: $vgpr36_vgpr37
                                        ; implicit-def: $vgpr30_vgpr31
                                        ; implicit-def: $vgpr44_vgpr45
                                        ; implicit-def: $vgpr48_vgpr49
                                        ; implicit-def: $vgpr46_vgpr47
                                        ; implicit-def: $vgpr42_vgpr43
                                        ; implicit-def: $vgpr38_vgpr39
                                        ; implicit-def: $vgpr32_vgpr33
                                        ; implicit-def: $vgpr34_vgpr35
                                        ; implicit-def: $vgpr40_vgpr41
                                        ; implicit-def: $vgpr24_vgpr25
                                        ; implicit-def: $vgpr26_vgpr27
	s_and_not1_saveexec_b32 s0, s15
	s_cbranch_execz .LBB373_138
.LBB373_209:
	v_dual_sub_nc_u32 v7, v44, v6 :: v_dual_sub_nc_u32 v9, v46, v6
	v_dual_sub_nc_u32 v8, v48, v6 :: v_dual_sub_nc_u32 v10, v42, v6
	s_delay_alu instid0(VALU_DEP_2) | instskip(NEXT) | instid1(VALU_DEP_2)
	v_dual_sub_nc_u32 v11, v38, v6 :: v_dual_lshlrev_b32 v7, 2, v7
	v_dual_lshlrev_b32 v9, 2, v9 :: v_dual_lshlrev_b32 v8, 2, v8
	s_or_b32 s16, s16, exec_lo
	ds_store_b32 v7, v45
	ds_store_b32 v8, v49
	;; [unrolled: 1-line block ×3, first 2 shown]
	v_sub_nc_u32_e32 v7, v32, v6
	v_lshlrev_b32_e32 v9, 2, v10
	v_dual_sub_nc_u32 v10, v40, v6 :: v_dual_sub_nc_u32 v8, v34, v6
	v_lshlrev_b32_e32 v11, 2, v11
	s_delay_alu instid0(VALU_DEP_4)
	v_lshlrev_b32_e32 v7, 2, v7
	ds_store_b32 v9, v43
	v_dual_lshlrev_b32 v9, 2, v10 :: v_dual_lshlrev_b32 v8, 2, v8
	ds_store_b32 v11, v39
	ds_store_b32 v7, v33
	;; [unrolled: 1-line block ×3, first 2 shown]
	v_dual_sub_nc_u32 v7, v24, v6 :: v_dual_sub_nc_u32 v8, v26, v6
	ds_store_b32 v9, v41
	v_dual_sub_nc_u32 v9, v30, v6 :: v_dual_sub_nc_u32 v10, v36, v6
	v_dual_lshlrev_b32 v7, 2, v7 :: v_dual_sub_nc_u32 v11, v28, v6
	s_delay_alu instid0(VALU_DEP_2) | instskip(NEXT) | instid1(VALU_DEP_3)
	v_dual_lshlrev_b32 v8, 2, v8 :: v_dual_lshlrev_b32 v9, 2, v9
	v_lshlrev_b32_e32 v10, 2, v10
	ds_store_b32 v7, v25
	v_lshlrev_b32_e32 v7, 2, v11
	ds_store_b32 v8, v27
	ds_store_b32 v9, v31
	;; [unrolled: 1-line block ×4, first 2 shown]
	s_or_b32 exec_lo, exec_lo, s0
	s_delay_alu instid0(SALU_CYCLE_1)
	s_and_b32 exec_lo, exec_lo, s16
	s_cbranch_execnz .LBB373_139
	s_branch .LBB373_140
.LBB373_210:
	v_sub_nc_u32_e32 v15, v44, v16
	v_readfirstlane_b32 s22, v52
	v_readfirstlane_b32 s23, v53
	global_store_b32 v15, v10, s[22:23] scale_offset
	s_wait_xcnt 0x0
	s_or_b32 exec_lo, exec_lo, s16
	s_and_saveexec_b32 s16, s12
	s_cbranch_execz .LBB373_148
.LBB373_211:
	v_sub_nc_u32_e32 v15, v48, v16
	v_readfirstlane_b32 s22, v52
	v_readfirstlane_b32 s23, v53
	global_store_b32 v15, v11, s[22:23] scale_offset
	s_wait_xcnt 0x0
	s_or_b32 exec_lo, exec_lo, s16
	s_and_saveexec_b32 s16, s11
	s_cbranch_execz .LBB373_149
.LBB373_212:
	v_sub_nc_u32_e32 v15, v46, v16
	v_readfirstlane_b32 s22, v52
	v_readfirstlane_b32 s23, v53
	global_store_b32 v15, v12, s[22:23] scale_offset
	s_wait_xcnt 0x0
	s_or_b32 exec_lo, exec_lo, s16
	s_and_saveexec_b32 s16, s10
	s_cbranch_execz .LBB373_150
.LBB373_213:
	v_sub_nc_u32_e32 v15, v42, v16
	v_readfirstlane_b32 s22, v52
	v_readfirstlane_b32 s23, v53
	global_store_b32 v15, v13, s[22:23] scale_offset
	s_wait_xcnt 0x0
	s_or_b32 exec_lo, exec_lo, s16
	s_and_saveexec_b32 s16, s9
	s_cbranch_execz .LBB373_151
.LBB373_214:
	v_sub_nc_u32_e32 v15, v38, v16
	v_readfirstlane_b32 s22, v52
	v_readfirstlane_b32 s23, v53
	global_store_b32 v15, v6, s[22:23] scale_offset
	s_wait_xcnt 0x0
	s_or_b32 exec_lo, exec_lo, s16
	s_and_saveexec_b32 s16, s8
	s_cbranch_execz .LBB373_152
.LBB373_215:
	v_sub_nc_u32_e32 v15, v32, v16
	v_readfirstlane_b32 s22, v52
	v_readfirstlane_b32 s23, v53
	global_store_b32 v15, v7, s[22:23] scale_offset
	s_wait_xcnt 0x0
	s_or_b32 exec_lo, exec_lo, s16
	s_and_saveexec_b32 s16, s7
	s_cbranch_execz .LBB373_153
.LBB373_216:
	v_sub_nc_u32_e32 v15, v34, v16
	v_readfirstlane_b32 s22, v52
	v_readfirstlane_b32 s23, v53
	global_store_b32 v15, v8, s[22:23] scale_offset
	s_wait_xcnt 0x0
	s_or_b32 exec_lo, exec_lo, s16
	s_and_saveexec_b32 s16, s6
	s_cbranch_execz .LBB373_154
.LBB373_217:
	v_sub_nc_u32_e32 v15, v40, v16
	v_readfirstlane_b32 s22, v52
	v_readfirstlane_b32 s23, v53
	global_store_b32 v15, v9, s[22:23] scale_offset
	s_wait_xcnt 0x0
	s_or_b32 exec_lo, exec_lo, s16
	s_and_saveexec_b32 s16, s5
	s_cbranch_execz .LBB373_155
.LBB373_218:
	v_sub_nc_u32_e32 v15, v24, v16
	v_readfirstlane_b32 s22, v52
	v_readfirstlane_b32 s23, v53
	global_store_b32 v15, v2, s[22:23] scale_offset
	s_wait_xcnt 0x0
	s_or_b32 exec_lo, exec_lo, s16
	s_and_saveexec_b32 s16, s4
	s_cbranch_execz .LBB373_156
.LBB373_219:
	v_sub_nc_u32_e32 v15, v26, v16
	v_readfirstlane_b32 s22, v52
	v_readfirstlane_b32 s23, v53
	global_store_b32 v15, v3, s[22:23] scale_offset
	s_wait_xcnt 0x0
	s_or_b32 exec_lo, exec_lo, s16
	s_and_saveexec_b32 s16, s3
	s_cbranch_execz .LBB373_157
.LBB373_220:
	v_sub_nc_u32_e32 v15, v30, v16
	v_readfirstlane_b32 s22, v52
	v_readfirstlane_b32 s23, v53
	global_store_b32 v15, v4, s[22:23] scale_offset
	s_wait_xcnt 0x0
	s_or_b32 exec_lo, exec_lo, s16
	s_and_saveexec_b32 s16, s2
	s_cbranch_execz .LBB373_158
.LBB373_221:
	v_sub_nc_u32_e32 v15, v36, v16
	v_readfirstlane_b32 s22, v52
	v_readfirstlane_b32 s23, v53
	global_store_b32 v15, v5, s[22:23] scale_offset
	s_wait_xcnt 0x0
	s_or_b32 exec_lo, exec_lo, s16
	s_and_saveexec_b32 s16, s1
	s_cbranch_execnz .LBB373_159
	s_branch .LBB373_160
.LBB373_222:
	v_sub_nc_u32_e32 v1, v44, v16
	s_delay_alu instid0(VALU_DEP_1)
	v_lshlrev_b32_e32 v1, 2, v1
	ds_store_b32 v1, v10
	s_or_b32 exec_lo, exec_lo, s16
	s_and_saveexec_b32 s13, s12
	s_cbranch_execz .LBB373_164
.LBB373_223:
	v_sub_nc_u32_e32 v1, v48, v16
	s_delay_alu instid0(VALU_DEP_1)
	v_lshlrev_b32_e32 v1, 2, v1
	ds_store_b32 v1, v11
	s_or_b32 exec_lo, exec_lo, s13
	s_and_saveexec_b32 s12, s11
	s_cbranch_execz .LBB373_165
.LBB373_224:
	v_sub_nc_u32_e32 v1, v46, v16
	s_delay_alu instid0(VALU_DEP_1)
	v_lshlrev_b32_e32 v1, 2, v1
	ds_store_b32 v1, v12
	s_or_b32 exec_lo, exec_lo, s12
	s_and_saveexec_b32 s11, s10
	s_cbranch_execz .LBB373_166
.LBB373_225:
	v_sub_nc_u32_e32 v1, v42, v16
	s_delay_alu instid0(VALU_DEP_1)
	v_lshlrev_b32_e32 v1, 2, v1
	ds_store_b32 v1, v13
	s_or_b32 exec_lo, exec_lo, s11
	s_and_saveexec_b32 s10, s9
	s_cbranch_execz .LBB373_167
.LBB373_226:
	v_sub_nc_u32_e32 v1, v38, v16
	s_delay_alu instid0(VALU_DEP_1)
	v_lshlrev_b32_e32 v1, 2, v1
	ds_store_b32 v1, v6
	s_or_b32 exec_lo, exec_lo, s10
	s_and_saveexec_b32 s9, s8
	s_cbranch_execz .LBB373_168
.LBB373_227:
	v_sub_nc_u32_e32 v1, v32, v16
	s_delay_alu instid0(VALU_DEP_1)
	v_lshlrev_b32_e32 v1, 2, v1
	ds_store_b32 v1, v7
	s_or_b32 exec_lo, exec_lo, s9
	s_and_saveexec_b32 s8, s7
	s_cbranch_execz .LBB373_169
.LBB373_228:
	v_sub_nc_u32_e32 v1, v34, v16
	s_delay_alu instid0(VALU_DEP_1)
	v_lshlrev_b32_e32 v1, 2, v1
	ds_store_b32 v1, v8
	s_or_b32 exec_lo, exec_lo, s8
	s_and_saveexec_b32 s7, s6
	s_cbranch_execz .LBB373_170
.LBB373_229:
	v_sub_nc_u32_e32 v1, v40, v16
	s_delay_alu instid0(VALU_DEP_1)
	v_lshlrev_b32_e32 v1, 2, v1
	ds_store_b32 v1, v9
	s_or_b32 exec_lo, exec_lo, s7
	s_and_saveexec_b32 s6, s5
	s_cbranch_execz .LBB373_171
.LBB373_230:
	v_sub_nc_u32_e32 v1, v24, v16
	s_delay_alu instid0(VALU_DEP_1)
	v_lshlrev_b32_e32 v1, 2, v1
	ds_store_b32 v1, v2
	s_or_b32 exec_lo, exec_lo, s6
	s_and_saveexec_b32 s5, s4
	s_cbranch_execz .LBB373_172
.LBB373_231:
	v_sub_nc_u32_e32 v1, v26, v16
	s_delay_alu instid0(VALU_DEP_1)
	v_lshlrev_b32_e32 v1, 2, v1
	ds_store_b32 v1, v3
	s_or_b32 exec_lo, exec_lo, s5
	s_and_saveexec_b32 s4, s3
	s_cbranch_execz .LBB373_173
.LBB373_232:
	v_sub_nc_u32_e32 v1, v30, v16
	s_delay_alu instid0(VALU_DEP_1)
	v_lshlrev_b32_e32 v1, 2, v1
	ds_store_b32 v1, v4
	s_or_b32 exec_lo, exec_lo, s4
	s_and_saveexec_b32 s3, s2
	s_cbranch_execz .LBB373_174
.LBB373_233:
	v_sub_nc_u32_e32 v1, v36, v16
	s_delay_alu instid0(VALU_DEP_1)
	v_lshlrev_b32_e32 v1, 2, v1
	ds_store_b32 v1, v5
	s_or_b32 exec_lo, exec_lo, s3
	s_and_saveexec_b32 s2, s1
	s_cbranch_execnz .LBB373_175
	s_branch .LBB373_176
.LBB373_234:
	v_dual_mov_b32 v9, 0 :: v_dual_sub_nc_u32 v10, v44, v6
	v_mov_b32_e32 v8, v45
	v_readfirstlane_b32 s18, v4
	v_readfirstlane_b32 s19, v5
	global_store_b64 v10, v[8:9], s[18:19] scale_offset
	s_wait_xcnt 0x0
	s_or_b32 exec_lo, exec_lo, s16
	s_and_saveexec_b32 s16, s12
	s_cbranch_execz .LBB373_180
.LBB373_235:
	v_dual_mov_b32 v9, 0 :: v_dual_sub_nc_u32 v10, v48, v6
	v_mov_b32_e32 v8, v49
	v_readfirstlane_b32 s18, v4
	v_readfirstlane_b32 s19, v5
	global_store_b64 v10, v[8:9], s[18:19] scale_offset
	s_wait_xcnt 0x0
	s_or_b32 exec_lo, exec_lo, s16
	s_and_saveexec_b32 s16, s11
	s_cbranch_execz .LBB373_181
.LBB373_236:
	v_dual_mov_b32 v9, 0 :: v_dual_sub_nc_u32 v10, v46, v6
	v_mov_b32_e32 v8, v47
	v_readfirstlane_b32 s18, v4
	v_readfirstlane_b32 s19, v5
	global_store_b64 v10, v[8:9], s[18:19] scale_offset
	s_wait_xcnt 0x0
	s_or_b32 exec_lo, exec_lo, s16
	s_and_saveexec_b32 s16, s10
	s_cbranch_execz .LBB373_182
.LBB373_237:
	v_dual_mov_b32 v9, 0 :: v_dual_sub_nc_u32 v10, v42, v6
	v_mov_b32_e32 v8, v43
	v_readfirstlane_b32 s18, v4
	v_readfirstlane_b32 s19, v5
	global_store_b64 v10, v[8:9], s[18:19] scale_offset
	s_wait_xcnt 0x0
	s_or_b32 exec_lo, exec_lo, s16
	s_and_saveexec_b32 s16, s9
	s_cbranch_execz .LBB373_183
.LBB373_238:
	v_dual_mov_b32 v9, 0 :: v_dual_sub_nc_u32 v10, v38, v6
	v_mov_b32_e32 v8, v39
	v_readfirstlane_b32 s18, v4
	v_readfirstlane_b32 s19, v5
	global_store_b64 v10, v[8:9], s[18:19] scale_offset
	s_wait_xcnt 0x0
	s_or_b32 exec_lo, exec_lo, s16
	s_and_saveexec_b32 s16, s8
	s_cbranch_execz .LBB373_184
.LBB373_239:
	v_dual_mov_b32 v9, 0 :: v_dual_sub_nc_u32 v10, v32, v6
	v_mov_b32_e32 v8, v33
	v_readfirstlane_b32 s18, v4
	v_readfirstlane_b32 s19, v5
	global_store_b64 v10, v[8:9], s[18:19] scale_offset
	s_wait_xcnt 0x0
	s_or_b32 exec_lo, exec_lo, s16
	s_and_saveexec_b32 s16, s7
	s_cbranch_execz .LBB373_185
.LBB373_240:
	v_dual_mov_b32 v9, 0 :: v_dual_sub_nc_u32 v10, v34, v6
	v_mov_b32_e32 v8, v35
	v_readfirstlane_b32 s18, v4
	v_readfirstlane_b32 s19, v5
	global_store_b64 v10, v[8:9], s[18:19] scale_offset
	s_wait_xcnt 0x0
	s_or_b32 exec_lo, exec_lo, s16
	s_and_saveexec_b32 s16, s6
	s_cbranch_execz .LBB373_186
.LBB373_241:
	v_dual_mov_b32 v9, 0 :: v_dual_sub_nc_u32 v10, v40, v6
	v_mov_b32_e32 v8, v41
	v_readfirstlane_b32 s18, v4
	v_readfirstlane_b32 s19, v5
	global_store_b64 v10, v[8:9], s[18:19] scale_offset
	s_wait_xcnt 0x0
	s_or_b32 exec_lo, exec_lo, s16
	s_and_saveexec_b32 s16, s5
	s_cbranch_execz .LBB373_187
.LBB373_242:
	v_dual_mov_b32 v9, 0 :: v_dual_sub_nc_u32 v10, v24, v6
	v_mov_b32_e32 v8, v25
	v_readfirstlane_b32 s18, v4
	v_readfirstlane_b32 s19, v5
	global_store_b64 v10, v[8:9], s[18:19] scale_offset
	s_wait_xcnt 0x0
	s_or_b32 exec_lo, exec_lo, s16
	s_and_saveexec_b32 s16, s4
	s_cbranch_execz .LBB373_188
.LBB373_243:
	v_dual_mov_b32 v9, 0 :: v_dual_sub_nc_u32 v10, v26, v6
	v_mov_b32_e32 v8, v27
	v_readfirstlane_b32 s18, v4
	v_readfirstlane_b32 s19, v5
	global_store_b64 v10, v[8:9], s[18:19] scale_offset
	s_wait_xcnt 0x0
	s_or_b32 exec_lo, exec_lo, s16
	s_and_saveexec_b32 s16, s3
	s_cbranch_execz .LBB373_189
.LBB373_244:
	v_dual_mov_b32 v9, 0 :: v_dual_sub_nc_u32 v10, v30, v6
	v_mov_b32_e32 v8, v31
	v_readfirstlane_b32 s18, v4
	v_readfirstlane_b32 s19, v5
	global_store_b64 v10, v[8:9], s[18:19] scale_offset
	s_wait_xcnt 0x0
	s_or_b32 exec_lo, exec_lo, s16
	s_and_saveexec_b32 s16, s2
	s_cbranch_execz .LBB373_190
.LBB373_245:
	v_dual_mov_b32 v9, 0 :: v_dual_sub_nc_u32 v10, v36, v6
	v_mov_b32_e32 v8, v37
	v_readfirstlane_b32 s18, v4
	v_readfirstlane_b32 s19, v5
	global_store_b64 v10, v[8:9], s[18:19] scale_offset
	s_wait_xcnt 0x0
	s_or_b32 exec_lo, exec_lo, s16
	s_and_saveexec_b32 s16, s1
	s_cbranch_execnz .LBB373_191
	s_branch .LBB373_192
.LBB373_246:
	v_sub_nc_u32_e32 v7, v44, v6
	s_delay_alu instid0(VALU_DEP_1)
	v_lshlrev_b32_e32 v7, 2, v7
	ds_store_b32 v7, v45
	s_or_b32 exec_lo, exec_lo, s16
	s_and_saveexec_b32 s13, s12
	s_cbranch_execz .LBB373_196
.LBB373_247:
	v_sub_nc_u32_e32 v7, v48, v6
	s_delay_alu instid0(VALU_DEP_1)
	v_lshlrev_b32_e32 v7, 2, v7
	ds_store_b32 v7, v49
	s_or_b32 exec_lo, exec_lo, s13
	s_and_saveexec_b32 s12, s11
	s_cbranch_execz .LBB373_197
.LBB373_248:
	v_sub_nc_u32_e32 v7, v46, v6
	s_delay_alu instid0(VALU_DEP_1)
	v_lshlrev_b32_e32 v7, 2, v7
	ds_store_b32 v7, v47
	s_or_b32 exec_lo, exec_lo, s12
	s_and_saveexec_b32 s11, s10
	s_cbranch_execz .LBB373_198
.LBB373_249:
	v_sub_nc_u32_e32 v7, v42, v6
	s_delay_alu instid0(VALU_DEP_1)
	v_lshlrev_b32_e32 v7, 2, v7
	ds_store_b32 v7, v43
	s_or_b32 exec_lo, exec_lo, s11
	s_and_saveexec_b32 s10, s9
	s_cbranch_execz .LBB373_199
.LBB373_250:
	v_sub_nc_u32_e32 v7, v38, v6
	s_delay_alu instid0(VALU_DEP_1)
	v_lshlrev_b32_e32 v7, 2, v7
	ds_store_b32 v7, v39
	s_or_b32 exec_lo, exec_lo, s10
	s_and_saveexec_b32 s9, s8
	s_cbranch_execz .LBB373_200
.LBB373_251:
	v_sub_nc_u32_e32 v7, v32, v6
	s_delay_alu instid0(VALU_DEP_1)
	v_lshlrev_b32_e32 v7, 2, v7
	ds_store_b32 v7, v33
	s_or_b32 exec_lo, exec_lo, s9
	s_and_saveexec_b32 s8, s7
	s_cbranch_execz .LBB373_201
.LBB373_252:
	v_sub_nc_u32_e32 v7, v34, v6
	s_delay_alu instid0(VALU_DEP_1)
	v_lshlrev_b32_e32 v7, 2, v7
	ds_store_b32 v7, v35
	s_or_b32 exec_lo, exec_lo, s8
	s_and_saveexec_b32 s7, s6
	s_cbranch_execz .LBB373_202
.LBB373_253:
	v_sub_nc_u32_e32 v7, v40, v6
	s_delay_alu instid0(VALU_DEP_1)
	v_lshlrev_b32_e32 v7, 2, v7
	ds_store_b32 v7, v41
	s_or_b32 exec_lo, exec_lo, s7
	s_and_saveexec_b32 s6, s5
	s_cbranch_execz .LBB373_203
.LBB373_254:
	v_sub_nc_u32_e32 v7, v24, v6
	s_delay_alu instid0(VALU_DEP_1)
	v_lshlrev_b32_e32 v7, 2, v7
	ds_store_b32 v7, v25
	s_or_b32 exec_lo, exec_lo, s6
	s_and_saveexec_b32 s5, s4
	s_cbranch_execz .LBB373_204
.LBB373_255:
	v_sub_nc_u32_e32 v7, v26, v6
	s_delay_alu instid0(VALU_DEP_1)
	v_lshlrev_b32_e32 v7, 2, v7
	ds_store_b32 v7, v27
	s_or_b32 exec_lo, exec_lo, s5
	s_and_saveexec_b32 s4, s3
	s_cbranch_execz .LBB373_205
.LBB373_256:
	v_sub_nc_u32_e32 v7, v30, v6
	s_delay_alu instid0(VALU_DEP_1)
	v_lshlrev_b32_e32 v7, 2, v7
	ds_store_b32 v7, v31
	s_or_b32 exec_lo, exec_lo, s4
	s_and_saveexec_b32 s3, s2
	s_cbranch_execz .LBB373_206
.LBB373_257:
	v_sub_nc_u32_e32 v7, v36, v6
	s_delay_alu instid0(VALU_DEP_1)
	v_lshlrev_b32_e32 v7, 2, v7
	ds_store_b32 v7, v37
	s_or_b32 exec_lo, exec_lo, s3
	s_and_saveexec_b32 s2, s1
	s_cbranch_execnz .LBB373_207
	s_branch .LBB373_208
	.section	.rodata,"a",@progbits
	.p2align	6, 0x0
	.amdhsa_kernel _ZN7rocprim17ROCPRIM_400000_NS6detail17trampoline_kernelINS0_14default_configENS1_33run_length_encode_config_selectorIfjNS0_4plusIjEEEEZZNS1_33reduce_by_key_impl_wrapped_configILNS1_25lookback_scan_determinismE0ES3_S7_PKfNS0_17constant_iteratorIjlEEPfPlSF_S6_NS0_8equal_toIfEEEE10hipError_tPvRmT2_T3_mT4_T5_T6_T7_T8_P12ihipStream_tbENKUlT_T0_E_clISt17integral_constantIbLb0EESZ_EEDaSU_SV_EUlSU_E_NS1_11comp_targetILNS1_3genE0ELNS1_11target_archE4294967295ELNS1_3gpuE0ELNS1_3repE0EEENS1_30default_config_static_selectorELNS0_4arch9wavefront6targetE0EEEvT1_
		.amdhsa_group_segment_fixed_size 14336
		.amdhsa_private_segment_fixed_size 0
		.amdhsa_kernarg_size 128
		.amdhsa_user_sgpr_count 2
		.amdhsa_user_sgpr_dispatch_ptr 0
		.amdhsa_user_sgpr_queue_ptr 0
		.amdhsa_user_sgpr_kernarg_segment_ptr 1
		.amdhsa_user_sgpr_dispatch_id 0
		.amdhsa_user_sgpr_kernarg_preload_length 0
		.amdhsa_user_sgpr_kernarg_preload_offset 0
		.amdhsa_user_sgpr_private_segment_size 0
		.amdhsa_wavefront_size32 1
		.amdhsa_uses_dynamic_stack 0
		.amdhsa_enable_private_segment 0
		.amdhsa_system_sgpr_workgroup_id_x 1
		.amdhsa_system_sgpr_workgroup_id_y 0
		.amdhsa_system_sgpr_workgroup_id_z 0
		.amdhsa_system_sgpr_workgroup_info 0
		.amdhsa_system_vgpr_workitem_id 0
		.amdhsa_next_free_vgpr 102
		.amdhsa_next_free_sgpr 39
		.amdhsa_named_barrier_count 0
		.amdhsa_reserve_vcc 1
		.amdhsa_float_round_mode_32 0
		.amdhsa_float_round_mode_16_64 0
		.amdhsa_float_denorm_mode_32 3
		.amdhsa_float_denorm_mode_16_64 3
		.amdhsa_fp16_overflow 0
		.amdhsa_memory_ordered 1
		.amdhsa_forward_progress 1
		.amdhsa_inst_pref_size 117
		.amdhsa_round_robin_scheduling 0
		.amdhsa_exception_fp_ieee_invalid_op 0
		.amdhsa_exception_fp_denorm_src 0
		.amdhsa_exception_fp_ieee_div_zero 0
		.amdhsa_exception_fp_ieee_overflow 0
		.amdhsa_exception_fp_ieee_underflow 0
		.amdhsa_exception_fp_ieee_inexact 0
		.amdhsa_exception_int_div_zero 0
	.end_amdhsa_kernel
	.section	.text._ZN7rocprim17ROCPRIM_400000_NS6detail17trampoline_kernelINS0_14default_configENS1_33run_length_encode_config_selectorIfjNS0_4plusIjEEEEZZNS1_33reduce_by_key_impl_wrapped_configILNS1_25lookback_scan_determinismE0ES3_S7_PKfNS0_17constant_iteratorIjlEEPfPlSF_S6_NS0_8equal_toIfEEEE10hipError_tPvRmT2_T3_mT4_T5_T6_T7_T8_P12ihipStream_tbENKUlT_T0_E_clISt17integral_constantIbLb0EESZ_EEDaSU_SV_EUlSU_E_NS1_11comp_targetILNS1_3genE0ELNS1_11target_archE4294967295ELNS1_3gpuE0ELNS1_3repE0EEENS1_30default_config_static_selectorELNS0_4arch9wavefront6targetE0EEEvT1_,"axG",@progbits,_ZN7rocprim17ROCPRIM_400000_NS6detail17trampoline_kernelINS0_14default_configENS1_33run_length_encode_config_selectorIfjNS0_4plusIjEEEEZZNS1_33reduce_by_key_impl_wrapped_configILNS1_25lookback_scan_determinismE0ES3_S7_PKfNS0_17constant_iteratorIjlEEPfPlSF_S6_NS0_8equal_toIfEEEE10hipError_tPvRmT2_T3_mT4_T5_T6_T7_T8_P12ihipStream_tbENKUlT_T0_E_clISt17integral_constantIbLb0EESZ_EEDaSU_SV_EUlSU_E_NS1_11comp_targetILNS1_3genE0ELNS1_11target_archE4294967295ELNS1_3gpuE0ELNS1_3repE0EEENS1_30default_config_static_selectorELNS0_4arch9wavefront6targetE0EEEvT1_,comdat
.Lfunc_end373:
	.size	_ZN7rocprim17ROCPRIM_400000_NS6detail17trampoline_kernelINS0_14default_configENS1_33run_length_encode_config_selectorIfjNS0_4plusIjEEEEZZNS1_33reduce_by_key_impl_wrapped_configILNS1_25lookback_scan_determinismE0ES3_S7_PKfNS0_17constant_iteratorIjlEEPfPlSF_S6_NS0_8equal_toIfEEEE10hipError_tPvRmT2_T3_mT4_T5_T6_T7_T8_P12ihipStream_tbENKUlT_T0_E_clISt17integral_constantIbLb0EESZ_EEDaSU_SV_EUlSU_E_NS1_11comp_targetILNS1_3genE0ELNS1_11target_archE4294967295ELNS1_3gpuE0ELNS1_3repE0EEENS1_30default_config_static_selectorELNS0_4arch9wavefront6targetE0EEEvT1_, .Lfunc_end373-_ZN7rocprim17ROCPRIM_400000_NS6detail17trampoline_kernelINS0_14default_configENS1_33run_length_encode_config_selectorIfjNS0_4plusIjEEEEZZNS1_33reduce_by_key_impl_wrapped_configILNS1_25lookback_scan_determinismE0ES3_S7_PKfNS0_17constant_iteratorIjlEEPfPlSF_S6_NS0_8equal_toIfEEEE10hipError_tPvRmT2_T3_mT4_T5_T6_T7_T8_P12ihipStream_tbENKUlT_T0_E_clISt17integral_constantIbLb0EESZ_EEDaSU_SV_EUlSU_E_NS1_11comp_targetILNS1_3genE0ELNS1_11target_archE4294967295ELNS1_3gpuE0ELNS1_3repE0EEENS1_30default_config_static_selectorELNS0_4arch9wavefront6targetE0EEEvT1_
                                        ; -- End function
	.set _ZN7rocprim17ROCPRIM_400000_NS6detail17trampoline_kernelINS0_14default_configENS1_33run_length_encode_config_selectorIfjNS0_4plusIjEEEEZZNS1_33reduce_by_key_impl_wrapped_configILNS1_25lookback_scan_determinismE0ES3_S7_PKfNS0_17constant_iteratorIjlEEPfPlSF_S6_NS0_8equal_toIfEEEE10hipError_tPvRmT2_T3_mT4_T5_T6_T7_T8_P12ihipStream_tbENKUlT_T0_E_clISt17integral_constantIbLb0EESZ_EEDaSU_SV_EUlSU_E_NS1_11comp_targetILNS1_3genE0ELNS1_11target_archE4294967295ELNS1_3gpuE0ELNS1_3repE0EEENS1_30default_config_static_selectorELNS0_4arch9wavefront6targetE0EEEvT1_.num_vgpr, 102
	.set _ZN7rocprim17ROCPRIM_400000_NS6detail17trampoline_kernelINS0_14default_configENS1_33run_length_encode_config_selectorIfjNS0_4plusIjEEEEZZNS1_33reduce_by_key_impl_wrapped_configILNS1_25lookback_scan_determinismE0ES3_S7_PKfNS0_17constant_iteratorIjlEEPfPlSF_S6_NS0_8equal_toIfEEEE10hipError_tPvRmT2_T3_mT4_T5_T6_T7_T8_P12ihipStream_tbENKUlT_T0_E_clISt17integral_constantIbLb0EESZ_EEDaSU_SV_EUlSU_E_NS1_11comp_targetILNS1_3genE0ELNS1_11target_archE4294967295ELNS1_3gpuE0ELNS1_3repE0EEENS1_30default_config_static_selectorELNS0_4arch9wavefront6targetE0EEEvT1_.num_agpr, 0
	.set _ZN7rocprim17ROCPRIM_400000_NS6detail17trampoline_kernelINS0_14default_configENS1_33run_length_encode_config_selectorIfjNS0_4plusIjEEEEZZNS1_33reduce_by_key_impl_wrapped_configILNS1_25lookback_scan_determinismE0ES3_S7_PKfNS0_17constant_iteratorIjlEEPfPlSF_S6_NS0_8equal_toIfEEEE10hipError_tPvRmT2_T3_mT4_T5_T6_T7_T8_P12ihipStream_tbENKUlT_T0_E_clISt17integral_constantIbLb0EESZ_EEDaSU_SV_EUlSU_E_NS1_11comp_targetILNS1_3genE0ELNS1_11target_archE4294967295ELNS1_3gpuE0ELNS1_3repE0EEENS1_30default_config_static_selectorELNS0_4arch9wavefront6targetE0EEEvT1_.numbered_sgpr, 39
	.set _ZN7rocprim17ROCPRIM_400000_NS6detail17trampoline_kernelINS0_14default_configENS1_33run_length_encode_config_selectorIfjNS0_4plusIjEEEEZZNS1_33reduce_by_key_impl_wrapped_configILNS1_25lookback_scan_determinismE0ES3_S7_PKfNS0_17constant_iteratorIjlEEPfPlSF_S6_NS0_8equal_toIfEEEE10hipError_tPvRmT2_T3_mT4_T5_T6_T7_T8_P12ihipStream_tbENKUlT_T0_E_clISt17integral_constantIbLb0EESZ_EEDaSU_SV_EUlSU_E_NS1_11comp_targetILNS1_3genE0ELNS1_11target_archE4294967295ELNS1_3gpuE0ELNS1_3repE0EEENS1_30default_config_static_selectorELNS0_4arch9wavefront6targetE0EEEvT1_.num_named_barrier, 0
	.set _ZN7rocprim17ROCPRIM_400000_NS6detail17trampoline_kernelINS0_14default_configENS1_33run_length_encode_config_selectorIfjNS0_4plusIjEEEEZZNS1_33reduce_by_key_impl_wrapped_configILNS1_25lookback_scan_determinismE0ES3_S7_PKfNS0_17constant_iteratorIjlEEPfPlSF_S6_NS0_8equal_toIfEEEE10hipError_tPvRmT2_T3_mT4_T5_T6_T7_T8_P12ihipStream_tbENKUlT_T0_E_clISt17integral_constantIbLb0EESZ_EEDaSU_SV_EUlSU_E_NS1_11comp_targetILNS1_3genE0ELNS1_11target_archE4294967295ELNS1_3gpuE0ELNS1_3repE0EEENS1_30default_config_static_selectorELNS0_4arch9wavefront6targetE0EEEvT1_.private_seg_size, 0
	.set _ZN7rocprim17ROCPRIM_400000_NS6detail17trampoline_kernelINS0_14default_configENS1_33run_length_encode_config_selectorIfjNS0_4plusIjEEEEZZNS1_33reduce_by_key_impl_wrapped_configILNS1_25lookback_scan_determinismE0ES3_S7_PKfNS0_17constant_iteratorIjlEEPfPlSF_S6_NS0_8equal_toIfEEEE10hipError_tPvRmT2_T3_mT4_T5_T6_T7_T8_P12ihipStream_tbENKUlT_T0_E_clISt17integral_constantIbLb0EESZ_EEDaSU_SV_EUlSU_E_NS1_11comp_targetILNS1_3genE0ELNS1_11target_archE4294967295ELNS1_3gpuE0ELNS1_3repE0EEENS1_30default_config_static_selectorELNS0_4arch9wavefront6targetE0EEEvT1_.uses_vcc, 1
	.set _ZN7rocprim17ROCPRIM_400000_NS6detail17trampoline_kernelINS0_14default_configENS1_33run_length_encode_config_selectorIfjNS0_4plusIjEEEEZZNS1_33reduce_by_key_impl_wrapped_configILNS1_25lookback_scan_determinismE0ES3_S7_PKfNS0_17constant_iteratorIjlEEPfPlSF_S6_NS0_8equal_toIfEEEE10hipError_tPvRmT2_T3_mT4_T5_T6_T7_T8_P12ihipStream_tbENKUlT_T0_E_clISt17integral_constantIbLb0EESZ_EEDaSU_SV_EUlSU_E_NS1_11comp_targetILNS1_3genE0ELNS1_11target_archE4294967295ELNS1_3gpuE0ELNS1_3repE0EEENS1_30default_config_static_selectorELNS0_4arch9wavefront6targetE0EEEvT1_.uses_flat_scratch, 0
	.set _ZN7rocprim17ROCPRIM_400000_NS6detail17trampoline_kernelINS0_14default_configENS1_33run_length_encode_config_selectorIfjNS0_4plusIjEEEEZZNS1_33reduce_by_key_impl_wrapped_configILNS1_25lookback_scan_determinismE0ES3_S7_PKfNS0_17constant_iteratorIjlEEPfPlSF_S6_NS0_8equal_toIfEEEE10hipError_tPvRmT2_T3_mT4_T5_T6_T7_T8_P12ihipStream_tbENKUlT_T0_E_clISt17integral_constantIbLb0EESZ_EEDaSU_SV_EUlSU_E_NS1_11comp_targetILNS1_3genE0ELNS1_11target_archE4294967295ELNS1_3gpuE0ELNS1_3repE0EEENS1_30default_config_static_selectorELNS0_4arch9wavefront6targetE0EEEvT1_.has_dyn_sized_stack, 0
	.set _ZN7rocprim17ROCPRIM_400000_NS6detail17trampoline_kernelINS0_14default_configENS1_33run_length_encode_config_selectorIfjNS0_4plusIjEEEEZZNS1_33reduce_by_key_impl_wrapped_configILNS1_25lookback_scan_determinismE0ES3_S7_PKfNS0_17constant_iteratorIjlEEPfPlSF_S6_NS0_8equal_toIfEEEE10hipError_tPvRmT2_T3_mT4_T5_T6_T7_T8_P12ihipStream_tbENKUlT_T0_E_clISt17integral_constantIbLb0EESZ_EEDaSU_SV_EUlSU_E_NS1_11comp_targetILNS1_3genE0ELNS1_11target_archE4294967295ELNS1_3gpuE0ELNS1_3repE0EEENS1_30default_config_static_selectorELNS0_4arch9wavefront6targetE0EEEvT1_.has_recursion, 0
	.set _ZN7rocprim17ROCPRIM_400000_NS6detail17trampoline_kernelINS0_14default_configENS1_33run_length_encode_config_selectorIfjNS0_4plusIjEEEEZZNS1_33reduce_by_key_impl_wrapped_configILNS1_25lookback_scan_determinismE0ES3_S7_PKfNS0_17constant_iteratorIjlEEPfPlSF_S6_NS0_8equal_toIfEEEE10hipError_tPvRmT2_T3_mT4_T5_T6_T7_T8_P12ihipStream_tbENKUlT_T0_E_clISt17integral_constantIbLb0EESZ_EEDaSU_SV_EUlSU_E_NS1_11comp_targetILNS1_3genE0ELNS1_11target_archE4294967295ELNS1_3gpuE0ELNS1_3repE0EEENS1_30default_config_static_selectorELNS0_4arch9wavefront6targetE0EEEvT1_.has_indirect_call, 0
	.section	.AMDGPU.csdata,"",@progbits
; Kernel info:
; codeLenInByte = 14976
; TotalNumSgprs: 41
; NumVgprs: 102
; ScratchSize: 0
; MemoryBound: 0
; FloatMode: 240
; IeeeMode: 1
; LDSByteSize: 14336 bytes/workgroup (compile time only)
; SGPRBlocks: 0
; VGPRBlocks: 6
; NumSGPRsForWavesPerEU: 41
; NumVGPRsForWavesPerEU: 102
; NamedBarCnt: 0
; Occupancy: 9
; WaveLimiterHint : 1
; COMPUTE_PGM_RSRC2:SCRATCH_EN: 0
; COMPUTE_PGM_RSRC2:USER_SGPR: 2
; COMPUTE_PGM_RSRC2:TRAP_HANDLER: 0
; COMPUTE_PGM_RSRC2:TGID_X_EN: 1
; COMPUTE_PGM_RSRC2:TGID_Y_EN: 0
; COMPUTE_PGM_RSRC2:TGID_Z_EN: 0
; COMPUTE_PGM_RSRC2:TIDIG_COMP_CNT: 0
	.section	.text._ZN7rocprim17ROCPRIM_400000_NS6detail17trampoline_kernelINS0_14default_configENS1_33run_length_encode_config_selectorIfjNS0_4plusIjEEEEZZNS1_33reduce_by_key_impl_wrapped_configILNS1_25lookback_scan_determinismE0ES3_S7_PKfNS0_17constant_iteratorIjlEEPfPlSF_S6_NS0_8equal_toIfEEEE10hipError_tPvRmT2_T3_mT4_T5_T6_T7_T8_P12ihipStream_tbENKUlT_T0_E_clISt17integral_constantIbLb0EESZ_EEDaSU_SV_EUlSU_E_NS1_11comp_targetILNS1_3genE5ELNS1_11target_archE942ELNS1_3gpuE9ELNS1_3repE0EEENS1_30default_config_static_selectorELNS0_4arch9wavefront6targetE0EEEvT1_,"axG",@progbits,_ZN7rocprim17ROCPRIM_400000_NS6detail17trampoline_kernelINS0_14default_configENS1_33run_length_encode_config_selectorIfjNS0_4plusIjEEEEZZNS1_33reduce_by_key_impl_wrapped_configILNS1_25lookback_scan_determinismE0ES3_S7_PKfNS0_17constant_iteratorIjlEEPfPlSF_S6_NS0_8equal_toIfEEEE10hipError_tPvRmT2_T3_mT4_T5_T6_T7_T8_P12ihipStream_tbENKUlT_T0_E_clISt17integral_constantIbLb0EESZ_EEDaSU_SV_EUlSU_E_NS1_11comp_targetILNS1_3genE5ELNS1_11target_archE942ELNS1_3gpuE9ELNS1_3repE0EEENS1_30default_config_static_selectorELNS0_4arch9wavefront6targetE0EEEvT1_,comdat
	.protected	_ZN7rocprim17ROCPRIM_400000_NS6detail17trampoline_kernelINS0_14default_configENS1_33run_length_encode_config_selectorIfjNS0_4plusIjEEEEZZNS1_33reduce_by_key_impl_wrapped_configILNS1_25lookback_scan_determinismE0ES3_S7_PKfNS0_17constant_iteratorIjlEEPfPlSF_S6_NS0_8equal_toIfEEEE10hipError_tPvRmT2_T3_mT4_T5_T6_T7_T8_P12ihipStream_tbENKUlT_T0_E_clISt17integral_constantIbLb0EESZ_EEDaSU_SV_EUlSU_E_NS1_11comp_targetILNS1_3genE5ELNS1_11target_archE942ELNS1_3gpuE9ELNS1_3repE0EEENS1_30default_config_static_selectorELNS0_4arch9wavefront6targetE0EEEvT1_ ; -- Begin function _ZN7rocprim17ROCPRIM_400000_NS6detail17trampoline_kernelINS0_14default_configENS1_33run_length_encode_config_selectorIfjNS0_4plusIjEEEEZZNS1_33reduce_by_key_impl_wrapped_configILNS1_25lookback_scan_determinismE0ES3_S7_PKfNS0_17constant_iteratorIjlEEPfPlSF_S6_NS0_8equal_toIfEEEE10hipError_tPvRmT2_T3_mT4_T5_T6_T7_T8_P12ihipStream_tbENKUlT_T0_E_clISt17integral_constantIbLb0EESZ_EEDaSU_SV_EUlSU_E_NS1_11comp_targetILNS1_3genE5ELNS1_11target_archE942ELNS1_3gpuE9ELNS1_3repE0EEENS1_30default_config_static_selectorELNS0_4arch9wavefront6targetE0EEEvT1_
	.globl	_ZN7rocprim17ROCPRIM_400000_NS6detail17trampoline_kernelINS0_14default_configENS1_33run_length_encode_config_selectorIfjNS0_4plusIjEEEEZZNS1_33reduce_by_key_impl_wrapped_configILNS1_25lookback_scan_determinismE0ES3_S7_PKfNS0_17constant_iteratorIjlEEPfPlSF_S6_NS0_8equal_toIfEEEE10hipError_tPvRmT2_T3_mT4_T5_T6_T7_T8_P12ihipStream_tbENKUlT_T0_E_clISt17integral_constantIbLb0EESZ_EEDaSU_SV_EUlSU_E_NS1_11comp_targetILNS1_3genE5ELNS1_11target_archE942ELNS1_3gpuE9ELNS1_3repE0EEENS1_30default_config_static_selectorELNS0_4arch9wavefront6targetE0EEEvT1_
	.p2align	8
	.type	_ZN7rocprim17ROCPRIM_400000_NS6detail17trampoline_kernelINS0_14default_configENS1_33run_length_encode_config_selectorIfjNS0_4plusIjEEEEZZNS1_33reduce_by_key_impl_wrapped_configILNS1_25lookback_scan_determinismE0ES3_S7_PKfNS0_17constant_iteratorIjlEEPfPlSF_S6_NS0_8equal_toIfEEEE10hipError_tPvRmT2_T3_mT4_T5_T6_T7_T8_P12ihipStream_tbENKUlT_T0_E_clISt17integral_constantIbLb0EESZ_EEDaSU_SV_EUlSU_E_NS1_11comp_targetILNS1_3genE5ELNS1_11target_archE942ELNS1_3gpuE9ELNS1_3repE0EEENS1_30default_config_static_selectorELNS0_4arch9wavefront6targetE0EEEvT1_,@function
_ZN7rocprim17ROCPRIM_400000_NS6detail17trampoline_kernelINS0_14default_configENS1_33run_length_encode_config_selectorIfjNS0_4plusIjEEEEZZNS1_33reduce_by_key_impl_wrapped_configILNS1_25lookback_scan_determinismE0ES3_S7_PKfNS0_17constant_iteratorIjlEEPfPlSF_S6_NS0_8equal_toIfEEEE10hipError_tPvRmT2_T3_mT4_T5_T6_T7_T8_P12ihipStream_tbENKUlT_T0_E_clISt17integral_constantIbLb0EESZ_EEDaSU_SV_EUlSU_E_NS1_11comp_targetILNS1_3genE5ELNS1_11target_archE942ELNS1_3gpuE9ELNS1_3repE0EEENS1_30default_config_static_selectorELNS0_4arch9wavefront6targetE0EEEvT1_: ; @_ZN7rocprim17ROCPRIM_400000_NS6detail17trampoline_kernelINS0_14default_configENS1_33run_length_encode_config_selectorIfjNS0_4plusIjEEEEZZNS1_33reduce_by_key_impl_wrapped_configILNS1_25lookback_scan_determinismE0ES3_S7_PKfNS0_17constant_iteratorIjlEEPfPlSF_S6_NS0_8equal_toIfEEEE10hipError_tPvRmT2_T3_mT4_T5_T6_T7_T8_P12ihipStream_tbENKUlT_T0_E_clISt17integral_constantIbLb0EESZ_EEDaSU_SV_EUlSU_E_NS1_11comp_targetILNS1_3genE5ELNS1_11target_archE942ELNS1_3gpuE9ELNS1_3repE0EEENS1_30default_config_static_selectorELNS0_4arch9wavefront6targetE0EEEvT1_
; %bb.0:
	.section	.rodata,"a",@progbits
	.p2align	6, 0x0
	.amdhsa_kernel _ZN7rocprim17ROCPRIM_400000_NS6detail17trampoline_kernelINS0_14default_configENS1_33run_length_encode_config_selectorIfjNS0_4plusIjEEEEZZNS1_33reduce_by_key_impl_wrapped_configILNS1_25lookback_scan_determinismE0ES3_S7_PKfNS0_17constant_iteratorIjlEEPfPlSF_S6_NS0_8equal_toIfEEEE10hipError_tPvRmT2_T3_mT4_T5_T6_T7_T8_P12ihipStream_tbENKUlT_T0_E_clISt17integral_constantIbLb0EESZ_EEDaSU_SV_EUlSU_E_NS1_11comp_targetILNS1_3genE5ELNS1_11target_archE942ELNS1_3gpuE9ELNS1_3repE0EEENS1_30default_config_static_selectorELNS0_4arch9wavefront6targetE0EEEvT1_
		.amdhsa_group_segment_fixed_size 0
		.amdhsa_private_segment_fixed_size 0
		.amdhsa_kernarg_size 128
		.amdhsa_user_sgpr_count 2
		.amdhsa_user_sgpr_dispatch_ptr 0
		.amdhsa_user_sgpr_queue_ptr 0
		.amdhsa_user_sgpr_kernarg_segment_ptr 1
		.amdhsa_user_sgpr_dispatch_id 0
		.amdhsa_user_sgpr_kernarg_preload_length 0
		.amdhsa_user_sgpr_kernarg_preload_offset 0
		.amdhsa_user_sgpr_private_segment_size 0
		.amdhsa_wavefront_size32 1
		.amdhsa_uses_dynamic_stack 0
		.amdhsa_enable_private_segment 0
		.amdhsa_system_sgpr_workgroup_id_x 1
		.amdhsa_system_sgpr_workgroup_id_y 0
		.amdhsa_system_sgpr_workgroup_id_z 0
		.amdhsa_system_sgpr_workgroup_info 0
		.amdhsa_system_vgpr_workitem_id 0
		.amdhsa_next_free_vgpr 1
		.amdhsa_next_free_sgpr 1
		.amdhsa_named_barrier_count 0
		.amdhsa_reserve_vcc 0
		.amdhsa_float_round_mode_32 0
		.amdhsa_float_round_mode_16_64 0
		.amdhsa_float_denorm_mode_32 3
		.amdhsa_float_denorm_mode_16_64 3
		.amdhsa_fp16_overflow 0
		.amdhsa_memory_ordered 1
		.amdhsa_forward_progress 1
		.amdhsa_inst_pref_size 0
		.amdhsa_round_robin_scheduling 0
		.amdhsa_exception_fp_ieee_invalid_op 0
		.amdhsa_exception_fp_denorm_src 0
		.amdhsa_exception_fp_ieee_div_zero 0
		.amdhsa_exception_fp_ieee_overflow 0
		.amdhsa_exception_fp_ieee_underflow 0
		.amdhsa_exception_fp_ieee_inexact 0
		.amdhsa_exception_int_div_zero 0
	.end_amdhsa_kernel
	.section	.text._ZN7rocprim17ROCPRIM_400000_NS6detail17trampoline_kernelINS0_14default_configENS1_33run_length_encode_config_selectorIfjNS0_4plusIjEEEEZZNS1_33reduce_by_key_impl_wrapped_configILNS1_25lookback_scan_determinismE0ES3_S7_PKfNS0_17constant_iteratorIjlEEPfPlSF_S6_NS0_8equal_toIfEEEE10hipError_tPvRmT2_T3_mT4_T5_T6_T7_T8_P12ihipStream_tbENKUlT_T0_E_clISt17integral_constantIbLb0EESZ_EEDaSU_SV_EUlSU_E_NS1_11comp_targetILNS1_3genE5ELNS1_11target_archE942ELNS1_3gpuE9ELNS1_3repE0EEENS1_30default_config_static_selectorELNS0_4arch9wavefront6targetE0EEEvT1_,"axG",@progbits,_ZN7rocprim17ROCPRIM_400000_NS6detail17trampoline_kernelINS0_14default_configENS1_33run_length_encode_config_selectorIfjNS0_4plusIjEEEEZZNS1_33reduce_by_key_impl_wrapped_configILNS1_25lookback_scan_determinismE0ES3_S7_PKfNS0_17constant_iteratorIjlEEPfPlSF_S6_NS0_8equal_toIfEEEE10hipError_tPvRmT2_T3_mT4_T5_T6_T7_T8_P12ihipStream_tbENKUlT_T0_E_clISt17integral_constantIbLb0EESZ_EEDaSU_SV_EUlSU_E_NS1_11comp_targetILNS1_3genE5ELNS1_11target_archE942ELNS1_3gpuE9ELNS1_3repE0EEENS1_30default_config_static_selectorELNS0_4arch9wavefront6targetE0EEEvT1_,comdat
.Lfunc_end374:
	.size	_ZN7rocprim17ROCPRIM_400000_NS6detail17trampoline_kernelINS0_14default_configENS1_33run_length_encode_config_selectorIfjNS0_4plusIjEEEEZZNS1_33reduce_by_key_impl_wrapped_configILNS1_25lookback_scan_determinismE0ES3_S7_PKfNS0_17constant_iteratorIjlEEPfPlSF_S6_NS0_8equal_toIfEEEE10hipError_tPvRmT2_T3_mT4_T5_T6_T7_T8_P12ihipStream_tbENKUlT_T0_E_clISt17integral_constantIbLb0EESZ_EEDaSU_SV_EUlSU_E_NS1_11comp_targetILNS1_3genE5ELNS1_11target_archE942ELNS1_3gpuE9ELNS1_3repE0EEENS1_30default_config_static_selectorELNS0_4arch9wavefront6targetE0EEEvT1_, .Lfunc_end374-_ZN7rocprim17ROCPRIM_400000_NS6detail17trampoline_kernelINS0_14default_configENS1_33run_length_encode_config_selectorIfjNS0_4plusIjEEEEZZNS1_33reduce_by_key_impl_wrapped_configILNS1_25lookback_scan_determinismE0ES3_S7_PKfNS0_17constant_iteratorIjlEEPfPlSF_S6_NS0_8equal_toIfEEEE10hipError_tPvRmT2_T3_mT4_T5_T6_T7_T8_P12ihipStream_tbENKUlT_T0_E_clISt17integral_constantIbLb0EESZ_EEDaSU_SV_EUlSU_E_NS1_11comp_targetILNS1_3genE5ELNS1_11target_archE942ELNS1_3gpuE9ELNS1_3repE0EEENS1_30default_config_static_selectorELNS0_4arch9wavefront6targetE0EEEvT1_
                                        ; -- End function
	.set _ZN7rocprim17ROCPRIM_400000_NS6detail17trampoline_kernelINS0_14default_configENS1_33run_length_encode_config_selectorIfjNS0_4plusIjEEEEZZNS1_33reduce_by_key_impl_wrapped_configILNS1_25lookback_scan_determinismE0ES3_S7_PKfNS0_17constant_iteratorIjlEEPfPlSF_S6_NS0_8equal_toIfEEEE10hipError_tPvRmT2_T3_mT4_T5_T6_T7_T8_P12ihipStream_tbENKUlT_T0_E_clISt17integral_constantIbLb0EESZ_EEDaSU_SV_EUlSU_E_NS1_11comp_targetILNS1_3genE5ELNS1_11target_archE942ELNS1_3gpuE9ELNS1_3repE0EEENS1_30default_config_static_selectorELNS0_4arch9wavefront6targetE0EEEvT1_.num_vgpr, 0
	.set _ZN7rocprim17ROCPRIM_400000_NS6detail17trampoline_kernelINS0_14default_configENS1_33run_length_encode_config_selectorIfjNS0_4plusIjEEEEZZNS1_33reduce_by_key_impl_wrapped_configILNS1_25lookback_scan_determinismE0ES3_S7_PKfNS0_17constant_iteratorIjlEEPfPlSF_S6_NS0_8equal_toIfEEEE10hipError_tPvRmT2_T3_mT4_T5_T6_T7_T8_P12ihipStream_tbENKUlT_T0_E_clISt17integral_constantIbLb0EESZ_EEDaSU_SV_EUlSU_E_NS1_11comp_targetILNS1_3genE5ELNS1_11target_archE942ELNS1_3gpuE9ELNS1_3repE0EEENS1_30default_config_static_selectorELNS0_4arch9wavefront6targetE0EEEvT1_.num_agpr, 0
	.set _ZN7rocprim17ROCPRIM_400000_NS6detail17trampoline_kernelINS0_14default_configENS1_33run_length_encode_config_selectorIfjNS0_4plusIjEEEEZZNS1_33reduce_by_key_impl_wrapped_configILNS1_25lookback_scan_determinismE0ES3_S7_PKfNS0_17constant_iteratorIjlEEPfPlSF_S6_NS0_8equal_toIfEEEE10hipError_tPvRmT2_T3_mT4_T5_T6_T7_T8_P12ihipStream_tbENKUlT_T0_E_clISt17integral_constantIbLb0EESZ_EEDaSU_SV_EUlSU_E_NS1_11comp_targetILNS1_3genE5ELNS1_11target_archE942ELNS1_3gpuE9ELNS1_3repE0EEENS1_30default_config_static_selectorELNS0_4arch9wavefront6targetE0EEEvT1_.numbered_sgpr, 0
	.set _ZN7rocprim17ROCPRIM_400000_NS6detail17trampoline_kernelINS0_14default_configENS1_33run_length_encode_config_selectorIfjNS0_4plusIjEEEEZZNS1_33reduce_by_key_impl_wrapped_configILNS1_25lookback_scan_determinismE0ES3_S7_PKfNS0_17constant_iteratorIjlEEPfPlSF_S6_NS0_8equal_toIfEEEE10hipError_tPvRmT2_T3_mT4_T5_T6_T7_T8_P12ihipStream_tbENKUlT_T0_E_clISt17integral_constantIbLb0EESZ_EEDaSU_SV_EUlSU_E_NS1_11comp_targetILNS1_3genE5ELNS1_11target_archE942ELNS1_3gpuE9ELNS1_3repE0EEENS1_30default_config_static_selectorELNS0_4arch9wavefront6targetE0EEEvT1_.num_named_barrier, 0
	.set _ZN7rocprim17ROCPRIM_400000_NS6detail17trampoline_kernelINS0_14default_configENS1_33run_length_encode_config_selectorIfjNS0_4plusIjEEEEZZNS1_33reduce_by_key_impl_wrapped_configILNS1_25lookback_scan_determinismE0ES3_S7_PKfNS0_17constant_iteratorIjlEEPfPlSF_S6_NS0_8equal_toIfEEEE10hipError_tPvRmT2_T3_mT4_T5_T6_T7_T8_P12ihipStream_tbENKUlT_T0_E_clISt17integral_constantIbLb0EESZ_EEDaSU_SV_EUlSU_E_NS1_11comp_targetILNS1_3genE5ELNS1_11target_archE942ELNS1_3gpuE9ELNS1_3repE0EEENS1_30default_config_static_selectorELNS0_4arch9wavefront6targetE0EEEvT1_.private_seg_size, 0
	.set _ZN7rocprim17ROCPRIM_400000_NS6detail17trampoline_kernelINS0_14default_configENS1_33run_length_encode_config_selectorIfjNS0_4plusIjEEEEZZNS1_33reduce_by_key_impl_wrapped_configILNS1_25lookback_scan_determinismE0ES3_S7_PKfNS0_17constant_iteratorIjlEEPfPlSF_S6_NS0_8equal_toIfEEEE10hipError_tPvRmT2_T3_mT4_T5_T6_T7_T8_P12ihipStream_tbENKUlT_T0_E_clISt17integral_constantIbLb0EESZ_EEDaSU_SV_EUlSU_E_NS1_11comp_targetILNS1_3genE5ELNS1_11target_archE942ELNS1_3gpuE9ELNS1_3repE0EEENS1_30default_config_static_selectorELNS0_4arch9wavefront6targetE0EEEvT1_.uses_vcc, 0
	.set _ZN7rocprim17ROCPRIM_400000_NS6detail17trampoline_kernelINS0_14default_configENS1_33run_length_encode_config_selectorIfjNS0_4plusIjEEEEZZNS1_33reduce_by_key_impl_wrapped_configILNS1_25lookback_scan_determinismE0ES3_S7_PKfNS0_17constant_iteratorIjlEEPfPlSF_S6_NS0_8equal_toIfEEEE10hipError_tPvRmT2_T3_mT4_T5_T6_T7_T8_P12ihipStream_tbENKUlT_T0_E_clISt17integral_constantIbLb0EESZ_EEDaSU_SV_EUlSU_E_NS1_11comp_targetILNS1_3genE5ELNS1_11target_archE942ELNS1_3gpuE9ELNS1_3repE0EEENS1_30default_config_static_selectorELNS0_4arch9wavefront6targetE0EEEvT1_.uses_flat_scratch, 0
	.set _ZN7rocprim17ROCPRIM_400000_NS6detail17trampoline_kernelINS0_14default_configENS1_33run_length_encode_config_selectorIfjNS0_4plusIjEEEEZZNS1_33reduce_by_key_impl_wrapped_configILNS1_25lookback_scan_determinismE0ES3_S7_PKfNS0_17constant_iteratorIjlEEPfPlSF_S6_NS0_8equal_toIfEEEE10hipError_tPvRmT2_T3_mT4_T5_T6_T7_T8_P12ihipStream_tbENKUlT_T0_E_clISt17integral_constantIbLb0EESZ_EEDaSU_SV_EUlSU_E_NS1_11comp_targetILNS1_3genE5ELNS1_11target_archE942ELNS1_3gpuE9ELNS1_3repE0EEENS1_30default_config_static_selectorELNS0_4arch9wavefront6targetE0EEEvT1_.has_dyn_sized_stack, 0
	.set _ZN7rocprim17ROCPRIM_400000_NS6detail17trampoline_kernelINS0_14default_configENS1_33run_length_encode_config_selectorIfjNS0_4plusIjEEEEZZNS1_33reduce_by_key_impl_wrapped_configILNS1_25lookback_scan_determinismE0ES3_S7_PKfNS0_17constant_iteratorIjlEEPfPlSF_S6_NS0_8equal_toIfEEEE10hipError_tPvRmT2_T3_mT4_T5_T6_T7_T8_P12ihipStream_tbENKUlT_T0_E_clISt17integral_constantIbLb0EESZ_EEDaSU_SV_EUlSU_E_NS1_11comp_targetILNS1_3genE5ELNS1_11target_archE942ELNS1_3gpuE9ELNS1_3repE0EEENS1_30default_config_static_selectorELNS0_4arch9wavefront6targetE0EEEvT1_.has_recursion, 0
	.set _ZN7rocprim17ROCPRIM_400000_NS6detail17trampoline_kernelINS0_14default_configENS1_33run_length_encode_config_selectorIfjNS0_4plusIjEEEEZZNS1_33reduce_by_key_impl_wrapped_configILNS1_25lookback_scan_determinismE0ES3_S7_PKfNS0_17constant_iteratorIjlEEPfPlSF_S6_NS0_8equal_toIfEEEE10hipError_tPvRmT2_T3_mT4_T5_T6_T7_T8_P12ihipStream_tbENKUlT_T0_E_clISt17integral_constantIbLb0EESZ_EEDaSU_SV_EUlSU_E_NS1_11comp_targetILNS1_3genE5ELNS1_11target_archE942ELNS1_3gpuE9ELNS1_3repE0EEENS1_30default_config_static_selectorELNS0_4arch9wavefront6targetE0EEEvT1_.has_indirect_call, 0
	.section	.AMDGPU.csdata,"",@progbits
; Kernel info:
; codeLenInByte = 0
; TotalNumSgprs: 0
; NumVgprs: 0
; ScratchSize: 0
; MemoryBound: 0
; FloatMode: 240
; IeeeMode: 1
; LDSByteSize: 0 bytes/workgroup (compile time only)
; SGPRBlocks: 0
; VGPRBlocks: 0
; NumSGPRsForWavesPerEU: 1
; NumVGPRsForWavesPerEU: 1
; NamedBarCnt: 0
; Occupancy: 16
; WaveLimiterHint : 0
; COMPUTE_PGM_RSRC2:SCRATCH_EN: 0
; COMPUTE_PGM_RSRC2:USER_SGPR: 2
; COMPUTE_PGM_RSRC2:TRAP_HANDLER: 0
; COMPUTE_PGM_RSRC2:TGID_X_EN: 1
; COMPUTE_PGM_RSRC2:TGID_Y_EN: 0
; COMPUTE_PGM_RSRC2:TGID_Z_EN: 0
; COMPUTE_PGM_RSRC2:TIDIG_COMP_CNT: 0
	.section	.text._ZN7rocprim17ROCPRIM_400000_NS6detail17trampoline_kernelINS0_14default_configENS1_33run_length_encode_config_selectorIfjNS0_4plusIjEEEEZZNS1_33reduce_by_key_impl_wrapped_configILNS1_25lookback_scan_determinismE0ES3_S7_PKfNS0_17constant_iteratorIjlEEPfPlSF_S6_NS0_8equal_toIfEEEE10hipError_tPvRmT2_T3_mT4_T5_T6_T7_T8_P12ihipStream_tbENKUlT_T0_E_clISt17integral_constantIbLb0EESZ_EEDaSU_SV_EUlSU_E_NS1_11comp_targetILNS1_3genE4ELNS1_11target_archE910ELNS1_3gpuE8ELNS1_3repE0EEENS1_30default_config_static_selectorELNS0_4arch9wavefront6targetE0EEEvT1_,"axG",@progbits,_ZN7rocprim17ROCPRIM_400000_NS6detail17trampoline_kernelINS0_14default_configENS1_33run_length_encode_config_selectorIfjNS0_4plusIjEEEEZZNS1_33reduce_by_key_impl_wrapped_configILNS1_25lookback_scan_determinismE0ES3_S7_PKfNS0_17constant_iteratorIjlEEPfPlSF_S6_NS0_8equal_toIfEEEE10hipError_tPvRmT2_T3_mT4_T5_T6_T7_T8_P12ihipStream_tbENKUlT_T0_E_clISt17integral_constantIbLb0EESZ_EEDaSU_SV_EUlSU_E_NS1_11comp_targetILNS1_3genE4ELNS1_11target_archE910ELNS1_3gpuE8ELNS1_3repE0EEENS1_30default_config_static_selectorELNS0_4arch9wavefront6targetE0EEEvT1_,comdat
	.protected	_ZN7rocprim17ROCPRIM_400000_NS6detail17trampoline_kernelINS0_14default_configENS1_33run_length_encode_config_selectorIfjNS0_4plusIjEEEEZZNS1_33reduce_by_key_impl_wrapped_configILNS1_25lookback_scan_determinismE0ES3_S7_PKfNS0_17constant_iteratorIjlEEPfPlSF_S6_NS0_8equal_toIfEEEE10hipError_tPvRmT2_T3_mT4_T5_T6_T7_T8_P12ihipStream_tbENKUlT_T0_E_clISt17integral_constantIbLb0EESZ_EEDaSU_SV_EUlSU_E_NS1_11comp_targetILNS1_3genE4ELNS1_11target_archE910ELNS1_3gpuE8ELNS1_3repE0EEENS1_30default_config_static_selectorELNS0_4arch9wavefront6targetE0EEEvT1_ ; -- Begin function _ZN7rocprim17ROCPRIM_400000_NS6detail17trampoline_kernelINS0_14default_configENS1_33run_length_encode_config_selectorIfjNS0_4plusIjEEEEZZNS1_33reduce_by_key_impl_wrapped_configILNS1_25lookback_scan_determinismE0ES3_S7_PKfNS0_17constant_iteratorIjlEEPfPlSF_S6_NS0_8equal_toIfEEEE10hipError_tPvRmT2_T3_mT4_T5_T6_T7_T8_P12ihipStream_tbENKUlT_T0_E_clISt17integral_constantIbLb0EESZ_EEDaSU_SV_EUlSU_E_NS1_11comp_targetILNS1_3genE4ELNS1_11target_archE910ELNS1_3gpuE8ELNS1_3repE0EEENS1_30default_config_static_selectorELNS0_4arch9wavefront6targetE0EEEvT1_
	.globl	_ZN7rocprim17ROCPRIM_400000_NS6detail17trampoline_kernelINS0_14default_configENS1_33run_length_encode_config_selectorIfjNS0_4plusIjEEEEZZNS1_33reduce_by_key_impl_wrapped_configILNS1_25lookback_scan_determinismE0ES3_S7_PKfNS0_17constant_iteratorIjlEEPfPlSF_S6_NS0_8equal_toIfEEEE10hipError_tPvRmT2_T3_mT4_T5_T6_T7_T8_P12ihipStream_tbENKUlT_T0_E_clISt17integral_constantIbLb0EESZ_EEDaSU_SV_EUlSU_E_NS1_11comp_targetILNS1_3genE4ELNS1_11target_archE910ELNS1_3gpuE8ELNS1_3repE0EEENS1_30default_config_static_selectorELNS0_4arch9wavefront6targetE0EEEvT1_
	.p2align	8
	.type	_ZN7rocprim17ROCPRIM_400000_NS6detail17trampoline_kernelINS0_14default_configENS1_33run_length_encode_config_selectorIfjNS0_4plusIjEEEEZZNS1_33reduce_by_key_impl_wrapped_configILNS1_25lookback_scan_determinismE0ES3_S7_PKfNS0_17constant_iteratorIjlEEPfPlSF_S6_NS0_8equal_toIfEEEE10hipError_tPvRmT2_T3_mT4_T5_T6_T7_T8_P12ihipStream_tbENKUlT_T0_E_clISt17integral_constantIbLb0EESZ_EEDaSU_SV_EUlSU_E_NS1_11comp_targetILNS1_3genE4ELNS1_11target_archE910ELNS1_3gpuE8ELNS1_3repE0EEENS1_30default_config_static_selectorELNS0_4arch9wavefront6targetE0EEEvT1_,@function
_ZN7rocprim17ROCPRIM_400000_NS6detail17trampoline_kernelINS0_14default_configENS1_33run_length_encode_config_selectorIfjNS0_4plusIjEEEEZZNS1_33reduce_by_key_impl_wrapped_configILNS1_25lookback_scan_determinismE0ES3_S7_PKfNS0_17constant_iteratorIjlEEPfPlSF_S6_NS0_8equal_toIfEEEE10hipError_tPvRmT2_T3_mT4_T5_T6_T7_T8_P12ihipStream_tbENKUlT_T0_E_clISt17integral_constantIbLb0EESZ_EEDaSU_SV_EUlSU_E_NS1_11comp_targetILNS1_3genE4ELNS1_11target_archE910ELNS1_3gpuE8ELNS1_3repE0EEENS1_30default_config_static_selectorELNS0_4arch9wavefront6targetE0EEEvT1_: ; @_ZN7rocprim17ROCPRIM_400000_NS6detail17trampoline_kernelINS0_14default_configENS1_33run_length_encode_config_selectorIfjNS0_4plusIjEEEEZZNS1_33reduce_by_key_impl_wrapped_configILNS1_25lookback_scan_determinismE0ES3_S7_PKfNS0_17constant_iteratorIjlEEPfPlSF_S6_NS0_8equal_toIfEEEE10hipError_tPvRmT2_T3_mT4_T5_T6_T7_T8_P12ihipStream_tbENKUlT_T0_E_clISt17integral_constantIbLb0EESZ_EEDaSU_SV_EUlSU_E_NS1_11comp_targetILNS1_3genE4ELNS1_11target_archE910ELNS1_3gpuE8ELNS1_3repE0EEENS1_30default_config_static_selectorELNS0_4arch9wavefront6targetE0EEEvT1_
; %bb.0:
	.section	.rodata,"a",@progbits
	.p2align	6, 0x0
	.amdhsa_kernel _ZN7rocprim17ROCPRIM_400000_NS6detail17trampoline_kernelINS0_14default_configENS1_33run_length_encode_config_selectorIfjNS0_4plusIjEEEEZZNS1_33reduce_by_key_impl_wrapped_configILNS1_25lookback_scan_determinismE0ES3_S7_PKfNS0_17constant_iteratorIjlEEPfPlSF_S6_NS0_8equal_toIfEEEE10hipError_tPvRmT2_T3_mT4_T5_T6_T7_T8_P12ihipStream_tbENKUlT_T0_E_clISt17integral_constantIbLb0EESZ_EEDaSU_SV_EUlSU_E_NS1_11comp_targetILNS1_3genE4ELNS1_11target_archE910ELNS1_3gpuE8ELNS1_3repE0EEENS1_30default_config_static_selectorELNS0_4arch9wavefront6targetE0EEEvT1_
		.amdhsa_group_segment_fixed_size 0
		.amdhsa_private_segment_fixed_size 0
		.amdhsa_kernarg_size 128
		.amdhsa_user_sgpr_count 2
		.amdhsa_user_sgpr_dispatch_ptr 0
		.amdhsa_user_sgpr_queue_ptr 0
		.amdhsa_user_sgpr_kernarg_segment_ptr 1
		.amdhsa_user_sgpr_dispatch_id 0
		.amdhsa_user_sgpr_kernarg_preload_length 0
		.amdhsa_user_sgpr_kernarg_preload_offset 0
		.amdhsa_user_sgpr_private_segment_size 0
		.amdhsa_wavefront_size32 1
		.amdhsa_uses_dynamic_stack 0
		.amdhsa_enable_private_segment 0
		.amdhsa_system_sgpr_workgroup_id_x 1
		.amdhsa_system_sgpr_workgroup_id_y 0
		.amdhsa_system_sgpr_workgroup_id_z 0
		.amdhsa_system_sgpr_workgroup_info 0
		.amdhsa_system_vgpr_workitem_id 0
		.amdhsa_next_free_vgpr 1
		.amdhsa_next_free_sgpr 1
		.amdhsa_named_barrier_count 0
		.amdhsa_reserve_vcc 0
		.amdhsa_float_round_mode_32 0
		.amdhsa_float_round_mode_16_64 0
		.amdhsa_float_denorm_mode_32 3
		.amdhsa_float_denorm_mode_16_64 3
		.amdhsa_fp16_overflow 0
		.amdhsa_memory_ordered 1
		.amdhsa_forward_progress 1
		.amdhsa_inst_pref_size 0
		.amdhsa_round_robin_scheduling 0
		.amdhsa_exception_fp_ieee_invalid_op 0
		.amdhsa_exception_fp_denorm_src 0
		.amdhsa_exception_fp_ieee_div_zero 0
		.amdhsa_exception_fp_ieee_overflow 0
		.amdhsa_exception_fp_ieee_underflow 0
		.amdhsa_exception_fp_ieee_inexact 0
		.amdhsa_exception_int_div_zero 0
	.end_amdhsa_kernel
	.section	.text._ZN7rocprim17ROCPRIM_400000_NS6detail17trampoline_kernelINS0_14default_configENS1_33run_length_encode_config_selectorIfjNS0_4plusIjEEEEZZNS1_33reduce_by_key_impl_wrapped_configILNS1_25lookback_scan_determinismE0ES3_S7_PKfNS0_17constant_iteratorIjlEEPfPlSF_S6_NS0_8equal_toIfEEEE10hipError_tPvRmT2_T3_mT4_T5_T6_T7_T8_P12ihipStream_tbENKUlT_T0_E_clISt17integral_constantIbLb0EESZ_EEDaSU_SV_EUlSU_E_NS1_11comp_targetILNS1_3genE4ELNS1_11target_archE910ELNS1_3gpuE8ELNS1_3repE0EEENS1_30default_config_static_selectorELNS0_4arch9wavefront6targetE0EEEvT1_,"axG",@progbits,_ZN7rocprim17ROCPRIM_400000_NS6detail17trampoline_kernelINS0_14default_configENS1_33run_length_encode_config_selectorIfjNS0_4plusIjEEEEZZNS1_33reduce_by_key_impl_wrapped_configILNS1_25lookback_scan_determinismE0ES3_S7_PKfNS0_17constant_iteratorIjlEEPfPlSF_S6_NS0_8equal_toIfEEEE10hipError_tPvRmT2_T3_mT4_T5_T6_T7_T8_P12ihipStream_tbENKUlT_T0_E_clISt17integral_constantIbLb0EESZ_EEDaSU_SV_EUlSU_E_NS1_11comp_targetILNS1_3genE4ELNS1_11target_archE910ELNS1_3gpuE8ELNS1_3repE0EEENS1_30default_config_static_selectorELNS0_4arch9wavefront6targetE0EEEvT1_,comdat
.Lfunc_end375:
	.size	_ZN7rocprim17ROCPRIM_400000_NS6detail17trampoline_kernelINS0_14default_configENS1_33run_length_encode_config_selectorIfjNS0_4plusIjEEEEZZNS1_33reduce_by_key_impl_wrapped_configILNS1_25lookback_scan_determinismE0ES3_S7_PKfNS0_17constant_iteratorIjlEEPfPlSF_S6_NS0_8equal_toIfEEEE10hipError_tPvRmT2_T3_mT4_T5_T6_T7_T8_P12ihipStream_tbENKUlT_T0_E_clISt17integral_constantIbLb0EESZ_EEDaSU_SV_EUlSU_E_NS1_11comp_targetILNS1_3genE4ELNS1_11target_archE910ELNS1_3gpuE8ELNS1_3repE0EEENS1_30default_config_static_selectorELNS0_4arch9wavefront6targetE0EEEvT1_, .Lfunc_end375-_ZN7rocprim17ROCPRIM_400000_NS6detail17trampoline_kernelINS0_14default_configENS1_33run_length_encode_config_selectorIfjNS0_4plusIjEEEEZZNS1_33reduce_by_key_impl_wrapped_configILNS1_25lookback_scan_determinismE0ES3_S7_PKfNS0_17constant_iteratorIjlEEPfPlSF_S6_NS0_8equal_toIfEEEE10hipError_tPvRmT2_T3_mT4_T5_T6_T7_T8_P12ihipStream_tbENKUlT_T0_E_clISt17integral_constantIbLb0EESZ_EEDaSU_SV_EUlSU_E_NS1_11comp_targetILNS1_3genE4ELNS1_11target_archE910ELNS1_3gpuE8ELNS1_3repE0EEENS1_30default_config_static_selectorELNS0_4arch9wavefront6targetE0EEEvT1_
                                        ; -- End function
	.set _ZN7rocprim17ROCPRIM_400000_NS6detail17trampoline_kernelINS0_14default_configENS1_33run_length_encode_config_selectorIfjNS0_4plusIjEEEEZZNS1_33reduce_by_key_impl_wrapped_configILNS1_25lookback_scan_determinismE0ES3_S7_PKfNS0_17constant_iteratorIjlEEPfPlSF_S6_NS0_8equal_toIfEEEE10hipError_tPvRmT2_T3_mT4_T5_T6_T7_T8_P12ihipStream_tbENKUlT_T0_E_clISt17integral_constantIbLb0EESZ_EEDaSU_SV_EUlSU_E_NS1_11comp_targetILNS1_3genE4ELNS1_11target_archE910ELNS1_3gpuE8ELNS1_3repE0EEENS1_30default_config_static_selectorELNS0_4arch9wavefront6targetE0EEEvT1_.num_vgpr, 0
	.set _ZN7rocprim17ROCPRIM_400000_NS6detail17trampoline_kernelINS0_14default_configENS1_33run_length_encode_config_selectorIfjNS0_4plusIjEEEEZZNS1_33reduce_by_key_impl_wrapped_configILNS1_25lookback_scan_determinismE0ES3_S7_PKfNS0_17constant_iteratorIjlEEPfPlSF_S6_NS0_8equal_toIfEEEE10hipError_tPvRmT2_T3_mT4_T5_T6_T7_T8_P12ihipStream_tbENKUlT_T0_E_clISt17integral_constantIbLb0EESZ_EEDaSU_SV_EUlSU_E_NS1_11comp_targetILNS1_3genE4ELNS1_11target_archE910ELNS1_3gpuE8ELNS1_3repE0EEENS1_30default_config_static_selectorELNS0_4arch9wavefront6targetE0EEEvT1_.num_agpr, 0
	.set _ZN7rocprim17ROCPRIM_400000_NS6detail17trampoline_kernelINS0_14default_configENS1_33run_length_encode_config_selectorIfjNS0_4plusIjEEEEZZNS1_33reduce_by_key_impl_wrapped_configILNS1_25lookback_scan_determinismE0ES3_S7_PKfNS0_17constant_iteratorIjlEEPfPlSF_S6_NS0_8equal_toIfEEEE10hipError_tPvRmT2_T3_mT4_T5_T6_T7_T8_P12ihipStream_tbENKUlT_T0_E_clISt17integral_constantIbLb0EESZ_EEDaSU_SV_EUlSU_E_NS1_11comp_targetILNS1_3genE4ELNS1_11target_archE910ELNS1_3gpuE8ELNS1_3repE0EEENS1_30default_config_static_selectorELNS0_4arch9wavefront6targetE0EEEvT1_.numbered_sgpr, 0
	.set _ZN7rocprim17ROCPRIM_400000_NS6detail17trampoline_kernelINS0_14default_configENS1_33run_length_encode_config_selectorIfjNS0_4plusIjEEEEZZNS1_33reduce_by_key_impl_wrapped_configILNS1_25lookback_scan_determinismE0ES3_S7_PKfNS0_17constant_iteratorIjlEEPfPlSF_S6_NS0_8equal_toIfEEEE10hipError_tPvRmT2_T3_mT4_T5_T6_T7_T8_P12ihipStream_tbENKUlT_T0_E_clISt17integral_constantIbLb0EESZ_EEDaSU_SV_EUlSU_E_NS1_11comp_targetILNS1_3genE4ELNS1_11target_archE910ELNS1_3gpuE8ELNS1_3repE0EEENS1_30default_config_static_selectorELNS0_4arch9wavefront6targetE0EEEvT1_.num_named_barrier, 0
	.set _ZN7rocprim17ROCPRIM_400000_NS6detail17trampoline_kernelINS0_14default_configENS1_33run_length_encode_config_selectorIfjNS0_4plusIjEEEEZZNS1_33reduce_by_key_impl_wrapped_configILNS1_25lookback_scan_determinismE0ES3_S7_PKfNS0_17constant_iteratorIjlEEPfPlSF_S6_NS0_8equal_toIfEEEE10hipError_tPvRmT2_T3_mT4_T5_T6_T7_T8_P12ihipStream_tbENKUlT_T0_E_clISt17integral_constantIbLb0EESZ_EEDaSU_SV_EUlSU_E_NS1_11comp_targetILNS1_3genE4ELNS1_11target_archE910ELNS1_3gpuE8ELNS1_3repE0EEENS1_30default_config_static_selectorELNS0_4arch9wavefront6targetE0EEEvT1_.private_seg_size, 0
	.set _ZN7rocprim17ROCPRIM_400000_NS6detail17trampoline_kernelINS0_14default_configENS1_33run_length_encode_config_selectorIfjNS0_4plusIjEEEEZZNS1_33reduce_by_key_impl_wrapped_configILNS1_25lookback_scan_determinismE0ES3_S7_PKfNS0_17constant_iteratorIjlEEPfPlSF_S6_NS0_8equal_toIfEEEE10hipError_tPvRmT2_T3_mT4_T5_T6_T7_T8_P12ihipStream_tbENKUlT_T0_E_clISt17integral_constantIbLb0EESZ_EEDaSU_SV_EUlSU_E_NS1_11comp_targetILNS1_3genE4ELNS1_11target_archE910ELNS1_3gpuE8ELNS1_3repE0EEENS1_30default_config_static_selectorELNS0_4arch9wavefront6targetE0EEEvT1_.uses_vcc, 0
	.set _ZN7rocprim17ROCPRIM_400000_NS6detail17trampoline_kernelINS0_14default_configENS1_33run_length_encode_config_selectorIfjNS0_4plusIjEEEEZZNS1_33reduce_by_key_impl_wrapped_configILNS1_25lookback_scan_determinismE0ES3_S7_PKfNS0_17constant_iteratorIjlEEPfPlSF_S6_NS0_8equal_toIfEEEE10hipError_tPvRmT2_T3_mT4_T5_T6_T7_T8_P12ihipStream_tbENKUlT_T0_E_clISt17integral_constantIbLb0EESZ_EEDaSU_SV_EUlSU_E_NS1_11comp_targetILNS1_3genE4ELNS1_11target_archE910ELNS1_3gpuE8ELNS1_3repE0EEENS1_30default_config_static_selectorELNS0_4arch9wavefront6targetE0EEEvT1_.uses_flat_scratch, 0
	.set _ZN7rocprim17ROCPRIM_400000_NS6detail17trampoline_kernelINS0_14default_configENS1_33run_length_encode_config_selectorIfjNS0_4plusIjEEEEZZNS1_33reduce_by_key_impl_wrapped_configILNS1_25lookback_scan_determinismE0ES3_S7_PKfNS0_17constant_iteratorIjlEEPfPlSF_S6_NS0_8equal_toIfEEEE10hipError_tPvRmT2_T3_mT4_T5_T6_T7_T8_P12ihipStream_tbENKUlT_T0_E_clISt17integral_constantIbLb0EESZ_EEDaSU_SV_EUlSU_E_NS1_11comp_targetILNS1_3genE4ELNS1_11target_archE910ELNS1_3gpuE8ELNS1_3repE0EEENS1_30default_config_static_selectorELNS0_4arch9wavefront6targetE0EEEvT1_.has_dyn_sized_stack, 0
	.set _ZN7rocprim17ROCPRIM_400000_NS6detail17trampoline_kernelINS0_14default_configENS1_33run_length_encode_config_selectorIfjNS0_4plusIjEEEEZZNS1_33reduce_by_key_impl_wrapped_configILNS1_25lookback_scan_determinismE0ES3_S7_PKfNS0_17constant_iteratorIjlEEPfPlSF_S6_NS0_8equal_toIfEEEE10hipError_tPvRmT2_T3_mT4_T5_T6_T7_T8_P12ihipStream_tbENKUlT_T0_E_clISt17integral_constantIbLb0EESZ_EEDaSU_SV_EUlSU_E_NS1_11comp_targetILNS1_3genE4ELNS1_11target_archE910ELNS1_3gpuE8ELNS1_3repE0EEENS1_30default_config_static_selectorELNS0_4arch9wavefront6targetE0EEEvT1_.has_recursion, 0
	.set _ZN7rocprim17ROCPRIM_400000_NS6detail17trampoline_kernelINS0_14default_configENS1_33run_length_encode_config_selectorIfjNS0_4plusIjEEEEZZNS1_33reduce_by_key_impl_wrapped_configILNS1_25lookback_scan_determinismE0ES3_S7_PKfNS0_17constant_iteratorIjlEEPfPlSF_S6_NS0_8equal_toIfEEEE10hipError_tPvRmT2_T3_mT4_T5_T6_T7_T8_P12ihipStream_tbENKUlT_T0_E_clISt17integral_constantIbLb0EESZ_EEDaSU_SV_EUlSU_E_NS1_11comp_targetILNS1_3genE4ELNS1_11target_archE910ELNS1_3gpuE8ELNS1_3repE0EEENS1_30default_config_static_selectorELNS0_4arch9wavefront6targetE0EEEvT1_.has_indirect_call, 0
	.section	.AMDGPU.csdata,"",@progbits
; Kernel info:
; codeLenInByte = 0
; TotalNumSgprs: 0
; NumVgprs: 0
; ScratchSize: 0
; MemoryBound: 0
; FloatMode: 240
; IeeeMode: 1
; LDSByteSize: 0 bytes/workgroup (compile time only)
; SGPRBlocks: 0
; VGPRBlocks: 0
; NumSGPRsForWavesPerEU: 1
; NumVGPRsForWavesPerEU: 1
; NamedBarCnt: 0
; Occupancy: 16
; WaveLimiterHint : 0
; COMPUTE_PGM_RSRC2:SCRATCH_EN: 0
; COMPUTE_PGM_RSRC2:USER_SGPR: 2
; COMPUTE_PGM_RSRC2:TRAP_HANDLER: 0
; COMPUTE_PGM_RSRC2:TGID_X_EN: 1
; COMPUTE_PGM_RSRC2:TGID_Y_EN: 0
; COMPUTE_PGM_RSRC2:TGID_Z_EN: 0
; COMPUTE_PGM_RSRC2:TIDIG_COMP_CNT: 0
	.section	.text._ZN7rocprim17ROCPRIM_400000_NS6detail17trampoline_kernelINS0_14default_configENS1_33run_length_encode_config_selectorIfjNS0_4plusIjEEEEZZNS1_33reduce_by_key_impl_wrapped_configILNS1_25lookback_scan_determinismE0ES3_S7_PKfNS0_17constant_iteratorIjlEEPfPlSF_S6_NS0_8equal_toIfEEEE10hipError_tPvRmT2_T3_mT4_T5_T6_T7_T8_P12ihipStream_tbENKUlT_T0_E_clISt17integral_constantIbLb0EESZ_EEDaSU_SV_EUlSU_E_NS1_11comp_targetILNS1_3genE3ELNS1_11target_archE908ELNS1_3gpuE7ELNS1_3repE0EEENS1_30default_config_static_selectorELNS0_4arch9wavefront6targetE0EEEvT1_,"axG",@progbits,_ZN7rocprim17ROCPRIM_400000_NS6detail17trampoline_kernelINS0_14default_configENS1_33run_length_encode_config_selectorIfjNS0_4plusIjEEEEZZNS1_33reduce_by_key_impl_wrapped_configILNS1_25lookback_scan_determinismE0ES3_S7_PKfNS0_17constant_iteratorIjlEEPfPlSF_S6_NS0_8equal_toIfEEEE10hipError_tPvRmT2_T3_mT4_T5_T6_T7_T8_P12ihipStream_tbENKUlT_T0_E_clISt17integral_constantIbLb0EESZ_EEDaSU_SV_EUlSU_E_NS1_11comp_targetILNS1_3genE3ELNS1_11target_archE908ELNS1_3gpuE7ELNS1_3repE0EEENS1_30default_config_static_selectorELNS0_4arch9wavefront6targetE0EEEvT1_,comdat
	.protected	_ZN7rocprim17ROCPRIM_400000_NS6detail17trampoline_kernelINS0_14default_configENS1_33run_length_encode_config_selectorIfjNS0_4plusIjEEEEZZNS1_33reduce_by_key_impl_wrapped_configILNS1_25lookback_scan_determinismE0ES3_S7_PKfNS0_17constant_iteratorIjlEEPfPlSF_S6_NS0_8equal_toIfEEEE10hipError_tPvRmT2_T3_mT4_T5_T6_T7_T8_P12ihipStream_tbENKUlT_T0_E_clISt17integral_constantIbLb0EESZ_EEDaSU_SV_EUlSU_E_NS1_11comp_targetILNS1_3genE3ELNS1_11target_archE908ELNS1_3gpuE7ELNS1_3repE0EEENS1_30default_config_static_selectorELNS0_4arch9wavefront6targetE0EEEvT1_ ; -- Begin function _ZN7rocprim17ROCPRIM_400000_NS6detail17trampoline_kernelINS0_14default_configENS1_33run_length_encode_config_selectorIfjNS0_4plusIjEEEEZZNS1_33reduce_by_key_impl_wrapped_configILNS1_25lookback_scan_determinismE0ES3_S7_PKfNS0_17constant_iteratorIjlEEPfPlSF_S6_NS0_8equal_toIfEEEE10hipError_tPvRmT2_T3_mT4_T5_T6_T7_T8_P12ihipStream_tbENKUlT_T0_E_clISt17integral_constantIbLb0EESZ_EEDaSU_SV_EUlSU_E_NS1_11comp_targetILNS1_3genE3ELNS1_11target_archE908ELNS1_3gpuE7ELNS1_3repE0EEENS1_30default_config_static_selectorELNS0_4arch9wavefront6targetE0EEEvT1_
	.globl	_ZN7rocprim17ROCPRIM_400000_NS6detail17trampoline_kernelINS0_14default_configENS1_33run_length_encode_config_selectorIfjNS0_4plusIjEEEEZZNS1_33reduce_by_key_impl_wrapped_configILNS1_25lookback_scan_determinismE0ES3_S7_PKfNS0_17constant_iteratorIjlEEPfPlSF_S6_NS0_8equal_toIfEEEE10hipError_tPvRmT2_T3_mT4_T5_T6_T7_T8_P12ihipStream_tbENKUlT_T0_E_clISt17integral_constantIbLb0EESZ_EEDaSU_SV_EUlSU_E_NS1_11comp_targetILNS1_3genE3ELNS1_11target_archE908ELNS1_3gpuE7ELNS1_3repE0EEENS1_30default_config_static_selectorELNS0_4arch9wavefront6targetE0EEEvT1_
	.p2align	8
	.type	_ZN7rocprim17ROCPRIM_400000_NS6detail17trampoline_kernelINS0_14default_configENS1_33run_length_encode_config_selectorIfjNS0_4plusIjEEEEZZNS1_33reduce_by_key_impl_wrapped_configILNS1_25lookback_scan_determinismE0ES3_S7_PKfNS0_17constant_iteratorIjlEEPfPlSF_S6_NS0_8equal_toIfEEEE10hipError_tPvRmT2_T3_mT4_T5_T6_T7_T8_P12ihipStream_tbENKUlT_T0_E_clISt17integral_constantIbLb0EESZ_EEDaSU_SV_EUlSU_E_NS1_11comp_targetILNS1_3genE3ELNS1_11target_archE908ELNS1_3gpuE7ELNS1_3repE0EEENS1_30default_config_static_selectorELNS0_4arch9wavefront6targetE0EEEvT1_,@function
_ZN7rocprim17ROCPRIM_400000_NS6detail17trampoline_kernelINS0_14default_configENS1_33run_length_encode_config_selectorIfjNS0_4plusIjEEEEZZNS1_33reduce_by_key_impl_wrapped_configILNS1_25lookback_scan_determinismE0ES3_S7_PKfNS0_17constant_iteratorIjlEEPfPlSF_S6_NS0_8equal_toIfEEEE10hipError_tPvRmT2_T3_mT4_T5_T6_T7_T8_P12ihipStream_tbENKUlT_T0_E_clISt17integral_constantIbLb0EESZ_EEDaSU_SV_EUlSU_E_NS1_11comp_targetILNS1_3genE3ELNS1_11target_archE908ELNS1_3gpuE7ELNS1_3repE0EEENS1_30default_config_static_selectorELNS0_4arch9wavefront6targetE0EEEvT1_: ; @_ZN7rocprim17ROCPRIM_400000_NS6detail17trampoline_kernelINS0_14default_configENS1_33run_length_encode_config_selectorIfjNS0_4plusIjEEEEZZNS1_33reduce_by_key_impl_wrapped_configILNS1_25lookback_scan_determinismE0ES3_S7_PKfNS0_17constant_iteratorIjlEEPfPlSF_S6_NS0_8equal_toIfEEEE10hipError_tPvRmT2_T3_mT4_T5_T6_T7_T8_P12ihipStream_tbENKUlT_T0_E_clISt17integral_constantIbLb0EESZ_EEDaSU_SV_EUlSU_E_NS1_11comp_targetILNS1_3genE3ELNS1_11target_archE908ELNS1_3gpuE7ELNS1_3repE0EEENS1_30default_config_static_selectorELNS0_4arch9wavefront6targetE0EEEvT1_
; %bb.0:
	.section	.rodata,"a",@progbits
	.p2align	6, 0x0
	.amdhsa_kernel _ZN7rocprim17ROCPRIM_400000_NS6detail17trampoline_kernelINS0_14default_configENS1_33run_length_encode_config_selectorIfjNS0_4plusIjEEEEZZNS1_33reduce_by_key_impl_wrapped_configILNS1_25lookback_scan_determinismE0ES3_S7_PKfNS0_17constant_iteratorIjlEEPfPlSF_S6_NS0_8equal_toIfEEEE10hipError_tPvRmT2_T3_mT4_T5_T6_T7_T8_P12ihipStream_tbENKUlT_T0_E_clISt17integral_constantIbLb0EESZ_EEDaSU_SV_EUlSU_E_NS1_11comp_targetILNS1_3genE3ELNS1_11target_archE908ELNS1_3gpuE7ELNS1_3repE0EEENS1_30default_config_static_selectorELNS0_4arch9wavefront6targetE0EEEvT1_
		.amdhsa_group_segment_fixed_size 0
		.amdhsa_private_segment_fixed_size 0
		.amdhsa_kernarg_size 128
		.amdhsa_user_sgpr_count 2
		.amdhsa_user_sgpr_dispatch_ptr 0
		.amdhsa_user_sgpr_queue_ptr 0
		.amdhsa_user_sgpr_kernarg_segment_ptr 1
		.amdhsa_user_sgpr_dispatch_id 0
		.amdhsa_user_sgpr_kernarg_preload_length 0
		.amdhsa_user_sgpr_kernarg_preload_offset 0
		.amdhsa_user_sgpr_private_segment_size 0
		.amdhsa_wavefront_size32 1
		.amdhsa_uses_dynamic_stack 0
		.amdhsa_enable_private_segment 0
		.amdhsa_system_sgpr_workgroup_id_x 1
		.amdhsa_system_sgpr_workgroup_id_y 0
		.amdhsa_system_sgpr_workgroup_id_z 0
		.amdhsa_system_sgpr_workgroup_info 0
		.amdhsa_system_vgpr_workitem_id 0
		.amdhsa_next_free_vgpr 1
		.amdhsa_next_free_sgpr 1
		.amdhsa_named_barrier_count 0
		.amdhsa_reserve_vcc 0
		.amdhsa_float_round_mode_32 0
		.amdhsa_float_round_mode_16_64 0
		.amdhsa_float_denorm_mode_32 3
		.amdhsa_float_denorm_mode_16_64 3
		.amdhsa_fp16_overflow 0
		.amdhsa_memory_ordered 1
		.amdhsa_forward_progress 1
		.amdhsa_inst_pref_size 0
		.amdhsa_round_robin_scheduling 0
		.amdhsa_exception_fp_ieee_invalid_op 0
		.amdhsa_exception_fp_denorm_src 0
		.amdhsa_exception_fp_ieee_div_zero 0
		.amdhsa_exception_fp_ieee_overflow 0
		.amdhsa_exception_fp_ieee_underflow 0
		.amdhsa_exception_fp_ieee_inexact 0
		.amdhsa_exception_int_div_zero 0
	.end_amdhsa_kernel
	.section	.text._ZN7rocprim17ROCPRIM_400000_NS6detail17trampoline_kernelINS0_14default_configENS1_33run_length_encode_config_selectorIfjNS0_4plusIjEEEEZZNS1_33reduce_by_key_impl_wrapped_configILNS1_25lookback_scan_determinismE0ES3_S7_PKfNS0_17constant_iteratorIjlEEPfPlSF_S6_NS0_8equal_toIfEEEE10hipError_tPvRmT2_T3_mT4_T5_T6_T7_T8_P12ihipStream_tbENKUlT_T0_E_clISt17integral_constantIbLb0EESZ_EEDaSU_SV_EUlSU_E_NS1_11comp_targetILNS1_3genE3ELNS1_11target_archE908ELNS1_3gpuE7ELNS1_3repE0EEENS1_30default_config_static_selectorELNS0_4arch9wavefront6targetE0EEEvT1_,"axG",@progbits,_ZN7rocprim17ROCPRIM_400000_NS6detail17trampoline_kernelINS0_14default_configENS1_33run_length_encode_config_selectorIfjNS0_4plusIjEEEEZZNS1_33reduce_by_key_impl_wrapped_configILNS1_25lookback_scan_determinismE0ES3_S7_PKfNS0_17constant_iteratorIjlEEPfPlSF_S6_NS0_8equal_toIfEEEE10hipError_tPvRmT2_T3_mT4_T5_T6_T7_T8_P12ihipStream_tbENKUlT_T0_E_clISt17integral_constantIbLb0EESZ_EEDaSU_SV_EUlSU_E_NS1_11comp_targetILNS1_3genE3ELNS1_11target_archE908ELNS1_3gpuE7ELNS1_3repE0EEENS1_30default_config_static_selectorELNS0_4arch9wavefront6targetE0EEEvT1_,comdat
.Lfunc_end376:
	.size	_ZN7rocprim17ROCPRIM_400000_NS6detail17trampoline_kernelINS0_14default_configENS1_33run_length_encode_config_selectorIfjNS0_4plusIjEEEEZZNS1_33reduce_by_key_impl_wrapped_configILNS1_25lookback_scan_determinismE0ES3_S7_PKfNS0_17constant_iteratorIjlEEPfPlSF_S6_NS0_8equal_toIfEEEE10hipError_tPvRmT2_T3_mT4_T5_T6_T7_T8_P12ihipStream_tbENKUlT_T0_E_clISt17integral_constantIbLb0EESZ_EEDaSU_SV_EUlSU_E_NS1_11comp_targetILNS1_3genE3ELNS1_11target_archE908ELNS1_3gpuE7ELNS1_3repE0EEENS1_30default_config_static_selectorELNS0_4arch9wavefront6targetE0EEEvT1_, .Lfunc_end376-_ZN7rocprim17ROCPRIM_400000_NS6detail17trampoline_kernelINS0_14default_configENS1_33run_length_encode_config_selectorIfjNS0_4plusIjEEEEZZNS1_33reduce_by_key_impl_wrapped_configILNS1_25lookback_scan_determinismE0ES3_S7_PKfNS0_17constant_iteratorIjlEEPfPlSF_S6_NS0_8equal_toIfEEEE10hipError_tPvRmT2_T3_mT4_T5_T6_T7_T8_P12ihipStream_tbENKUlT_T0_E_clISt17integral_constantIbLb0EESZ_EEDaSU_SV_EUlSU_E_NS1_11comp_targetILNS1_3genE3ELNS1_11target_archE908ELNS1_3gpuE7ELNS1_3repE0EEENS1_30default_config_static_selectorELNS0_4arch9wavefront6targetE0EEEvT1_
                                        ; -- End function
	.set _ZN7rocprim17ROCPRIM_400000_NS6detail17trampoline_kernelINS0_14default_configENS1_33run_length_encode_config_selectorIfjNS0_4plusIjEEEEZZNS1_33reduce_by_key_impl_wrapped_configILNS1_25lookback_scan_determinismE0ES3_S7_PKfNS0_17constant_iteratorIjlEEPfPlSF_S6_NS0_8equal_toIfEEEE10hipError_tPvRmT2_T3_mT4_T5_T6_T7_T8_P12ihipStream_tbENKUlT_T0_E_clISt17integral_constantIbLb0EESZ_EEDaSU_SV_EUlSU_E_NS1_11comp_targetILNS1_3genE3ELNS1_11target_archE908ELNS1_3gpuE7ELNS1_3repE0EEENS1_30default_config_static_selectorELNS0_4arch9wavefront6targetE0EEEvT1_.num_vgpr, 0
	.set _ZN7rocprim17ROCPRIM_400000_NS6detail17trampoline_kernelINS0_14default_configENS1_33run_length_encode_config_selectorIfjNS0_4plusIjEEEEZZNS1_33reduce_by_key_impl_wrapped_configILNS1_25lookback_scan_determinismE0ES3_S7_PKfNS0_17constant_iteratorIjlEEPfPlSF_S6_NS0_8equal_toIfEEEE10hipError_tPvRmT2_T3_mT4_T5_T6_T7_T8_P12ihipStream_tbENKUlT_T0_E_clISt17integral_constantIbLb0EESZ_EEDaSU_SV_EUlSU_E_NS1_11comp_targetILNS1_3genE3ELNS1_11target_archE908ELNS1_3gpuE7ELNS1_3repE0EEENS1_30default_config_static_selectorELNS0_4arch9wavefront6targetE0EEEvT1_.num_agpr, 0
	.set _ZN7rocprim17ROCPRIM_400000_NS6detail17trampoline_kernelINS0_14default_configENS1_33run_length_encode_config_selectorIfjNS0_4plusIjEEEEZZNS1_33reduce_by_key_impl_wrapped_configILNS1_25lookback_scan_determinismE0ES3_S7_PKfNS0_17constant_iteratorIjlEEPfPlSF_S6_NS0_8equal_toIfEEEE10hipError_tPvRmT2_T3_mT4_T5_T6_T7_T8_P12ihipStream_tbENKUlT_T0_E_clISt17integral_constantIbLb0EESZ_EEDaSU_SV_EUlSU_E_NS1_11comp_targetILNS1_3genE3ELNS1_11target_archE908ELNS1_3gpuE7ELNS1_3repE0EEENS1_30default_config_static_selectorELNS0_4arch9wavefront6targetE0EEEvT1_.numbered_sgpr, 0
	.set _ZN7rocprim17ROCPRIM_400000_NS6detail17trampoline_kernelINS0_14default_configENS1_33run_length_encode_config_selectorIfjNS0_4plusIjEEEEZZNS1_33reduce_by_key_impl_wrapped_configILNS1_25lookback_scan_determinismE0ES3_S7_PKfNS0_17constant_iteratorIjlEEPfPlSF_S6_NS0_8equal_toIfEEEE10hipError_tPvRmT2_T3_mT4_T5_T6_T7_T8_P12ihipStream_tbENKUlT_T0_E_clISt17integral_constantIbLb0EESZ_EEDaSU_SV_EUlSU_E_NS1_11comp_targetILNS1_3genE3ELNS1_11target_archE908ELNS1_3gpuE7ELNS1_3repE0EEENS1_30default_config_static_selectorELNS0_4arch9wavefront6targetE0EEEvT1_.num_named_barrier, 0
	.set _ZN7rocprim17ROCPRIM_400000_NS6detail17trampoline_kernelINS0_14default_configENS1_33run_length_encode_config_selectorIfjNS0_4plusIjEEEEZZNS1_33reduce_by_key_impl_wrapped_configILNS1_25lookback_scan_determinismE0ES3_S7_PKfNS0_17constant_iteratorIjlEEPfPlSF_S6_NS0_8equal_toIfEEEE10hipError_tPvRmT2_T3_mT4_T5_T6_T7_T8_P12ihipStream_tbENKUlT_T0_E_clISt17integral_constantIbLb0EESZ_EEDaSU_SV_EUlSU_E_NS1_11comp_targetILNS1_3genE3ELNS1_11target_archE908ELNS1_3gpuE7ELNS1_3repE0EEENS1_30default_config_static_selectorELNS0_4arch9wavefront6targetE0EEEvT1_.private_seg_size, 0
	.set _ZN7rocprim17ROCPRIM_400000_NS6detail17trampoline_kernelINS0_14default_configENS1_33run_length_encode_config_selectorIfjNS0_4plusIjEEEEZZNS1_33reduce_by_key_impl_wrapped_configILNS1_25lookback_scan_determinismE0ES3_S7_PKfNS0_17constant_iteratorIjlEEPfPlSF_S6_NS0_8equal_toIfEEEE10hipError_tPvRmT2_T3_mT4_T5_T6_T7_T8_P12ihipStream_tbENKUlT_T0_E_clISt17integral_constantIbLb0EESZ_EEDaSU_SV_EUlSU_E_NS1_11comp_targetILNS1_3genE3ELNS1_11target_archE908ELNS1_3gpuE7ELNS1_3repE0EEENS1_30default_config_static_selectorELNS0_4arch9wavefront6targetE0EEEvT1_.uses_vcc, 0
	.set _ZN7rocprim17ROCPRIM_400000_NS6detail17trampoline_kernelINS0_14default_configENS1_33run_length_encode_config_selectorIfjNS0_4plusIjEEEEZZNS1_33reduce_by_key_impl_wrapped_configILNS1_25lookback_scan_determinismE0ES3_S7_PKfNS0_17constant_iteratorIjlEEPfPlSF_S6_NS0_8equal_toIfEEEE10hipError_tPvRmT2_T3_mT4_T5_T6_T7_T8_P12ihipStream_tbENKUlT_T0_E_clISt17integral_constantIbLb0EESZ_EEDaSU_SV_EUlSU_E_NS1_11comp_targetILNS1_3genE3ELNS1_11target_archE908ELNS1_3gpuE7ELNS1_3repE0EEENS1_30default_config_static_selectorELNS0_4arch9wavefront6targetE0EEEvT1_.uses_flat_scratch, 0
	.set _ZN7rocprim17ROCPRIM_400000_NS6detail17trampoline_kernelINS0_14default_configENS1_33run_length_encode_config_selectorIfjNS0_4plusIjEEEEZZNS1_33reduce_by_key_impl_wrapped_configILNS1_25lookback_scan_determinismE0ES3_S7_PKfNS0_17constant_iteratorIjlEEPfPlSF_S6_NS0_8equal_toIfEEEE10hipError_tPvRmT2_T3_mT4_T5_T6_T7_T8_P12ihipStream_tbENKUlT_T0_E_clISt17integral_constantIbLb0EESZ_EEDaSU_SV_EUlSU_E_NS1_11comp_targetILNS1_3genE3ELNS1_11target_archE908ELNS1_3gpuE7ELNS1_3repE0EEENS1_30default_config_static_selectorELNS0_4arch9wavefront6targetE0EEEvT1_.has_dyn_sized_stack, 0
	.set _ZN7rocprim17ROCPRIM_400000_NS6detail17trampoline_kernelINS0_14default_configENS1_33run_length_encode_config_selectorIfjNS0_4plusIjEEEEZZNS1_33reduce_by_key_impl_wrapped_configILNS1_25lookback_scan_determinismE0ES3_S7_PKfNS0_17constant_iteratorIjlEEPfPlSF_S6_NS0_8equal_toIfEEEE10hipError_tPvRmT2_T3_mT4_T5_T6_T7_T8_P12ihipStream_tbENKUlT_T0_E_clISt17integral_constantIbLb0EESZ_EEDaSU_SV_EUlSU_E_NS1_11comp_targetILNS1_3genE3ELNS1_11target_archE908ELNS1_3gpuE7ELNS1_3repE0EEENS1_30default_config_static_selectorELNS0_4arch9wavefront6targetE0EEEvT1_.has_recursion, 0
	.set _ZN7rocprim17ROCPRIM_400000_NS6detail17trampoline_kernelINS0_14default_configENS1_33run_length_encode_config_selectorIfjNS0_4plusIjEEEEZZNS1_33reduce_by_key_impl_wrapped_configILNS1_25lookback_scan_determinismE0ES3_S7_PKfNS0_17constant_iteratorIjlEEPfPlSF_S6_NS0_8equal_toIfEEEE10hipError_tPvRmT2_T3_mT4_T5_T6_T7_T8_P12ihipStream_tbENKUlT_T0_E_clISt17integral_constantIbLb0EESZ_EEDaSU_SV_EUlSU_E_NS1_11comp_targetILNS1_3genE3ELNS1_11target_archE908ELNS1_3gpuE7ELNS1_3repE0EEENS1_30default_config_static_selectorELNS0_4arch9wavefront6targetE0EEEvT1_.has_indirect_call, 0
	.section	.AMDGPU.csdata,"",@progbits
; Kernel info:
; codeLenInByte = 0
; TotalNumSgprs: 0
; NumVgprs: 0
; ScratchSize: 0
; MemoryBound: 0
; FloatMode: 240
; IeeeMode: 1
; LDSByteSize: 0 bytes/workgroup (compile time only)
; SGPRBlocks: 0
; VGPRBlocks: 0
; NumSGPRsForWavesPerEU: 1
; NumVGPRsForWavesPerEU: 1
; NamedBarCnt: 0
; Occupancy: 16
; WaveLimiterHint : 0
; COMPUTE_PGM_RSRC2:SCRATCH_EN: 0
; COMPUTE_PGM_RSRC2:USER_SGPR: 2
; COMPUTE_PGM_RSRC2:TRAP_HANDLER: 0
; COMPUTE_PGM_RSRC2:TGID_X_EN: 1
; COMPUTE_PGM_RSRC2:TGID_Y_EN: 0
; COMPUTE_PGM_RSRC2:TGID_Z_EN: 0
; COMPUTE_PGM_RSRC2:TIDIG_COMP_CNT: 0
	.section	.text._ZN7rocprim17ROCPRIM_400000_NS6detail17trampoline_kernelINS0_14default_configENS1_33run_length_encode_config_selectorIfjNS0_4plusIjEEEEZZNS1_33reduce_by_key_impl_wrapped_configILNS1_25lookback_scan_determinismE0ES3_S7_PKfNS0_17constant_iteratorIjlEEPfPlSF_S6_NS0_8equal_toIfEEEE10hipError_tPvRmT2_T3_mT4_T5_T6_T7_T8_P12ihipStream_tbENKUlT_T0_E_clISt17integral_constantIbLb0EESZ_EEDaSU_SV_EUlSU_E_NS1_11comp_targetILNS1_3genE2ELNS1_11target_archE906ELNS1_3gpuE6ELNS1_3repE0EEENS1_30default_config_static_selectorELNS0_4arch9wavefront6targetE0EEEvT1_,"axG",@progbits,_ZN7rocprim17ROCPRIM_400000_NS6detail17trampoline_kernelINS0_14default_configENS1_33run_length_encode_config_selectorIfjNS0_4plusIjEEEEZZNS1_33reduce_by_key_impl_wrapped_configILNS1_25lookback_scan_determinismE0ES3_S7_PKfNS0_17constant_iteratorIjlEEPfPlSF_S6_NS0_8equal_toIfEEEE10hipError_tPvRmT2_T3_mT4_T5_T6_T7_T8_P12ihipStream_tbENKUlT_T0_E_clISt17integral_constantIbLb0EESZ_EEDaSU_SV_EUlSU_E_NS1_11comp_targetILNS1_3genE2ELNS1_11target_archE906ELNS1_3gpuE6ELNS1_3repE0EEENS1_30default_config_static_selectorELNS0_4arch9wavefront6targetE0EEEvT1_,comdat
	.protected	_ZN7rocprim17ROCPRIM_400000_NS6detail17trampoline_kernelINS0_14default_configENS1_33run_length_encode_config_selectorIfjNS0_4plusIjEEEEZZNS1_33reduce_by_key_impl_wrapped_configILNS1_25lookback_scan_determinismE0ES3_S7_PKfNS0_17constant_iteratorIjlEEPfPlSF_S6_NS0_8equal_toIfEEEE10hipError_tPvRmT2_T3_mT4_T5_T6_T7_T8_P12ihipStream_tbENKUlT_T0_E_clISt17integral_constantIbLb0EESZ_EEDaSU_SV_EUlSU_E_NS1_11comp_targetILNS1_3genE2ELNS1_11target_archE906ELNS1_3gpuE6ELNS1_3repE0EEENS1_30default_config_static_selectorELNS0_4arch9wavefront6targetE0EEEvT1_ ; -- Begin function _ZN7rocprim17ROCPRIM_400000_NS6detail17trampoline_kernelINS0_14default_configENS1_33run_length_encode_config_selectorIfjNS0_4plusIjEEEEZZNS1_33reduce_by_key_impl_wrapped_configILNS1_25lookback_scan_determinismE0ES3_S7_PKfNS0_17constant_iteratorIjlEEPfPlSF_S6_NS0_8equal_toIfEEEE10hipError_tPvRmT2_T3_mT4_T5_T6_T7_T8_P12ihipStream_tbENKUlT_T0_E_clISt17integral_constantIbLb0EESZ_EEDaSU_SV_EUlSU_E_NS1_11comp_targetILNS1_3genE2ELNS1_11target_archE906ELNS1_3gpuE6ELNS1_3repE0EEENS1_30default_config_static_selectorELNS0_4arch9wavefront6targetE0EEEvT1_
	.globl	_ZN7rocprim17ROCPRIM_400000_NS6detail17trampoline_kernelINS0_14default_configENS1_33run_length_encode_config_selectorIfjNS0_4plusIjEEEEZZNS1_33reduce_by_key_impl_wrapped_configILNS1_25lookback_scan_determinismE0ES3_S7_PKfNS0_17constant_iteratorIjlEEPfPlSF_S6_NS0_8equal_toIfEEEE10hipError_tPvRmT2_T3_mT4_T5_T6_T7_T8_P12ihipStream_tbENKUlT_T0_E_clISt17integral_constantIbLb0EESZ_EEDaSU_SV_EUlSU_E_NS1_11comp_targetILNS1_3genE2ELNS1_11target_archE906ELNS1_3gpuE6ELNS1_3repE0EEENS1_30default_config_static_selectorELNS0_4arch9wavefront6targetE0EEEvT1_
	.p2align	8
	.type	_ZN7rocprim17ROCPRIM_400000_NS6detail17trampoline_kernelINS0_14default_configENS1_33run_length_encode_config_selectorIfjNS0_4plusIjEEEEZZNS1_33reduce_by_key_impl_wrapped_configILNS1_25lookback_scan_determinismE0ES3_S7_PKfNS0_17constant_iteratorIjlEEPfPlSF_S6_NS0_8equal_toIfEEEE10hipError_tPvRmT2_T3_mT4_T5_T6_T7_T8_P12ihipStream_tbENKUlT_T0_E_clISt17integral_constantIbLb0EESZ_EEDaSU_SV_EUlSU_E_NS1_11comp_targetILNS1_3genE2ELNS1_11target_archE906ELNS1_3gpuE6ELNS1_3repE0EEENS1_30default_config_static_selectorELNS0_4arch9wavefront6targetE0EEEvT1_,@function
_ZN7rocprim17ROCPRIM_400000_NS6detail17trampoline_kernelINS0_14default_configENS1_33run_length_encode_config_selectorIfjNS0_4plusIjEEEEZZNS1_33reduce_by_key_impl_wrapped_configILNS1_25lookback_scan_determinismE0ES3_S7_PKfNS0_17constant_iteratorIjlEEPfPlSF_S6_NS0_8equal_toIfEEEE10hipError_tPvRmT2_T3_mT4_T5_T6_T7_T8_P12ihipStream_tbENKUlT_T0_E_clISt17integral_constantIbLb0EESZ_EEDaSU_SV_EUlSU_E_NS1_11comp_targetILNS1_3genE2ELNS1_11target_archE906ELNS1_3gpuE6ELNS1_3repE0EEENS1_30default_config_static_selectorELNS0_4arch9wavefront6targetE0EEEvT1_: ; @_ZN7rocprim17ROCPRIM_400000_NS6detail17trampoline_kernelINS0_14default_configENS1_33run_length_encode_config_selectorIfjNS0_4plusIjEEEEZZNS1_33reduce_by_key_impl_wrapped_configILNS1_25lookback_scan_determinismE0ES3_S7_PKfNS0_17constant_iteratorIjlEEPfPlSF_S6_NS0_8equal_toIfEEEE10hipError_tPvRmT2_T3_mT4_T5_T6_T7_T8_P12ihipStream_tbENKUlT_T0_E_clISt17integral_constantIbLb0EESZ_EEDaSU_SV_EUlSU_E_NS1_11comp_targetILNS1_3genE2ELNS1_11target_archE906ELNS1_3gpuE6ELNS1_3repE0EEENS1_30default_config_static_selectorELNS0_4arch9wavefront6targetE0EEEvT1_
; %bb.0:
	.section	.rodata,"a",@progbits
	.p2align	6, 0x0
	.amdhsa_kernel _ZN7rocprim17ROCPRIM_400000_NS6detail17trampoline_kernelINS0_14default_configENS1_33run_length_encode_config_selectorIfjNS0_4plusIjEEEEZZNS1_33reduce_by_key_impl_wrapped_configILNS1_25lookback_scan_determinismE0ES3_S7_PKfNS0_17constant_iteratorIjlEEPfPlSF_S6_NS0_8equal_toIfEEEE10hipError_tPvRmT2_T3_mT4_T5_T6_T7_T8_P12ihipStream_tbENKUlT_T0_E_clISt17integral_constantIbLb0EESZ_EEDaSU_SV_EUlSU_E_NS1_11comp_targetILNS1_3genE2ELNS1_11target_archE906ELNS1_3gpuE6ELNS1_3repE0EEENS1_30default_config_static_selectorELNS0_4arch9wavefront6targetE0EEEvT1_
		.amdhsa_group_segment_fixed_size 0
		.amdhsa_private_segment_fixed_size 0
		.amdhsa_kernarg_size 128
		.amdhsa_user_sgpr_count 2
		.amdhsa_user_sgpr_dispatch_ptr 0
		.amdhsa_user_sgpr_queue_ptr 0
		.amdhsa_user_sgpr_kernarg_segment_ptr 1
		.amdhsa_user_sgpr_dispatch_id 0
		.amdhsa_user_sgpr_kernarg_preload_length 0
		.amdhsa_user_sgpr_kernarg_preload_offset 0
		.amdhsa_user_sgpr_private_segment_size 0
		.amdhsa_wavefront_size32 1
		.amdhsa_uses_dynamic_stack 0
		.amdhsa_enable_private_segment 0
		.amdhsa_system_sgpr_workgroup_id_x 1
		.amdhsa_system_sgpr_workgroup_id_y 0
		.amdhsa_system_sgpr_workgroup_id_z 0
		.amdhsa_system_sgpr_workgroup_info 0
		.amdhsa_system_vgpr_workitem_id 0
		.amdhsa_next_free_vgpr 1
		.amdhsa_next_free_sgpr 1
		.amdhsa_named_barrier_count 0
		.amdhsa_reserve_vcc 0
		.amdhsa_float_round_mode_32 0
		.amdhsa_float_round_mode_16_64 0
		.amdhsa_float_denorm_mode_32 3
		.amdhsa_float_denorm_mode_16_64 3
		.amdhsa_fp16_overflow 0
		.amdhsa_memory_ordered 1
		.amdhsa_forward_progress 1
		.amdhsa_inst_pref_size 0
		.amdhsa_round_robin_scheduling 0
		.amdhsa_exception_fp_ieee_invalid_op 0
		.amdhsa_exception_fp_denorm_src 0
		.amdhsa_exception_fp_ieee_div_zero 0
		.amdhsa_exception_fp_ieee_overflow 0
		.amdhsa_exception_fp_ieee_underflow 0
		.amdhsa_exception_fp_ieee_inexact 0
		.amdhsa_exception_int_div_zero 0
	.end_amdhsa_kernel
	.section	.text._ZN7rocprim17ROCPRIM_400000_NS6detail17trampoline_kernelINS0_14default_configENS1_33run_length_encode_config_selectorIfjNS0_4plusIjEEEEZZNS1_33reduce_by_key_impl_wrapped_configILNS1_25lookback_scan_determinismE0ES3_S7_PKfNS0_17constant_iteratorIjlEEPfPlSF_S6_NS0_8equal_toIfEEEE10hipError_tPvRmT2_T3_mT4_T5_T6_T7_T8_P12ihipStream_tbENKUlT_T0_E_clISt17integral_constantIbLb0EESZ_EEDaSU_SV_EUlSU_E_NS1_11comp_targetILNS1_3genE2ELNS1_11target_archE906ELNS1_3gpuE6ELNS1_3repE0EEENS1_30default_config_static_selectorELNS0_4arch9wavefront6targetE0EEEvT1_,"axG",@progbits,_ZN7rocprim17ROCPRIM_400000_NS6detail17trampoline_kernelINS0_14default_configENS1_33run_length_encode_config_selectorIfjNS0_4plusIjEEEEZZNS1_33reduce_by_key_impl_wrapped_configILNS1_25lookback_scan_determinismE0ES3_S7_PKfNS0_17constant_iteratorIjlEEPfPlSF_S6_NS0_8equal_toIfEEEE10hipError_tPvRmT2_T3_mT4_T5_T6_T7_T8_P12ihipStream_tbENKUlT_T0_E_clISt17integral_constantIbLb0EESZ_EEDaSU_SV_EUlSU_E_NS1_11comp_targetILNS1_3genE2ELNS1_11target_archE906ELNS1_3gpuE6ELNS1_3repE0EEENS1_30default_config_static_selectorELNS0_4arch9wavefront6targetE0EEEvT1_,comdat
.Lfunc_end377:
	.size	_ZN7rocprim17ROCPRIM_400000_NS6detail17trampoline_kernelINS0_14default_configENS1_33run_length_encode_config_selectorIfjNS0_4plusIjEEEEZZNS1_33reduce_by_key_impl_wrapped_configILNS1_25lookback_scan_determinismE0ES3_S7_PKfNS0_17constant_iteratorIjlEEPfPlSF_S6_NS0_8equal_toIfEEEE10hipError_tPvRmT2_T3_mT4_T5_T6_T7_T8_P12ihipStream_tbENKUlT_T0_E_clISt17integral_constantIbLb0EESZ_EEDaSU_SV_EUlSU_E_NS1_11comp_targetILNS1_3genE2ELNS1_11target_archE906ELNS1_3gpuE6ELNS1_3repE0EEENS1_30default_config_static_selectorELNS0_4arch9wavefront6targetE0EEEvT1_, .Lfunc_end377-_ZN7rocprim17ROCPRIM_400000_NS6detail17trampoline_kernelINS0_14default_configENS1_33run_length_encode_config_selectorIfjNS0_4plusIjEEEEZZNS1_33reduce_by_key_impl_wrapped_configILNS1_25lookback_scan_determinismE0ES3_S7_PKfNS0_17constant_iteratorIjlEEPfPlSF_S6_NS0_8equal_toIfEEEE10hipError_tPvRmT2_T3_mT4_T5_T6_T7_T8_P12ihipStream_tbENKUlT_T0_E_clISt17integral_constantIbLb0EESZ_EEDaSU_SV_EUlSU_E_NS1_11comp_targetILNS1_3genE2ELNS1_11target_archE906ELNS1_3gpuE6ELNS1_3repE0EEENS1_30default_config_static_selectorELNS0_4arch9wavefront6targetE0EEEvT1_
                                        ; -- End function
	.set _ZN7rocprim17ROCPRIM_400000_NS6detail17trampoline_kernelINS0_14default_configENS1_33run_length_encode_config_selectorIfjNS0_4plusIjEEEEZZNS1_33reduce_by_key_impl_wrapped_configILNS1_25lookback_scan_determinismE0ES3_S7_PKfNS0_17constant_iteratorIjlEEPfPlSF_S6_NS0_8equal_toIfEEEE10hipError_tPvRmT2_T3_mT4_T5_T6_T7_T8_P12ihipStream_tbENKUlT_T0_E_clISt17integral_constantIbLb0EESZ_EEDaSU_SV_EUlSU_E_NS1_11comp_targetILNS1_3genE2ELNS1_11target_archE906ELNS1_3gpuE6ELNS1_3repE0EEENS1_30default_config_static_selectorELNS0_4arch9wavefront6targetE0EEEvT1_.num_vgpr, 0
	.set _ZN7rocprim17ROCPRIM_400000_NS6detail17trampoline_kernelINS0_14default_configENS1_33run_length_encode_config_selectorIfjNS0_4plusIjEEEEZZNS1_33reduce_by_key_impl_wrapped_configILNS1_25lookback_scan_determinismE0ES3_S7_PKfNS0_17constant_iteratorIjlEEPfPlSF_S6_NS0_8equal_toIfEEEE10hipError_tPvRmT2_T3_mT4_T5_T6_T7_T8_P12ihipStream_tbENKUlT_T0_E_clISt17integral_constantIbLb0EESZ_EEDaSU_SV_EUlSU_E_NS1_11comp_targetILNS1_3genE2ELNS1_11target_archE906ELNS1_3gpuE6ELNS1_3repE0EEENS1_30default_config_static_selectorELNS0_4arch9wavefront6targetE0EEEvT1_.num_agpr, 0
	.set _ZN7rocprim17ROCPRIM_400000_NS6detail17trampoline_kernelINS0_14default_configENS1_33run_length_encode_config_selectorIfjNS0_4plusIjEEEEZZNS1_33reduce_by_key_impl_wrapped_configILNS1_25lookback_scan_determinismE0ES3_S7_PKfNS0_17constant_iteratorIjlEEPfPlSF_S6_NS0_8equal_toIfEEEE10hipError_tPvRmT2_T3_mT4_T5_T6_T7_T8_P12ihipStream_tbENKUlT_T0_E_clISt17integral_constantIbLb0EESZ_EEDaSU_SV_EUlSU_E_NS1_11comp_targetILNS1_3genE2ELNS1_11target_archE906ELNS1_3gpuE6ELNS1_3repE0EEENS1_30default_config_static_selectorELNS0_4arch9wavefront6targetE0EEEvT1_.numbered_sgpr, 0
	.set _ZN7rocprim17ROCPRIM_400000_NS6detail17trampoline_kernelINS0_14default_configENS1_33run_length_encode_config_selectorIfjNS0_4plusIjEEEEZZNS1_33reduce_by_key_impl_wrapped_configILNS1_25lookback_scan_determinismE0ES3_S7_PKfNS0_17constant_iteratorIjlEEPfPlSF_S6_NS0_8equal_toIfEEEE10hipError_tPvRmT2_T3_mT4_T5_T6_T7_T8_P12ihipStream_tbENKUlT_T0_E_clISt17integral_constantIbLb0EESZ_EEDaSU_SV_EUlSU_E_NS1_11comp_targetILNS1_3genE2ELNS1_11target_archE906ELNS1_3gpuE6ELNS1_3repE0EEENS1_30default_config_static_selectorELNS0_4arch9wavefront6targetE0EEEvT1_.num_named_barrier, 0
	.set _ZN7rocprim17ROCPRIM_400000_NS6detail17trampoline_kernelINS0_14default_configENS1_33run_length_encode_config_selectorIfjNS0_4plusIjEEEEZZNS1_33reduce_by_key_impl_wrapped_configILNS1_25lookback_scan_determinismE0ES3_S7_PKfNS0_17constant_iteratorIjlEEPfPlSF_S6_NS0_8equal_toIfEEEE10hipError_tPvRmT2_T3_mT4_T5_T6_T7_T8_P12ihipStream_tbENKUlT_T0_E_clISt17integral_constantIbLb0EESZ_EEDaSU_SV_EUlSU_E_NS1_11comp_targetILNS1_3genE2ELNS1_11target_archE906ELNS1_3gpuE6ELNS1_3repE0EEENS1_30default_config_static_selectorELNS0_4arch9wavefront6targetE0EEEvT1_.private_seg_size, 0
	.set _ZN7rocprim17ROCPRIM_400000_NS6detail17trampoline_kernelINS0_14default_configENS1_33run_length_encode_config_selectorIfjNS0_4plusIjEEEEZZNS1_33reduce_by_key_impl_wrapped_configILNS1_25lookback_scan_determinismE0ES3_S7_PKfNS0_17constant_iteratorIjlEEPfPlSF_S6_NS0_8equal_toIfEEEE10hipError_tPvRmT2_T3_mT4_T5_T6_T7_T8_P12ihipStream_tbENKUlT_T0_E_clISt17integral_constantIbLb0EESZ_EEDaSU_SV_EUlSU_E_NS1_11comp_targetILNS1_3genE2ELNS1_11target_archE906ELNS1_3gpuE6ELNS1_3repE0EEENS1_30default_config_static_selectorELNS0_4arch9wavefront6targetE0EEEvT1_.uses_vcc, 0
	.set _ZN7rocprim17ROCPRIM_400000_NS6detail17trampoline_kernelINS0_14default_configENS1_33run_length_encode_config_selectorIfjNS0_4plusIjEEEEZZNS1_33reduce_by_key_impl_wrapped_configILNS1_25lookback_scan_determinismE0ES3_S7_PKfNS0_17constant_iteratorIjlEEPfPlSF_S6_NS0_8equal_toIfEEEE10hipError_tPvRmT2_T3_mT4_T5_T6_T7_T8_P12ihipStream_tbENKUlT_T0_E_clISt17integral_constantIbLb0EESZ_EEDaSU_SV_EUlSU_E_NS1_11comp_targetILNS1_3genE2ELNS1_11target_archE906ELNS1_3gpuE6ELNS1_3repE0EEENS1_30default_config_static_selectorELNS0_4arch9wavefront6targetE0EEEvT1_.uses_flat_scratch, 0
	.set _ZN7rocprim17ROCPRIM_400000_NS6detail17trampoline_kernelINS0_14default_configENS1_33run_length_encode_config_selectorIfjNS0_4plusIjEEEEZZNS1_33reduce_by_key_impl_wrapped_configILNS1_25lookback_scan_determinismE0ES3_S7_PKfNS0_17constant_iteratorIjlEEPfPlSF_S6_NS0_8equal_toIfEEEE10hipError_tPvRmT2_T3_mT4_T5_T6_T7_T8_P12ihipStream_tbENKUlT_T0_E_clISt17integral_constantIbLb0EESZ_EEDaSU_SV_EUlSU_E_NS1_11comp_targetILNS1_3genE2ELNS1_11target_archE906ELNS1_3gpuE6ELNS1_3repE0EEENS1_30default_config_static_selectorELNS0_4arch9wavefront6targetE0EEEvT1_.has_dyn_sized_stack, 0
	.set _ZN7rocprim17ROCPRIM_400000_NS6detail17trampoline_kernelINS0_14default_configENS1_33run_length_encode_config_selectorIfjNS0_4plusIjEEEEZZNS1_33reduce_by_key_impl_wrapped_configILNS1_25lookback_scan_determinismE0ES3_S7_PKfNS0_17constant_iteratorIjlEEPfPlSF_S6_NS0_8equal_toIfEEEE10hipError_tPvRmT2_T3_mT4_T5_T6_T7_T8_P12ihipStream_tbENKUlT_T0_E_clISt17integral_constantIbLb0EESZ_EEDaSU_SV_EUlSU_E_NS1_11comp_targetILNS1_3genE2ELNS1_11target_archE906ELNS1_3gpuE6ELNS1_3repE0EEENS1_30default_config_static_selectorELNS0_4arch9wavefront6targetE0EEEvT1_.has_recursion, 0
	.set _ZN7rocprim17ROCPRIM_400000_NS6detail17trampoline_kernelINS0_14default_configENS1_33run_length_encode_config_selectorIfjNS0_4plusIjEEEEZZNS1_33reduce_by_key_impl_wrapped_configILNS1_25lookback_scan_determinismE0ES3_S7_PKfNS0_17constant_iteratorIjlEEPfPlSF_S6_NS0_8equal_toIfEEEE10hipError_tPvRmT2_T3_mT4_T5_T6_T7_T8_P12ihipStream_tbENKUlT_T0_E_clISt17integral_constantIbLb0EESZ_EEDaSU_SV_EUlSU_E_NS1_11comp_targetILNS1_3genE2ELNS1_11target_archE906ELNS1_3gpuE6ELNS1_3repE0EEENS1_30default_config_static_selectorELNS0_4arch9wavefront6targetE0EEEvT1_.has_indirect_call, 0
	.section	.AMDGPU.csdata,"",@progbits
; Kernel info:
; codeLenInByte = 0
; TotalNumSgprs: 0
; NumVgprs: 0
; ScratchSize: 0
; MemoryBound: 0
; FloatMode: 240
; IeeeMode: 1
; LDSByteSize: 0 bytes/workgroup (compile time only)
; SGPRBlocks: 0
; VGPRBlocks: 0
; NumSGPRsForWavesPerEU: 1
; NumVGPRsForWavesPerEU: 1
; NamedBarCnt: 0
; Occupancy: 16
; WaveLimiterHint : 0
; COMPUTE_PGM_RSRC2:SCRATCH_EN: 0
; COMPUTE_PGM_RSRC2:USER_SGPR: 2
; COMPUTE_PGM_RSRC2:TRAP_HANDLER: 0
; COMPUTE_PGM_RSRC2:TGID_X_EN: 1
; COMPUTE_PGM_RSRC2:TGID_Y_EN: 0
; COMPUTE_PGM_RSRC2:TGID_Z_EN: 0
; COMPUTE_PGM_RSRC2:TIDIG_COMP_CNT: 0
	.section	.text._ZN7rocprim17ROCPRIM_400000_NS6detail17trampoline_kernelINS0_14default_configENS1_33run_length_encode_config_selectorIfjNS0_4plusIjEEEEZZNS1_33reduce_by_key_impl_wrapped_configILNS1_25lookback_scan_determinismE0ES3_S7_PKfNS0_17constant_iteratorIjlEEPfPlSF_S6_NS0_8equal_toIfEEEE10hipError_tPvRmT2_T3_mT4_T5_T6_T7_T8_P12ihipStream_tbENKUlT_T0_E_clISt17integral_constantIbLb0EESZ_EEDaSU_SV_EUlSU_E_NS1_11comp_targetILNS1_3genE10ELNS1_11target_archE1201ELNS1_3gpuE5ELNS1_3repE0EEENS1_30default_config_static_selectorELNS0_4arch9wavefront6targetE0EEEvT1_,"axG",@progbits,_ZN7rocprim17ROCPRIM_400000_NS6detail17trampoline_kernelINS0_14default_configENS1_33run_length_encode_config_selectorIfjNS0_4plusIjEEEEZZNS1_33reduce_by_key_impl_wrapped_configILNS1_25lookback_scan_determinismE0ES3_S7_PKfNS0_17constant_iteratorIjlEEPfPlSF_S6_NS0_8equal_toIfEEEE10hipError_tPvRmT2_T3_mT4_T5_T6_T7_T8_P12ihipStream_tbENKUlT_T0_E_clISt17integral_constantIbLb0EESZ_EEDaSU_SV_EUlSU_E_NS1_11comp_targetILNS1_3genE10ELNS1_11target_archE1201ELNS1_3gpuE5ELNS1_3repE0EEENS1_30default_config_static_selectorELNS0_4arch9wavefront6targetE0EEEvT1_,comdat
	.protected	_ZN7rocprim17ROCPRIM_400000_NS6detail17trampoline_kernelINS0_14default_configENS1_33run_length_encode_config_selectorIfjNS0_4plusIjEEEEZZNS1_33reduce_by_key_impl_wrapped_configILNS1_25lookback_scan_determinismE0ES3_S7_PKfNS0_17constant_iteratorIjlEEPfPlSF_S6_NS0_8equal_toIfEEEE10hipError_tPvRmT2_T3_mT4_T5_T6_T7_T8_P12ihipStream_tbENKUlT_T0_E_clISt17integral_constantIbLb0EESZ_EEDaSU_SV_EUlSU_E_NS1_11comp_targetILNS1_3genE10ELNS1_11target_archE1201ELNS1_3gpuE5ELNS1_3repE0EEENS1_30default_config_static_selectorELNS0_4arch9wavefront6targetE0EEEvT1_ ; -- Begin function _ZN7rocprim17ROCPRIM_400000_NS6detail17trampoline_kernelINS0_14default_configENS1_33run_length_encode_config_selectorIfjNS0_4plusIjEEEEZZNS1_33reduce_by_key_impl_wrapped_configILNS1_25lookback_scan_determinismE0ES3_S7_PKfNS0_17constant_iteratorIjlEEPfPlSF_S6_NS0_8equal_toIfEEEE10hipError_tPvRmT2_T3_mT4_T5_T6_T7_T8_P12ihipStream_tbENKUlT_T0_E_clISt17integral_constantIbLb0EESZ_EEDaSU_SV_EUlSU_E_NS1_11comp_targetILNS1_3genE10ELNS1_11target_archE1201ELNS1_3gpuE5ELNS1_3repE0EEENS1_30default_config_static_selectorELNS0_4arch9wavefront6targetE0EEEvT1_
	.globl	_ZN7rocprim17ROCPRIM_400000_NS6detail17trampoline_kernelINS0_14default_configENS1_33run_length_encode_config_selectorIfjNS0_4plusIjEEEEZZNS1_33reduce_by_key_impl_wrapped_configILNS1_25lookback_scan_determinismE0ES3_S7_PKfNS0_17constant_iteratorIjlEEPfPlSF_S6_NS0_8equal_toIfEEEE10hipError_tPvRmT2_T3_mT4_T5_T6_T7_T8_P12ihipStream_tbENKUlT_T0_E_clISt17integral_constantIbLb0EESZ_EEDaSU_SV_EUlSU_E_NS1_11comp_targetILNS1_3genE10ELNS1_11target_archE1201ELNS1_3gpuE5ELNS1_3repE0EEENS1_30default_config_static_selectorELNS0_4arch9wavefront6targetE0EEEvT1_
	.p2align	8
	.type	_ZN7rocprim17ROCPRIM_400000_NS6detail17trampoline_kernelINS0_14default_configENS1_33run_length_encode_config_selectorIfjNS0_4plusIjEEEEZZNS1_33reduce_by_key_impl_wrapped_configILNS1_25lookback_scan_determinismE0ES3_S7_PKfNS0_17constant_iteratorIjlEEPfPlSF_S6_NS0_8equal_toIfEEEE10hipError_tPvRmT2_T3_mT4_T5_T6_T7_T8_P12ihipStream_tbENKUlT_T0_E_clISt17integral_constantIbLb0EESZ_EEDaSU_SV_EUlSU_E_NS1_11comp_targetILNS1_3genE10ELNS1_11target_archE1201ELNS1_3gpuE5ELNS1_3repE0EEENS1_30default_config_static_selectorELNS0_4arch9wavefront6targetE0EEEvT1_,@function
_ZN7rocprim17ROCPRIM_400000_NS6detail17trampoline_kernelINS0_14default_configENS1_33run_length_encode_config_selectorIfjNS0_4plusIjEEEEZZNS1_33reduce_by_key_impl_wrapped_configILNS1_25lookback_scan_determinismE0ES3_S7_PKfNS0_17constant_iteratorIjlEEPfPlSF_S6_NS0_8equal_toIfEEEE10hipError_tPvRmT2_T3_mT4_T5_T6_T7_T8_P12ihipStream_tbENKUlT_T0_E_clISt17integral_constantIbLb0EESZ_EEDaSU_SV_EUlSU_E_NS1_11comp_targetILNS1_3genE10ELNS1_11target_archE1201ELNS1_3gpuE5ELNS1_3repE0EEENS1_30default_config_static_selectorELNS0_4arch9wavefront6targetE0EEEvT1_: ; @_ZN7rocprim17ROCPRIM_400000_NS6detail17trampoline_kernelINS0_14default_configENS1_33run_length_encode_config_selectorIfjNS0_4plusIjEEEEZZNS1_33reduce_by_key_impl_wrapped_configILNS1_25lookback_scan_determinismE0ES3_S7_PKfNS0_17constant_iteratorIjlEEPfPlSF_S6_NS0_8equal_toIfEEEE10hipError_tPvRmT2_T3_mT4_T5_T6_T7_T8_P12ihipStream_tbENKUlT_T0_E_clISt17integral_constantIbLb0EESZ_EEDaSU_SV_EUlSU_E_NS1_11comp_targetILNS1_3genE10ELNS1_11target_archE1201ELNS1_3gpuE5ELNS1_3repE0EEENS1_30default_config_static_selectorELNS0_4arch9wavefront6targetE0EEEvT1_
; %bb.0:
	.section	.rodata,"a",@progbits
	.p2align	6, 0x0
	.amdhsa_kernel _ZN7rocprim17ROCPRIM_400000_NS6detail17trampoline_kernelINS0_14default_configENS1_33run_length_encode_config_selectorIfjNS0_4plusIjEEEEZZNS1_33reduce_by_key_impl_wrapped_configILNS1_25lookback_scan_determinismE0ES3_S7_PKfNS0_17constant_iteratorIjlEEPfPlSF_S6_NS0_8equal_toIfEEEE10hipError_tPvRmT2_T3_mT4_T5_T6_T7_T8_P12ihipStream_tbENKUlT_T0_E_clISt17integral_constantIbLb0EESZ_EEDaSU_SV_EUlSU_E_NS1_11comp_targetILNS1_3genE10ELNS1_11target_archE1201ELNS1_3gpuE5ELNS1_3repE0EEENS1_30default_config_static_selectorELNS0_4arch9wavefront6targetE0EEEvT1_
		.amdhsa_group_segment_fixed_size 0
		.amdhsa_private_segment_fixed_size 0
		.amdhsa_kernarg_size 128
		.amdhsa_user_sgpr_count 2
		.amdhsa_user_sgpr_dispatch_ptr 0
		.amdhsa_user_sgpr_queue_ptr 0
		.amdhsa_user_sgpr_kernarg_segment_ptr 1
		.amdhsa_user_sgpr_dispatch_id 0
		.amdhsa_user_sgpr_kernarg_preload_length 0
		.amdhsa_user_sgpr_kernarg_preload_offset 0
		.amdhsa_user_sgpr_private_segment_size 0
		.amdhsa_wavefront_size32 1
		.amdhsa_uses_dynamic_stack 0
		.amdhsa_enable_private_segment 0
		.amdhsa_system_sgpr_workgroup_id_x 1
		.amdhsa_system_sgpr_workgroup_id_y 0
		.amdhsa_system_sgpr_workgroup_id_z 0
		.amdhsa_system_sgpr_workgroup_info 0
		.amdhsa_system_vgpr_workitem_id 0
		.amdhsa_next_free_vgpr 1
		.amdhsa_next_free_sgpr 1
		.amdhsa_named_barrier_count 0
		.amdhsa_reserve_vcc 0
		.amdhsa_float_round_mode_32 0
		.amdhsa_float_round_mode_16_64 0
		.amdhsa_float_denorm_mode_32 3
		.amdhsa_float_denorm_mode_16_64 3
		.amdhsa_fp16_overflow 0
		.amdhsa_memory_ordered 1
		.amdhsa_forward_progress 1
		.amdhsa_inst_pref_size 0
		.amdhsa_round_robin_scheduling 0
		.amdhsa_exception_fp_ieee_invalid_op 0
		.amdhsa_exception_fp_denorm_src 0
		.amdhsa_exception_fp_ieee_div_zero 0
		.amdhsa_exception_fp_ieee_overflow 0
		.amdhsa_exception_fp_ieee_underflow 0
		.amdhsa_exception_fp_ieee_inexact 0
		.amdhsa_exception_int_div_zero 0
	.end_amdhsa_kernel
	.section	.text._ZN7rocprim17ROCPRIM_400000_NS6detail17trampoline_kernelINS0_14default_configENS1_33run_length_encode_config_selectorIfjNS0_4plusIjEEEEZZNS1_33reduce_by_key_impl_wrapped_configILNS1_25lookback_scan_determinismE0ES3_S7_PKfNS0_17constant_iteratorIjlEEPfPlSF_S6_NS0_8equal_toIfEEEE10hipError_tPvRmT2_T3_mT4_T5_T6_T7_T8_P12ihipStream_tbENKUlT_T0_E_clISt17integral_constantIbLb0EESZ_EEDaSU_SV_EUlSU_E_NS1_11comp_targetILNS1_3genE10ELNS1_11target_archE1201ELNS1_3gpuE5ELNS1_3repE0EEENS1_30default_config_static_selectorELNS0_4arch9wavefront6targetE0EEEvT1_,"axG",@progbits,_ZN7rocprim17ROCPRIM_400000_NS6detail17trampoline_kernelINS0_14default_configENS1_33run_length_encode_config_selectorIfjNS0_4plusIjEEEEZZNS1_33reduce_by_key_impl_wrapped_configILNS1_25lookback_scan_determinismE0ES3_S7_PKfNS0_17constant_iteratorIjlEEPfPlSF_S6_NS0_8equal_toIfEEEE10hipError_tPvRmT2_T3_mT4_T5_T6_T7_T8_P12ihipStream_tbENKUlT_T0_E_clISt17integral_constantIbLb0EESZ_EEDaSU_SV_EUlSU_E_NS1_11comp_targetILNS1_3genE10ELNS1_11target_archE1201ELNS1_3gpuE5ELNS1_3repE0EEENS1_30default_config_static_selectorELNS0_4arch9wavefront6targetE0EEEvT1_,comdat
.Lfunc_end378:
	.size	_ZN7rocprim17ROCPRIM_400000_NS6detail17trampoline_kernelINS0_14default_configENS1_33run_length_encode_config_selectorIfjNS0_4plusIjEEEEZZNS1_33reduce_by_key_impl_wrapped_configILNS1_25lookback_scan_determinismE0ES3_S7_PKfNS0_17constant_iteratorIjlEEPfPlSF_S6_NS0_8equal_toIfEEEE10hipError_tPvRmT2_T3_mT4_T5_T6_T7_T8_P12ihipStream_tbENKUlT_T0_E_clISt17integral_constantIbLb0EESZ_EEDaSU_SV_EUlSU_E_NS1_11comp_targetILNS1_3genE10ELNS1_11target_archE1201ELNS1_3gpuE5ELNS1_3repE0EEENS1_30default_config_static_selectorELNS0_4arch9wavefront6targetE0EEEvT1_, .Lfunc_end378-_ZN7rocprim17ROCPRIM_400000_NS6detail17trampoline_kernelINS0_14default_configENS1_33run_length_encode_config_selectorIfjNS0_4plusIjEEEEZZNS1_33reduce_by_key_impl_wrapped_configILNS1_25lookback_scan_determinismE0ES3_S7_PKfNS0_17constant_iteratorIjlEEPfPlSF_S6_NS0_8equal_toIfEEEE10hipError_tPvRmT2_T3_mT4_T5_T6_T7_T8_P12ihipStream_tbENKUlT_T0_E_clISt17integral_constantIbLb0EESZ_EEDaSU_SV_EUlSU_E_NS1_11comp_targetILNS1_3genE10ELNS1_11target_archE1201ELNS1_3gpuE5ELNS1_3repE0EEENS1_30default_config_static_selectorELNS0_4arch9wavefront6targetE0EEEvT1_
                                        ; -- End function
	.set _ZN7rocprim17ROCPRIM_400000_NS6detail17trampoline_kernelINS0_14default_configENS1_33run_length_encode_config_selectorIfjNS0_4plusIjEEEEZZNS1_33reduce_by_key_impl_wrapped_configILNS1_25lookback_scan_determinismE0ES3_S7_PKfNS0_17constant_iteratorIjlEEPfPlSF_S6_NS0_8equal_toIfEEEE10hipError_tPvRmT2_T3_mT4_T5_T6_T7_T8_P12ihipStream_tbENKUlT_T0_E_clISt17integral_constantIbLb0EESZ_EEDaSU_SV_EUlSU_E_NS1_11comp_targetILNS1_3genE10ELNS1_11target_archE1201ELNS1_3gpuE5ELNS1_3repE0EEENS1_30default_config_static_selectorELNS0_4arch9wavefront6targetE0EEEvT1_.num_vgpr, 0
	.set _ZN7rocprim17ROCPRIM_400000_NS6detail17trampoline_kernelINS0_14default_configENS1_33run_length_encode_config_selectorIfjNS0_4plusIjEEEEZZNS1_33reduce_by_key_impl_wrapped_configILNS1_25lookback_scan_determinismE0ES3_S7_PKfNS0_17constant_iteratorIjlEEPfPlSF_S6_NS0_8equal_toIfEEEE10hipError_tPvRmT2_T3_mT4_T5_T6_T7_T8_P12ihipStream_tbENKUlT_T0_E_clISt17integral_constantIbLb0EESZ_EEDaSU_SV_EUlSU_E_NS1_11comp_targetILNS1_3genE10ELNS1_11target_archE1201ELNS1_3gpuE5ELNS1_3repE0EEENS1_30default_config_static_selectorELNS0_4arch9wavefront6targetE0EEEvT1_.num_agpr, 0
	.set _ZN7rocprim17ROCPRIM_400000_NS6detail17trampoline_kernelINS0_14default_configENS1_33run_length_encode_config_selectorIfjNS0_4plusIjEEEEZZNS1_33reduce_by_key_impl_wrapped_configILNS1_25lookback_scan_determinismE0ES3_S7_PKfNS0_17constant_iteratorIjlEEPfPlSF_S6_NS0_8equal_toIfEEEE10hipError_tPvRmT2_T3_mT4_T5_T6_T7_T8_P12ihipStream_tbENKUlT_T0_E_clISt17integral_constantIbLb0EESZ_EEDaSU_SV_EUlSU_E_NS1_11comp_targetILNS1_3genE10ELNS1_11target_archE1201ELNS1_3gpuE5ELNS1_3repE0EEENS1_30default_config_static_selectorELNS0_4arch9wavefront6targetE0EEEvT1_.numbered_sgpr, 0
	.set _ZN7rocprim17ROCPRIM_400000_NS6detail17trampoline_kernelINS0_14default_configENS1_33run_length_encode_config_selectorIfjNS0_4plusIjEEEEZZNS1_33reduce_by_key_impl_wrapped_configILNS1_25lookback_scan_determinismE0ES3_S7_PKfNS0_17constant_iteratorIjlEEPfPlSF_S6_NS0_8equal_toIfEEEE10hipError_tPvRmT2_T3_mT4_T5_T6_T7_T8_P12ihipStream_tbENKUlT_T0_E_clISt17integral_constantIbLb0EESZ_EEDaSU_SV_EUlSU_E_NS1_11comp_targetILNS1_3genE10ELNS1_11target_archE1201ELNS1_3gpuE5ELNS1_3repE0EEENS1_30default_config_static_selectorELNS0_4arch9wavefront6targetE0EEEvT1_.num_named_barrier, 0
	.set _ZN7rocprim17ROCPRIM_400000_NS6detail17trampoline_kernelINS0_14default_configENS1_33run_length_encode_config_selectorIfjNS0_4plusIjEEEEZZNS1_33reduce_by_key_impl_wrapped_configILNS1_25lookback_scan_determinismE0ES3_S7_PKfNS0_17constant_iteratorIjlEEPfPlSF_S6_NS0_8equal_toIfEEEE10hipError_tPvRmT2_T3_mT4_T5_T6_T7_T8_P12ihipStream_tbENKUlT_T0_E_clISt17integral_constantIbLb0EESZ_EEDaSU_SV_EUlSU_E_NS1_11comp_targetILNS1_3genE10ELNS1_11target_archE1201ELNS1_3gpuE5ELNS1_3repE0EEENS1_30default_config_static_selectorELNS0_4arch9wavefront6targetE0EEEvT1_.private_seg_size, 0
	.set _ZN7rocprim17ROCPRIM_400000_NS6detail17trampoline_kernelINS0_14default_configENS1_33run_length_encode_config_selectorIfjNS0_4plusIjEEEEZZNS1_33reduce_by_key_impl_wrapped_configILNS1_25lookback_scan_determinismE0ES3_S7_PKfNS0_17constant_iteratorIjlEEPfPlSF_S6_NS0_8equal_toIfEEEE10hipError_tPvRmT2_T3_mT4_T5_T6_T7_T8_P12ihipStream_tbENKUlT_T0_E_clISt17integral_constantIbLb0EESZ_EEDaSU_SV_EUlSU_E_NS1_11comp_targetILNS1_3genE10ELNS1_11target_archE1201ELNS1_3gpuE5ELNS1_3repE0EEENS1_30default_config_static_selectorELNS0_4arch9wavefront6targetE0EEEvT1_.uses_vcc, 0
	.set _ZN7rocprim17ROCPRIM_400000_NS6detail17trampoline_kernelINS0_14default_configENS1_33run_length_encode_config_selectorIfjNS0_4plusIjEEEEZZNS1_33reduce_by_key_impl_wrapped_configILNS1_25lookback_scan_determinismE0ES3_S7_PKfNS0_17constant_iteratorIjlEEPfPlSF_S6_NS0_8equal_toIfEEEE10hipError_tPvRmT2_T3_mT4_T5_T6_T7_T8_P12ihipStream_tbENKUlT_T0_E_clISt17integral_constantIbLb0EESZ_EEDaSU_SV_EUlSU_E_NS1_11comp_targetILNS1_3genE10ELNS1_11target_archE1201ELNS1_3gpuE5ELNS1_3repE0EEENS1_30default_config_static_selectorELNS0_4arch9wavefront6targetE0EEEvT1_.uses_flat_scratch, 0
	.set _ZN7rocprim17ROCPRIM_400000_NS6detail17trampoline_kernelINS0_14default_configENS1_33run_length_encode_config_selectorIfjNS0_4plusIjEEEEZZNS1_33reduce_by_key_impl_wrapped_configILNS1_25lookback_scan_determinismE0ES3_S7_PKfNS0_17constant_iteratorIjlEEPfPlSF_S6_NS0_8equal_toIfEEEE10hipError_tPvRmT2_T3_mT4_T5_T6_T7_T8_P12ihipStream_tbENKUlT_T0_E_clISt17integral_constantIbLb0EESZ_EEDaSU_SV_EUlSU_E_NS1_11comp_targetILNS1_3genE10ELNS1_11target_archE1201ELNS1_3gpuE5ELNS1_3repE0EEENS1_30default_config_static_selectorELNS0_4arch9wavefront6targetE0EEEvT1_.has_dyn_sized_stack, 0
	.set _ZN7rocprim17ROCPRIM_400000_NS6detail17trampoline_kernelINS0_14default_configENS1_33run_length_encode_config_selectorIfjNS0_4plusIjEEEEZZNS1_33reduce_by_key_impl_wrapped_configILNS1_25lookback_scan_determinismE0ES3_S7_PKfNS0_17constant_iteratorIjlEEPfPlSF_S6_NS0_8equal_toIfEEEE10hipError_tPvRmT2_T3_mT4_T5_T6_T7_T8_P12ihipStream_tbENKUlT_T0_E_clISt17integral_constantIbLb0EESZ_EEDaSU_SV_EUlSU_E_NS1_11comp_targetILNS1_3genE10ELNS1_11target_archE1201ELNS1_3gpuE5ELNS1_3repE0EEENS1_30default_config_static_selectorELNS0_4arch9wavefront6targetE0EEEvT1_.has_recursion, 0
	.set _ZN7rocprim17ROCPRIM_400000_NS6detail17trampoline_kernelINS0_14default_configENS1_33run_length_encode_config_selectorIfjNS0_4plusIjEEEEZZNS1_33reduce_by_key_impl_wrapped_configILNS1_25lookback_scan_determinismE0ES3_S7_PKfNS0_17constant_iteratorIjlEEPfPlSF_S6_NS0_8equal_toIfEEEE10hipError_tPvRmT2_T3_mT4_T5_T6_T7_T8_P12ihipStream_tbENKUlT_T0_E_clISt17integral_constantIbLb0EESZ_EEDaSU_SV_EUlSU_E_NS1_11comp_targetILNS1_3genE10ELNS1_11target_archE1201ELNS1_3gpuE5ELNS1_3repE0EEENS1_30default_config_static_selectorELNS0_4arch9wavefront6targetE0EEEvT1_.has_indirect_call, 0
	.section	.AMDGPU.csdata,"",@progbits
; Kernel info:
; codeLenInByte = 0
; TotalNumSgprs: 0
; NumVgprs: 0
; ScratchSize: 0
; MemoryBound: 0
; FloatMode: 240
; IeeeMode: 1
; LDSByteSize: 0 bytes/workgroup (compile time only)
; SGPRBlocks: 0
; VGPRBlocks: 0
; NumSGPRsForWavesPerEU: 1
; NumVGPRsForWavesPerEU: 1
; NamedBarCnt: 0
; Occupancy: 16
; WaveLimiterHint : 0
; COMPUTE_PGM_RSRC2:SCRATCH_EN: 0
; COMPUTE_PGM_RSRC2:USER_SGPR: 2
; COMPUTE_PGM_RSRC2:TRAP_HANDLER: 0
; COMPUTE_PGM_RSRC2:TGID_X_EN: 1
; COMPUTE_PGM_RSRC2:TGID_Y_EN: 0
; COMPUTE_PGM_RSRC2:TGID_Z_EN: 0
; COMPUTE_PGM_RSRC2:TIDIG_COMP_CNT: 0
	.section	.text._ZN7rocprim17ROCPRIM_400000_NS6detail17trampoline_kernelINS0_14default_configENS1_33run_length_encode_config_selectorIfjNS0_4plusIjEEEEZZNS1_33reduce_by_key_impl_wrapped_configILNS1_25lookback_scan_determinismE0ES3_S7_PKfNS0_17constant_iteratorIjlEEPfPlSF_S6_NS0_8equal_toIfEEEE10hipError_tPvRmT2_T3_mT4_T5_T6_T7_T8_P12ihipStream_tbENKUlT_T0_E_clISt17integral_constantIbLb0EESZ_EEDaSU_SV_EUlSU_E_NS1_11comp_targetILNS1_3genE10ELNS1_11target_archE1200ELNS1_3gpuE4ELNS1_3repE0EEENS1_30default_config_static_selectorELNS0_4arch9wavefront6targetE0EEEvT1_,"axG",@progbits,_ZN7rocprim17ROCPRIM_400000_NS6detail17trampoline_kernelINS0_14default_configENS1_33run_length_encode_config_selectorIfjNS0_4plusIjEEEEZZNS1_33reduce_by_key_impl_wrapped_configILNS1_25lookback_scan_determinismE0ES3_S7_PKfNS0_17constant_iteratorIjlEEPfPlSF_S6_NS0_8equal_toIfEEEE10hipError_tPvRmT2_T3_mT4_T5_T6_T7_T8_P12ihipStream_tbENKUlT_T0_E_clISt17integral_constantIbLb0EESZ_EEDaSU_SV_EUlSU_E_NS1_11comp_targetILNS1_3genE10ELNS1_11target_archE1200ELNS1_3gpuE4ELNS1_3repE0EEENS1_30default_config_static_selectorELNS0_4arch9wavefront6targetE0EEEvT1_,comdat
	.protected	_ZN7rocprim17ROCPRIM_400000_NS6detail17trampoline_kernelINS0_14default_configENS1_33run_length_encode_config_selectorIfjNS0_4plusIjEEEEZZNS1_33reduce_by_key_impl_wrapped_configILNS1_25lookback_scan_determinismE0ES3_S7_PKfNS0_17constant_iteratorIjlEEPfPlSF_S6_NS0_8equal_toIfEEEE10hipError_tPvRmT2_T3_mT4_T5_T6_T7_T8_P12ihipStream_tbENKUlT_T0_E_clISt17integral_constantIbLb0EESZ_EEDaSU_SV_EUlSU_E_NS1_11comp_targetILNS1_3genE10ELNS1_11target_archE1200ELNS1_3gpuE4ELNS1_3repE0EEENS1_30default_config_static_selectorELNS0_4arch9wavefront6targetE0EEEvT1_ ; -- Begin function _ZN7rocprim17ROCPRIM_400000_NS6detail17trampoline_kernelINS0_14default_configENS1_33run_length_encode_config_selectorIfjNS0_4plusIjEEEEZZNS1_33reduce_by_key_impl_wrapped_configILNS1_25lookback_scan_determinismE0ES3_S7_PKfNS0_17constant_iteratorIjlEEPfPlSF_S6_NS0_8equal_toIfEEEE10hipError_tPvRmT2_T3_mT4_T5_T6_T7_T8_P12ihipStream_tbENKUlT_T0_E_clISt17integral_constantIbLb0EESZ_EEDaSU_SV_EUlSU_E_NS1_11comp_targetILNS1_3genE10ELNS1_11target_archE1200ELNS1_3gpuE4ELNS1_3repE0EEENS1_30default_config_static_selectorELNS0_4arch9wavefront6targetE0EEEvT1_
	.globl	_ZN7rocprim17ROCPRIM_400000_NS6detail17trampoline_kernelINS0_14default_configENS1_33run_length_encode_config_selectorIfjNS0_4plusIjEEEEZZNS1_33reduce_by_key_impl_wrapped_configILNS1_25lookback_scan_determinismE0ES3_S7_PKfNS0_17constant_iteratorIjlEEPfPlSF_S6_NS0_8equal_toIfEEEE10hipError_tPvRmT2_T3_mT4_T5_T6_T7_T8_P12ihipStream_tbENKUlT_T0_E_clISt17integral_constantIbLb0EESZ_EEDaSU_SV_EUlSU_E_NS1_11comp_targetILNS1_3genE10ELNS1_11target_archE1200ELNS1_3gpuE4ELNS1_3repE0EEENS1_30default_config_static_selectorELNS0_4arch9wavefront6targetE0EEEvT1_
	.p2align	8
	.type	_ZN7rocprim17ROCPRIM_400000_NS6detail17trampoline_kernelINS0_14default_configENS1_33run_length_encode_config_selectorIfjNS0_4plusIjEEEEZZNS1_33reduce_by_key_impl_wrapped_configILNS1_25lookback_scan_determinismE0ES3_S7_PKfNS0_17constant_iteratorIjlEEPfPlSF_S6_NS0_8equal_toIfEEEE10hipError_tPvRmT2_T3_mT4_T5_T6_T7_T8_P12ihipStream_tbENKUlT_T0_E_clISt17integral_constantIbLb0EESZ_EEDaSU_SV_EUlSU_E_NS1_11comp_targetILNS1_3genE10ELNS1_11target_archE1200ELNS1_3gpuE4ELNS1_3repE0EEENS1_30default_config_static_selectorELNS0_4arch9wavefront6targetE0EEEvT1_,@function
_ZN7rocprim17ROCPRIM_400000_NS6detail17trampoline_kernelINS0_14default_configENS1_33run_length_encode_config_selectorIfjNS0_4plusIjEEEEZZNS1_33reduce_by_key_impl_wrapped_configILNS1_25lookback_scan_determinismE0ES3_S7_PKfNS0_17constant_iteratorIjlEEPfPlSF_S6_NS0_8equal_toIfEEEE10hipError_tPvRmT2_T3_mT4_T5_T6_T7_T8_P12ihipStream_tbENKUlT_T0_E_clISt17integral_constantIbLb0EESZ_EEDaSU_SV_EUlSU_E_NS1_11comp_targetILNS1_3genE10ELNS1_11target_archE1200ELNS1_3gpuE4ELNS1_3repE0EEENS1_30default_config_static_selectorELNS0_4arch9wavefront6targetE0EEEvT1_: ; @_ZN7rocprim17ROCPRIM_400000_NS6detail17trampoline_kernelINS0_14default_configENS1_33run_length_encode_config_selectorIfjNS0_4plusIjEEEEZZNS1_33reduce_by_key_impl_wrapped_configILNS1_25lookback_scan_determinismE0ES3_S7_PKfNS0_17constant_iteratorIjlEEPfPlSF_S6_NS0_8equal_toIfEEEE10hipError_tPvRmT2_T3_mT4_T5_T6_T7_T8_P12ihipStream_tbENKUlT_T0_E_clISt17integral_constantIbLb0EESZ_EEDaSU_SV_EUlSU_E_NS1_11comp_targetILNS1_3genE10ELNS1_11target_archE1200ELNS1_3gpuE4ELNS1_3repE0EEENS1_30default_config_static_selectorELNS0_4arch9wavefront6targetE0EEEvT1_
; %bb.0:
	.section	.rodata,"a",@progbits
	.p2align	6, 0x0
	.amdhsa_kernel _ZN7rocprim17ROCPRIM_400000_NS6detail17trampoline_kernelINS0_14default_configENS1_33run_length_encode_config_selectorIfjNS0_4plusIjEEEEZZNS1_33reduce_by_key_impl_wrapped_configILNS1_25lookback_scan_determinismE0ES3_S7_PKfNS0_17constant_iteratorIjlEEPfPlSF_S6_NS0_8equal_toIfEEEE10hipError_tPvRmT2_T3_mT4_T5_T6_T7_T8_P12ihipStream_tbENKUlT_T0_E_clISt17integral_constantIbLb0EESZ_EEDaSU_SV_EUlSU_E_NS1_11comp_targetILNS1_3genE10ELNS1_11target_archE1200ELNS1_3gpuE4ELNS1_3repE0EEENS1_30default_config_static_selectorELNS0_4arch9wavefront6targetE0EEEvT1_
		.amdhsa_group_segment_fixed_size 0
		.amdhsa_private_segment_fixed_size 0
		.amdhsa_kernarg_size 128
		.amdhsa_user_sgpr_count 2
		.amdhsa_user_sgpr_dispatch_ptr 0
		.amdhsa_user_sgpr_queue_ptr 0
		.amdhsa_user_sgpr_kernarg_segment_ptr 1
		.amdhsa_user_sgpr_dispatch_id 0
		.amdhsa_user_sgpr_kernarg_preload_length 0
		.amdhsa_user_sgpr_kernarg_preload_offset 0
		.amdhsa_user_sgpr_private_segment_size 0
		.amdhsa_wavefront_size32 1
		.amdhsa_uses_dynamic_stack 0
		.amdhsa_enable_private_segment 0
		.amdhsa_system_sgpr_workgroup_id_x 1
		.amdhsa_system_sgpr_workgroup_id_y 0
		.amdhsa_system_sgpr_workgroup_id_z 0
		.amdhsa_system_sgpr_workgroup_info 0
		.amdhsa_system_vgpr_workitem_id 0
		.amdhsa_next_free_vgpr 1
		.amdhsa_next_free_sgpr 1
		.amdhsa_named_barrier_count 0
		.amdhsa_reserve_vcc 0
		.amdhsa_float_round_mode_32 0
		.amdhsa_float_round_mode_16_64 0
		.amdhsa_float_denorm_mode_32 3
		.amdhsa_float_denorm_mode_16_64 3
		.amdhsa_fp16_overflow 0
		.amdhsa_memory_ordered 1
		.amdhsa_forward_progress 1
		.amdhsa_inst_pref_size 0
		.amdhsa_round_robin_scheduling 0
		.amdhsa_exception_fp_ieee_invalid_op 0
		.amdhsa_exception_fp_denorm_src 0
		.amdhsa_exception_fp_ieee_div_zero 0
		.amdhsa_exception_fp_ieee_overflow 0
		.amdhsa_exception_fp_ieee_underflow 0
		.amdhsa_exception_fp_ieee_inexact 0
		.amdhsa_exception_int_div_zero 0
	.end_amdhsa_kernel
	.section	.text._ZN7rocprim17ROCPRIM_400000_NS6detail17trampoline_kernelINS0_14default_configENS1_33run_length_encode_config_selectorIfjNS0_4plusIjEEEEZZNS1_33reduce_by_key_impl_wrapped_configILNS1_25lookback_scan_determinismE0ES3_S7_PKfNS0_17constant_iteratorIjlEEPfPlSF_S6_NS0_8equal_toIfEEEE10hipError_tPvRmT2_T3_mT4_T5_T6_T7_T8_P12ihipStream_tbENKUlT_T0_E_clISt17integral_constantIbLb0EESZ_EEDaSU_SV_EUlSU_E_NS1_11comp_targetILNS1_3genE10ELNS1_11target_archE1200ELNS1_3gpuE4ELNS1_3repE0EEENS1_30default_config_static_selectorELNS0_4arch9wavefront6targetE0EEEvT1_,"axG",@progbits,_ZN7rocprim17ROCPRIM_400000_NS6detail17trampoline_kernelINS0_14default_configENS1_33run_length_encode_config_selectorIfjNS0_4plusIjEEEEZZNS1_33reduce_by_key_impl_wrapped_configILNS1_25lookback_scan_determinismE0ES3_S7_PKfNS0_17constant_iteratorIjlEEPfPlSF_S6_NS0_8equal_toIfEEEE10hipError_tPvRmT2_T3_mT4_T5_T6_T7_T8_P12ihipStream_tbENKUlT_T0_E_clISt17integral_constantIbLb0EESZ_EEDaSU_SV_EUlSU_E_NS1_11comp_targetILNS1_3genE10ELNS1_11target_archE1200ELNS1_3gpuE4ELNS1_3repE0EEENS1_30default_config_static_selectorELNS0_4arch9wavefront6targetE0EEEvT1_,comdat
.Lfunc_end379:
	.size	_ZN7rocprim17ROCPRIM_400000_NS6detail17trampoline_kernelINS0_14default_configENS1_33run_length_encode_config_selectorIfjNS0_4plusIjEEEEZZNS1_33reduce_by_key_impl_wrapped_configILNS1_25lookback_scan_determinismE0ES3_S7_PKfNS0_17constant_iteratorIjlEEPfPlSF_S6_NS0_8equal_toIfEEEE10hipError_tPvRmT2_T3_mT4_T5_T6_T7_T8_P12ihipStream_tbENKUlT_T0_E_clISt17integral_constantIbLb0EESZ_EEDaSU_SV_EUlSU_E_NS1_11comp_targetILNS1_3genE10ELNS1_11target_archE1200ELNS1_3gpuE4ELNS1_3repE0EEENS1_30default_config_static_selectorELNS0_4arch9wavefront6targetE0EEEvT1_, .Lfunc_end379-_ZN7rocprim17ROCPRIM_400000_NS6detail17trampoline_kernelINS0_14default_configENS1_33run_length_encode_config_selectorIfjNS0_4plusIjEEEEZZNS1_33reduce_by_key_impl_wrapped_configILNS1_25lookback_scan_determinismE0ES3_S7_PKfNS0_17constant_iteratorIjlEEPfPlSF_S6_NS0_8equal_toIfEEEE10hipError_tPvRmT2_T3_mT4_T5_T6_T7_T8_P12ihipStream_tbENKUlT_T0_E_clISt17integral_constantIbLb0EESZ_EEDaSU_SV_EUlSU_E_NS1_11comp_targetILNS1_3genE10ELNS1_11target_archE1200ELNS1_3gpuE4ELNS1_3repE0EEENS1_30default_config_static_selectorELNS0_4arch9wavefront6targetE0EEEvT1_
                                        ; -- End function
	.set _ZN7rocprim17ROCPRIM_400000_NS6detail17trampoline_kernelINS0_14default_configENS1_33run_length_encode_config_selectorIfjNS0_4plusIjEEEEZZNS1_33reduce_by_key_impl_wrapped_configILNS1_25lookback_scan_determinismE0ES3_S7_PKfNS0_17constant_iteratorIjlEEPfPlSF_S6_NS0_8equal_toIfEEEE10hipError_tPvRmT2_T3_mT4_T5_T6_T7_T8_P12ihipStream_tbENKUlT_T0_E_clISt17integral_constantIbLb0EESZ_EEDaSU_SV_EUlSU_E_NS1_11comp_targetILNS1_3genE10ELNS1_11target_archE1200ELNS1_3gpuE4ELNS1_3repE0EEENS1_30default_config_static_selectorELNS0_4arch9wavefront6targetE0EEEvT1_.num_vgpr, 0
	.set _ZN7rocprim17ROCPRIM_400000_NS6detail17trampoline_kernelINS0_14default_configENS1_33run_length_encode_config_selectorIfjNS0_4plusIjEEEEZZNS1_33reduce_by_key_impl_wrapped_configILNS1_25lookback_scan_determinismE0ES3_S7_PKfNS0_17constant_iteratorIjlEEPfPlSF_S6_NS0_8equal_toIfEEEE10hipError_tPvRmT2_T3_mT4_T5_T6_T7_T8_P12ihipStream_tbENKUlT_T0_E_clISt17integral_constantIbLb0EESZ_EEDaSU_SV_EUlSU_E_NS1_11comp_targetILNS1_3genE10ELNS1_11target_archE1200ELNS1_3gpuE4ELNS1_3repE0EEENS1_30default_config_static_selectorELNS0_4arch9wavefront6targetE0EEEvT1_.num_agpr, 0
	.set _ZN7rocprim17ROCPRIM_400000_NS6detail17trampoline_kernelINS0_14default_configENS1_33run_length_encode_config_selectorIfjNS0_4plusIjEEEEZZNS1_33reduce_by_key_impl_wrapped_configILNS1_25lookback_scan_determinismE0ES3_S7_PKfNS0_17constant_iteratorIjlEEPfPlSF_S6_NS0_8equal_toIfEEEE10hipError_tPvRmT2_T3_mT4_T5_T6_T7_T8_P12ihipStream_tbENKUlT_T0_E_clISt17integral_constantIbLb0EESZ_EEDaSU_SV_EUlSU_E_NS1_11comp_targetILNS1_3genE10ELNS1_11target_archE1200ELNS1_3gpuE4ELNS1_3repE0EEENS1_30default_config_static_selectorELNS0_4arch9wavefront6targetE0EEEvT1_.numbered_sgpr, 0
	.set _ZN7rocprim17ROCPRIM_400000_NS6detail17trampoline_kernelINS0_14default_configENS1_33run_length_encode_config_selectorIfjNS0_4plusIjEEEEZZNS1_33reduce_by_key_impl_wrapped_configILNS1_25lookback_scan_determinismE0ES3_S7_PKfNS0_17constant_iteratorIjlEEPfPlSF_S6_NS0_8equal_toIfEEEE10hipError_tPvRmT2_T3_mT4_T5_T6_T7_T8_P12ihipStream_tbENKUlT_T0_E_clISt17integral_constantIbLb0EESZ_EEDaSU_SV_EUlSU_E_NS1_11comp_targetILNS1_3genE10ELNS1_11target_archE1200ELNS1_3gpuE4ELNS1_3repE0EEENS1_30default_config_static_selectorELNS0_4arch9wavefront6targetE0EEEvT1_.num_named_barrier, 0
	.set _ZN7rocprim17ROCPRIM_400000_NS6detail17trampoline_kernelINS0_14default_configENS1_33run_length_encode_config_selectorIfjNS0_4plusIjEEEEZZNS1_33reduce_by_key_impl_wrapped_configILNS1_25lookback_scan_determinismE0ES3_S7_PKfNS0_17constant_iteratorIjlEEPfPlSF_S6_NS0_8equal_toIfEEEE10hipError_tPvRmT2_T3_mT4_T5_T6_T7_T8_P12ihipStream_tbENKUlT_T0_E_clISt17integral_constantIbLb0EESZ_EEDaSU_SV_EUlSU_E_NS1_11comp_targetILNS1_3genE10ELNS1_11target_archE1200ELNS1_3gpuE4ELNS1_3repE0EEENS1_30default_config_static_selectorELNS0_4arch9wavefront6targetE0EEEvT1_.private_seg_size, 0
	.set _ZN7rocprim17ROCPRIM_400000_NS6detail17trampoline_kernelINS0_14default_configENS1_33run_length_encode_config_selectorIfjNS0_4plusIjEEEEZZNS1_33reduce_by_key_impl_wrapped_configILNS1_25lookback_scan_determinismE0ES3_S7_PKfNS0_17constant_iteratorIjlEEPfPlSF_S6_NS0_8equal_toIfEEEE10hipError_tPvRmT2_T3_mT4_T5_T6_T7_T8_P12ihipStream_tbENKUlT_T0_E_clISt17integral_constantIbLb0EESZ_EEDaSU_SV_EUlSU_E_NS1_11comp_targetILNS1_3genE10ELNS1_11target_archE1200ELNS1_3gpuE4ELNS1_3repE0EEENS1_30default_config_static_selectorELNS0_4arch9wavefront6targetE0EEEvT1_.uses_vcc, 0
	.set _ZN7rocprim17ROCPRIM_400000_NS6detail17trampoline_kernelINS0_14default_configENS1_33run_length_encode_config_selectorIfjNS0_4plusIjEEEEZZNS1_33reduce_by_key_impl_wrapped_configILNS1_25lookback_scan_determinismE0ES3_S7_PKfNS0_17constant_iteratorIjlEEPfPlSF_S6_NS0_8equal_toIfEEEE10hipError_tPvRmT2_T3_mT4_T5_T6_T7_T8_P12ihipStream_tbENKUlT_T0_E_clISt17integral_constantIbLb0EESZ_EEDaSU_SV_EUlSU_E_NS1_11comp_targetILNS1_3genE10ELNS1_11target_archE1200ELNS1_3gpuE4ELNS1_3repE0EEENS1_30default_config_static_selectorELNS0_4arch9wavefront6targetE0EEEvT1_.uses_flat_scratch, 0
	.set _ZN7rocprim17ROCPRIM_400000_NS6detail17trampoline_kernelINS0_14default_configENS1_33run_length_encode_config_selectorIfjNS0_4plusIjEEEEZZNS1_33reduce_by_key_impl_wrapped_configILNS1_25lookback_scan_determinismE0ES3_S7_PKfNS0_17constant_iteratorIjlEEPfPlSF_S6_NS0_8equal_toIfEEEE10hipError_tPvRmT2_T3_mT4_T5_T6_T7_T8_P12ihipStream_tbENKUlT_T0_E_clISt17integral_constantIbLb0EESZ_EEDaSU_SV_EUlSU_E_NS1_11comp_targetILNS1_3genE10ELNS1_11target_archE1200ELNS1_3gpuE4ELNS1_3repE0EEENS1_30default_config_static_selectorELNS0_4arch9wavefront6targetE0EEEvT1_.has_dyn_sized_stack, 0
	.set _ZN7rocprim17ROCPRIM_400000_NS6detail17trampoline_kernelINS0_14default_configENS1_33run_length_encode_config_selectorIfjNS0_4plusIjEEEEZZNS1_33reduce_by_key_impl_wrapped_configILNS1_25lookback_scan_determinismE0ES3_S7_PKfNS0_17constant_iteratorIjlEEPfPlSF_S6_NS0_8equal_toIfEEEE10hipError_tPvRmT2_T3_mT4_T5_T6_T7_T8_P12ihipStream_tbENKUlT_T0_E_clISt17integral_constantIbLb0EESZ_EEDaSU_SV_EUlSU_E_NS1_11comp_targetILNS1_3genE10ELNS1_11target_archE1200ELNS1_3gpuE4ELNS1_3repE0EEENS1_30default_config_static_selectorELNS0_4arch9wavefront6targetE0EEEvT1_.has_recursion, 0
	.set _ZN7rocprim17ROCPRIM_400000_NS6detail17trampoline_kernelINS0_14default_configENS1_33run_length_encode_config_selectorIfjNS0_4plusIjEEEEZZNS1_33reduce_by_key_impl_wrapped_configILNS1_25lookback_scan_determinismE0ES3_S7_PKfNS0_17constant_iteratorIjlEEPfPlSF_S6_NS0_8equal_toIfEEEE10hipError_tPvRmT2_T3_mT4_T5_T6_T7_T8_P12ihipStream_tbENKUlT_T0_E_clISt17integral_constantIbLb0EESZ_EEDaSU_SV_EUlSU_E_NS1_11comp_targetILNS1_3genE10ELNS1_11target_archE1200ELNS1_3gpuE4ELNS1_3repE0EEENS1_30default_config_static_selectorELNS0_4arch9wavefront6targetE0EEEvT1_.has_indirect_call, 0
	.section	.AMDGPU.csdata,"",@progbits
; Kernel info:
; codeLenInByte = 0
; TotalNumSgprs: 0
; NumVgprs: 0
; ScratchSize: 0
; MemoryBound: 0
; FloatMode: 240
; IeeeMode: 1
; LDSByteSize: 0 bytes/workgroup (compile time only)
; SGPRBlocks: 0
; VGPRBlocks: 0
; NumSGPRsForWavesPerEU: 1
; NumVGPRsForWavesPerEU: 1
; NamedBarCnt: 0
; Occupancy: 16
; WaveLimiterHint : 0
; COMPUTE_PGM_RSRC2:SCRATCH_EN: 0
; COMPUTE_PGM_RSRC2:USER_SGPR: 2
; COMPUTE_PGM_RSRC2:TRAP_HANDLER: 0
; COMPUTE_PGM_RSRC2:TGID_X_EN: 1
; COMPUTE_PGM_RSRC2:TGID_Y_EN: 0
; COMPUTE_PGM_RSRC2:TGID_Z_EN: 0
; COMPUTE_PGM_RSRC2:TIDIG_COMP_CNT: 0
	.section	.text._ZN7rocprim17ROCPRIM_400000_NS6detail17trampoline_kernelINS0_14default_configENS1_33run_length_encode_config_selectorIfjNS0_4plusIjEEEEZZNS1_33reduce_by_key_impl_wrapped_configILNS1_25lookback_scan_determinismE0ES3_S7_PKfNS0_17constant_iteratorIjlEEPfPlSF_S6_NS0_8equal_toIfEEEE10hipError_tPvRmT2_T3_mT4_T5_T6_T7_T8_P12ihipStream_tbENKUlT_T0_E_clISt17integral_constantIbLb0EESZ_EEDaSU_SV_EUlSU_E_NS1_11comp_targetILNS1_3genE9ELNS1_11target_archE1100ELNS1_3gpuE3ELNS1_3repE0EEENS1_30default_config_static_selectorELNS0_4arch9wavefront6targetE0EEEvT1_,"axG",@progbits,_ZN7rocprim17ROCPRIM_400000_NS6detail17trampoline_kernelINS0_14default_configENS1_33run_length_encode_config_selectorIfjNS0_4plusIjEEEEZZNS1_33reduce_by_key_impl_wrapped_configILNS1_25lookback_scan_determinismE0ES3_S7_PKfNS0_17constant_iteratorIjlEEPfPlSF_S6_NS0_8equal_toIfEEEE10hipError_tPvRmT2_T3_mT4_T5_T6_T7_T8_P12ihipStream_tbENKUlT_T0_E_clISt17integral_constantIbLb0EESZ_EEDaSU_SV_EUlSU_E_NS1_11comp_targetILNS1_3genE9ELNS1_11target_archE1100ELNS1_3gpuE3ELNS1_3repE0EEENS1_30default_config_static_selectorELNS0_4arch9wavefront6targetE0EEEvT1_,comdat
	.protected	_ZN7rocprim17ROCPRIM_400000_NS6detail17trampoline_kernelINS0_14default_configENS1_33run_length_encode_config_selectorIfjNS0_4plusIjEEEEZZNS1_33reduce_by_key_impl_wrapped_configILNS1_25lookback_scan_determinismE0ES3_S7_PKfNS0_17constant_iteratorIjlEEPfPlSF_S6_NS0_8equal_toIfEEEE10hipError_tPvRmT2_T3_mT4_T5_T6_T7_T8_P12ihipStream_tbENKUlT_T0_E_clISt17integral_constantIbLb0EESZ_EEDaSU_SV_EUlSU_E_NS1_11comp_targetILNS1_3genE9ELNS1_11target_archE1100ELNS1_3gpuE3ELNS1_3repE0EEENS1_30default_config_static_selectorELNS0_4arch9wavefront6targetE0EEEvT1_ ; -- Begin function _ZN7rocprim17ROCPRIM_400000_NS6detail17trampoline_kernelINS0_14default_configENS1_33run_length_encode_config_selectorIfjNS0_4plusIjEEEEZZNS1_33reduce_by_key_impl_wrapped_configILNS1_25lookback_scan_determinismE0ES3_S7_PKfNS0_17constant_iteratorIjlEEPfPlSF_S6_NS0_8equal_toIfEEEE10hipError_tPvRmT2_T3_mT4_T5_T6_T7_T8_P12ihipStream_tbENKUlT_T0_E_clISt17integral_constantIbLb0EESZ_EEDaSU_SV_EUlSU_E_NS1_11comp_targetILNS1_3genE9ELNS1_11target_archE1100ELNS1_3gpuE3ELNS1_3repE0EEENS1_30default_config_static_selectorELNS0_4arch9wavefront6targetE0EEEvT1_
	.globl	_ZN7rocprim17ROCPRIM_400000_NS6detail17trampoline_kernelINS0_14default_configENS1_33run_length_encode_config_selectorIfjNS0_4plusIjEEEEZZNS1_33reduce_by_key_impl_wrapped_configILNS1_25lookback_scan_determinismE0ES3_S7_PKfNS0_17constant_iteratorIjlEEPfPlSF_S6_NS0_8equal_toIfEEEE10hipError_tPvRmT2_T3_mT4_T5_T6_T7_T8_P12ihipStream_tbENKUlT_T0_E_clISt17integral_constantIbLb0EESZ_EEDaSU_SV_EUlSU_E_NS1_11comp_targetILNS1_3genE9ELNS1_11target_archE1100ELNS1_3gpuE3ELNS1_3repE0EEENS1_30default_config_static_selectorELNS0_4arch9wavefront6targetE0EEEvT1_
	.p2align	8
	.type	_ZN7rocprim17ROCPRIM_400000_NS6detail17trampoline_kernelINS0_14default_configENS1_33run_length_encode_config_selectorIfjNS0_4plusIjEEEEZZNS1_33reduce_by_key_impl_wrapped_configILNS1_25lookback_scan_determinismE0ES3_S7_PKfNS0_17constant_iteratorIjlEEPfPlSF_S6_NS0_8equal_toIfEEEE10hipError_tPvRmT2_T3_mT4_T5_T6_T7_T8_P12ihipStream_tbENKUlT_T0_E_clISt17integral_constantIbLb0EESZ_EEDaSU_SV_EUlSU_E_NS1_11comp_targetILNS1_3genE9ELNS1_11target_archE1100ELNS1_3gpuE3ELNS1_3repE0EEENS1_30default_config_static_selectorELNS0_4arch9wavefront6targetE0EEEvT1_,@function
_ZN7rocprim17ROCPRIM_400000_NS6detail17trampoline_kernelINS0_14default_configENS1_33run_length_encode_config_selectorIfjNS0_4plusIjEEEEZZNS1_33reduce_by_key_impl_wrapped_configILNS1_25lookback_scan_determinismE0ES3_S7_PKfNS0_17constant_iteratorIjlEEPfPlSF_S6_NS0_8equal_toIfEEEE10hipError_tPvRmT2_T3_mT4_T5_T6_T7_T8_P12ihipStream_tbENKUlT_T0_E_clISt17integral_constantIbLb0EESZ_EEDaSU_SV_EUlSU_E_NS1_11comp_targetILNS1_3genE9ELNS1_11target_archE1100ELNS1_3gpuE3ELNS1_3repE0EEENS1_30default_config_static_selectorELNS0_4arch9wavefront6targetE0EEEvT1_: ; @_ZN7rocprim17ROCPRIM_400000_NS6detail17trampoline_kernelINS0_14default_configENS1_33run_length_encode_config_selectorIfjNS0_4plusIjEEEEZZNS1_33reduce_by_key_impl_wrapped_configILNS1_25lookback_scan_determinismE0ES3_S7_PKfNS0_17constant_iteratorIjlEEPfPlSF_S6_NS0_8equal_toIfEEEE10hipError_tPvRmT2_T3_mT4_T5_T6_T7_T8_P12ihipStream_tbENKUlT_T0_E_clISt17integral_constantIbLb0EESZ_EEDaSU_SV_EUlSU_E_NS1_11comp_targetILNS1_3genE9ELNS1_11target_archE1100ELNS1_3gpuE3ELNS1_3repE0EEENS1_30default_config_static_selectorELNS0_4arch9wavefront6targetE0EEEvT1_
; %bb.0:
	.section	.rodata,"a",@progbits
	.p2align	6, 0x0
	.amdhsa_kernel _ZN7rocprim17ROCPRIM_400000_NS6detail17trampoline_kernelINS0_14default_configENS1_33run_length_encode_config_selectorIfjNS0_4plusIjEEEEZZNS1_33reduce_by_key_impl_wrapped_configILNS1_25lookback_scan_determinismE0ES3_S7_PKfNS0_17constant_iteratorIjlEEPfPlSF_S6_NS0_8equal_toIfEEEE10hipError_tPvRmT2_T3_mT4_T5_T6_T7_T8_P12ihipStream_tbENKUlT_T0_E_clISt17integral_constantIbLb0EESZ_EEDaSU_SV_EUlSU_E_NS1_11comp_targetILNS1_3genE9ELNS1_11target_archE1100ELNS1_3gpuE3ELNS1_3repE0EEENS1_30default_config_static_selectorELNS0_4arch9wavefront6targetE0EEEvT1_
		.amdhsa_group_segment_fixed_size 0
		.amdhsa_private_segment_fixed_size 0
		.amdhsa_kernarg_size 128
		.amdhsa_user_sgpr_count 2
		.amdhsa_user_sgpr_dispatch_ptr 0
		.amdhsa_user_sgpr_queue_ptr 0
		.amdhsa_user_sgpr_kernarg_segment_ptr 1
		.amdhsa_user_sgpr_dispatch_id 0
		.amdhsa_user_sgpr_kernarg_preload_length 0
		.amdhsa_user_sgpr_kernarg_preload_offset 0
		.amdhsa_user_sgpr_private_segment_size 0
		.amdhsa_wavefront_size32 1
		.amdhsa_uses_dynamic_stack 0
		.amdhsa_enable_private_segment 0
		.amdhsa_system_sgpr_workgroup_id_x 1
		.amdhsa_system_sgpr_workgroup_id_y 0
		.amdhsa_system_sgpr_workgroup_id_z 0
		.amdhsa_system_sgpr_workgroup_info 0
		.amdhsa_system_vgpr_workitem_id 0
		.amdhsa_next_free_vgpr 1
		.amdhsa_next_free_sgpr 1
		.amdhsa_named_barrier_count 0
		.amdhsa_reserve_vcc 0
		.amdhsa_float_round_mode_32 0
		.amdhsa_float_round_mode_16_64 0
		.amdhsa_float_denorm_mode_32 3
		.amdhsa_float_denorm_mode_16_64 3
		.amdhsa_fp16_overflow 0
		.amdhsa_memory_ordered 1
		.amdhsa_forward_progress 1
		.amdhsa_inst_pref_size 0
		.amdhsa_round_robin_scheduling 0
		.amdhsa_exception_fp_ieee_invalid_op 0
		.amdhsa_exception_fp_denorm_src 0
		.amdhsa_exception_fp_ieee_div_zero 0
		.amdhsa_exception_fp_ieee_overflow 0
		.amdhsa_exception_fp_ieee_underflow 0
		.amdhsa_exception_fp_ieee_inexact 0
		.amdhsa_exception_int_div_zero 0
	.end_amdhsa_kernel
	.section	.text._ZN7rocprim17ROCPRIM_400000_NS6detail17trampoline_kernelINS0_14default_configENS1_33run_length_encode_config_selectorIfjNS0_4plusIjEEEEZZNS1_33reduce_by_key_impl_wrapped_configILNS1_25lookback_scan_determinismE0ES3_S7_PKfNS0_17constant_iteratorIjlEEPfPlSF_S6_NS0_8equal_toIfEEEE10hipError_tPvRmT2_T3_mT4_T5_T6_T7_T8_P12ihipStream_tbENKUlT_T0_E_clISt17integral_constantIbLb0EESZ_EEDaSU_SV_EUlSU_E_NS1_11comp_targetILNS1_3genE9ELNS1_11target_archE1100ELNS1_3gpuE3ELNS1_3repE0EEENS1_30default_config_static_selectorELNS0_4arch9wavefront6targetE0EEEvT1_,"axG",@progbits,_ZN7rocprim17ROCPRIM_400000_NS6detail17trampoline_kernelINS0_14default_configENS1_33run_length_encode_config_selectorIfjNS0_4plusIjEEEEZZNS1_33reduce_by_key_impl_wrapped_configILNS1_25lookback_scan_determinismE0ES3_S7_PKfNS0_17constant_iteratorIjlEEPfPlSF_S6_NS0_8equal_toIfEEEE10hipError_tPvRmT2_T3_mT4_T5_T6_T7_T8_P12ihipStream_tbENKUlT_T0_E_clISt17integral_constantIbLb0EESZ_EEDaSU_SV_EUlSU_E_NS1_11comp_targetILNS1_3genE9ELNS1_11target_archE1100ELNS1_3gpuE3ELNS1_3repE0EEENS1_30default_config_static_selectorELNS0_4arch9wavefront6targetE0EEEvT1_,comdat
.Lfunc_end380:
	.size	_ZN7rocprim17ROCPRIM_400000_NS6detail17trampoline_kernelINS0_14default_configENS1_33run_length_encode_config_selectorIfjNS0_4plusIjEEEEZZNS1_33reduce_by_key_impl_wrapped_configILNS1_25lookback_scan_determinismE0ES3_S7_PKfNS0_17constant_iteratorIjlEEPfPlSF_S6_NS0_8equal_toIfEEEE10hipError_tPvRmT2_T3_mT4_T5_T6_T7_T8_P12ihipStream_tbENKUlT_T0_E_clISt17integral_constantIbLb0EESZ_EEDaSU_SV_EUlSU_E_NS1_11comp_targetILNS1_3genE9ELNS1_11target_archE1100ELNS1_3gpuE3ELNS1_3repE0EEENS1_30default_config_static_selectorELNS0_4arch9wavefront6targetE0EEEvT1_, .Lfunc_end380-_ZN7rocprim17ROCPRIM_400000_NS6detail17trampoline_kernelINS0_14default_configENS1_33run_length_encode_config_selectorIfjNS0_4plusIjEEEEZZNS1_33reduce_by_key_impl_wrapped_configILNS1_25lookback_scan_determinismE0ES3_S7_PKfNS0_17constant_iteratorIjlEEPfPlSF_S6_NS0_8equal_toIfEEEE10hipError_tPvRmT2_T3_mT4_T5_T6_T7_T8_P12ihipStream_tbENKUlT_T0_E_clISt17integral_constantIbLb0EESZ_EEDaSU_SV_EUlSU_E_NS1_11comp_targetILNS1_3genE9ELNS1_11target_archE1100ELNS1_3gpuE3ELNS1_3repE0EEENS1_30default_config_static_selectorELNS0_4arch9wavefront6targetE0EEEvT1_
                                        ; -- End function
	.set _ZN7rocprim17ROCPRIM_400000_NS6detail17trampoline_kernelINS0_14default_configENS1_33run_length_encode_config_selectorIfjNS0_4plusIjEEEEZZNS1_33reduce_by_key_impl_wrapped_configILNS1_25lookback_scan_determinismE0ES3_S7_PKfNS0_17constant_iteratorIjlEEPfPlSF_S6_NS0_8equal_toIfEEEE10hipError_tPvRmT2_T3_mT4_T5_T6_T7_T8_P12ihipStream_tbENKUlT_T0_E_clISt17integral_constantIbLb0EESZ_EEDaSU_SV_EUlSU_E_NS1_11comp_targetILNS1_3genE9ELNS1_11target_archE1100ELNS1_3gpuE3ELNS1_3repE0EEENS1_30default_config_static_selectorELNS0_4arch9wavefront6targetE0EEEvT1_.num_vgpr, 0
	.set _ZN7rocprim17ROCPRIM_400000_NS6detail17trampoline_kernelINS0_14default_configENS1_33run_length_encode_config_selectorIfjNS0_4plusIjEEEEZZNS1_33reduce_by_key_impl_wrapped_configILNS1_25lookback_scan_determinismE0ES3_S7_PKfNS0_17constant_iteratorIjlEEPfPlSF_S6_NS0_8equal_toIfEEEE10hipError_tPvRmT2_T3_mT4_T5_T6_T7_T8_P12ihipStream_tbENKUlT_T0_E_clISt17integral_constantIbLb0EESZ_EEDaSU_SV_EUlSU_E_NS1_11comp_targetILNS1_3genE9ELNS1_11target_archE1100ELNS1_3gpuE3ELNS1_3repE0EEENS1_30default_config_static_selectorELNS0_4arch9wavefront6targetE0EEEvT1_.num_agpr, 0
	.set _ZN7rocprim17ROCPRIM_400000_NS6detail17trampoline_kernelINS0_14default_configENS1_33run_length_encode_config_selectorIfjNS0_4plusIjEEEEZZNS1_33reduce_by_key_impl_wrapped_configILNS1_25lookback_scan_determinismE0ES3_S7_PKfNS0_17constant_iteratorIjlEEPfPlSF_S6_NS0_8equal_toIfEEEE10hipError_tPvRmT2_T3_mT4_T5_T6_T7_T8_P12ihipStream_tbENKUlT_T0_E_clISt17integral_constantIbLb0EESZ_EEDaSU_SV_EUlSU_E_NS1_11comp_targetILNS1_3genE9ELNS1_11target_archE1100ELNS1_3gpuE3ELNS1_3repE0EEENS1_30default_config_static_selectorELNS0_4arch9wavefront6targetE0EEEvT1_.numbered_sgpr, 0
	.set _ZN7rocprim17ROCPRIM_400000_NS6detail17trampoline_kernelINS0_14default_configENS1_33run_length_encode_config_selectorIfjNS0_4plusIjEEEEZZNS1_33reduce_by_key_impl_wrapped_configILNS1_25lookback_scan_determinismE0ES3_S7_PKfNS0_17constant_iteratorIjlEEPfPlSF_S6_NS0_8equal_toIfEEEE10hipError_tPvRmT2_T3_mT4_T5_T6_T7_T8_P12ihipStream_tbENKUlT_T0_E_clISt17integral_constantIbLb0EESZ_EEDaSU_SV_EUlSU_E_NS1_11comp_targetILNS1_3genE9ELNS1_11target_archE1100ELNS1_3gpuE3ELNS1_3repE0EEENS1_30default_config_static_selectorELNS0_4arch9wavefront6targetE0EEEvT1_.num_named_barrier, 0
	.set _ZN7rocprim17ROCPRIM_400000_NS6detail17trampoline_kernelINS0_14default_configENS1_33run_length_encode_config_selectorIfjNS0_4plusIjEEEEZZNS1_33reduce_by_key_impl_wrapped_configILNS1_25lookback_scan_determinismE0ES3_S7_PKfNS0_17constant_iteratorIjlEEPfPlSF_S6_NS0_8equal_toIfEEEE10hipError_tPvRmT2_T3_mT4_T5_T6_T7_T8_P12ihipStream_tbENKUlT_T0_E_clISt17integral_constantIbLb0EESZ_EEDaSU_SV_EUlSU_E_NS1_11comp_targetILNS1_3genE9ELNS1_11target_archE1100ELNS1_3gpuE3ELNS1_3repE0EEENS1_30default_config_static_selectorELNS0_4arch9wavefront6targetE0EEEvT1_.private_seg_size, 0
	.set _ZN7rocprim17ROCPRIM_400000_NS6detail17trampoline_kernelINS0_14default_configENS1_33run_length_encode_config_selectorIfjNS0_4plusIjEEEEZZNS1_33reduce_by_key_impl_wrapped_configILNS1_25lookback_scan_determinismE0ES3_S7_PKfNS0_17constant_iteratorIjlEEPfPlSF_S6_NS0_8equal_toIfEEEE10hipError_tPvRmT2_T3_mT4_T5_T6_T7_T8_P12ihipStream_tbENKUlT_T0_E_clISt17integral_constantIbLb0EESZ_EEDaSU_SV_EUlSU_E_NS1_11comp_targetILNS1_3genE9ELNS1_11target_archE1100ELNS1_3gpuE3ELNS1_3repE0EEENS1_30default_config_static_selectorELNS0_4arch9wavefront6targetE0EEEvT1_.uses_vcc, 0
	.set _ZN7rocprim17ROCPRIM_400000_NS6detail17trampoline_kernelINS0_14default_configENS1_33run_length_encode_config_selectorIfjNS0_4plusIjEEEEZZNS1_33reduce_by_key_impl_wrapped_configILNS1_25lookback_scan_determinismE0ES3_S7_PKfNS0_17constant_iteratorIjlEEPfPlSF_S6_NS0_8equal_toIfEEEE10hipError_tPvRmT2_T3_mT4_T5_T6_T7_T8_P12ihipStream_tbENKUlT_T0_E_clISt17integral_constantIbLb0EESZ_EEDaSU_SV_EUlSU_E_NS1_11comp_targetILNS1_3genE9ELNS1_11target_archE1100ELNS1_3gpuE3ELNS1_3repE0EEENS1_30default_config_static_selectorELNS0_4arch9wavefront6targetE0EEEvT1_.uses_flat_scratch, 0
	.set _ZN7rocprim17ROCPRIM_400000_NS6detail17trampoline_kernelINS0_14default_configENS1_33run_length_encode_config_selectorIfjNS0_4plusIjEEEEZZNS1_33reduce_by_key_impl_wrapped_configILNS1_25lookback_scan_determinismE0ES3_S7_PKfNS0_17constant_iteratorIjlEEPfPlSF_S6_NS0_8equal_toIfEEEE10hipError_tPvRmT2_T3_mT4_T5_T6_T7_T8_P12ihipStream_tbENKUlT_T0_E_clISt17integral_constantIbLb0EESZ_EEDaSU_SV_EUlSU_E_NS1_11comp_targetILNS1_3genE9ELNS1_11target_archE1100ELNS1_3gpuE3ELNS1_3repE0EEENS1_30default_config_static_selectorELNS0_4arch9wavefront6targetE0EEEvT1_.has_dyn_sized_stack, 0
	.set _ZN7rocprim17ROCPRIM_400000_NS6detail17trampoline_kernelINS0_14default_configENS1_33run_length_encode_config_selectorIfjNS0_4plusIjEEEEZZNS1_33reduce_by_key_impl_wrapped_configILNS1_25lookback_scan_determinismE0ES3_S7_PKfNS0_17constant_iteratorIjlEEPfPlSF_S6_NS0_8equal_toIfEEEE10hipError_tPvRmT2_T3_mT4_T5_T6_T7_T8_P12ihipStream_tbENKUlT_T0_E_clISt17integral_constantIbLb0EESZ_EEDaSU_SV_EUlSU_E_NS1_11comp_targetILNS1_3genE9ELNS1_11target_archE1100ELNS1_3gpuE3ELNS1_3repE0EEENS1_30default_config_static_selectorELNS0_4arch9wavefront6targetE0EEEvT1_.has_recursion, 0
	.set _ZN7rocprim17ROCPRIM_400000_NS6detail17trampoline_kernelINS0_14default_configENS1_33run_length_encode_config_selectorIfjNS0_4plusIjEEEEZZNS1_33reduce_by_key_impl_wrapped_configILNS1_25lookback_scan_determinismE0ES3_S7_PKfNS0_17constant_iteratorIjlEEPfPlSF_S6_NS0_8equal_toIfEEEE10hipError_tPvRmT2_T3_mT4_T5_T6_T7_T8_P12ihipStream_tbENKUlT_T0_E_clISt17integral_constantIbLb0EESZ_EEDaSU_SV_EUlSU_E_NS1_11comp_targetILNS1_3genE9ELNS1_11target_archE1100ELNS1_3gpuE3ELNS1_3repE0EEENS1_30default_config_static_selectorELNS0_4arch9wavefront6targetE0EEEvT1_.has_indirect_call, 0
	.section	.AMDGPU.csdata,"",@progbits
; Kernel info:
; codeLenInByte = 0
; TotalNumSgprs: 0
; NumVgprs: 0
; ScratchSize: 0
; MemoryBound: 0
; FloatMode: 240
; IeeeMode: 1
; LDSByteSize: 0 bytes/workgroup (compile time only)
; SGPRBlocks: 0
; VGPRBlocks: 0
; NumSGPRsForWavesPerEU: 1
; NumVGPRsForWavesPerEU: 1
; NamedBarCnt: 0
; Occupancy: 16
; WaveLimiterHint : 0
; COMPUTE_PGM_RSRC2:SCRATCH_EN: 0
; COMPUTE_PGM_RSRC2:USER_SGPR: 2
; COMPUTE_PGM_RSRC2:TRAP_HANDLER: 0
; COMPUTE_PGM_RSRC2:TGID_X_EN: 1
; COMPUTE_PGM_RSRC2:TGID_Y_EN: 0
; COMPUTE_PGM_RSRC2:TGID_Z_EN: 0
; COMPUTE_PGM_RSRC2:TIDIG_COMP_CNT: 0
	.section	.text._ZN7rocprim17ROCPRIM_400000_NS6detail17trampoline_kernelINS0_14default_configENS1_33run_length_encode_config_selectorIfjNS0_4plusIjEEEEZZNS1_33reduce_by_key_impl_wrapped_configILNS1_25lookback_scan_determinismE0ES3_S7_PKfNS0_17constant_iteratorIjlEEPfPlSF_S6_NS0_8equal_toIfEEEE10hipError_tPvRmT2_T3_mT4_T5_T6_T7_T8_P12ihipStream_tbENKUlT_T0_E_clISt17integral_constantIbLb0EESZ_EEDaSU_SV_EUlSU_E_NS1_11comp_targetILNS1_3genE8ELNS1_11target_archE1030ELNS1_3gpuE2ELNS1_3repE0EEENS1_30default_config_static_selectorELNS0_4arch9wavefront6targetE0EEEvT1_,"axG",@progbits,_ZN7rocprim17ROCPRIM_400000_NS6detail17trampoline_kernelINS0_14default_configENS1_33run_length_encode_config_selectorIfjNS0_4plusIjEEEEZZNS1_33reduce_by_key_impl_wrapped_configILNS1_25lookback_scan_determinismE0ES3_S7_PKfNS0_17constant_iteratorIjlEEPfPlSF_S6_NS0_8equal_toIfEEEE10hipError_tPvRmT2_T3_mT4_T5_T6_T7_T8_P12ihipStream_tbENKUlT_T0_E_clISt17integral_constantIbLb0EESZ_EEDaSU_SV_EUlSU_E_NS1_11comp_targetILNS1_3genE8ELNS1_11target_archE1030ELNS1_3gpuE2ELNS1_3repE0EEENS1_30default_config_static_selectorELNS0_4arch9wavefront6targetE0EEEvT1_,comdat
	.protected	_ZN7rocprim17ROCPRIM_400000_NS6detail17trampoline_kernelINS0_14default_configENS1_33run_length_encode_config_selectorIfjNS0_4plusIjEEEEZZNS1_33reduce_by_key_impl_wrapped_configILNS1_25lookback_scan_determinismE0ES3_S7_PKfNS0_17constant_iteratorIjlEEPfPlSF_S6_NS0_8equal_toIfEEEE10hipError_tPvRmT2_T3_mT4_T5_T6_T7_T8_P12ihipStream_tbENKUlT_T0_E_clISt17integral_constantIbLb0EESZ_EEDaSU_SV_EUlSU_E_NS1_11comp_targetILNS1_3genE8ELNS1_11target_archE1030ELNS1_3gpuE2ELNS1_3repE0EEENS1_30default_config_static_selectorELNS0_4arch9wavefront6targetE0EEEvT1_ ; -- Begin function _ZN7rocprim17ROCPRIM_400000_NS6detail17trampoline_kernelINS0_14default_configENS1_33run_length_encode_config_selectorIfjNS0_4plusIjEEEEZZNS1_33reduce_by_key_impl_wrapped_configILNS1_25lookback_scan_determinismE0ES3_S7_PKfNS0_17constant_iteratorIjlEEPfPlSF_S6_NS0_8equal_toIfEEEE10hipError_tPvRmT2_T3_mT4_T5_T6_T7_T8_P12ihipStream_tbENKUlT_T0_E_clISt17integral_constantIbLb0EESZ_EEDaSU_SV_EUlSU_E_NS1_11comp_targetILNS1_3genE8ELNS1_11target_archE1030ELNS1_3gpuE2ELNS1_3repE0EEENS1_30default_config_static_selectorELNS0_4arch9wavefront6targetE0EEEvT1_
	.globl	_ZN7rocprim17ROCPRIM_400000_NS6detail17trampoline_kernelINS0_14default_configENS1_33run_length_encode_config_selectorIfjNS0_4plusIjEEEEZZNS1_33reduce_by_key_impl_wrapped_configILNS1_25lookback_scan_determinismE0ES3_S7_PKfNS0_17constant_iteratorIjlEEPfPlSF_S6_NS0_8equal_toIfEEEE10hipError_tPvRmT2_T3_mT4_T5_T6_T7_T8_P12ihipStream_tbENKUlT_T0_E_clISt17integral_constantIbLb0EESZ_EEDaSU_SV_EUlSU_E_NS1_11comp_targetILNS1_3genE8ELNS1_11target_archE1030ELNS1_3gpuE2ELNS1_3repE0EEENS1_30default_config_static_selectorELNS0_4arch9wavefront6targetE0EEEvT1_
	.p2align	8
	.type	_ZN7rocprim17ROCPRIM_400000_NS6detail17trampoline_kernelINS0_14default_configENS1_33run_length_encode_config_selectorIfjNS0_4plusIjEEEEZZNS1_33reduce_by_key_impl_wrapped_configILNS1_25lookback_scan_determinismE0ES3_S7_PKfNS0_17constant_iteratorIjlEEPfPlSF_S6_NS0_8equal_toIfEEEE10hipError_tPvRmT2_T3_mT4_T5_T6_T7_T8_P12ihipStream_tbENKUlT_T0_E_clISt17integral_constantIbLb0EESZ_EEDaSU_SV_EUlSU_E_NS1_11comp_targetILNS1_3genE8ELNS1_11target_archE1030ELNS1_3gpuE2ELNS1_3repE0EEENS1_30default_config_static_selectorELNS0_4arch9wavefront6targetE0EEEvT1_,@function
_ZN7rocprim17ROCPRIM_400000_NS6detail17trampoline_kernelINS0_14default_configENS1_33run_length_encode_config_selectorIfjNS0_4plusIjEEEEZZNS1_33reduce_by_key_impl_wrapped_configILNS1_25lookback_scan_determinismE0ES3_S7_PKfNS0_17constant_iteratorIjlEEPfPlSF_S6_NS0_8equal_toIfEEEE10hipError_tPvRmT2_T3_mT4_T5_T6_T7_T8_P12ihipStream_tbENKUlT_T0_E_clISt17integral_constantIbLb0EESZ_EEDaSU_SV_EUlSU_E_NS1_11comp_targetILNS1_3genE8ELNS1_11target_archE1030ELNS1_3gpuE2ELNS1_3repE0EEENS1_30default_config_static_selectorELNS0_4arch9wavefront6targetE0EEEvT1_: ; @_ZN7rocprim17ROCPRIM_400000_NS6detail17trampoline_kernelINS0_14default_configENS1_33run_length_encode_config_selectorIfjNS0_4plusIjEEEEZZNS1_33reduce_by_key_impl_wrapped_configILNS1_25lookback_scan_determinismE0ES3_S7_PKfNS0_17constant_iteratorIjlEEPfPlSF_S6_NS0_8equal_toIfEEEE10hipError_tPvRmT2_T3_mT4_T5_T6_T7_T8_P12ihipStream_tbENKUlT_T0_E_clISt17integral_constantIbLb0EESZ_EEDaSU_SV_EUlSU_E_NS1_11comp_targetILNS1_3genE8ELNS1_11target_archE1030ELNS1_3gpuE2ELNS1_3repE0EEENS1_30default_config_static_selectorELNS0_4arch9wavefront6targetE0EEEvT1_
; %bb.0:
	.section	.rodata,"a",@progbits
	.p2align	6, 0x0
	.amdhsa_kernel _ZN7rocprim17ROCPRIM_400000_NS6detail17trampoline_kernelINS0_14default_configENS1_33run_length_encode_config_selectorIfjNS0_4plusIjEEEEZZNS1_33reduce_by_key_impl_wrapped_configILNS1_25lookback_scan_determinismE0ES3_S7_PKfNS0_17constant_iteratorIjlEEPfPlSF_S6_NS0_8equal_toIfEEEE10hipError_tPvRmT2_T3_mT4_T5_T6_T7_T8_P12ihipStream_tbENKUlT_T0_E_clISt17integral_constantIbLb0EESZ_EEDaSU_SV_EUlSU_E_NS1_11comp_targetILNS1_3genE8ELNS1_11target_archE1030ELNS1_3gpuE2ELNS1_3repE0EEENS1_30default_config_static_selectorELNS0_4arch9wavefront6targetE0EEEvT1_
		.amdhsa_group_segment_fixed_size 0
		.amdhsa_private_segment_fixed_size 0
		.amdhsa_kernarg_size 128
		.amdhsa_user_sgpr_count 2
		.amdhsa_user_sgpr_dispatch_ptr 0
		.amdhsa_user_sgpr_queue_ptr 0
		.amdhsa_user_sgpr_kernarg_segment_ptr 1
		.amdhsa_user_sgpr_dispatch_id 0
		.amdhsa_user_sgpr_kernarg_preload_length 0
		.amdhsa_user_sgpr_kernarg_preload_offset 0
		.amdhsa_user_sgpr_private_segment_size 0
		.amdhsa_wavefront_size32 1
		.amdhsa_uses_dynamic_stack 0
		.amdhsa_enable_private_segment 0
		.amdhsa_system_sgpr_workgroup_id_x 1
		.amdhsa_system_sgpr_workgroup_id_y 0
		.amdhsa_system_sgpr_workgroup_id_z 0
		.amdhsa_system_sgpr_workgroup_info 0
		.amdhsa_system_vgpr_workitem_id 0
		.amdhsa_next_free_vgpr 1
		.amdhsa_next_free_sgpr 1
		.amdhsa_named_barrier_count 0
		.amdhsa_reserve_vcc 0
		.amdhsa_float_round_mode_32 0
		.amdhsa_float_round_mode_16_64 0
		.amdhsa_float_denorm_mode_32 3
		.amdhsa_float_denorm_mode_16_64 3
		.amdhsa_fp16_overflow 0
		.amdhsa_memory_ordered 1
		.amdhsa_forward_progress 1
		.amdhsa_inst_pref_size 0
		.amdhsa_round_robin_scheduling 0
		.amdhsa_exception_fp_ieee_invalid_op 0
		.amdhsa_exception_fp_denorm_src 0
		.amdhsa_exception_fp_ieee_div_zero 0
		.amdhsa_exception_fp_ieee_overflow 0
		.amdhsa_exception_fp_ieee_underflow 0
		.amdhsa_exception_fp_ieee_inexact 0
		.amdhsa_exception_int_div_zero 0
	.end_amdhsa_kernel
	.section	.text._ZN7rocprim17ROCPRIM_400000_NS6detail17trampoline_kernelINS0_14default_configENS1_33run_length_encode_config_selectorIfjNS0_4plusIjEEEEZZNS1_33reduce_by_key_impl_wrapped_configILNS1_25lookback_scan_determinismE0ES3_S7_PKfNS0_17constant_iteratorIjlEEPfPlSF_S6_NS0_8equal_toIfEEEE10hipError_tPvRmT2_T3_mT4_T5_T6_T7_T8_P12ihipStream_tbENKUlT_T0_E_clISt17integral_constantIbLb0EESZ_EEDaSU_SV_EUlSU_E_NS1_11comp_targetILNS1_3genE8ELNS1_11target_archE1030ELNS1_3gpuE2ELNS1_3repE0EEENS1_30default_config_static_selectorELNS0_4arch9wavefront6targetE0EEEvT1_,"axG",@progbits,_ZN7rocprim17ROCPRIM_400000_NS6detail17trampoline_kernelINS0_14default_configENS1_33run_length_encode_config_selectorIfjNS0_4plusIjEEEEZZNS1_33reduce_by_key_impl_wrapped_configILNS1_25lookback_scan_determinismE0ES3_S7_PKfNS0_17constant_iteratorIjlEEPfPlSF_S6_NS0_8equal_toIfEEEE10hipError_tPvRmT2_T3_mT4_T5_T6_T7_T8_P12ihipStream_tbENKUlT_T0_E_clISt17integral_constantIbLb0EESZ_EEDaSU_SV_EUlSU_E_NS1_11comp_targetILNS1_3genE8ELNS1_11target_archE1030ELNS1_3gpuE2ELNS1_3repE0EEENS1_30default_config_static_selectorELNS0_4arch9wavefront6targetE0EEEvT1_,comdat
.Lfunc_end381:
	.size	_ZN7rocprim17ROCPRIM_400000_NS6detail17trampoline_kernelINS0_14default_configENS1_33run_length_encode_config_selectorIfjNS0_4plusIjEEEEZZNS1_33reduce_by_key_impl_wrapped_configILNS1_25lookback_scan_determinismE0ES3_S7_PKfNS0_17constant_iteratorIjlEEPfPlSF_S6_NS0_8equal_toIfEEEE10hipError_tPvRmT2_T3_mT4_T5_T6_T7_T8_P12ihipStream_tbENKUlT_T0_E_clISt17integral_constantIbLb0EESZ_EEDaSU_SV_EUlSU_E_NS1_11comp_targetILNS1_3genE8ELNS1_11target_archE1030ELNS1_3gpuE2ELNS1_3repE0EEENS1_30default_config_static_selectorELNS0_4arch9wavefront6targetE0EEEvT1_, .Lfunc_end381-_ZN7rocprim17ROCPRIM_400000_NS6detail17trampoline_kernelINS0_14default_configENS1_33run_length_encode_config_selectorIfjNS0_4plusIjEEEEZZNS1_33reduce_by_key_impl_wrapped_configILNS1_25lookback_scan_determinismE0ES3_S7_PKfNS0_17constant_iteratorIjlEEPfPlSF_S6_NS0_8equal_toIfEEEE10hipError_tPvRmT2_T3_mT4_T5_T6_T7_T8_P12ihipStream_tbENKUlT_T0_E_clISt17integral_constantIbLb0EESZ_EEDaSU_SV_EUlSU_E_NS1_11comp_targetILNS1_3genE8ELNS1_11target_archE1030ELNS1_3gpuE2ELNS1_3repE0EEENS1_30default_config_static_selectorELNS0_4arch9wavefront6targetE0EEEvT1_
                                        ; -- End function
	.set _ZN7rocprim17ROCPRIM_400000_NS6detail17trampoline_kernelINS0_14default_configENS1_33run_length_encode_config_selectorIfjNS0_4plusIjEEEEZZNS1_33reduce_by_key_impl_wrapped_configILNS1_25lookback_scan_determinismE0ES3_S7_PKfNS0_17constant_iteratorIjlEEPfPlSF_S6_NS0_8equal_toIfEEEE10hipError_tPvRmT2_T3_mT4_T5_T6_T7_T8_P12ihipStream_tbENKUlT_T0_E_clISt17integral_constantIbLb0EESZ_EEDaSU_SV_EUlSU_E_NS1_11comp_targetILNS1_3genE8ELNS1_11target_archE1030ELNS1_3gpuE2ELNS1_3repE0EEENS1_30default_config_static_selectorELNS0_4arch9wavefront6targetE0EEEvT1_.num_vgpr, 0
	.set _ZN7rocprim17ROCPRIM_400000_NS6detail17trampoline_kernelINS0_14default_configENS1_33run_length_encode_config_selectorIfjNS0_4plusIjEEEEZZNS1_33reduce_by_key_impl_wrapped_configILNS1_25lookback_scan_determinismE0ES3_S7_PKfNS0_17constant_iteratorIjlEEPfPlSF_S6_NS0_8equal_toIfEEEE10hipError_tPvRmT2_T3_mT4_T5_T6_T7_T8_P12ihipStream_tbENKUlT_T0_E_clISt17integral_constantIbLb0EESZ_EEDaSU_SV_EUlSU_E_NS1_11comp_targetILNS1_3genE8ELNS1_11target_archE1030ELNS1_3gpuE2ELNS1_3repE0EEENS1_30default_config_static_selectorELNS0_4arch9wavefront6targetE0EEEvT1_.num_agpr, 0
	.set _ZN7rocprim17ROCPRIM_400000_NS6detail17trampoline_kernelINS0_14default_configENS1_33run_length_encode_config_selectorIfjNS0_4plusIjEEEEZZNS1_33reduce_by_key_impl_wrapped_configILNS1_25lookback_scan_determinismE0ES3_S7_PKfNS0_17constant_iteratorIjlEEPfPlSF_S6_NS0_8equal_toIfEEEE10hipError_tPvRmT2_T3_mT4_T5_T6_T7_T8_P12ihipStream_tbENKUlT_T0_E_clISt17integral_constantIbLb0EESZ_EEDaSU_SV_EUlSU_E_NS1_11comp_targetILNS1_3genE8ELNS1_11target_archE1030ELNS1_3gpuE2ELNS1_3repE0EEENS1_30default_config_static_selectorELNS0_4arch9wavefront6targetE0EEEvT1_.numbered_sgpr, 0
	.set _ZN7rocprim17ROCPRIM_400000_NS6detail17trampoline_kernelINS0_14default_configENS1_33run_length_encode_config_selectorIfjNS0_4plusIjEEEEZZNS1_33reduce_by_key_impl_wrapped_configILNS1_25lookback_scan_determinismE0ES3_S7_PKfNS0_17constant_iteratorIjlEEPfPlSF_S6_NS0_8equal_toIfEEEE10hipError_tPvRmT2_T3_mT4_T5_T6_T7_T8_P12ihipStream_tbENKUlT_T0_E_clISt17integral_constantIbLb0EESZ_EEDaSU_SV_EUlSU_E_NS1_11comp_targetILNS1_3genE8ELNS1_11target_archE1030ELNS1_3gpuE2ELNS1_3repE0EEENS1_30default_config_static_selectorELNS0_4arch9wavefront6targetE0EEEvT1_.num_named_barrier, 0
	.set _ZN7rocprim17ROCPRIM_400000_NS6detail17trampoline_kernelINS0_14default_configENS1_33run_length_encode_config_selectorIfjNS0_4plusIjEEEEZZNS1_33reduce_by_key_impl_wrapped_configILNS1_25lookback_scan_determinismE0ES3_S7_PKfNS0_17constant_iteratorIjlEEPfPlSF_S6_NS0_8equal_toIfEEEE10hipError_tPvRmT2_T3_mT4_T5_T6_T7_T8_P12ihipStream_tbENKUlT_T0_E_clISt17integral_constantIbLb0EESZ_EEDaSU_SV_EUlSU_E_NS1_11comp_targetILNS1_3genE8ELNS1_11target_archE1030ELNS1_3gpuE2ELNS1_3repE0EEENS1_30default_config_static_selectorELNS0_4arch9wavefront6targetE0EEEvT1_.private_seg_size, 0
	.set _ZN7rocprim17ROCPRIM_400000_NS6detail17trampoline_kernelINS0_14default_configENS1_33run_length_encode_config_selectorIfjNS0_4plusIjEEEEZZNS1_33reduce_by_key_impl_wrapped_configILNS1_25lookback_scan_determinismE0ES3_S7_PKfNS0_17constant_iteratorIjlEEPfPlSF_S6_NS0_8equal_toIfEEEE10hipError_tPvRmT2_T3_mT4_T5_T6_T7_T8_P12ihipStream_tbENKUlT_T0_E_clISt17integral_constantIbLb0EESZ_EEDaSU_SV_EUlSU_E_NS1_11comp_targetILNS1_3genE8ELNS1_11target_archE1030ELNS1_3gpuE2ELNS1_3repE0EEENS1_30default_config_static_selectorELNS0_4arch9wavefront6targetE0EEEvT1_.uses_vcc, 0
	.set _ZN7rocprim17ROCPRIM_400000_NS6detail17trampoline_kernelINS0_14default_configENS1_33run_length_encode_config_selectorIfjNS0_4plusIjEEEEZZNS1_33reduce_by_key_impl_wrapped_configILNS1_25lookback_scan_determinismE0ES3_S7_PKfNS0_17constant_iteratorIjlEEPfPlSF_S6_NS0_8equal_toIfEEEE10hipError_tPvRmT2_T3_mT4_T5_T6_T7_T8_P12ihipStream_tbENKUlT_T0_E_clISt17integral_constantIbLb0EESZ_EEDaSU_SV_EUlSU_E_NS1_11comp_targetILNS1_3genE8ELNS1_11target_archE1030ELNS1_3gpuE2ELNS1_3repE0EEENS1_30default_config_static_selectorELNS0_4arch9wavefront6targetE0EEEvT1_.uses_flat_scratch, 0
	.set _ZN7rocprim17ROCPRIM_400000_NS6detail17trampoline_kernelINS0_14default_configENS1_33run_length_encode_config_selectorIfjNS0_4plusIjEEEEZZNS1_33reduce_by_key_impl_wrapped_configILNS1_25lookback_scan_determinismE0ES3_S7_PKfNS0_17constant_iteratorIjlEEPfPlSF_S6_NS0_8equal_toIfEEEE10hipError_tPvRmT2_T3_mT4_T5_T6_T7_T8_P12ihipStream_tbENKUlT_T0_E_clISt17integral_constantIbLb0EESZ_EEDaSU_SV_EUlSU_E_NS1_11comp_targetILNS1_3genE8ELNS1_11target_archE1030ELNS1_3gpuE2ELNS1_3repE0EEENS1_30default_config_static_selectorELNS0_4arch9wavefront6targetE0EEEvT1_.has_dyn_sized_stack, 0
	.set _ZN7rocprim17ROCPRIM_400000_NS6detail17trampoline_kernelINS0_14default_configENS1_33run_length_encode_config_selectorIfjNS0_4plusIjEEEEZZNS1_33reduce_by_key_impl_wrapped_configILNS1_25lookback_scan_determinismE0ES3_S7_PKfNS0_17constant_iteratorIjlEEPfPlSF_S6_NS0_8equal_toIfEEEE10hipError_tPvRmT2_T3_mT4_T5_T6_T7_T8_P12ihipStream_tbENKUlT_T0_E_clISt17integral_constantIbLb0EESZ_EEDaSU_SV_EUlSU_E_NS1_11comp_targetILNS1_3genE8ELNS1_11target_archE1030ELNS1_3gpuE2ELNS1_3repE0EEENS1_30default_config_static_selectorELNS0_4arch9wavefront6targetE0EEEvT1_.has_recursion, 0
	.set _ZN7rocprim17ROCPRIM_400000_NS6detail17trampoline_kernelINS0_14default_configENS1_33run_length_encode_config_selectorIfjNS0_4plusIjEEEEZZNS1_33reduce_by_key_impl_wrapped_configILNS1_25lookback_scan_determinismE0ES3_S7_PKfNS0_17constant_iteratorIjlEEPfPlSF_S6_NS0_8equal_toIfEEEE10hipError_tPvRmT2_T3_mT4_T5_T6_T7_T8_P12ihipStream_tbENKUlT_T0_E_clISt17integral_constantIbLb0EESZ_EEDaSU_SV_EUlSU_E_NS1_11comp_targetILNS1_3genE8ELNS1_11target_archE1030ELNS1_3gpuE2ELNS1_3repE0EEENS1_30default_config_static_selectorELNS0_4arch9wavefront6targetE0EEEvT1_.has_indirect_call, 0
	.section	.AMDGPU.csdata,"",@progbits
; Kernel info:
; codeLenInByte = 0
; TotalNumSgprs: 0
; NumVgprs: 0
; ScratchSize: 0
; MemoryBound: 0
; FloatMode: 240
; IeeeMode: 1
; LDSByteSize: 0 bytes/workgroup (compile time only)
; SGPRBlocks: 0
; VGPRBlocks: 0
; NumSGPRsForWavesPerEU: 1
; NumVGPRsForWavesPerEU: 1
; NamedBarCnt: 0
; Occupancy: 16
; WaveLimiterHint : 0
; COMPUTE_PGM_RSRC2:SCRATCH_EN: 0
; COMPUTE_PGM_RSRC2:USER_SGPR: 2
; COMPUTE_PGM_RSRC2:TRAP_HANDLER: 0
; COMPUTE_PGM_RSRC2:TGID_X_EN: 1
; COMPUTE_PGM_RSRC2:TGID_Y_EN: 0
; COMPUTE_PGM_RSRC2:TGID_Z_EN: 0
; COMPUTE_PGM_RSRC2:TIDIG_COMP_CNT: 0
	.section	.text._ZN7rocprim17ROCPRIM_400000_NS6detail17trampoline_kernelINS0_14default_configENS1_33run_length_encode_config_selectorIfjNS0_4plusIjEEEEZZNS1_33reduce_by_key_impl_wrapped_configILNS1_25lookback_scan_determinismE0ES3_S7_PKfNS0_17constant_iteratorIjlEEPfPlSF_S6_NS0_8equal_toIfEEEE10hipError_tPvRmT2_T3_mT4_T5_T6_T7_T8_P12ihipStream_tbENKUlT_T0_E_clISt17integral_constantIbLb1EESZ_EEDaSU_SV_EUlSU_E_NS1_11comp_targetILNS1_3genE0ELNS1_11target_archE4294967295ELNS1_3gpuE0ELNS1_3repE0EEENS1_30default_config_static_selectorELNS0_4arch9wavefront6targetE0EEEvT1_,"axG",@progbits,_ZN7rocprim17ROCPRIM_400000_NS6detail17trampoline_kernelINS0_14default_configENS1_33run_length_encode_config_selectorIfjNS0_4plusIjEEEEZZNS1_33reduce_by_key_impl_wrapped_configILNS1_25lookback_scan_determinismE0ES3_S7_PKfNS0_17constant_iteratorIjlEEPfPlSF_S6_NS0_8equal_toIfEEEE10hipError_tPvRmT2_T3_mT4_T5_T6_T7_T8_P12ihipStream_tbENKUlT_T0_E_clISt17integral_constantIbLb1EESZ_EEDaSU_SV_EUlSU_E_NS1_11comp_targetILNS1_3genE0ELNS1_11target_archE4294967295ELNS1_3gpuE0ELNS1_3repE0EEENS1_30default_config_static_selectorELNS0_4arch9wavefront6targetE0EEEvT1_,comdat
	.protected	_ZN7rocprim17ROCPRIM_400000_NS6detail17trampoline_kernelINS0_14default_configENS1_33run_length_encode_config_selectorIfjNS0_4plusIjEEEEZZNS1_33reduce_by_key_impl_wrapped_configILNS1_25lookback_scan_determinismE0ES3_S7_PKfNS0_17constant_iteratorIjlEEPfPlSF_S6_NS0_8equal_toIfEEEE10hipError_tPvRmT2_T3_mT4_T5_T6_T7_T8_P12ihipStream_tbENKUlT_T0_E_clISt17integral_constantIbLb1EESZ_EEDaSU_SV_EUlSU_E_NS1_11comp_targetILNS1_3genE0ELNS1_11target_archE4294967295ELNS1_3gpuE0ELNS1_3repE0EEENS1_30default_config_static_selectorELNS0_4arch9wavefront6targetE0EEEvT1_ ; -- Begin function _ZN7rocprim17ROCPRIM_400000_NS6detail17trampoline_kernelINS0_14default_configENS1_33run_length_encode_config_selectorIfjNS0_4plusIjEEEEZZNS1_33reduce_by_key_impl_wrapped_configILNS1_25lookback_scan_determinismE0ES3_S7_PKfNS0_17constant_iteratorIjlEEPfPlSF_S6_NS0_8equal_toIfEEEE10hipError_tPvRmT2_T3_mT4_T5_T6_T7_T8_P12ihipStream_tbENKUlT_T0_E_clISt17integral_constantIbLb1EESZ_EEDaSU_SV_EUlSU_E_NS1_11comp_targetILNS1_3genE0ELNS1_11target_archE4294967295ELNS1_3gpuE0ELNS1_3repE0EEENS1_30default_config_static_selectorELNS0_4arch9wavefront6targetE0EEEvT1_
	.globl	_ZN7rocprim17ROCPRIM_400000_NS6detail17trampoline_kernelINS0_14default_configENS1_33run_length_encode_config_selectorIfjNS0_4plusIjEEEEZZNS1_33reduce_by_key_impl_wrapped_configILNS1_25lookback_scan_determinismE0ES3_S7_PKfNS0_17constant_iteratorIjlEEPfPlSF_S6_NS0_8equal_toIfEEEE10hipError_tPvRmT2_T3_mT4_T5_T6_T7_T8_P12ihipStream_tbENKUlT_T0_E_clISt17integral_constantIbLb1EESZ_EEDaSU_SV_EUlSU_E_NS1_11comp_targetILNS1_3genE0ELNS1_11target_archE4294967295ELNS1_3gpuE0ELNS1_3repE0EEENS1_30default_config_static_selectorELNS0_4arch9wavefront6targetE0EEEvT1_
	.p2align	8
	.type	_ZN7rocprim17ROCPRIM_400000_NS6detail17trampoline_kernelINS0_14default_configENS1_33run_length_encode_config_selectorIfjNS0_4plusIjEEEEZZNS1_33reduce_by_key_impl_wrapped_configILNS1_25lookback_scan_determinismE0ES3_S7_PKfNS0_17constant_iteratorIjlEEPfPlSF_S6_NS0_8equal_toIfEEEE10hipError_tPvRmT2_T3_mT4_T5_T6_T7_T8_P12ihipStream_tbENKUlT_T0_E_clISt17integral_constantIbLb1EESZ_EEDaSU_SV_EUlSU_E_NS1_11comp_targetILNS1_3genE0ELNS1_11target_archE4294967295ELNS1_3gpuE0ELNS1_3repE0EEENS1_30default_config_static_selectorELNS0_4arch9wavefront6targetE0EEEvT1_,@function
_ZN7rocprim17ROCPRIM_400000_NS6detail17trampoline_kernelINS0_14default_configENS1_33run_length_encode_config_selectorIfjNS0_4plusIjEEEEZZNS1_33reduce_by_key_impl_wrapped_configILNS1_25lookback_scan_determinismE0ES3_S7_PKfNS0_17constant_iteratorIjlEEPfPlSF_S6_NS0_8equal_toIfEEEE10hipError_tPvRmT2_T3_mT4_T5_T6_T7_T8_P12ihipStream_tbENKUlT_T0_E_clISt17integral_constantIbLb1EESZ_EEDaSU_SV_EUlSU_E_NS1_11comp_targetILNS1_3genE0ELNS1_11target_archE4294967295ELNS1_3gpuE0ELNS1_3repE0EEENS1_30default_config_static_selectorELNS0_4arch9wavefront6targetE0EEEvT1_: ; @_ZN7rocprim17ROCPRIM_400000_NS6detail17trampoline_kernelINS0_14default_configENS1_33run_length_encode_config_selectorIfjNS0_4plusIjEEEEZZNS1_33reduce_by_key_impl_wrapped_configILNS1_25lookback_scan_determinismE0ES3_S7_PKfNS0_17constant_iteratorIjlEEPfPlSF_S6_NS0_8equal_toIfEEEE10hipError_tPvRmT2_T3_mT4_T5_T6_T7_T8_P12ihipStream_tbENKUlT_T0_E_clISt17integral_constantIbLb1EESZ_EEDaSU_SV_EUlSU_E_NS1_11comp_targetILNS1_3genE0ELNS1_11target_archE4294967295ELNS1_3gpuE0ELNS1_3repE0EEENS1_30default_config_static_selectorELNS0_4arch9wavefront6targetE0EEEvT1_
; %bb.0:
	s_endpgm
	.section	.rodata,"a",@progbits
	.p2align	6, 0x0
	.amdhsa_kernel _ZN7rocprim17ROCPRIM_400000_NS6detail17trampoline_kernelINS0_14default_configENS1_33run_length_encode_config_selectorIfjNS0_4plusIjEEEEZZNS1_33reduce_by_key_impl_wrapped_configILNS1_25lookback_scan_determinismE0ES3_S7_PKfNS0_17constant_iteratorIjlEEPfPlSF_S6_NS0_8equal_toIfEEEE10hipError_tPvRmT2_T3_mT4_T5_T6_T7_T8_P12ihipStream_tbENKUlT_T0_E_clISt17integral_constantIbLb1EESZ_EEDaSU_SV_EUlSU_E_NS1_11comp_targetILNS1_3genE0ELNS1_11target_archE4294967295ELNS1_3gpuE0ELNS1_3repE0EEENS1_30default_config_static_selectorELNS0_4arch9wavefront6targetE0EEEvT1_
		.amdhsa_group_segment_fixed_size 0
		.amdhsa_private_segment_fixed_size 0
		.amdhsa_kernarg_size 128
		.amdhsa_user_sgpr_count 2
		.amdhsa_user_sgpr_dispatch_ptr 0
		.amdhsa_user_sgpr_queue_ptr 0
		.amdhsa_user_sgpr_kernarg_segment_ptr 1
		.amdhsa_user_sgpr_dispatch_id 0
		.amdhsa_user_sgpr_kernarg_preload_length 0
		.amdhsa_user_sgpr_kernarg_preload_offset 0
		.amdhsa_user_sgpr_private_segment_size 0
		.amdhsa_wavefront_size32 1
		.amdhsa_uses_dynamic_stack 0
		.amdhsa_enable_private_segment 0
		.amdhsa_system_sgpr_workgroup_id_x 1
		.amdhsa_system_sgpr_workgroup_id_y 0
		.amdhsa_system_sgpr_workgroup_id_z 0
		.amdhsa_system_sgpr_workgroup_info 0
		.amdhsa_system_vgpr_workitem_id 0
		.amdhsa_next_free_vgpr 1
		.amdhsa_next_free_sgpr 1
		.amdhsa_named_barrier_count 0
		.amdhsa_reserve_vcc 0
		.amdhsa_float_round_mode_32 0
		.amdhsa_float_round_mode_16_64 0
		.amdhsa_float_denorm_mode_32 3
		.amdhsa_float_denorm_mode_16_64 3
		.amdhsa_fp16_overflow 0
		.amdhsa_memory_ordered 1
		.amdhsa_forward_progress 1
		.amdhsa_inst_pref_size 1
		.amdhsa_round_robin_scheduling 0
		.amdhsa_exception_fp_ieee_invalid_op 0
		.amdhsa_exception_fp_denorm_src 0
		.amdhsa_exception_fp_ieee_div_zero 0
		.amdhsa_exception_fp_ieee_overflow 0
		.amdhsa_exception_fp_ieee_underflow 0
		.amdhsa_exception_fp_ieee_inexact 0
		.amdhsa_exception_int_div_zero 0
	.end_amdhsa_kernel
	.section	.text._ZN7rocprim17ROCPRIM_400000_NS6detail17trampoline_kernelINS0_14default_configENS1_33run_length_encode_config_selectorIfjNS0_4plusIjEEEEZZNS1_33reduce_by_key_impl_wrapped_configILNS1_25lookback_scan_determinismE0ES3_S7_PKfNS0_17constant_iteratorIjlEEPfPlSF_S6_NS0_8equal_toIfEEEE10hipError_tPvRmT2_T3_mT4_T5_T6_T7_T8_P12ihipStream_tbENKUlT_T0_E_clISt17integral_constantIbLb1EESZ_EEDaSU_SV_EUlSU_E_NS1_11comp_targetILNS1_3genE0ELNS1_11target_archE4294967295ELNS1_3gpuE0ELNS1_3repE0EEENS1_30default_config_static_selectorELNS0_4arch9wavefront6targetE0EEEvT1_,"axG",@progbits,_ZN7rocprim17ROCPRIM_400000_NS6detail17trampoline_kernelINS0_14default_configENS1_33run_length_encode_config_selectorIfjNS0_4plusIjEEEEZZNS1_33reduce_by_key_impl_wrapped_configILNS1_25lookback_scan_determinismE0ES3_S7_PKfNS0_17constant_iteratorIjlEEPfPlSF_S6_NS0_8equal_toIfEEEE10hipError_tPvRmT2_T3_mT4_T5_T6_T7_T8_P12ihipStream_tbENKUlT_T0_E_clISt17integral_constantIbLb1EESZ_EEDaSU_SV_EUlSU_E_NS1_11comp_targetILNS1_3genE0ELNS1_11target_archE4294967295ELNS1_3gpuE0ELNS1_3repE0EEENS1_30default_config_static_selectorELNS0_4arch9wavefront6targetE0EEEvT1_,comdat
.Lfunc_end382:
	.size	_ZN7rocprim17ROCPRIM_400000_NS6detail17trampoline_kernelINS0_14default_configENS1_33run_length_encode_config_selectorIfjNS0_4plusIjEEEEZZNS1_33reduce_by_key_impl_wrapped_configILNS1_25lookback_scan_determinismE0ES3_S7_PKfNS0_17constant_iteratorIjlEEPfPlSF_S6_NS0_8equal_toIfEEEE10hipError_tPvRmT2_T3_mT4_T5_T6_T7_T8_P12ihipStream_tbENKUlT_T0_E_clISt17integral_constantIbLb1EESZ_EEDaSU_SV_EUlSU_E_NS1_11comp_targetILNS1_3genE0ELNS1_11target_archE4294967295ELNS1_3gpuE0ELNS1_3repE0EEENS1_30default_config_static_selectorELNS0_4arch9wavefront6targetE0EEEvT1_, .Lfunc_end382-_ZN7rocprim17ROCPRIM_400000_NS6detail17trampoline_kernelINS0_14default_configENS1_33run_length_encode_config_selectorIfjNS0_4plusIjEEEEZZNS1_33reduce_by_key_impl_wrapped_configILNS1_25lookback_scan_determinismE0ES3_S7_PKfNS0_17constant_iteratorIjlEEPfPlSF_S6_NS0_8equal_toIfEEEE10hipError_tPvRmT2_T3_mT4_T5_T6_T7_T8_P12ihipStream_tbENKUlT_T0_E_clISt17integral_constantIbLb1EESZ_EEDaSU_SV_EUlSU_E_NS1_11comp_targetILNS1_3genE0ELNS1_11target_archE4294967295ELNS1_3gpuE0ELNS1_3repE0EEENS1_30default_config_static_selectorELNS0_4arch9wavefront6targetE0EEEvT1_
                                        ; -- End function
	.set _ZN7rocprim17ROCPRIM_400000_NS6detail17trampoline_kernelINS0_14default_configENS1_33run_length_encode_config_selectorIfjNS0_4plusIjEEEEZZNS1_33reduce_by_key_impl_wrapped_configILNS1_25lookback_scan_determinismE0ES3_S7_PKfNS0_17constant_iteratorIjlEEPfPlSF_S6_NS0_8equal_toIfEEEE10hipError_tPvRmT2_T3_mT4_T5_T6_T7_T8_P12ihipStream_tbENKUlT_T0_E_clISt17integral_constantIbLb1EESZ_EEDaSU_SV_EUlSU_E_NS1_11comp_targetILNS1_3genE0ELNS1_11target_archE4294967295ELNS1_3gpuE0ELNS1_3repE0EEENS1_30default_config_static_selectorELNS0_4arch9wavefront6targetE0EEEvT1_.num_vgpr, 0
	.set _ZN7rocprim17ROCPRIM_400000_NS6detail17trampoline_kernelINS0_14default_configENS1_33run_length_encode_config_selectorIfjNS0_4plusIjEEEEZZNS1_33reduce_by_key_impl_wrapped_configILNS1_25lookback_scan_determinismE0ES3_S7_PKfNS0_17constant_iteratorIjlEEPfPlSF_S6_NS0_8equal_toIfEEEE10hipError_tPvRmT2_T3_mT4_T5_T6_T7_T8_P12ihipStream_tbENKUlT_T0_E_clISt17integral_constantIbLb1EESZ_EEDaSU_SV_EUlSU_E_NS1_11comp_targetILNS1_3genE0ELNS1_11target_archE4294967295ELNS1_3gpuE0ELNS1_3repE0EEENS1_30default_config_static_selectorELNS0_4arch9wavefront6targetE0EEEvT1_.num_agpr, 0
	.set _ZN7rocprim17ROCPRIM_400000_NS6detail17trampoline_kernelINS0_14default_configENS1_33run_length_encode_config_selectorIfjNS0_4plusIjEEEEZZNS1_33reduce_by_key_impl_wrapped_configILNS1_25lookback_scan_determinismE0ES3_S7_PKfNS0_17constant_iteratorIjlEEPfPlSF_S6_NS0_8equal_toIfEEEE10hipError_tPvRmT2_T3_mT4_T5_T6_T7_T8_P12ihipStream_tbENKUlT_T0_E_clISt17integral_constantIbLb1EESZ_EEDaSU_SV_EUlSU_E_NS1_11comp_targetILNS1_3genE0ELNS1_11target_archE4294967295ELNS1_3gpuE0ELNS1_3repE0EEENS1_30default_config_static_selectorELNS0_4arch9wavefront6targetE0EEEvT1_.numbered_sgpr, 0
	.set _ZN7rocprim17ROCPRIM_400000_NS6detail17trampoline_kernelINS0_14default_configENS1_33run_length_encode_config_selectorIfjNS0_4plusIjEEEEZZNS1_33reduce_by_key_impl_wrapped_configILNS1_25lookback_scan_determinismE0ES3_S7_PKfNS0_17constant_iteratorIjlEEPfPlSF_S6_NS0_8equal_toIfEEEE10hipError_tPvRmT2_T3_mT4_T5_T6_T7_T8_P12ihipStream_tbENKUlT_T0_E_clISt17integral_constantIbLb1EESZ_EEDaSU_SV_EUlSU_E_NS1_11comp_targetILNS1_3genE0ELNS1_11target_archE4294967295ELNS1_3gpuE0ELNS1_3repE0EEENS1_30default_config_static_selectorELNS0_4arch9wavefront6targetE0EEEvT1_.num_named_barrier, 0
	.set _ZN7rocprim17ROCPRIM_400000_NS6detail17trampoline_kernelINS0_14default_configENS1_33run_length_encode_config_selectorIfjNS0_4plusIjEEEEZZNS1_33reduce_by_key_impl_wrapped_configILNS1_25lookback_scan_determinismE0ES3_S7_PKfNS0_17constant_iteratorIjlEEPfPlSF_S6_NS0_8equal_toIfEEEE10hipError_tPvRmT2_T3_mT4_T5_T6_T7_T8_P12ihipStream_tbENKUlT_T0_E_clISt17integral_constantIbLb1EESZ_EEDaSU_SV_EUlSU_E_NS1_11comp_targetILNS1_3genE0ELNS1_11target_archE4294967295ELNS1_3gpuE0ELNS1_3repE0EEENS1_30default_config_static_selectorELNS0_4arch9wavefront6targetE0EEEvT1_.private_seg_size, 0
	.set _ZN7rocprim17ROCPRIM_400000_NS6detail17trampoline_kernelINS0_14default_configENS1_33run_length_encode_config_selectorIfjNS0_4plusIjEEEEZZNS1_33reduce_by_key_impl_wrapped_configILNS1_25lookback_scan_determinismE0ES3_S7_PKfNS0_17constant_iteratorIjlEEPfPlSF_S6_NS0_8equal_toIfEEEE10hipError_tPvRmT2_T3_mT4_T5_T6_T7_T8_P12ihipStream_tbENKUlT_T0_E_clISt17integral_constantIbLb1EESZ_EEDaSU_SV_EUlSU_E_NS1_11comp_targetILNS1_3genE0ELNS1_11target_archE4294967295ELNS1_3gpuE0ELNS1_3repE0EEENS1_30default_config_static_selectorELNS0_4arch9wavefront6targetE0EEEvT1_.uses_vcc, 0
	.set _ZN7rocprim17ROCPRIM_400000_NS6detail17trampoline_kernelINS0_14default_configENS1_33run_length_encode_config_selectorIfjNS0_4plusIjEEEEZZNS1_33reduce_by_key_impl_wrapped_configILNS1_25lookback_scan_determinismE0ES3_S7_PKfNS0_17constant_iteratorIjlEEPfPlSF_S6_NS0_8equal_toIfEEEE10hipError_tPvRmT2_T3_mT4_T5_T6_T7_T8_P12ihipStream_tbENKUlT_T0_E_clISt17integral_constantIbLb1EESZ_EEDaSU_SV_EUlSU_E_NS1_11comp_targetILNS1_3genE0ELNS1_11target_archE4294967295ELNS1_3gpuE0ELNS1_3repE0EEENS1_30default_config_static_selectorELNS0_4arch9wavefront6targetE0EEEvT1_.uses_flat_scratch, 0
	.set _ZN7rocprim17ROCPRIM_400000_NS6detail17trampoline_kernelINS0_14default_configENS1_33run_length_encode_config_selectorIfjNS0_4plusIjEEEEZZNS1_33reduce_by_key_impl_wrapped_configILNS1_25lookback_scan_determinismE0ES3_S7_PKfNS0_17constant_iteratorIjlEEPfPlSF_S6_NS0_8equal_toIfEEEE10hipError_tPvRmT2_T3_mT4_T5_T6_T7_T8_P12ihipStream_tbENKUlT_T0_E_clISt17integral_constantIbLb1EESZ_EEDaSU_SV_EUlSU_E_NS1_11comp_targetILNS1_3genE0ELNS1_11target_archE4294967295ELNS1_3gpuE0ELNS1_3repE0EEENS1_30default_config_static_selectorELNS0_4arch9wavefront6targetE0EEEvT1_.has_dyn_sized_stack, 0
	.set _ZN7rocprim17ROCPRIM_400000_NS6detail17trampoline_kernelINS0_14default_configENS1_33run_length_encode_config_selectorIfjNS0_4plusIjEEEEZZNS1_33reduce_by_key_impl_wrapped_configILNS1_25lookback_scan_determinismE0ES3_S7_PKfNS0_17constant_iteratorIjlEEPfPlSF_S6_NS0_8equal_toIfEEEE10hipError_tPvRmT2_T3_mT4_T5_T6_T7_T8_P12ihipStream_tbENKUlT_T0_E_clISt17integral_constantIbLb1EESZ_EEDaSU_SV_EUlSU_E_NS1_11comp_targetILNS1_3genE0ELNS1_11target_archE4294967295ELNS1_3gpuE0ELNS1_3repE0EEENS1_30default_config_static_selectorELNS0_4arch9wavefront6targetE0EEEvT1_.has_recursion, 0
	.set _ZN7rocprim17ROCPRIM_400000_NS6detail17trampoline_kernelINS0_14default_configENS1_33run_length_encode_config_selectorIfjNS0_4plusIjEEEEZZNS1_33reduce_by_key_impl_wrapped_configILNS1_25lookback_scan_determinismE0ES3_S7_PKfNS0_17constant_iteratorIjlEEPfPlSF_S6_NS0_8equal_toIfEEEE10hipError_tPvRmT2_T3_mT4_T5_T6_T7_T8_P12ihipStream_tbENKUlT_T0_E_clISt17integral_constantIbLb1EESZ_EEDaSU_SV_EUlSU_E_NS1_11comp_targetILNS1_3genE0ELNS1_11target_archE4294967295ELNS1_3gpuE0ELNS1_3repE0EEENS1_30default_config_static_selectorELNS0_4arch9wavefront6targetE0EEEvT1_.has_indirect_call, 0
	.section	.AMDGPU.csdata,"",@progbits
; Kernel info:
; codeLenInByte = 4
; TotalNumSgprs: 0
; NumVgprs: 0
; ScratchSize: 0
; MemoryBound: 0
; FloatMode: 240
; IeeeMode: 1
; LDSByteSize: 0 bytes/workgroup (compile time only)
; SGPRBlocks: 0
; VGPRBlocks: 0
; NumSGPRsForWavesPerEU: 1
; NumVGPRsForWavesPerEU: 1
; NamedBarCnt: 0
; Occupancy: 16
; WaveLimiterHint : 0
; COMPUTE_PGM_RSRC2:SCRATCH_EN: 0
; COMPUTE_PGM_RSRC2:USER_SGPR: 2
; COMPUTE_PGM_RSRC2:TRAP_HANDLER: 0
; COMPUTE_PGM_RSRC2:TGID_X_EN: 1
; COMPUTE_PGM_RSRC2:TGID_Y_EN: 0
; COMPUTE_PGM_RSRC2:TGID_Z_EN: 0
; COMPUTE_PGM_RSRC2:TIDIG_COMP_CNT: 0
	.section	.text._ZN7rocprim17ROCPRIM_400000_NS6detail17trampoline_kernelINS0_14default_configENS1_33run_length_encode_config_selectorIfjNS0_4plusIjEEEEZZNS1_33reduce_by_key_impl_wrapped_configILNS1_25lookback_scan_determinismE0ES3_S7_PKfNS0_17constant_iteratorIjlEEPfPlSF_S6_NS0_8equal_toIfEEEE10hipError_tPvRmT2_T3_mT4_T5_T6_T7_T8_P12ihipStream_tbENKUlT_T0_E_clISt17integral_constantIbLb1EESZ_EEDaSU_SV_EUlSU_E_NS1_11comp_targetILNS1_3genE5ELNS1_11target_archE942ELNS1_3gpuE9ELNS1_3repE0EEENS1_30default_config_static_selectorELNS0_4arch9wavefront6targetE0EEEvT1_,"axG",@progbits,_ZN7rocprim17ROCPRIM_400000_NS6detail17trampoline_kernelINS0_14default_configENS1_33run_length_encode_config_selectorIfjNS0_4plusIjEEEEZZNS1_33reduce_by_key_impl_wrapped_configILNS1_25lookback_scan_determinismE0ES3_S7_PKfNS0_17constant_iteratorIjlEEPfPlSF_S6_NS0_8equal_toIfEEEE10hipError_tPvRmT2_T3_mT4_T5_T6_T7_T8_P12ihipStream_tbENKUlT_T0_E_clISt17integral_constantIbLb1EESZ_EEDaSU_SV_EUlSU_E_NS1_11comp_targetILNS1_3genE5ELNS1_11target_archE942ELNS1_3gpuE9ELNS1_3repE0EEENS1_30default_config_static_selectorELNS0_4arch9wavefront6targetE0EEEvT1_,comdat
	.protected	_ZN7rocprim17ROCPRIM_400000_NS6detail17trampoline_kernelINS0_14default_configENS1_33run_length_encode_config_selectorIfjNS0_4plusIjEEEEZZNS1_33reduce_by_key_impl_wrapped_configILNS1_25lookback_scan_determinismE0ES3_S7_PKfNS0_17constant_iteratorIjlEEPfPlSF_S6_NS0_8equal_toIfEEEE10hipError_tPvRmT2_T3_mT4_T5_T6_T7_T8_P12ihipStream_tbENKUlT_T0_E_clISt17integral_constantIbLb1EESZ_EEDaSU_SV_EUlSU_E_NS1_11comp_targetILNS1_3genE5ELNS1_11target_archE942ELNS1_3gpuE9ELNS1_3repE0EEENS1_30default_config_static_selectorELNS0_4arch9wavefront6targetE0EEEvT1_ ; -- Begin function _ZN7rocprim17ROCPRIM_400000_NS6detail17trampoline_kernelINS0_14default_configENS1_33run_length_encode_config_selectorIfjNS0_4plusIjEEEEZZNS1_33reduce_by_key_impl_wrapped_configILNS1_25lookback_scan_determinismE0ES3_S7_PKfNS0_17constant_iteratorIjlEEPfPlSF_S6_NS0_8equal_toIfEEEE10hipError_tPvRmT2_T3_mT4_T5_T6_T7_T8_P12ihipStream_tbENKUlT_T0_E_clISt17integral_constantIbLb1EESZ_EEDaSU_SV_EUlSU_E_NS1_11comp_targetILNS1_3genE5ELNS1_11target_archE942ELNS1_3gpuE9ELNS1_3repE0EEENS1_30default_config_static_selectorELNS0_4arch9wavefront6targetE0EEEvT1_
	.globl	_ZN7rocprim17ROCPRIM_400000_NS6detail17trampoline_kernelINS0_14default_configENS1_33run_length_encode_config_selectorIfjNS0_4plusIjEEEEZZNS1_33reduce_by_key_impl_wrapped_configILNS1_25lookback_scan_determinismE0ES3_S7_PKfNS0_17constant_iteratorIjlEEPfPlSF_S6_NS0_8equal_toIfEEEE10hipError_tPvRmT2_T3_mT4_T5_T6_T7_T8_P12ihipStream_tbENKUlT_T0_E_clISt17integral_constantIbLb1EESZ_EEDaSU_SV_EUlSU_E_NS1_11comp_targetILNS1_3genE5ELNS1_11target_archE942ELNS1_3gpuE9ELNS1_3repE0EEENS1_30default_config_static_selectorELNS0_4arch9wavefront6targetE0EEEvT1_
	.p2align	8
	.type	_ZN7rocprim17ROCPRIM_400000_NS6detail17trampoline_kernelINS0_14default_configENS1_33run_length_encode_config_selectorIfjNS0_4plusIjEEEEZZNS1_33reduce_by_key_impl_wrapped_configILNS1_25lookback_scan_determinismE0ES3_S7_PKfNS0_17constant_iteratorIjlEEPfPlSF_S6_NS0_8equal_toIfEEEE10hipError_tPvRmT2_T3_mT4_T5_T6_T7_T8_P12ihipStream_tbENKUlT_T0_E_clISt17integral_constantIbLb1EESZ_EEDaSU_SV_EUlSU_E_NS1_11comp_targetILNS1_3genE5ELNS1_11target_archE942ELNS1_3gpuE9ELNS1_3repE0EEENS1_30default_config_static_selectorELNS0_4arch9wavefront6targetE0EEEvT1_,@function
_ZN7rocprim17ROCPRIM_400000_NS6detail17trampoline_kernelINS0_14default_configENS1_33run_length_encode_config_selectorIfjNS0_4plusIjEEEEZZNS1_33reduce_by_key_impl_wrapped_configILNS1_25lookback_scan_determinismE0ES3_S7_PKfNS0_17constant_iteratorIjlEEPfPlSF_S6_NS0_8equal_toIfEEEE10hipError_tPvRmT2_T3_mT4_T5_T6_T7_T8_P12ihipStream_tbENKUlT_T0_E_clISt17integral_constantIbLb1EESZ_EEDaSU_SV_EUlSU_E_NS1_11comp_targetILNS1_3genE5ELNS1_11target_archE942ELNS1_3gpuE9ELNS1_3repE0EEENS1_30default_config_static_selectorELNS0_4arch9wavefront6targetE0EEEvT1_: ; @_ZN7rocprim17ROCPRIM_400000_NS6detail17trampoline_kernelINS0_14default_configENS1_33run_length_encode_config_selectorIfjNS0_4plusIjEEEEZZNS1_33reduce_by_key_impl_wrapped_configILNS1_25lookback_scan_determinismE0ES3_S7_PKfNS0_17constant_iteratorIjlEEPfPlSF_S6_NS0_8equal_toIfEEEE10hipError_tPvRmT2_T3_mT4_T5_T6_T7_T8_P12ihipStream_tbENKUlT_T0_E_clISt17integral_constantIbLb1EESZ_EEDaSU_SV_EUlSU_E_NS1_11comp_targetILNS1_3genE5ELNS1_11target_archE942ELNS1_3gpuE9ELNS1_3repE0EEENS1_30default_config_static_selectorELNS0_4arch9wavefront6targetE0EEEvT1_
; %bb.0:
	.section	.rodata,"a",@progbits
	.p2align	6, 0x0
	.amdhsa_kernel _ZN7rocprim17ROCPRIM_400000_NS6detail17trampoline_kernelINS0_14default_configENS1_33run_length_encode_config_selectorIfjNS0_4plusIjEEEEZZNS1_33reduce_by_key_impl_wrapped_configILNS1_25lookback_scan_determinismE0ES3_S7_PKfNS0_17constant_iteratorIjlEEPfPlSF_S6_NS0_8equal_toIfEEEE10hipError_tPvRmT2_T3_mT4_T5_T6_T7_T8_P12ihipStream_tbENKUlT_T0_E_clISt17integral_constantIbLb1EESZ_EEDaSU_SV_EUlSU_E_NS1_11comp_targetILNS1_3genE5ELNS1_11target_archE942ELNS1_3gpuE9ELNS1_3repE0EEENS1_30default_config_static_selectorELNS0_4arch9wavefront6targetE0EEEvT1_
		.amdhsa_group_segment_fixed_size 0
		.amdhsa_private_segment_fixed_size 0
		.amdhsa_kernarg_size 128
		.amdhsa_user_sgpr_count 2
		.amdhsa_user_sgpr_dispatch_ptr 0
		.amdhsa_user_sgpr_queue_ptr 0
		.amdhsa_user_sgpr_kernarg_segment_ptr 1
		.amdhsa_user_sgpr_dispatch_id 0
		.amdhsa_user_sgpr_kernarg_preload_length 0
		.amdhsa_user_sgpr_kernarg_preload_offset 0
		.amdhsa_user_sgpr_private_segment_size 0
		.amdhsa_wavefront_size32 1
		.amdhsa_uses_dynamic_stack 0
		.amdhsa_enable_private_segment 0
		.amdhsa_system_sgpr_workgroup_id_x 1
		.amdhsa_system_sgpr_workgroup_id_y 0
		.amdhsa_system_sgpr_workgroup_id_z 0
		.amdhsa_system_sgpr_workgroup_info 0
		.amdhsa_system_vgpr_workitem_id 0
		.amdhsa_next_free_vgpr 1
		.amdhsa_next_free_sgpr 1
		.amdhsa_named_barrier_count 0
		.amdhsa_reserve_vcc 0
		.amdhsa_float_round_mode_32 0
		.amdhsa_float_round_mode_16_64 0
		.amdhsa_float_denorm_mode_32 3
		.amdhsa_float_denorm_mode_16_64 3
		.amdhsa_fp16_overflow 0
		.amdhsa_memory_ordered 1
		.amdhsa_forward_progress 1
		.amdhsa_inst_pref_size 0
		.amdhsa_round_robin_scheduling 0
		.amdhsa_exception_fp_ieee_invalid_op 0
		.amdhsa_exception_fp_denorm_src 0
		.amdhsa_exception_fp_ieee_div_zero 0
		.amdhsa_exception_fp_ieee_overflow 0
		.amdhsa_exception_fp_ieee_underflow 0
		.amdhsa_exception_fp_ieee_inexact 0
		.amdhsa_exception_int_div_zero 0
	.end_amdhsa_kernel
	.section	.text._ZN7rocprim17ROCPRIM_400000_NS6detail17trampoline_kernelINS0_14default_configENS1_33run_length_encode_config_selectorIfjNS0_4plusIjEEEEZZNS1_33reduce_by_key_impl_wrapped_configILNS1_25lookback_scan_determinismE0ES3_S7_PKfNS0_17constant_iteratorIjlEEPfPlSF_S6_NS0_8equal_toIfEEEE10hipError_tPvRmT2_T3_mT4_T5_T6_T7_T8_P12ihipStream_tbENKUlT_T0_E_clISt17integral_constantIbLb1EESZ_EEDaSU_SV_EUlSU_E_NS1_11comp_targetILNS1_3genE5ELNS1_11target_archE942ELNS1_3gpuE9ELNS1_3repE0EEENS1_30default_config_static_selectorELNS0_4arch9wavefront6targetE0EEEvT1_,"axG",@progbits,_ZN7rocprim17ROCPRIM_400000_NS6detail17trampoline_kernelINS0_14default_configENS1_33run_length_encode_config_selectorIfjNS0_4plusIjEEEEZZNS1_33reduce_by_key_impl_wrapped_configILNS1_25lookback_scan_determinismE0ES3_S7_PKfNS0_17constant_iteratorIjlEEPfPlSF_S6_NS0_8equal_toIfEEEE10hipError_tPvRmT2_T3_mT4_T5_T6_T7_T8_P12ihipStream_tbENKUlT_T0_E_clISt17integral_constantIbLb1EESZ_EEDaSU_SV_EUlSU_E_NS1_11comp_targetILNS1_3genE5ELNS1_11target_archE942ELNS1_3gpuE9ELNS1_3repE0EEENS1_30default_config_static_selectorELNS0_4arch9wavefront6targetE0EEEvT1_,comdat
.Lfunc_end383:
	.size	_ZN7rocprim17ROCPRIM_400000_NS6detail17trampoline_kernelINS0_14default_configENS1_33run_length_encode_config_selectorIfjNS0_4plusIjEEEEZZNS1_33reduce_by_key_impl_wrapped_configILNS1_25lookback_scan_determinismE0ES3_S7_PKfNS0_17constant_iteratorIjlEEPfPlSF_S6_NS0_8equal_toIfEEEE10hipError_tPvRmT2_T3_mT4_T5_T6_T7_T8_P12ihipStream_tbENKUlT_T0_E_clISt17integral_constantIbLb1EESZ_EEDaSU_SV_EUlSU_E_NS1_11comp_targetILNS1_3genE5ELNS1_11target_archE942ELNS1_3gpuE9ELNS1_3repE0EEENS1_30default_config_static_selectorELNS0_4arch9wavefront6targetE0EEEvT1_, .Lfunc_end383-_ZN7rocprim17ROCPRIM_400000_NS6detail17trampoline_kernelINS0_14default_configENS1_33run_length_encode_config_selectorIfjNS0_4plusIjEEEEZZNS1_33reduce_by_key_impl_wrapped_configILNS1_25lookback_scan_determinismE0ES3_S7_PKfNS0_17constant_iteratorIjlEEPfPlSF_S6_NS0_8equal_toIfEEEE10hipError_tPvRmT2_T3_mT4_T5_T6_T7_T8_P12ihipStream_tbENKUlT_T0_E_clISt17integral_constantIbLb1EESZ_EEDaSU_SV_EUlSU_E_NS1_11comp_targetILNS1_3genE5ELNS1_11target_archE942ELNS1_3gpuE9ELNS1_3repE0EEENS1_30default_config_static_selectorELNS0_4arch9wavefront6targetE0EEEvT1_
                                        ; -- End function
	.set _ZN7rocprim17ROCPRIM_400000_NS6detail17trampoline_kernelINS0_14default_configENS1_33run_length_encode_config_selectorIfjNS0_4plusIjEEEEZZNS1_33reduce_by_key_impl_wrapped_configILNS1_25lookback_scan_determinismE0ES3_S7_PKfNS0_17constant_iteratorIjlEEPfPlSF_S6_NS0_8equal_toIfEEEE10hipError_tPvRmT2_T3_mT4_T5_T6_T7_T8_P12ihipStream_tbENKUlT_T0_E_clISt17integral_constantIbLb1EESZ_EEDaSU_SV_EUlSU_E_NS1_11comp_targetILNS1_3genE5ELNS1_11target_archE942ELNS1_3gpuE9ELNS1_3repE0EEENS1_30default_config_static_selectorELNS0_4arch9wavefront6targetE0EEEvT1_.num_vgpr, 0
	.set _ZN7rocprim17ROCPRIM_400000_NS6detail17trampoline_kernelINS0_14default_configENS1_33run_length_encode_config_selectorIfjNS0_4plusIjEEEEZZNS1_33reduce_by_key_impl_wrapped_configILNS1_25lookback_scan_determinismE0ES3_S7_PKfNS0_17constant_iteratorIjlEEPfPlSF_S6_NS0_8equal_toIfEEEE10hipError_tPvRmT2_T3_mT4_T5_T6_T7_T8_P12ihipStream_tbENKUlT_T0_E_clISt17integral_constantIbLb1EESZ_EEDaSU_SV_EUlSU_E_NS1_11comp_targetILNS1_3genE5ELNS1_11target_archE942ELNS1_3gpuE9ELNS1_3repE0EEENS1_30default_config_static_selectorELNS0_4arch9wavefront6targetE0EEEvT1_.num_agpr, 0
	.set _ZN7rocprim17ROCPRIM_400000_NS6detail17trampoline_kernelINS0_14default_configENS1_33run_length_encode_config_selectorIfjNS0_4plusIjEEEEZZNS1_33reduce_by_key_impl_wrapped_configILNS1_25lookback_scan_determinismE0ES3_S7_PKfNS0_17constant_iteratorIjlEEPfPlSF_S6_NS0_8equal_toIfEEEE10hipError_tPvRmT2_T3_mT4_T5_T6_T7_T8_P12ihipStream_tbENKUlT_T0_E_clISt17integral_constantIbLb1EESZ_EEDaSU_SV_EUlSU_E_NS1_11comp_targetILNS1_3genE5ELNS1_11target_archE942ELNS1_3gpuE9ELNS1_3repE0EEENS1_30default_config_static_selectorELNS0_4arch9wavefront6targetE0EEEvT1_.numbered_sgpr, 0
	.set _ZN7rocprim17ROCPRIM_400000_NS6detail17trampoline_kernelINS0_14default_configENS1_33run_length_encode_config_selectorIfjNS0_4plusIjEEEEZZNS1_33reduce_by_key_impl_wrapped_configILNS1_25lookback_scan_determinismE0ES3_S7_PKfNS0_17constant_iteratorIjlEEPfPlSF_S6_NS0_8equal_toIfEEEE10hipError_tPvRmT2_T3_mT4_T5_T6_T7_T8_P12ihipStream_tbENKUlT_T0_E_clISt17integral_constantIbLb1EESZ_EEDaSU_SV_EUlSU_E_NS1_11comp_targetILNS1_3genE5ELNS1_11target_archE942ELNS1_3gpuE9ELNS1_3repE0EEENS1_30default_config_static_selectorELNS0_4arch9wavefront6targetE0EEEvT1_.num_named_barrier, 0
	.set _ZN7rocprim17ROCPRIM_400000_NS6detail17trampoline_kernelINS0_14default_configENS1_33run_length_encode_config_selectorIfjNS0_4plusIjEEEEZZNS1_33reduce_by_key_impl_wrapped_configILNS1_25lookback_scan_determinismE0ES3_S7_PKfNS0_17constant_iteratorIjlEEPfPlSF_S6_NS0_8equal_toIfEEEE10hipError_tPvRmT2_T3_mT4_T5_T6_T7_T8_P12ihipStream_tbENKUlT_T0_E_clISt17integral_constantIbLb1EESZ_EEDaSU_SV_EUlSU_E_NS1_11comp_targetILNS1_3genE5ELNS1_11target_archE942ELNS1_3gpuE9ELNS1_3repE0EEENS1_30default_config_static_selectorELNS0_4arch9wavefront6targetE0EEEvT1_.private_seg_size, 0
	.set _ZN7rocprim17ROCPRIM_400000_NS6detail17trampoline_kernelINS0_14default_configENS1_33run_length_encode_config_selectorIfjNS0_4plusIjEEEEZZNS1_33reduce_by_key_impl_wrapped_configILNS1_25lookback_scan_determinismE0ES3_S7_PKfNS0_17constant_iteratorIjlEEPfPlSF_S6_NS0_8equal_toIfEEEE10hipError_tPvRmT2_T3_mT4_T5_T6_T7_T8_P12ihipStream_tbENKUlT_T0_E_clISt17integral_constantIbLb1EESZ_EEDaSU_SV_EUlSU_E_NS1_11comp_targetILNS1_3genE5ELNS1_11target_archE942ELNS1_3gpuE9ELNS1_3repE0EEENS1_30default_config_static_selectorELNS0_4arch9wavefront6targetE0EEEvT1_.uses_vcc, 0
	.set _ZN7rocprim17ROCPRIM_400000_NS6detail17trampoline_kernelINS0_14default_configENS1_33run_length_encode_config_selectorIfjNS0_4plusIjEEEEZZNS1_33reduce_by_key_impl_wrapped_configILNS1_25lookback_scan_determinismE0ES3_S7_PKfNS0_17constant_iteratorIjlEEPfPlSF_S6_NS0_8equal_toIfEEEE10hipError_tPvRmT2_T3_mT4_T5_T6_T7_T8_P12ihipStream_tbENKUlT_T0_E_clISt17integral_constantIbLb1EESZ_EEDaSU_SV_EUlSU_E_NS1_11comp_targetILNS1_3genE5ELNS1_11target_archE942ELNS1_3gpuE9ELNS1_3repE0EEENS1_30default_config_static_selectorELNS0_4arch9wavefront6targetE0EEEvT1_.uses_flat_scratch, 0
	.set _ZN7rocprim17ROCPRIM_400000_NS6detail17trampoline_kernelINS0_14default_configENS1_33run_length_encode_config_selectorIfjNS0_4plusIjEEEEZZNS1_33reduce_by_key_impl_wrapped_configILNS1_25lookback_scan_determinismE0ES3_S7_PKfNS0_17constant_iteratorIjlEEPfPlSF_S6_NS0_8equal_toIfEEEE10hipError_tPvRmT2_T3_mT4_T5_T6_T7_T8_P12ihipStream_tbENKUlT_T0_E_clISt17integral_constantIbLb1EESZ_EEDaSU_SV_EUlSU_E_NS1_11comp_targetILNS1_3genE5ELNS1_11target_archE942ELNS1_3gpuE9ELNS1_3repE0EEENS1_30default_config_static_selectorELNS0_4arch9wavefront6targetE0EEEvT1_.has_dyn_sized_stack, 0
	.set _ZN7rocprim17ROCPRIM_400000_NS6detail17trampoline_kernelINS0_14default_configENS1_33run_length_encode_config_selectorIfjNS0_4plusIjEEEEZZNS1_33reduce_by_key_impl_wrapped_configILNS1_25lookback_scan_determinismE0ES3_S7_PKfNS0_17constant_iteratorIjlEEPfPlSF_S6_NS0_8equal_toIfEEEE10hipError_tPvRmT2_T3_mT4_T5_T6_T7_T8_P12ihipStream_tbENKUlT_T0_E_clISt17integral_constantIbLb1EESZ_EEDaSU_SV_EUlSU_E_NS1_11comp_targetILNS1_3genE5ELNS1_11target_archE942ELNS1_3gpuE9ELNS1_3repE0EEENS1_30default_config_static_selectorELNS0_4arch9wavefront6targetE0EEEvT1_.has_recursion, 0
	.set _ZN7rocprim17ROCPRIM_400000_NS6detail17trampoline_kernelINS0_14default_configENS1_33run_length_encode_config_selectorIfjNS0_4plusIjEEEEZZNS1_33reduce_by_key_impl_wrapped_configILNS1_25lookback_scan_determinismE0ES3_S7_PKfNS0_17constant_iteratorIjlEEPfPlSF_S6_NS0_8equal_toIfEEEE10hipError_tPvRmT2_T3_mT4_T5_T6_T7_T8_P12ihipStream_tbENKUlT_T0_E_clISt17integral_constantIbLb1EESZ_EEDaSU_SV_EUlSU_E_NS1_11comp_targetILNS1_3genE5ELNS1_11target_archE942ELNS1_3gpuE9ELNS1_3repE0EEENS1_30default_config_static_selectorELNS0_4arch9wavefront6targetE0EEEvT1_.has_indirect_call, 0
	.section	.AMDGPU.csdata,"",@progbits
; Kernel info:
; codeLenInByte = 0
; TotalNumSgprs: 0
; NumVgprs: 0
; ScratchSize: 0
; MemoryBound: 0
; FloatMode: 240
; IeeeMode: 1
; LDSByteSize: 0 bytes/workgroup (compile time only)
; SGPRBlocks: 0
; VGPRBlocks: 0
; NumSGPRsForWavesPerEU: 1
; NumVGPRsForWavesPerEU: 1
; NamedBarCnt: 0
; Occupancy: 16
; WaveLimiterHint : 0
; COMPUTE_PGM_RSRC2:SCRATCH_EN: 0
; COMPUTE_PGM_RSRC2:USER_SGPR: 2
; COMPUTE_PGM_RSRC2:TRAP_HANDLER: 0
; COMPUTE_PGM_RSRC2:TGID_X_EN: 1
; COMPUTE_PGM_RSRC2:TGID_Y_EN: 0
; COMPUTE_PGM_RSRC2:TGID_Z_EN: 0
; COMPUTE_PGM_RSRC2:TIDIG_COMP_CNT: 0
	.section	.text._ZN7rocprim17ROCPRIM_400000_NS6detail17trampoline_kernelINS0_14default_configENS1_33run_length_encode_config_selectorIfjNS0_4plusIjEEEEZZNS1_33reduce_by_key_impl_wrapped_configILNS1_25lookback_scan_determinismE0ES3_S7_PKfNS0_17constant_iteratorIjlEEPfPlSF_S6_NS0_8equal_toIfEEEE10hipError_tPvRmT2_T3_mT4_T5_T6_T7_T8_P12ihipStream_tbENKUlT_T0_E_clISt17integral_constantIbLb1EESZ_EEDaSU_SV_EUlSU_E_NS1_11comp_targetILNS1_3genE4ELNS1_11target_archE910ELNS1_3gpuE8ELNS1_3repE0EEENS1_30default_config_static_selectorELNS0_4arch9wavefront6targetE0EEEvT1_,"axG",@progbits,_ZN7rocprim17ROCPRIM_400000_NS6detail17trampoline_kernelINS0_14default_configENS1_33run_length_encode_config_selectorIfjNS0_4plusIjEEEEZZNS1_33reduce_by_key_impl_wrapped_configILNS1_25lookback_scan_determinismE0ES3_S7_PKfNS0_17constant_iteratorIjlEEPfPlSF_S6_NS0_8equal_toIfEEEE10hipError_tPvRmT2_T3_mT4_T5_T6_T7_T8_P12ihipStream_tbENKUlT_T0_E_clISt17integral_constantIbLb1EESZ_EEDaSU_SV_EUlSU_E_NS1_11comp_targetILNS1_3genE4ELNS1_11target_archE910ELNS1_3gpuE8ELNS1_3repE0EEENS1_30default_config_static_selectorELNS0_4arch9wavefront6targetE0EEEvT1_,comdat
	.protected	_ZN7rocprim17ROCPRIM_400000_NS6detail17trampoline_kernelINS0_14default_configENS1_33run_length_encode_config_selectorIfjNS0_4plusIjEEEEZZNS1_33reduce_by_key_impl_wrapped_configILNS1_25lookback_scan_determinismE0ES3_S7_PKfNS0_17constant_iteratorIjlEEPfPlSF_S6_NS0_8equal_toIfEEEE10hipError_tPvRmT2_T3_mT4_T5_T6_T7_T8_P12ihipStream_tbENKUlT_T0_E_clISt17integral_constantIbLb1EESZ_EEDaSU_SV_EUlSU_E_NS1_11comp_targetILNS1_3genE4ELNS1_11target_archE910ELNS1_3gpuE8ELNS1_3repE0EEENS1_30default_config_static_selectorELNS0_4arch9wavefront6targetE0EEEvT1_ ; -- Begin function _ZN7rocprim17ROCPRIM_400000_NS6detail17trampoline_kernelINS0_14default_configENS1_33run_length_encode_config_selectorIfjNS0_4plusIjEEEEZZNS1_33reduce_by_key_impl_wrapped_configILNS1_25lookback_scan_determinismE0ES3_S7_PKfNS0_17constant_iteratorIjlEEPfPlSF_S6_NS0_8equal_toIfEEEE10hipError_tPvRmT2_T3_mT4_T5_T6_T7_T8_P12ihipStream_tbENKUlT_T0_E_clISt17integral_constantIbLb1EESZ_EEDaSU_SV_EUlSU_E_NS1_11comp_targetILNS1_3genE4ELNS1_11target_archE910ELNS1_3gpuE8ELNS1_3repE0EEENS1_30default_config_static_selectorELNS0_4arch9wavefront6targetE0EEEvT1_
	.globl	_ZN7rocprim17ROCPRIM_400000_NS6detail17trampoline_kernelINS0_14default_configENS1_33run_length_encode_config_selectorIfjNS0_4plusIjEEEEZZNS1_33reduce_by_key_impl_wrapped_configILNS1_25lookback_scan_determinismE0ES3_S7_PKfNS0_17constant_iteratorIjlEEPfPlSF_S6_NS0_8equal_toIfEEEE10hipError_tPvRmT2_T3_mT4_T5_T6_T7_T8_P12ihipStream_tbENKUlT_T0_E_clISt17integral_constantIbLb1EESZ_EEDaSU_SV_EUlSU_E_NS1_11comp_targetILNS1_3genE4ELNS1_11target_archE910ELNS1_3gpuE8ELNS1_3repE0EEENS1_30default_config_static_selectorELNS0_4arch9wavefront6targetE0EEEvT1_
	.p2align	8
	.type	_ZN7rocprim17ROCPRIM_400000_NS6detail17trampoline_kernelINS0_14default_configENS1_33run_length_encode_config_selectorIfjNS0_4plusIjEEEEZZNS1_33reduce_by_key_impl_wrapped_configILNS1_25lookback_scan_determinismE0ES3_S7_PKfNS0_17constant_iteratorIjlEEPfPlSF_S6_NS0_8equal_toIfEEEE10hipError_tPvRmT2_T3_mT4_T5_T6_T7_T8_P12ihipStream_tbENKUlT_T0_E_clISt17integral_constantIbLb1EESZ_EEDaSU_SV_EUlSU_E_NS1_11comp_targetILNS1_3genE4ELNS1_11target_archE910ELNS1_3gpuE8ELNS1_3repE0EEENS1_30default_config_static_selectorELNS0_4arch9wavefront6targetE0EEEvT1_,@function
_ZN7rocprim17ROCPRIM_400000_NS6detail17trampoline_kernelINS0_14default_configENS1_33run_length_encode_config_selectorIfjNS0_4plusIjEEEEZZNS1_33reduce_by_key_impl_wrapped_configILNS1_25lookback_scan_determinismE0ES3_S7_PKfNS0_17constant_iteratorIjlEEPfPlSF_S6_NS0_8equal_toIfEEEE10hipError_tPvRmT2_T3_mT4_T5_T6_T7_T8_P12ihipStream_tbENKUlT_T0_E_clISt17integral_constantIbLb1EESZ_EEDaSU_SV_EUlSU_E_NS1_11comp_targetILNS1_3genE4ELNS1_11target_archE910ELNS1_3gpuE8ELNS1_3repE0EEENS1_30default_config_static_selectorELNS0_4arch9wavefront6targetE0EEEvT1_: ; @_ZN7rocprim17ROCPRIM_400000_NS6detail17trampoline_kernelINS0_14default_configENS1_33run_length_encode_config_selectorIfjNS0_4plusIjEEEEZZNS1_33reduce_by_key_impl_wrapped_configILNS1_25lookback_scan_determinismE0ES3_S7_PKfNS0_17constant_iteratorIjlEEPfPlSF_S6_NS0_8equal_toIfEEEE10hipError_tPvRmT2_T3_mT4_T5_T6_T7_T8_P12ihipStream_tbENKUlT_T0_E_clISt17integral_constantIbLb1EESZ_EEDaSU_SV_EUlSU_E_NS1_11comp_targetILNS1_3genE4ELNS1_11target_archE910ELNS1_3gpuE8ELNS1_3repE0EEENS1_30default_config_static_selectorELNS0_4arch9wavefront6targetE0EEEvT1_
; %bb.0:
	.section	.rodata,"a",@progbits
	.p2align	6, 0x0
	.amdhsa_kernel _ZN7rocprim17ROCPRIM_400000_NS6detail17trampoline_kernelINS0_14default_configENS1_33run_length_encode_config_selectorIfjNS0_4plusIjEEEEZZNS1_33reduce_by_key_impl_wrapped_configILNS1_25lookback_scan_determinismE0ES3_S7_PKfNS0_17constant_iteratorIjlEEPfPlSF_S6_NS0_8equal_toIfEEEE10hipError_tPvRmT2_T3_mT4_T5_T6_T7_T8_P12ihipStream_tbENKUlT_T0_E_clISt17integral_constantIbLb1EESZ_EEDaSU_SV_EUlSU_E_NS1_11comp_targetILNS1_3genE4ELNS1_11target_archE910ELNS1_3gpuE8ELNS1_3repE0EEENS1_30default_config_static_selectorELNS0_4arch9wavefront6targetE0EEEvT1_
		.amdhsa_group_segment_fixed_size 0
		.amdhsa_private_segment_fixed_size 0
		.amdhsa_kernarg_size 128
		.amdhsa_user_sgpr_count 2
		.amdhsa_user_sgpr_dispatch_ptr 0
		.amdhsa_user_sgpr_queue_ptr 0
		.amdhsa_user_sgpr_kernarg_segment_ptr 1
		.amdhsa_user_sgpr_dispatch_id 0
		.amdhsa_user_sgpr_kernarg_preload_length 0
		.amdhsa_user_sgpr_kernarg_preload_offset 0
		.amdhsa_user_sgpr_private_segment_size 0
		.amdhsa_wavefront_size32 1
		.amdhsa_uses_dynamic_stack 0
		.amdhsa_enable_private_segment 0
		.amdhsa_system_sgpr_workgroup_id_x 1
		.amdhsa_system_sgpr_workgroup_id_y 0
		.amdhsa_system_sgpr_workgroup_id_z 0
		.amdhsa_system_sgpr_workgroup_info 0
		.amdhsa_system_vgpr_workitem_id 0
		.amdhsa_next_free_vgpr 1
		.amdhsa_next_free_sgpr 1
		.amdhsa_named_barrier_count 0
		.amdhsa_reserve_vcc 0
		.amdhsa_float_round_mode_32 0
		.amdhsa_float_round_mode_16_64 0
		.amdhsa_float_denorm_mode_32 3
		.amdhsa_float_denorm_mode_16_64 3
		.amdhsa_fp16_overflow 0
		.amdhsa_memory_ordered 1
		.amdhsa_forward_progress 1
		.amdhsa_inst_pref_size 0
		.amdhsa_round_robin_scheduling 0
		.amdhsa_exception_fp_ieee_invalid_op 0
		.amdhsa_exception_fp_denorm_src 0
		.amdhsa_exception_fp_ieee_div_zero 0
		.amdhsa_exception_fp_ieee_overflow 0
		.amdhsa_exception_fp_ieee_underflow 0
		.amdhsa_exception_fp_ieee_inexact 0
		.amdhsa_exception_int_div_zero 0
	.end_amdhsa_kernel
	.section	.text._ZN7rocprim17ROCPRIM_400000_NS6detail17trampoline_kernelINS0_14default_configENS1_33run_length_encode_config_selectorIfjNS0_4plusIjEEEEZZNS1_33reduce_by_key_impl_wrapped_configILNS1_25lookback_scan_determinismE0ES3_S7_PKfNS0_17constant_iteratorIjlEEPfPlSF_S6_NS0_8equal_toIfEEEE10hipError_tPvRmT2_T3_mT4_T5_T6_T7_T8_P12ihipStream_tbENKUlT_T0_E_clISt17integral_constantIbLb1EESZ_EEDaSU_SV_EUlSU_E_NS1_11comp_targetILNS1_3genE4ELNS1_11target_archE910ELNS1_3gpuE8ELNS1_3repE0EEENS1_30default_config_static_selectorELNS0_4arch9wavefront6targetE0EEEvT1_,"axG",@progbits,_ZN7rocprim17ROCPRIM_400000_NS6detail17trampoline_kernelINS0_14default_configENS1_33run_length_encode_config_selectorIfjNS0_4plusIjEEEEZZNS1_33reduce_by_key_impl_wrapped_configILNS1_25lookback_scan_determinismE0ES3_S7_PKfNS0_17constant_iteratorIjlEEPfPlSF_S6_NS0_8equal_toIfEEEE10hipError_tPvRmT2_T3_mT4_T5_T6_T7_T8_P12ihipStream_tbENKUlT_T0_E_clISt17integral_constantIbLb1EESZ_EEDaSU_SV_EUlSU_E_NS1_11comp_targetILNS1_3genE4ELNS1_11target_archE910ELNS1_3gpuE8ELNS1_3repE0EEENS1_30default_config_static_selectorELNS0_4arch9wavefront6targetE0EEEvT1_,comdat
.Lfunc_end384:
	.size	_ZN7rocprim17ROCPRIM_400000_NS6detail17trampoline_kernelINS0_14default_configENS1_33run_length_encode_config_selectorIfjNS0_4plusIjEEEEZZNS1_33reduce_by_key_impl_wrapped_configILNS1_25lookback_scan_determinismE0ES3_S7_PKfNS0_17constant_iteratorIjlEEPfPlSF_S6_NS0_8equal_toIfEEEE10hipError_tPvRmT2_T3_mT4_T5_T6_T7_T8_P12ihipStream_tbENKUlT_T0_E_clISt17integral_constantIbLb1EESZ_EEDaSU_SV_EUlSU_E_NS1_11comp_targetILNS1_3genE4ELNS1_11target_archE910ELNS1_3gpuE8ELNS1_3repE0EEENS1_30default_config_static_selectorELNS0_4arch9wavefront6targetE0EEEvT1_, .Lfunc_end384-_ZN7rocprim17ROCPRIM_400000_NS6detail17trampoline_kernelINS0_14default_configENS1_33run_length_encode_config_selectorIfjNS0_4plusIjEEEEZZNS1_33reduce_by_key_impl_wrapped_configILNS1_25lookback_scan_determinismE0ES3_S7_PKfNS0_17constant_iteratorIjlEEPfPlSF_S6_NS0_8equal_toIfEEEE10hipError_tPvRmT2_T3_mT4_T5_T6_T7_T8_P12ihipStream_tbENKUlT_T0_E_clISt17integral_constantIbLb1EESZ_EEDaSU_SV_EUlSU_E_NS1_11comp_targetILNS1_3genE4ELNS1_11target_archE910ELNS1_3gpuE8ELNS1_3repE0EEENS1_30default_config_static_selectorELNS0_4arch9wavefront6targetE0EEEvT1_
                                        ; -- End function
	.set _ZN7rocprim17ROCPRIM_400000_NS6detail17trampoline_kernelINS0_14default_configENS1_33run_length_encode_config_selectorIfjNS0_4plusIjEEEEZZNS1_33reduce_by_key_impl_wrapped_configILNS1_25lookback_scan_determinismE0ES3_S7_PKfNS0_17constant_iteratorIjlEEPfPlSF_S6_NS0_8equal_toIfEEEE10hipError_tPvRmT2_T3_mT4_T5_T6_T7_T8_P12ihipStream_tbENKUlT_T0_E_clISt17integral_constantIbLb1EESZ_EEDaSU_SV_EUlSU_E_NS1_11comp_targetILNS1_3genE4ELNS1_11target_archE910ELNS1_3gpuE8ELNS1_3repE0EEENS1_30default_config_static_selectorELNS0_4arch9wavefront6targetE0EEEvT1_.num_vgpr, 0
	.set _ZN7rocprim17ROCPRIM_400000_NS6detail17trampoline_kernelINS0_14default_configENS1_33run_length_encode_config_selectorIfjNS0_4plusIjEEEEZZNS1_33reduce_by_key_impl_wrapped_configILNS1_25lookback_scan_determinismE0ES3_S7_PKfNS0_17constant_iteratorIjlEEPfPlSF_S6_NS0_8equal_toIfEEEE10hipError_tPvRmT2_T3_mT4_T5_T6_T7_T8_P12ihipStream_tbENKUlT_T0_E_clISt17integral_constantIbLb1EESZ_EEDaSU_SV_EUlSU_E_NS1_11comp_targetILNS1_3genE4ELNS1_11target_archE910ELNS1_3gpuE8ELNS1_3repE0EEENS1_30default_config_static_selectorELNS0_4arch9wavefront6targetE0EEEvT1_.num_agpr, 0
	.set _ZN7rocprim17ROCPRIM_400000_NS6detail17trampoline_kernelINS0_14default_configENS1_33run_length_encode_config_selectorIfjNS0_4plusIjEEEEZZNS1_33reduce_by_key_impl_wrapped_configILNS1_25lookback_scan_determinismE0ES3_S7_PKfNS0_17constant_iteratorIjlEEPfPlSF_S6_NS0_8equal_toIfEEEE10hipError_tPvRmT2_T3_mT4_T5_T6_T7_T8_P12ihipStream_tbENKUlT_T0_E_clISt17integral_constantIbLb1EESZ_EEDaSU_SV_EUlSU_E_NS1_11comp_targetILNS1_3genE4ELNS1_11target_archE910ELNS1_3gpuE8ELNS1_3repE0EEENS1_30default_config_static_selectorELNS0_4arch9wavefront6targetE0EEEvT1_.numbered_sgpr, 0
	.set _ZN7rocprim17ROCPRIM_400000_NS6detail17trampoline_kernelINS0_14default_configENS1_33run_length_encode_config_selectorIfjNS0_4plusIjEEEEZZNS1_33reduce_by_key_impl_wrapped_configILNS1_25lookback_scan_determinismE0ES3_S7_PKfNS0_17constant_iteratorIjlEEPfPlSF_S6_NS0_8equal_toIfEEEE10hipError_tPvRmT2_T3_mT4_T5_T6_T7_T8_P12ihipStream_tbENKUlT_T0_E_clISt17integral_constantIbLb1EESZ_EEDaSU_SV_EUlSU_E_NS1_11comp_targetILNS1_3genE4ELNS1_11target_archE910ELNS1_3gpuE8ELNS1_3repE0EEENS1_30default_config_static_selectorELNS0_4arch9wavefront6targetE0EEEvT1_.num_named_barrier, 0
	.set _ZN7rocprim17ROCPRIM_400000_NS6detail17trampoline_kernelINS0_14default_configENS1_33run_length_encode_config_selectorIfjNS0_4plusIjEEEEZZNS1_33reduce_by_key_impl_wrapped_configILNS1_25lookback_scan_determinismE0ES3_S7_PKfNS0_17constant_iteratorIjlEEPfPlSF_S6_NS0_8equal_toIfEEEE10hipError_tPvRmT2_T3_mT4_T5_T6_T7_T8_P12ihipStream_tbENKUlT_T0_E_clISt17integral_constantIbLb1EESZ_EEDaSU_SV_EUlSU_E_NS1_11comp_targetILNS1_3genE4ELNS1_11target_archE910ELNS1_3gpuE8ELNS1_3repE0EEENS1_30default_config_static_selectorELNS0_4arch9wavefront6targetE0EEEvT1_.private_seg_size, 0
	.set _ZN7rocprim17ROCPRIM_400000_NS6detail17trampoline_kernelINS0_14default_configENS1_33run_length_encode_config_selectorIfjNS0_4plusIjEEEEZZNS1_33reduce_by_key_impl_wrapped_configILNS1_25lookback_scan_determinismE0ES3_S7_PKfNS0_17constant_iteratorIjlEEPfPlSF_S6_NS0_8equal_toIfEEEE10hipError_tPvRmT2_T3_mT4_T5_T6_T7_T8_P12ihipStream_tbENKUlT_T0_E_clISt17integral_constantIbLb1EESZ_EEDaSU_SV_EUlSU_E_NS1_11comp_targetILNS1_3genE4ELNS1_11target_archE910ELNS1_3gpuE8ELNS1_3repE0EEENS1_30default_config_static_selectorELNS0_4arch9wavefront6targetE0EEEvT1_.uses_vcc, 0
	.set _ZN7rocprim17ROCPRIM_400000_NS6detail17trampoline_kernelINS0_14default_configENS1_33run_length_encode_config_selectorIfjNS0_4plusIjEEEEZZNS1_33reduce_by_key_impl_wrapped_configILNS1_25lookback_scan_determinismE0ES3_S7_PKfNS0_17constant_iteratorIjlEEPfPlSF_S6_NS0_8equal_toIfEEEE10hipError_tPvRmT2_T3_mT4_T5_T6_T7_T8_P12ihipStream_tbENKUlT_T0_E_clISt17integral_constantIbLb1EESZ_EEDaSU_SV_EUlSU_E_NS1_11comp_targetILNS1_3genE4ELNS1_11target_archE910ELNS1_3gpuE8ELNS1_3repE0EEENS1_30default_config_static_selectorELNS0_4arch9wavefront6targetE0EEEvT1_.uses_flat_scratch, 0
	.set _ZN7rocprim17ROCPRIM_400000_NS6detail17trampoline_kernelINS0_14default_configENS1_33run_length_encode_config_selectorIfjNS0_4plusIjEEEEZZNS1_33reduce_by_key_impl_wrapped_configILNS1_25lookback_scan_determinismE0ES3_S7_PKfNS0_17constant_iteratorIjlEEPfPlSF_S6_NS0_8equal_toIfEEEE10hipError_tPvRmT2_T3_mT4_T5_T6_T7_T8_P12ihipStream_tbENKUlT_T0_E_clISt17integral_constantIbLb1EESZ_EEDaSU_SV_EUlSU_E_NS1_11comp_targetILNS1_3genE4ELNS1_11target_archE910ELNS1_3gpuE8ELNS1_3repE0EEENS1_30default_config_static_selectorELNS0_4arch9wavefront6targetE0EEEvT1_.has_dyn_sized_stack, 0
	.set _ZN7rocprim17ROCPRIM_400000_NS6detail17trampoline_kernelINS0_14default_configENS1_33run_length_encode_config_selectorIfjNS0_4plusIjEEEEZZNS1_33reduce_by_key_impl_wrapped_configILNS1_25lookback_scan_determinismE0ES3_S7_PKfNS0_17constant_iteratorIjlEEPfPlSF_S6_NS0_8equal_toIfEEEE10hipError_tPvRmT2_T3_mT4_T5_T6_T7_T8_P12ihipStream_tbENKUlT_T0_E_clISt17integral_constantIbLb1EESZ_EEDaSU_SV_EUlSU_E_NS1_11comp_targetILNS1_3genE4ELNS1_11target_archE910ELNS1_3gpuE8ELNS1_3repE0EEENS1_30default_config_static_selectorELNS0_4arch9wavefront6targetE0EEEvT1_.has_recursion, 0
	.set _ZN7rocprim17ROCPRIM_400000_NS6detail17trampoline_kernelINS0_14default_configENS1_33run_length_encode_config_selectorIfjNS0_4plusIjEEEEZZNS1_33reduce_by_key_impl_wrapped_configILNS1_25lookback_scan_determinismE0ES3_S7_PKfNS0_17constant_iteratorIjlEEPfPlSF_S6_NS0_8equal_toIfEEEE10hipError_tPvRmT2_T3_mT4_T5_T6_T7_T8_P12ihipStream_tbENKUlT_T0_E_clISt17integral_constantIbLb1EESZ_EEDaSU_SV_EUlSU_E_NS1_11comp_targetILNS1_3genE4ELNS1_11target_archE910ELNS1_3gpuE8ELNS1_3repE0EEENS1_30default_config_static_selectorELNS0_4arch9wavefront6targetE0EEEvT1_.has_indirect_call, 0
	.section	.AMDGPU.csdata,"",@progbits
; Kernel info:
; codeLenInByte = 0
; TotalNumSgprs: 0
; NumVgprs: 0
; ScratchSize: 0
; MemoryBound: 0
; FloatMode: 240
; IeeeMode: 1
; LDSByteSize: 0 bytes/workgroup (compile time only)
; SGPRBlocks: 0
; VGPRBlocks: 0
; NumSGPRsForWavesPerEU: 1
; NumVGPRsForWavesPerEU: 1
; NamedBarCnt: 0
; Occupancy: 16
; WaveLimiterHint : 0
; COMPUTE_PGM_RSRC2:SCRATCH_EN: 0
; COMPUTE_PGM_RSRC2:USER_SGPR: 2
; COMPUTE_PGM_RSRC2:TRAP_HANDLER: 0
; COMPUTE_PGM_RSRC2:TGID_X_EN: 1
; COMPUTE_PGM_RSRC2:TGID_Y_EN: 0
; COMPUTE_PGM_RSRC2:TGID_Z_EN: 0
; COMPUTE_PGM_RSRC2:TIDIG_COMP_CNT: 0
	.section	.text._ZN7rocprim17ROCPRIM_400000_NS6detail17trampoline_kernelINS0_14default_configENS1_33run_length_encode_config_selectorIfjNS0_4plusIjEEEEZZNS1_33reduce_by_key_impl_wrapped_configILNS1_25lookback_scan_determinismE0ES3_S7_PKfNS0_17constant_iteratorIjlEEPfPlSF_S6_NS0_8equal_toIfEEEE10hipError_tPvRmT2_T3_mT4_T5_T6_T7_T8_P12ihipStream_tbENKUlT_T0_E_clISt17integral_constantIbLb1EESZ_EEDaSU_SV_EUlSU_E_NS1_11comp_targetILNS1_3genE3ELNS1_11target_archE908ELNS1_3gpuE7ELNS1_3repE0EEENS1_30default_config_static_selectorELNS0_4arch9wavefront6targetE0EEEvT1_,"axG",@progbits,_ZN7rocprim17ROCPRIM_400000_NS6detail17trampoline_kernelINS0_14default_configENS1_33run_length_encode_config_selectorIfjNS0_4plusIjEEEEZZNS1_33reduce_by_key_impl_wrapped_configILNS1_25lookback_scan_determinismE0ES3_S7_PKfNS0_17constant_iteratorIjlEEPfPlSF_S6_NS0_8equal_toIfEEEE10hipError_tPvRmT2_T3_mT4_T5_T6_T7_T8_P12ihipStream_tbENKUlT_T0_E_clISt17integral_constantIbLb1EESZ_EEDaSU_SV_EUlSU_E_NS1_11comp_targetILNS1_3genE3ELNS1_11target_archE908ELNS1_3gpuE7ELNS1_3repE0EEENS1_30default_config_static_selectorELNS0_4arch9wavefront6targetE0EEEvT1_,comdat
	.protected	_ZN7rocprim17ROCPRIM_400000_NS6detail17trampoline_kernelINS0_14default_configENS1_33run_length_encode_config_selectorIfjNS0_4plusIjEEEEZZNS1_33reduce_by_key_impl_wrapped_configILNS1_25lookback_scan_determinismE0ES3_S7_PKfNS0_17constant_iteratorIjlEEPfPlSF_S6_NS0_8equal_toIfEEEE10hipError_tPvRmT2_T3_mT4_T5_T6_T7_T8_P12ihipStream_tbENKUlT_T0_E_clISt17integral_constantIbLb1EESZ_EEDaSU_SV_EUlSU_E_NS1_11comp_targetILNS1_3genE3ELNS1_11target_archE908ELNS1_3gpuE7ELNS1_3repE0EEENS1_30default_config_static_selectorELNS0_4arch9wavefront6targetE0EEEvT1_ ; -- Begin function _ZN7rocprim17ROCPRIM_400000_NS6detail17trampoline_kernelINS0_14default_configENS1_33run_length_encode_config_selectorIfjNS0_4plusIjEEEEZZNS1_33reduce_by_key_impl_wrapped_configILNS1_25lookback_scan_determinismE0ES3_S7_PKfNS0_17constant_iteratorIjlEEPfPlSF_S6_NS0_8equal_toIfEEEE10hipError_tPvRmT2_T3_mT4_T5_T6_T7_T8_P12ihipStream_tbENKUlT_T0_E_clISt17integral_constantIbLb1EESZ_EEDaSU_SV_EUlSU_E_NS1_11comp_targetILNS1_3genE3ELNS1_11target_archE908ELNS1_3gpuE7ELNS1_3repE0EEENS1_30default_config_static_selectorELNS0_4arch9wavefront6targetE0EEEvT1_
	.globl	_ZN7rocprim17ROCPRIM_400000_NS6detail17trampoline_kernelINS0_14default_configENS1_33run_length_encode_config_selectorIfjNS0_4plusIjEEEEZZNS1_33reduce_by_key_impl_wrapped_configILNS1_25lookback_scan_determinismE0ES3_S7_PKfNS0_17constant_iteratorIjlEEPfPlSF_S6_NS0_8equal_toIfEEEE10hipError_tPvRmT2_T3_mT4_T5_T6_T7_T8_P12ihipStream_tbENKUlT_T0_E_clISt17integral_constantIbLb1EESZ_EEDaSU_SV_EUlSU_E_NS1_11comp_targetILNS1_3genE3ELNS1_11target_archE908ELNS1_3gpuE7ELNS1_3repE0EEENS1_30default_config_static_selectorELNS0_4arch9wavefront6targetE0EEEvT1_
	.p2align	8
	.type	_ZN7rocprim17ROCPRIM_400000_NS6detail17trampoline_kernelINS0_14default_configENS1_33run_length_encode_config_selectorIfjNS0_4plusIjEEEEZZNS1_33reduce_by_key_impl_wrapped_configILNS1_25lookback_scan_determinismE0ES3_S7_PKfNS0_17constant_iteratorIjlEEPfPlSF_S6_NS0_8equal_toIfEEEE10hipError_tPvRmT2_T3_mT4_T5_T6_T7_T8_P12ihipStream_tbENKUlT_T0_E_clISt17integral_constantIbLb1EESZ_EEDaSU_SV_EUlSU_E_NS1_11comp_targetILNS1_3genE3ELNS1_11target_archE908ELNS1_3gpuE7ELNS1_3repE0EEENS1_30default_config_static_selectorELNS0_4arch9wavefront6targetE0EEEvT1_,@function
_ZN7rocprim17ROCPRIM_400000_NS6detail17trampoline_kernelINS0_14default_configENS1_33run_length_encode_config_selectorIfjNS0_4plusIjEEEEZZNS1_33reduce_by_key_impl_wrapped_configILNS1_25lookback_scan_determinismE0ES3_S7_PKfNS0_17constant_iteratorIjlEEPfPlSF_S6_NS0_8equal_toIfEEEE10hipError_tPvRmT2_T3_mT4_T5_T6_T7_T8_P12ihipStream_tbENKUlT_T0_E_clISt17integral_constantIbLb1EESZ_EEDaSU_SV_EUlSU_E_NS1_11comp_targetILNS1_3genE3ELNS1_11target_archE908ELNS1_3gpuE7ELNS1_3repE0EEENS1_30default_config_static_selectorELNS0_4arch9wavefront6targetE0EEEvT1_: ; @_ZN7rocprim17ROCPRIM_400000_NS6detail17trampoline_kernelINS0_14default_configENS1_33run_length_encode_config_selectorIfjNS0_4plusIjEEEEZZNS1_33reduce_by_key_impl_wrapped_configILNS1_25lookback_scan_determinismE0ES3_S7_PKfNS0_17constant_iteratorIjlEEPfPlSF_S6_NS0_8equal_toIfEEEE10hipError_tPvRmT2_T3_mT4_T5_T6_T7_T8_P12ihipStream_tbENKUlT_T0_E_clISt17integral_constantIbLb1EESZ_EEDaSU_SV_EUlSU_E_NS1_11comp_targetILNS1_3genE3ELNS1_11target_archE908ELNS1_3gpuE7ELNS1_3repE0EEENS1_30default_config_static_selectorELNS0_4arch9wavefront6targetE0EEEvT1_
; %bb.0:
	.section	.rodata,"a",@progbits
	.p2align	6, 0x0
	.amdhsa_kernel _ZN7rocprim17ROCPRIM_400000_NS6detail17trampoline_kernelINS0_14default_configENS1_33run_length_encode_config_selectorIfjNS0_4plusIjEEEEZZNS1_33reduce_by_key_impl_wrapped_configILNS1_25lookback_scan_determinismE0ES3_S7_PKfNS0_17constant_iteratorIjlEEPfPlSF_S6_NS0_8equal_toIfEEEE10hipError_tPvRmT2_T3_mT4_T5_T6_T7_T8_P12ihipStream_tbENKUlT_T0_E_clISt17integral_constantIbLb1EESZ_EEDaSU_SV_EUlSU_E_NS1_11comp_targetILNS1_3genE3ELNS1_11target_archE908ELNS1_3gpuE7ELNS1_3repE0EEENS1_30default_config_static_selectorELNS0_4arch9wavefront6targetE0EEEvT1_
		.amdhsa_group_segment_fixed_size 0
		.amdhsa_private_segment_fixed_size 0
		.amdhsa_kernarg_size 128
		.amdhsa_user_sgpr_count 2
		.amdhsa_user_sgpr_dispatch_ptr 0
		.amdhsa_user_sgpr_queue_ptr 0
		.amdhsa_user_sgpr_kernarg_segment_ptr 1
		.amdhsa_user_sgpr_dispatch_id 0
		.amdhsa_user_sgpr_kernarg_preload_length 0
		.amdhsa_user_sgpr_kernarg_preload_offset 0
		.amdhsa_user_sgpr_private_segment_size 0
		.amdhsa_wavefront_size32 1
		.amdhsa_uses_dynamic_stack 0
		.amdhsa_enable_private_segment 0
		.amdhsa_system_sgpr_workgroup_id_x 1
		.amdhsa_system_sgpr_workgroup_id_y 0
		.amdhsa_system_sgpr_workgroup_id_z 0
		.amdhsa_system_sgpr_workgroup_info 0
		.amdhsa_system_vgpr_workitem_id 0
		.amdhsa_next_free_vgpr 1
		.amdhsa_next_free_sgpr 1
		.amdhsa_named_barrier_count 0
		.amdhsa_reserve_vcc 0
		.amdhsa_float_round_mode_32 0
		.amdhsa_float_round_mode_16_64 0
		.amdhsa_float_denorm_mode_32 3
		.amdhsa_float_denorm_mode_16_64 3
		.amdhsa_fp16_overflow 0
		.amdhsa_memory_ordered 1
		.amdhsa_forward_progress 1
		.amdhsa_inst_pref_size 0
		.amdhsa_round_robin_scheduling 0
		.amdhsa_exception_fp_ieee_invalid_op 0
		.amdhsa_exception_fp_denorm_src 0
		.amdhsa_exception_fp_ieee_div_zero 0
		.amdhsa_exception_fp_ieee_overflow 0
		.amdhsa_exception_fp_ieee_underflow 0
		.amdhsa_exception_fp_ieee_inexact 0
		.amdhsa_exception_int_div_zero 0
	.end_amdhsa_kernel
	.section	.text._ZN7rocprim17ROCPRIM_400000_NS6detail17trampoline_kernelINS0_14default_configENS1_33run_length_encode_config_selectorIfjNS0_4plusIjEEEEZZNS1_33reduce_by_key_impl_wrapped_configILNS1_25lookback_scan_determinismE0ES3_S7_PKfNS0_17constant_iteratorIjlEEPfPlSF_S6_NS0_8equal_toIfEEEE10hipError_tPvRmT2_T3_mT4_T5_T6_T7_T8_P12ihipStream_tbENKUlT_T0_E_clISt17integral_constantIbLb1EESZ_EEDaSU_SV_EUlSU_E_NS1_11comp_targetILNS1_3genE3ELNS1_11target_archE908ELNS1_3gpuE7ELNS1_3repE0EEENS1_30default_config_static_selectorELNS0_4arch9wavefront6targetE0EEEvT1_,"axG",@progbits,_ZN7rocprim17ROCPRIM_400000_NS6detail17trampoline_kernelINS0_14default_configENS1_33run_length_encode_config_selectorIfjNS0_4plusIjEEEEZZNS1_33reduce_by_key_impl_wrapped_configILNS1_25lookback_scan_determinismE0ES3_S7_PKfNS0_17constant_iteratorIjlEEPfPlSF_S6_NS0_8equal_toIfEEEE10hipError_tPvRmT2_T3_mT4_T5_T6_T7_T8_P12ihipStream_tbENKUlT_T0_E_clISt17integral_constantIbLb1EESZ_EEDaSU_SV_EUlSU_E_NS1_11comp_targetILNS1_3genE3ELNS1_11target_archE908ELNS1_3gpuE7ELNS1_3repE0EEENS1_30default_config_static_selectorELNS0_4arch9wavefront6targetE0EEEvT1_,comdat
.Lfunc_end385:
	.size	_ZN7rocprim17ROCPRIM_400000_NS6detail17trampoline_kernelINS0_14default_configENS1_33run_length_encode_config_selectorIfjNS0_4plusIjEEEEZZNS1_33reduce_by_key_impl_wrapped_configILNS1_25lookback_scan_determinismE0ES3_S7_PKfNS0_17constant_iteratorIjlEEPfPlSF_S6_NS0_8equal_toIfEEEE10hipError_tPvRmT2_T3_mT4_T5_T6_T7_T8_P12ihipStream_tbENKUlT_T0_E_clISt17integral_constantIbLb1EESZ_EEDaSU_SV_EUlSU_E_NS1_11comp_targetILNS1_3genE3ELNS1_11target_archE908ELNS1_3gpuE7ELNS1_3repE0EEENS1_30default_config_static_selectorELNS0_4arch9wavefront6targetE0EEEvT1_, .Lfunc_end385-_ZN7rocprim17ROCPRIM_400000_NS6detail17trampoline_kernelINS0_14default_configENS1_33run_length_encode_config_selectorIfjNS0_4plusIjEEEEZZNS1_33reduce_by_key_impl_wrapped_configILNS1_25lookback_scan_determinismE0ES3_S7_PKfNS0_17constant_iteratorIjlEEPfPlSF_S6_NS0_8equal_toIfEEEE10hipError_tPvRmT2_T3_mT4_T5_T6_T7_T8_P12ihipStream_tbENKUlT_T0_E_clISt17integral_constantIbLb1EESZ_EEDaSU_SV_EUlSU_E_NS1_11comp_targetILNS1_3genE3ELNS1_11target_archE908ELNS1_3gpuE7ELNS1_3repE0EEENS1_30default_config_static_selectorELNS0_4arch9wavefront6targetE0EEEvT1_
                                        ; -- End function
	.set _ZN7rocprim17ROCPRIM_400000_NS6detail17trampoline_kernelINS0_14default_configENS1_33run_length_encode_config_selectorIfjNS0_4plusIjEEEEZZNS1_33reduce_by_key_impl_wrapped_configILNS1_25lookback_scan_determinismE0ES3_S7_PKfNS0_17constant_iteratorIjlEEPfPlSF_S6_NS0_8equal_toIfEEEE10hipError_tPvRmT2_T3_mT4_T5_T6_T7_T8_P12ihipStream_tbENKUlT_T0_E_clISt17integral_constantIbLb1EESZ_EEDaSU_SV_EUlSU_E_NS1_11comp_targetILNS1_3genE3ELNS1_11target_archE908ELNS1_3gpuE7ELNS1_3repE0EEENS1_30default_config_static_selectorELNS0_4arch9wavefront6targetE0EEEvT1_.num_vgpr, 0
	.set _ZN7rocprim17ROCPRIM_400000_NS6detail17trampoline_kernelINS0_14default_configENS1_33run_length_encode_config_selectorIfjNS0_4plusIjEEEEZZNS1_33reduce_by_key_impl_wrapped_configILNS1_25lookback_scan_determinismE0ES3_S7_PKfNS0_17constant_iteratorIjlEEPfPlSF_S6_NS0_8equal_toIfEEEE10hipError_tPvRmT2_T3_mT4_T5_T6_T7_T8_P12ihipStream_tbENKUlT_T0_E_clISt17integral_constantIbLb1EESZ_EEDaSU_SV_EUlSU_E_NS1_11comp_targetILNS1_3genE3ELNS1_11target_archE908ELNS1_3gpuE7ELNS1_3repE0EEENS1_30default_config_static_selectorELNS0_4arch9wavefront6targetE0EEEvT1_.num_agpr, 0
	.set _ZN7rocprim17ROCPRIM_400000_NS6detail17trampoline_kernelINS0_14default_configENS1_33run_length_encode_config_selectorIfjNS0_4plusIjEEEEZZNS1_33reduce_by_key_impl_wrapped_configILNS1_25lookback_scan_determinismE0ES3_S7_PKfNS0_17constant_iteratorIjlEEPfPlSF_S6_NS0_8equal_toIfEEEE10hipError_tPvRmT2_T3_mT4_T5_T6_T7_T8_P12ihipStream_tbENKUlT_T0_E_clISt17integral_constantIbLb1EESZ_EEDaSU_SV_EUlSU_E_NS1_11comp_targetILNS1_3genE3ELNS1_11target_archE908ELNS1_3gpuE7ELNS1_3repE0EEENS1_30default_config_static_selectorELNS0_4arch9wavefront6targetE0EEEvT1_.numbered_sgpr, 0
	.set _ZN7rocprim17ROCPRIM_400000_NS6detail17trampoline_kernelINS0_14default_configENS1_33run_length_encode_config_selectorIfjNS0_4plusIjEEEEZZNS1_33reduce_by_key_impl_wrapped_configILNS1_25lookback_scan_determinismE0ES3_S7_PKfNS0_17constant_iteratorIjlEEPfPlSF_S6_NS0_8equal_toIfEEEE10hipError_tPvRmT2_T3_mT4_T5_T6_T7_T8_P12ihipStream_tbENKUlT_T0_E_clISt17integral_constantIbLb1EESZ_EEDaSU_SV_EUlSU_E_NS1_11comp_targetILNS1_3genE3ELNS1_11target_archE908ELNS1_3gpuE7ELNS1_3repE0EEENS1_30default_config_static_selectorELNS0_4arch9wavefront6targetE0EEEvT1_.num_named_barrier, 0
	.set _ZN7rocprim17ROCPRIM_400000_NS6detail17trampoline_kernelINS0_14default_configENS1_33run_length_encode_config_selectorIfjNS0_4plusIjEEEEZZNS1_33reduce_by_key_impl_wrapped_configILNS1_25lookback_scan_determinismE0ES3_S7_PKfNS0_17constant_iteratorIjlEEPfPlSF_S6_NS0_8equal_toIfEEEE10hipError_tPvRmT2_T3_mT4_T5_T6_T7_T8_P12ihipStream_tbENKUlT_T0_E_clISt17integral_constantIbLb1EESZ_EEDaSU_SV_EUlSU_E_NS1_11comp_targetILNS1_3genE3ELNS1_11target_archE908ELNS1_3gpuE7ELNS1_3repE0EEENS1_30default_config_static_selectorELNS0_4arch9wavefront6targetE0EEEvT1_.private_seg_size, 0
	.set _ZN7rocprim17ROCPRIM_400000_NS6detail17trampoline_kernelINS0_14default_configENS1_33run_length_encode_config_selectorIfjNS0_4plusIjEEEEZZNS1_33reduce_by_key_impl_wrapped_configILNS1_25lookback_scan_determinismE0ES3_S7_PKfNS0_17constant_iteratorIjlEEPfPlSF_S6_NS0_8equal_toIfEEEE10hipError_tPvRmT2_T3_mT4_T5_T6_T7_T8_P12ihipStream_tbENKUlT_T0_E_clISt17integral_constantIbLb1EESZ_EEDaSU_SV_EUlSU_E_NS1_11comp_targetILNS1_3genE3ELNS1_11target_archE908ELNS1_3gpuE7ELNS1_3repE0EEENS1_30default_config_static_selectorELNS0_4arch9wavefront6targetE0EEEvT1_.uses_vcc, 0
	.set _ZN7rocprim17ROCPRIM_400000_NS6detail17trampoline_kernelINS0_14default_configENS1_33run_length_encode_config_selectorIfjNS0_4plusIjEEEEZZNS1_33reduce_by_key_impl_wrapped_configILNS1_25lookback_scan_determinismE0ES3_S7_PKfNS0_17constant_iteratorIjlEEPfPlSF_S6_NS0_8equal_toIfEEEE10hipError_tPvRmT2_T3_mT4_T5_T6_T7_T8_P12ihipStream_tbENKUlT_T0_E_clISt17integral_constantIbLb1EESZ_EEDaSU_SV_EUlSU_E_NS1_11comp_targetILNS1_3genE3ELNS1_11target_archE908ELNS1_3gpuE7ELNS1_3repE0EEENS1_30default_config_static_selectorELNS0_4arch9wavefront6targetE0EEEvT1_.uses_flat_scratch, 0
	.set _ZN7rocprim17ROCPRIM_400000_NS6detail17trampoline_kernelINS0_14default_configENS1_33run_length_encode_config_selectorIfjNS0_4plusIjEEEEZZNS1_33reduce_by_key_impl_wrapped_configILNS1_25lookback_scan_determinismE0ES3_S7_PKfNS0_17constant_iteratorIjlEEPfPlSF_S6_NS0_8equal_toIfEEEE10hipError_tPvRmT2_T3_mT4_T5_T6_T7_T8_P12ihipStream_tbENKUlT_T0_E_clISt17integral_constantIbLb1EESZ_EEDaSU_SV_EUlSU_E_NS1_11comp_targetILNS1_3genE3ELNS1_11target_archE908ELNS1_3gpuE7ELNS1_3repE0EEENS1_30default_config_static_selectorELNS0_4arch9wavefront6targetE0EEEvT1_.has_dyn_sized_stack, 0
	.set _ZN7rocprim17ROCPRIM_400000_NS6detail17trampoline_kernelINS0_14default_configENS1_33run_length_encode_config_selectorIfjNS0_4plusIjEEEEZZNS1_33reduce_by_key_impl_wrapped_configILNS1_25lookback_scan_determinismE0ES3_S7_PKfNS0_17constant_iteratorIjlEEPfPlSF_S6_NS0_8equal_toIfEEEE10hipError_tPvRmT2_T3_mT4_T5_T6_T7_T8_P12ihipStream_tbENKUlT_T0_E_clISt17integral_constantIbLb1EESZ_EEDaSU_SV_EUlSU_E_NS1_11comp_targetILNS1_3genE3ELNS1_11target_archE908ELNS1_3gpuE7ELNS1_3repE0EEENS1_30default_config_static_selectorELNS0_4arch9wavefront6targetE0EEEvT1_.has_recursion, 0
	.set _ZN7rocprim17ROCPRIM_400000_NS6detail17trampoline_kernelINS0_14default_configENS1_33run_length_encode_config_selectorIfjNS0_4plusIjEEEEZZNS1_33reduce_by_key_impl_wrapped_configILNS1_25lookback_scan_determinismE0ES3_S7_PKfNS0_17constant_iteratorIjlEEPfPlSF_S6_NS0_8equal_toIfEEEE10hipError_tPvRmT2_T3_mT4_T5_T6_T7_T8_P12ihipStream_tbENKUlT_T0_E_clISt17integral_constantIbLb1EESZ_EEDaSU_SV_EUlSU_E_NS1_11comp_targetILNS1_3genE3ELNS1_11target_archE908ELNS1_3gpuE7ELNS1_3repE0EEENS1_30default_config_static_selectorELNS0_4arch9wavefront6targetE0EEEvT1_.has_indirect_call, 0
	.section	.AMDGPU.csdata,"",@progbits
; Kernel info:
; codeLenInByte = 0
; TotalNumSgprs: 0
; NumVgprs: 0
; ScratchSize: 0
; MemoryBound: 0
; FloatMode: 240
; IeeeMode: 1
; LDSByteSize: 0 bytes/workgroup (compile time only)
; SGPRBlocks: 0
; VGPRBlocks: 0
; NumSGPRsForWavesPerEU: 1
; NumVGPRsForWavesPerEU: 1
; NamedBarCnt: 0
; Occupancy: 16
; WaveLimiterHint : 0
; COMPUTE_PGM_RSRC2:SCRATCH_EN: 0
; COMPUTE_PGM_RSRC2:USER_SGPR: 2
; COMPUTE_PGM_RSRC2:TRAP_HANDLER: 0
; COMPUTE_PGM_RSRC2:TGID_X_EN: 1
; COMPUTE_PGM_RSRC2:TGID_Y_EN: 0
; COMPUTE_PGM_RSRC2:TGID_Z_EN: 0
; COMPUTE_PGM_RSRC2:TIDIG_COMP_CNT: 0
	.section	.text._ZN7rocprim17ROCPRIM_400000_NS6detail17trampoline_kernelINS0_14default_configENS1_33run_length_encode_config_selectorIfjNS0_4plusIjEEEEZZNS1_33reduce_by_key_impl_wrapped_configILNS1_25lookback_scan_determinismE0ES3_S7_PKfNS0_17constant_iteratorIjlEEPfPlSF_S6_NS0_8equal_toIfEEEE10hipError_tPvRmT2_T3_mT4_T5_T6_T7_T8_P12ihipStream_tbENKUlT_T0_E_clISt17integral_constantIbLb1EESZ_EEDaSU_SV_EUlSU_E_NS1_11comp_targetILNS1_3genE2ELNS1_11target_archE906ELNS1_3gpuE6ELNS1_3repE0EEENS1_30default_config_static_selectorELNS0_4arch9wavefront6targetE0EEEvT1_,"axG",@progbits,_ZN7rocprim17ROCPRIM_400000_NS6detail17trampoline_kernelINS0_14default_configENS1_33run_length_encode_config_selectorIfjNS0_4plusIjEEEEZZNS1_33reduce_by_key_impl_wrapped_configILNS1_25lookback_scan_determinismE0ES3_S7_PKfNS0_17constant_iteratorIjlEEPfPlSF_S6_NS0_8equal_toIfEEEE10hipError_tPvRmT2_T3_mT4_T5_T6_T7_T8_P12ihipStream_tbENKUlT_T0_E_clISt17integral_constantIbLb1EESZ_EEDaSU_SV_EUlSU_E_NS1_11comp_targetILNS1_3genE2ELNS1_11target_archE906ELNS1_3gpuE6ELNS1_3repE0EEENS1_30default_config_static_selectorELNS0_4arch9wavefront6targetE0EEEvT1_,comdat
	.protected	_ZN7rocprim17ROCPRIM_400000_NS6detail17trampoline_kernelINS0_14default_configENS1_33run_length_encode_config_selectorIfjNS0_4plusIjEEEEZZNS1_33reduce_by_key_impl_wrapped_configILNS1_25lookback_scan_determinismE0ES3_S7_PKfNS0_17constant_iteratorIjlEEPfPlSF_S6_NS0_8equal_toIfEEEE10hipError_tPvRmT2_T3_mT4_T5_T6_T7_T8_P12ihipStream_tbENKUlT_T0_E_clISt17integral_constantIbLb1EESZ_EEDaSU_SV_EUlSU_E_NS1_11comp_targetILNS1_3genE2ELNS1_11target_archE906ELNS1_3gpuE6ELNS1_3repE0EEENS1_30default_config_static_selectorELNS0_4arch9wavefront6targetE0EEEvT1_ ; -- Begin function _ZN7rocprim17ROCPRIM_400000_NS6detail17trampoline_kernelINS0_14default_configENS1_33run_length_encode_config_selectorIfjNS0_4plusIjEEEEZZNS1_33reduce_by_key_impl_wrapped_configILNS1_25lookback_scan_determinismE0ES3_S7_PKfNS0_17constant_iteratorIjlEEPfPlSF_S6_NS0_8equal_toIfEEEE10hipError_tPvRmT2_T3_mT4_T5_T6_T7_T8_P12ihipStream_tbENKUlT_T0_E_clISt17integral_constantIbLb1EESZ_EEDaSU_SV_EUlSU_E_NS1_11comp_targetILNS1_3genE2ELNS1_11target_archE906ELNS1_3gpuE6ELNS1_3repE0EEENS1_30default_config_static_selectorELNS0_4arch9wavefront6targetE0EEEvT1_
	.globl	_ZN7rocprim17ROCPRIM_400000_NS6detail17trampoline_kernelINS0_14default_configENS1_33run_length_encode_config_selectorIfjNS0_4plusIjEEEEZZNS1_33reduce_by_key_impl_wrapped_configILNS1_25lookback_scan_determinismE0ES3_S7_PKfNS0_17constant_iteratorIjlEEPfPlSF_S6_NS0_8equal_toIfEEEE10hipError_tPvRmT2_T3_mT4_T5_T6_T7_T8_P12ihipStream_tbENKUlT_T0_E_clISt17integral_constantIbLb1EESZ_EEDaSU_SV_EUlSU_E_NS1_11comp_targetILNS1_3genE2ELNS1_11target_archE906ELNS1_3gpuE6ELNS1_3repE0EEENS1_30default_config_static_selectorELNS0_4arch9wavefront6targetE0EEEvT1_
	.p2align	8
	.type	_ZN7rocprim17ROCPRIM_400000_NS6detail17trampoline_kernelINS0_14default_configENS1_33run_length_encode_config_selectorIfjNS0_4plusIjEEEEZZNS1_33reduce_by_key_impl_wrapped_configILNS1_25lookback_scan_determinismE0ES3_S7_PKfNS0_17constant_iteratorIjlEEPfPlSF_S6_NS0_8equal_toIfEEEE10hipError_tPvRmT2_T3_mT4_T5_T6_T7_T8_P12ihipStream_tbENKUlT_T0_E_clISt17integral_constantIbLb1EESZ_EEDaSU_SV_EUlSU_E_NS1_11comp_targetILNS1_3genE2ELNS1_11target_archE906ELNS1_3gpuE6ELNS1_3repE0EEENS1_30default_config_static_selectorELNS0_4arch9wavefront6targetE0EEEvT1_,@function
_ZN7rocprim17ROCPRIM_400000_NS6detail17trampoline_kernelINS0_14default_configENS1_33run_length_encode_config_selectorIfjNS0_4plusIjEEEEZZNS1_33reduce_by_key_impl_wrapped_configILNS1_25lookback_scan_determinismE0ES3_S7_PKfNS0_17constant_iteratorIjlEEPfPlSF_S6_NS0_8equal_toIfEEEE10hipError_tPvRmT2_T3_mT4_T5_T6_T7_T8_P12ihipStream_tbENKUlT_T0_E_clISt17integral_constantIbLb1EESZ_EEDaSU_SV_EUlSU_E_NS1_11comp_targetILNS1_3genE2ELNS1_11target_archE906ELNS1_3gpuE6ELNS1_3repE0EEENS1_30default_config_static_selectorELNS0_4arch9wavefront6targetE0EEEvT1_: ; @_ZN7rocprim17ROCPRIM_400000_NS6detail17trampoline_kernelINS0_14default_configENS1_33run_length_encode_config_selectorIfjNS0_4plusIjEEEEZZNS1_33reduce_by_key_impl_wrapped_configILNS1_25lookback_scan_determinismE0ES3_S7_PKfNS0_17constant_iteratorIjlEEPfPlSF_S6_NS0_8equal_toIfEEEE10hipError_tPvRmT2_T3_mT4_T5_T6_T7_T8_P12ihipStream_tbENKUlT_T0_E_clISt17integral_constantIbLb1EESZ_EEDaSU_SV_EUlSU_E_NS1_11comp_targetILNS1_3genE2ELNS1_11target_archE906ELNS1_3gpuE6ELNS1_3repE0EEENS1_30default_config_static_selectorELNS0_4arch9wavefront6targetE0EEEvT1_
; %bb.0:
	.section	.rodata,"a",@progbits
	.p2align	6, 0x0
	.amdhsa_kernel _ZN7rocprim17ROCPRIM_400000_NS6detail17trampoline_kernelINS0_14default_configENS1_33run_length_encode_config_selectorIfjNS0_4plusIjEEEEZZNS1_33reduce_by_key_impl_wrapped_configILNS1_25lookback_scan_determinismE0ES3_S7_PKfNS0_17constant_iteratorIjlEEPfPlSF_S6_NS0_8equal_toIfEEEE10hipError_tPvRmT2_T3_mT4_T5_T6_T7_T8_P12ihipStream_tbENKUlT_T0_E_clISt17integral_constantIbLb1EESZ_EEDaSU_SV_EUlSU_E_NS1_11comp_targetILNS1_3genE2ELNS1_11target_archE906ELNS1_3gpuE6ELNS1_3repE0EEENS1_30default_config_static_selectorELNS0_4arch9wavefront6targetE0EEEvT1_
		.amdhsa_group_segment_fixed_size 0
		.amdhsa_private_segment_fixed_size 0
		.amdhsa_kernarg_size 128
		.amdhsa_user_sgpr_count 2
		.amdhsa_user_sgpr_dispatch_ptr 0
		.amdhsa_user_sgpr_queue_ptr 0
		.amdhsa_user_sgpr_kernarg_segment_ptr 1
		.amdhsa_user_sgpr_dispatch_id 0
		.amdhsa_user_sgpr_kernarg_preload_length 0
		.amdhsa_user_sgpr_kernarg_preload_offset 0
		.amdhsa_user_sgpr_private_segment_size 0
		.amdhsa_wavefront_size32 1
		.amdhsa_uses_dynamic_stack 0
		.amdhsa_enable_private_segment 0
		.amdhsa_system_sgpr_workgroup_id_x 1
		.amdhsa_system_sgpr_workgroup_id_y 0
		.amdhsa_system_sgpr_workgroup_id_z 0
		.amdhsa_system_sgpr_workgroup_info 0
		.amdhsa_system_vgpr_workitem_id 0
		.amdhsa_next_free_vgpr 1
		.amdhsa_next_free_sgpr 1
		.amdhsa_named_barrier_count 0
		.amdhsa_reserve_vcc 0
		.amdhsa_float_round_mode_32 0
		.amdhsa_float_round_mode_16_64 0
		.amdhsa_float_denorm_mode_32 3
		.amdhsa_float_denorm_mode_16_64 3
		.amdhsa_fp16_overflow 0
		.amdhsa_memory_ordered 1
		.amdhsa_forward_progress 1
		.amdhsa_inst_pref_size 0
		.amdhsa_round_robin_scheduling 0
		.amdhsa_exception_fp_ieee_invalid_op 0
		.amdhsa_exception_fp_denorm_src 0
		.amdhsa_exception_fp_ieee_div_zero 0
		.amdhsa_exception_fp_ieee_overflow 0
		.amdhsa_exception_fp_ieee_underflow 0
		.amdhsa_exception_fp_ieee_inexact 0
		.amdhsa_exception_int_div_zero 0
	.end_amdhsa_kernel
	.section	.text._ZN7rocprim17ROCPRIM_400000_NS6detail17trampoline_kernelINS0_14default_configENS1_33run_length_encode_config_selectorIfjNS0_4plusIjEEEEZZNS1_33reduce_by_key_impl_wrapped_configILNS1_25lookback_scan_determinismE0ES3_S7_PKfNS0_17constant_iteratorIjlEEPfPlSF_S6_NS0_8equal_toIfEEEE10hipError_tPvRmT2_T3_mT4_T5_T6_T7_T8_P12ihipStream_tbENKUlT_T0_E_clISt17integral_constantIbLb1EESZ_EEDaSU_SV_EUlSU_E_NS1_11comp_targetILNS1_3genE2ELNS1_11target_archE906ELNS1_3gpuE6ELNS1_3repE0EEENS1_30default_config_static_selectorELNS0_4arch9wavefront6targetE0EEEvT1_,"axG",@progbits,_ZN7rocprim17ROCPRIM_400000_NS6detail17trampoline_kernelINS0_14default_configENS1_33run_length_encode_config_selectorIfjNS0_4plusIjEEEEZZNS1_33reduce_by_key_impl_wrapped_configILNS1_25lookback_scan_determinismE0ES3_S7_PKfNS0_17constant_iteratorIjlEEPfPlSF_S6_NS0_8equal_toIfEEEE10hipError_tPvRmT2_T3_mT4_T5_T6_T7_T8_P12ihipStream_tbENKUlT_T0_E_clISt17integral_constantIbLb1EESZ_EEDaSU_SV_EUlSU_E_NS1_11comp_targetILNS1_3genE2ELNS1_11target_archE906ELNS1_3gpuE6ELNS1_3repE0EEENS1_30default_config_static_selectorELNS0_4arch9wavefront6targetE0EEEvT1_,comdat
.Lfunc_end386:
	.size	_ZN7rocprim17ROCPRIM_400000_NS6detail17trampoline_kernelINS0_14default_configENS1_33run_length_encode_config_selectorIfjNS0_4plusIjEEEEZZNS1_33reduce_by_key_impl_wrapped_configILNS1_25lookback_scan_determinismE0ES3_S7_PKfNS0_17constant_iteratorIjlEEPfPlSF_S6_NS0_8equal_toIfEEEE10hipError_tPvRmT2_T3_mT4_T5_T6_T7_T8_P12ihipStream_tbENKUlT_T0_E_clISt17integral_constantIbLb1EESZ_EEDaSU_SV_EUlSU_E_NS1_11comp_targetILNS1_3genE2ELNS1_11target_archE906ELNS1_3gpuE6ELNS1_3repE0EEENS1_30default_config_static_selectorELNS0_4arch9wavefront6targetE0EEEvT1_, .Lfunc_end386-_ZN7rocprim17ROCPRIM_400000_NS6detail17trampoline_kernelINS0_14default_configENS1_33run_length_encode_config_selectorIfjNS0_4plusIjEEEEZZNS1_33reduce_by_key_impl_wrapped_configILNS1_25lookback_scan_determinismE0ES3_S7_PKfNS0_17constant_iteratorIjlEEPfPlSF_S6_NS0_8equal_toIfEEEE10hipError_tPvRmT2_T3_mT4_T5_T6_T7_T8_P12ihipStream_tbENKUlT_T0_E_clISt17integral_constantIbLb1EESZ_EEDaSU_SV_EUlSU_E_NS1_11comp_targetILNS1_3genE2ELNS1_11target_archE906ELNS1_3gpuE6ELNS1_3repE0EEENS1_30default_config_static_selectorELNS0_4arch9wavefront6targetE0EEEvT1_
                                        ; -- End function
	.set _ZN7rocprim17ROCPRIM_400000_NS6detail17trampoline_kernelINS0_14default_configENS1_33run_length_encode_config_selectorIfjNS0_4plusIjEEEEZZNS1_33reduce_by_key_impl_wrapped_configILNS1_25lookback_scan_determinismE0ES3_S7_PKfNS0_17constant_iteratorIjlEEPfPlSF_S6_NS0_8equal_toIfEEEE10hipError_tPvRmT2_T3_mT4_T5_T6_T7_T8_P12ihipStream_tbENKUlT_T0_E_clISt17integral_constantIbLb1EESZ_EEDaSU_SV_EUlSU_E_NS1_11comp_targetILNS1_3genE2ELNS1_11target_archE906ELNS1_3gpuE6ELNS1_3repE0EEENS1_30default_config_static_selectorELNS0_4arch9wavefront6targetE0EEEvT1_.num_vgpr, 0
	.set _ZN7rocprim17ROCPRIM_400000_NS6detail17trampoline_kernelINS0_14default_configENS1_33run_length_encode_config_selectorIfjNS0_4plusIjEEEEZZNS1_33reduce_by_key_impl_wrapped_configILNS1_25lookback_scan_determinismE0ES3_S7_PKfNS0_17constant_iteratorIjlEEPfPlSF_S6_NS0_8equal_toIfEEEE10hipError_tPvRmT2_T3_mT4_T5_T6_T7_T8_P12ihipStream_tbENKUlT_T0_E_clISt17integral_constantIbLb1EESZ_EEDaSU_SV_EUlSU_E_NS1_11comp_targetILNS1_3genE2ELNS1_11target_archE906ELNS1_3gpuE6ELNS1_3repE0EEENS1_30default_config_static_selectorELNS0_4arch9wavefront6targetE0EEEvT1_.num_agpr, 0
	.set _ZN7rocprim17ROCPRIM_400000_NS6detail17trampoline_kernelINS0_14default_configENS1_33run_length_encode_config_selectorIfjNS0_4plusIjEEEEZZNS1_33reduce_by_key_impl_wrapped_configILNS1_25lookback_scan_determinismE0ES3_S7_PKfNS0_17constant_iteratorIjlEEPfPlSF_S6_NS0_8equal_toIfEEEE10hipError_tPvRmT2_T3_mT4_T5_T6_T7_T8_P12ihipStream_tbENKUlT_T0_E_clISt17integral_constantIbLb1EESZ_EEDaSU_SV_EUlSU_E_NS1_11comp_targetILNS1_3genE2ELNS1_11target_archE906ELNS1_3gpuE6ELNS1_3repE0EEENS1_30default_config_static_selectorELNS0_4arch9wavefront6targetE0EEEvT1_.numbered_sgpr, 0
	.set _ZN7rocprim17ROCPRIM_400000_NS6detail17trampoline_kernelINS0_14default_configENS1_33run_length_encode_config_selectorIfjNS0_4plusIjEEEEZZNS1_33reduce_by_key_impl_wrapped_configILNS1_25lookback_scan_determinismE0ES3_S7_PKfNS0_17constant_iteratorIjlEEPfPlSF_S6_NS0_8equal_toIfEEEE10hipError_tPvRmT2_T3_mT4_T5_T6_T7_T8_P12ihipStream_tbENKUlT_T0_E_clISt17integral_constantIbLb1EESZ_EEDaSU_SV_EUlSU_E_NS1_11comp_targetILNS1_3genE2ELNS1_11target_archE906ELNS1_3gpuE6ELNS1_3repE0EEENS1_30default_config_static_selectorELNS0_4arch9wavefront6targetE0EEEvT1_.num_named_barrier, 0
	.set _ZN7rocprim17ROCPRIM_400000_NS6detail17trampoline_kernelINS0_14default_configENS1_33run_length_encode_config_selectorIfjNS0_4plusIjEEEEZZNS1_33reduce_by_key_impl_wrapped_configILNS1_25lookback_scan_determinismE0ES3_S7_PKfNS0_17constant_iteratorIjlEEPfPlSF_S6_NS0_8equal_toIfEEEE10hipError_tPvRmT2_T3_mT4_T5_T6_T7_T8_P12ihipStream_tbENKUlT_T0_E_clISt17integral_constantIbLb1EESZ_EEDaSU_SV_EUlSU_E_NS1_11comp_targetILNS1_3genE2ELNS1_11target_archE906ELNS1_3gpuE6ELNS1_3repE0EEENS1_30default_config_static_selectorELNS0_4arch9wavefront6targetE0EEEvT1_.private_seg_size, 0
	.set _ZN7rocprim17ROCPRIM_400000_NS6detail17trampoline_kernelINS0_14default_configENS1_33run_length_encode_config_selectorIfjNS0_4plusIjEEEEZZNS1_33reduce_by_key_impl_wrapped_configILNS1_25lookback_scan_determinismE0ES3_S7_PKfNS0_17constant_iteratorIjlEEPfPlSF_S6_NS0_8equal_toIfEEEE10hipError_tPvRmT2_T3_mT4_T5_T6_T7_T8_P12ihipStream_tbENKUlT_T0_E_clISt17integral_constantIbLb1EESZ_EEDaSU_SV_EUlSU_E_NS1_11comp_targetILNS1_3genE2ELNS1_11target_archE906ELNS1_3gpuE6ELNS1_3repE0EEENS1_30default_config_static_selectorELNS0_4arch9wavefront6targetE0EEEvT1_.uses_vcc, 0
	.set _ZN7rocprim17ROCPRIM_400000_NS6detail17trampoline_kernelINS0_14default_configENS1_33run_length_encode_config_selectorIfjNS0_4plusIjEEEEZZNS1_33reduce_by_key_impl_wrapped_configILNS1_25lookback_scan_determinismE0ES3_S7_PKfNS0_17constant_iteratorIjlEEPfPlSF_S6_NS0_8equal_toIfEEEE10hipError_tPvRmT2_T3_mT4_T5_T6_T7_T8_P12ihipStream_tbENKUlT_T0_E_clISt17integral_constantIbLb1EESZ_EEDaSU_SV_EUlSU_E_NS1_11comp_targetILNS1_3genE2ELNS1_11target_archE906ELNS1_3gpuE6ELNS1_3repE0EEENS1_30default_config_static_selectorELNS0_4arch9wavefront6targetE0EEEvT1_.uses_flat_scratch, 0
	.set _ZN7rocprim17ROCPRIM_400000_NS6detail17trampoline_kernelINS0_14default_configENS1_33run_length_encode_config_selectorIfjNS0_4plusIjEEEEZZNS1_33reduce_by_key_impl_wrapped_configILNS1_25lookback_scan_determinismE0ES3_S7_PKfNS0_17constant_iteratorIjlEEPfPlSF_S6_NS0_8equal_toIfEEEE10hipError_tPvRmT2_T3_mT4_T5_T6_T7_T8_P12ihipStream_tbENKUlT_T0_E_clISt17integral_constantIbLb1EESZ_EEDaSU_SV_EUlSU_E_NS1_11comp_targetILNS1_3genE2ELNS1_11target_archE906ELNS1_3gpuE6ELNS1_3repE0EEENS1_30default_config_static_selectorELNS0_4arch9wavefront6targetE0EEEvT1_.has_dyn_sized_stack, 0
	.set _ZN7rocprim17ROCPRIM_400000_NS6detail17trampoline_kernelINS0_14default_configENS1_33run_length_encode_config_selectorIfjNS0_4plusIjEEEEZZNS1_33reduce_by_key_impl_wrapped_configILNS1_25lookback_scan_determinismE0ES3_S7_PKfNS0_17constant_iteratorIjlEEPfPlSF_S6_NS0_8equal_toIfEEEE10hipError_tPvRmT2_T3_mT4_T5_T6_T7_T8_P12ihipStream_tbENKUlT_T0_E_clISt17integral_constantIbLb1EESZ_EEDaSU_SV_EUlSU_E_NS1_11comp_targetILNS1_3genE2ELNS1_11target_archE906ELNS1_3gpuE6ELNS1_3repE0EEENS1_30default_config_static_selectorELNS0_4arch9wavefront6targetE0EEEvT1_.has_recursion, 0
	.set _ZN7rocprim17ROCPRIM_400000_NS6detail17trampoline_kernelINS0_14default_configENS1_33run_length_encode_config_selectorIfjNS0_4plusIjEEEEZZNS1_33reduce_by_key_impl_wrapped_configILNS1_25lookback_scan_determinismE0ES3_S7_PKfNS0_17constant_iteratorIjlEEPfPlSF_S6_NS0_8equal_toIfEEEE10hipError_tPvRmT2_T3_mT4_T5_T6_T7_T8_P12ihipStream_tbENKUlT_T0_E_clISt17integral_constantIbLb1EESZ_EEDaSU_SV_EUlSU_E_NS1_11comp_targetILNS1_3genE2ELNS1_11target_archE906ELNS1_3gpuE6ELNS1_3repE0EEENS1_30default_config_static_selectorELNS0_4arch9wavefront6targetE0EEEvT1_.has_indirect_call, 0
	.section	.AMDGPU.csdata,"",@progbits
; Kernel info:
; codeLenInByte = 0
; TotalNumSgprs: 0
; NumVgprs: 0
; ScratchSize: 0
; MemoryBound: 0
; FloatMode: 240
; IeeeMode: 1
; LDSByteSize: 0 bytes/workgroup (compile time only)
; SGPRBlocks: 0
; VGPRBlocks: 0
; NumSGPRsForWavesPerEU: 1
; NumVGPRsForWavesPerEU: 1
; NamedBarCnt: 0
; Occupancy: 16
; WaveLimiterHint : 0
; COMPUTE_PGM_RSRC2:SCRATCH_EN: 0
; COMPUTE_PGM_RSRC2:USER_SGPR: 2
; COMPUTE_PGM_RSRC2:TRAP_HANDLER: 0
; COMPUTE_PGM_RSRC2:TGID_X_EN: 1
; COMPUTE_PGM_RSRC2:TGID_Y_EN: 0
; COMPUTE_PGM_RSRC2:TGID_Z_EN: 0
; COMPUTE_PGM_RSRC2:TIDIG_COMP_CNT: 0
	.section	.text._ZN7rocprim17ROCPRIM_400000_NS6detail17trampoline_kernelINS0_14default_configENS1_33run_length_encode_config_selectorIfjNS0_4plusIjEEEEZZNS1_33reduce_by_key_impl_wrapped_configILNS1_25lookback_scan_determinismE0ES3_S7_PKfNS0_17constant_iteratorIjlEEPfPlSF_S6_NS0_8equal_toIfEEEE10hipError_tPvRmT2_T3_mT4_T5_T6_T7_T8_P12ihipStream_tbENKUlT_T0_E_clISt17integral_constantIbLb1EESZ_EEDaSU_SV_EUlSU_E_NS1_11comp_targetILNS1_3genE10ELNS1_11target_archE1201ELNS1_3gpuE5ELNS1_3repE0EEENS1_30default_config_static_selectorELNS0_4arch9wavefront6targetE0EEEvT1_,"axG",@progbits,_ZN7rocprim17ROCPRIM_400000_NS6detail17trampoline_kernelINS0_14default_configENS1_33run_length_encode_config_selectorIfjNS0_4plusIjEEEEZZNS1_33reduce_by_key_impl_wrapped_configILNS1_25lookback_scan_determinismE0ES3_S7_PKfNS0_17constant_iteratorIjlEEPfPlSF_S6_NS0_8equal_toIfEEEE10hipError_tPvRmT2_T3_mT4_T5_T6_T7_T8_P12ihipStream_tbENKUlT_T0_E_clISt17integral_constantIbLb1EESZ_EEDaSU_SV_EUlSU_E_NS1_11comp_targetILNS1_3genE10ELNS1_11target_archE1201ELNS1_3gpuE5ELNS1_3repE0EEENS1_30default_config_static_selectorELNS0_4arch9wavefront6targetE0EEEvT1_,comdat
	.protected	_ZN7rocprim17ROCPRIM_400000_NS6detail17trampoline_kernelINS0_14default_configENS1_33run_length_encode_config_selectorIfjNS0_4plusIjEEEEZZNS1_33reduce_by_key_impl_wrapped_configILNS1_25lookback_scan_determinismE0ES3_S7_PKfNS0_17constant_iteratorIjlEEPfPlSF_S6_NS0_8equal_toIfEEEE10hipError_tPvRmT2_T3_mT4_T5_T6_T7_T8_P12ihipStream_tbENKUlT_T0_E_clISt17integral_constantIbLb1EESZ_EEDaSU_SV_EUlSU_E_NS1_11comp_targetILNS1_3genE10ELNS1_11target_archE1201ELNS1_3gpuE5ELNS1_3repE0EEENS1_30default_config_static_selectorELNS0_4arch9wavefront6targetE0EEEvT1_ ; -- Begin function _ZN7rocprim17ROCPRIM_400000_NS6detail17trampoline_kernelINS0_14default_configENS1_33run_length_encode_config_selectorIfjNS0_4plusIjEEEEZZNS1_33reduce_by_key_impl_wrapped_configILNS1_25lookback_scan_determinismE0ES3_S7_PKfNS0_17constant_iteratorIjlEEPfPlSF_S6_NS0_8equal_toIfEEEE10hipError_tPvRmT2_T3_mT4_T5_T6_T7_T8_P12ihipStream_tbENKUlT_T0_E_clISt17integral_constantIbLb1EESZ_EEDaSU_SV_EUlSU_E_NS1_11comp_targetILNS1_3genE10ELNS1_11target_archE1201ELNS1_3gpuE5ELNS1_3repE0EEENS1_30default_config_static_selectorELNS0_4arch9wavefront6targetE0EEEvT1_
	.globl	_ZN7rocprim17ROCPRIM_400000_NS6detail17trampoline_kernelINS0_14default_configENS1_33run_length_encode_config_selectorIfjNS0_4plusIjEEEEZZNS1_33reduce_by_key_impl_wrapped_configILNS1_25lookback_scan_determinismE0ES3_S7_PKfNS0_17constant_iteratorIjlEEPfPlSF_S6_NS0_8equal_toIfEEEE10hipError_tPvRmT2_T3_mT4_T5_T6_T7_T8_P12ihipStream_tbENKUlT_T0_E_clISt17integral_constantIbLb1EESZ_EEDaSU_SV_EUlSU_E_NS1_11comp_targetILNS1_3genE10ELNS1_11target_archE1201ELNS1_3gpuE5ELNS1_3repE0EEENS1_30default_config_static_selectorELNS0_4arch9wavefront6targetE0EEEvT1_
	.p2align	8
	.type	_ZN7rocprim17ROCPRIM_400000_NS6detail17trampoline_kernelINS0_14default_configENS1_33run_length_encode_config_selectorIfjNS0_4plusIjEEEEZZNS1_33reduce_by_key_impl_wrapped_configILNS1_25lookback_scan_determinismE0ES3_S7_PKfNS0_17constant_iteratorIjlEEPfPlSF_S6_NS0_8equal_toIfEEEE10hipError_tPvRmT2_T3_mT4_T5_T6_T7_T8_P12ihipStream_tbENKUlT_T0_E_clISt17integral_constantIbLb1EESZ_EEDaSU_SV_EUlSU_E_NS1_11comp_targetILNS1_3genE10ELNS1_11target_archE1201ELNS1_3gpuE5ELNS1_3repE0EEENS1_30default_config_static_selectorELNS0_4arch9wavefront6targetE0EEEvT1_,@function
_ZN7rocprim17ROCPRIM_400000_NS6detail17trampoline_kernelINS0_14default_configENS1_33run_length_encode_config_selectorIfjNS0_4plusIjEEEEZZNS1_33reduce_by_key_impl_wrapped_configILNS1_25lookback_scan_determinismE0ES3_S7_PKfNS0_17constant_iteratorIjlEEPfPlSF_S6_NS0_8equal_toIfEEEE10hipError_tPvRmT2_T3_mT4_T5_T6_T7_T8_P12ihipStream_tbENKUlT_T0_E_clISt17integral_constantIbLb1EESZ_EEDaSU_SV_EUlSU_E_NS1_11comp_targetILNS1_3genE10ELNS1_11target_archE1201ELNS1_3gpuE5ELNS1_3repE0EEENS1_30default_config_static_selectorELNS0_4arch9wavefront6targetE0EEEvT1_: ; @_ZN7rocprim17ROCPRIM_400000_NS6detail17trampoline_kernelINS0_14default_configENS1_33run_length_encode_config_selectorIfjNS0_4plusIjEEEEZZNS1_33reduce_by_key_impl_wrapped_configILNS1_25lookback_scan_determinismE0ES3_S7_PKfNS0_17constant_iteratorIjlEEPfPlSF_S6_NS0_8equal_toIfEEEE10hipError_tPvRmT2_T3_mT4_T5_T6_T7_T8_P12ihipStream_tbENKUlT_T0_E_clISt17integral_constantIbLb1EESZ_EEDaSU_SV_EUlSU_E_NS1_11comp_targetILNS1_3genE10ELNS1_11target_archE1201ELNS1_3gpuE5ELNS1_3repE0EEENS1_30default_config_static_selectorELNS0_4arch9wavefront6targetE0EEEvT1_
; %bb.0:
	.section	.rodata,"a",@progbits
	.p2align	6, 0x0
	.amdhsa_kernel _ZN7rocprim17ROCPRIM_400000_NS6detail17trampoline_kernelINS0_14default_configENS1_33run_length_encode_config_selectorIfjNS0_4plusIjEEEEZZNS1_33reduce_by_key_impl_wrapped_configILNS1_25lookback_scan_determinismE0ES3_S7_PKfNS0_17constant_iteratorIjlEEPfPlSF_S6_NS0_8equal_toIfEEEE10hipError_tPvRmT2_T3_mT4_T5_T6_T7_T8_P12ihipStream_tbENKUlT_T0_E_clISt17integral_constantIbLb1EESZ_EEDaSU_SV_EUlSU_E_NS1_11comp_targetILNS1_3genE10ELNS1_11target_archE1201ELNS1_3gpuE5ELNS1_3repE0EEENS1_30default_config_static_selectorELNS0_4arch9wavefront6targetE0EEEvT1_
		.amdhsa_group_segment_fixed_size 0
		.amdhsa_private_segment_fixed_size 0
		.amdhsa_kernarg_size 128
		.amdhsa_user_sgpr_count 2
		.amdhsa_user_sgpr_dispatch_ptr 0
		.amdhsa_user_sgpr_queue_ptr 0
		.amdhsa_user_sgpr_kernarg_segment_ptr 1
		.amdhsa_user_sgpr_dispatch_id 0
		.amdhsa_user_sgpr_kernarg_preload_length 0
		.amdhsa_user_sgpr_kernarg_preload_offset 0
		.amdhsa_user_sgpr_private_segment_size 0
		.amdhsa_wavefront_size32 1
		.amdhsa_uses_dynamic_stack 0
		.amdhsa_enable_private_segment 0
		.amdhsa_system_sgpr_workgroup_id_x 1
		.amdhsa_system_sgpr_workgroup_id_y 0
		.amdhsa_system_sgpr_workgroup_id_z 0
		.amdhsa_system_sgpr_workgroup_info 0
		.amdhsa_system_vgpr_workitem_id 0
		.amdhsa_next_free_vgpr 1
		.amdhsa_next_free_sgpr 1
		.amdhsa_named_barrier_count 0
		.amdhsa_reserve_vcc 0
		.amdhsa_float_round_mode_32 0
		.amdhsa_float_round_mode_16_64 0
		.amdhsa_float_denorm_mode_32 3
		.amdhsa_float_denorm_mode_16_64 3
		.amdhsa_fp16_overflow 0
		.amdhsa_memory_ordered 1
		.amdhsa_forward_progress 1
		.amdhsa_inst_pref_size 0
		.amdhsa_round_robin_scheduling 0
		.amdhsa_exception_fp_ieee_invalid_op 0
		.amdhsa_exception_fp_denorm_src 0
		.amdhsa_exception_fp_ieee_div_zero 0
		.amdhsa_exception_fp_ieee_overflow 0
		.amdhsa_exception_fp_ieee_underflow 0
		.amdhsa_exception_fp_ieee_inexact 0
		.amdhsa_exception_int_div_zero 0
	.end_amdhsa_kernel
	.section	.text._ZN7rocprim17ROCPRIM_400000_NS6detail17trampoline_kernelINS0_14default_configENS1_33run_length_encode_config_selectorIfjNS0_4plusIjEEEEZZNS1_33reduce_by_key_impl_wrapped_configILNS1_25lookback_scan_determinismE0ES3_S7_PKfNS0_17constant_iteratorIjlEEPfPlSF_S6_NS0_8equal_toIfEEEE10hipError_tPvRmT2_T3_mT4_T5_T6_T7_T8_P12ihipStream_tbENKUlT_T0_E_clISt17integral_constantIbLb1EESZ_EEDaSU_SV_EUlSU_E_NS1_11comp_targetILNS1_3genE10ELNS1_11target_archE1201ELNS1_3gpuE5ELNS1_3repE0EEENS1_30default_config_static_selectorELNS0_4arch9wavefront6targetE0EEEvT1_,"axG",@progbits,_ZN7rocprim17ROCPRIM_400000_NS6detail17trampoline_kernelINS0_14default_configENS1_33run_length_encode_config_selectorIfjNS0_4plusIjEEEEZZNS1_33reduce_by_key_impl_wrapped_configILNS1_25lookback_scan_determinismE0ES3_S7_PKfNS0_17constant_iteratorIjlEEPfPlSF_S6_NS0_8equal_toIfEEEE10hipError_tPvRmT2_T3_mT4_T5_T6_T7_T8_P12ihipStream_tbENKUlT_T0_E_clISt17integral_constantIbLb1EESZ_EEDaSU_SV_EUlSU_E_NS1_11comp_targetILNS1_3genE10ELNS1_11target_archE1201ELNS1_3gpuE5ELNS1_3repE0EEENS1_30default_config_static_selectorELNS0_4arch9wavefront6targetE0EEEvT1_,comdat
.Lfunc_end387:
	.size	_ZN7rocprim17ROCPRIM_400000_NS6detail17trampoline_kernelINS0_14default_configENS1_33run_length_encode_config_selectorIfjNS0_4plusIjEEEEZZNS1_33reduce_by_key_impl_wrapped_configILNS1_25lookback_scan_determinismE0ES3_S7_PKfNS0_17constant_iteratorIjlEEPfPlSF_S6_NS0_8equal_toIfEEEE10hipError_tPvRmT2_T3_mT4_T5_T6_T7_T8_P12ihipStream_tbENKUlT_T0_E_clISt17integral_constantIbLb1EESZ_EEDaSU_SV_EUlSU_E_NS1_11comp_targetILNS1_3genE10ELNS1_11target_archE1201ELNS1_3gpuE5ELNS1_3repE0EEENS1_30default_config_static_selectorELNS0_4arch9wavefront6targetE0EEEvT1_, .Lfunc_end387-_ZN7rocprim17ROCPRIM_400000_NS6detail17trampoline_kernelINS0_14default_configENS1_33run_length_encode_config_selectorIfjNS0_4plusIjEEEEZZNS1_33reduce_by_key_impl_wrapped_configILNS1_25lookback_scan_determinismE0ES3_S7_PKfNS0_17constant_iteratorIjlEEPfPlSF_S6_NS0_8equal_toIfEEEE10hipError_tPvRmT2_T3_mT4_T5_T6_T7_T8_P12ihipStream_tbENKUlT_T0_E_clISt17integral_constantIbLb1EESZ_EEDaSU_SV_EUlSU_E_NS1_11comp_targetILNS1_3genE10ELNS1_11target_archE1201ELNS1_3gpuE5ELNS1_3repE0EEENS1_30default_config_static_selectorELNS0_4arch9wavefront6targetE0EEEvT1_
                                        ; -- End function
	.set _ZN7rocprim17ROCPRIM_400000_NS6detail17trampoline_kernelINS0_14default_configENS1_33run_length_encode_config_selectorIfjNS0_4plusIjEEEEZZNS1_33reduce_by_key_impl_wrapped_configILNS1_25lookback_scan_determinismE0ES3_S7_PKfNS0_17constant_iteratorIjlEEPfPlSF_S6_NS0_8equal_toIfEEEE10hipError_tPvRmT2_T3_mT4_T5_T6_T7_T8_P12ihipStream_tbENKUlT_T0_E_clISt17integral_constantIbLb1EESZ_EEDaSU_SV_EUlSU_E_NS1_11comp_targetILNS1_3genE10ELNS1_11target_archE1201ELNS1_3gpuE5ELNS1_3repE0EEENS1_30default_config_static_selectorELNS0_4arch9wavefront6targetE0EEEvT1_.num_vgpr, 0
	.set _ZN7rocprim17ROCPRIM_400000_NS6detail17trampoline_kernelINS0_14default_configENS1_33run_length_encode_config_selectorIfjNS0_4plusIjEEEEZZNS1_33reduce_by_key_impl_wrapped_configILNS1_25lookback_scan_determinismE0ES3_S7_PKfNS0_17constant_iteratorIjlEEPfPlSF_S6_NS0_8equal_toIfEEEE10hipError_tPvRmT2_T3_mT4_T5_T6_T7_T8_P12ihipStream_tbENKUlT_T0_E_clISt17integral_constantIbLb1EESZ_EEDaSU_SV_EUlSU_E_NS1_11comp_targetILNS1_3genE10ELNS1_11target_archE1201ELNS1_3gpuE5ELNS1_3repE0EEENS1_30default_config_static_selectorELNS0_4arch9wavefront6targetE0EEEvT1_.num_agpr, 0
	.set _ZN7rocprim17ROCPRIM_400000_NS6detail17trampoline_kernelINS0_14default_configENS1_33run_length_encode_config_selectorIfjNS0_4plusIjEEEEZZNS1_33reduce_by_key_impl_wrapped_configILNS1_25lookback_scan_determinismE0ES3_S7_PKfNS0_17constant_iteratorIjlEEPfPlSF_S6_NS0_8equal_toIfEEEE10hipError_tPvRmT2_T3_mT4_T5_T6_T7_T8_P12ihipStream_tbENKUlT_T0_E_clISt17integral_constantIbLb1EESZ_EEDaSU_SV_EUlSU_E_NS1_11comp_targetILNS1_3genE10ELNS1_11target_archE1201ELNS1_3gpuE5ELNS1_3repE0EEENS1_30default_config_static_selectorELNS0_4arch9wavefront6targetE0EEEvT1_.numbered_sgpr, 0
	.set _ZN7rocprim17ROCPRIM_400000_NS6detail17trampoline_kernelINS0_14default_configENS1_33run_length_encode_config_selectorIfjNS0_4plusIjEEEEZZNS1_33reduce_by_key_impl_wrapped_configILNS1_25lookback_scan_determinismE0ES3_S7_PKfNS0_17constant_iteratorIjlEEPfPlSF_S6_NS0_8equal_toIfEEEE10hipError_tPvRmT2_T3_mT4_T5_T6_T7_T8_P12ihipStream_tbENKUlT_T0_E_clISt17integral_constantIbLb1EESZ_EEDaSU_SV_EUlSU_E_NS1_11comp_targetILNS1_3genE10ELNS1_11target_archE1201ELNS1_3gpuE5ELNS1_3repE0EEENS1_30default_config_static_selectorELNS0_4arch9wavefront6targetE0EEEvT1_.num_named_barrier, 0
	.set _ZN7rocprim17ROCPRIM_400000_NS6detail17trampoline_kernelINS0_14default_configENS1_33run_length_encode_config_selectorIfjNS0_4plusIjEEEEZZNS1_33reduce_by_key_impl_wrapped_configILNS1_25lookback_scan_determinismE0ES3_S7_PKfNS0_17constant_iteratorIjlEEPfPlSF_S6_NS0_8equal_toIfEEEE10hipError_tPvRmT2_T3_mT4_T5_T6_T7_T8_P12ihipStream_tbENKUlT_T0_E_clISt17integral_constantIbLb1EESZ_EEDaSU_SV_EUlSU_E_NS1_11comp_targetILNS1_3genE10ELNS1_11target_archE1201ELNS1_3gpuE5ELNS1_3repE0EEENS1_30default_config_static_selectorELNS0_4arch9wavefront6targetE0EEEvT1_.private_seg_size, 0
	.set _ZN7rocprim17ROCPRIM_400000_NS6detail17trampoline_kernelINS0_14default_configENS1_33run_length_encode_config_selectorIfjNS0_4plusIjEEEEZZNS1_33reduce_by_key_impl_wrapped_configILNS1_25lookback_scan_determinismE0ES3_S7_PKfNS0_17constant_iteratorIjlEEPfPlSF_S6_NS0_8equal_toIfEEEE10hipError_tPvRmT2_T3_mT4_T5_T6_T7_T8_P12ihipStream_tbENKUlT_T0_E_clISt17integral_constantIbLb1EESZ_EEDaSU_SV_EUlSU_E_NS1_11comp_targetILNS1_3genE10ELNS1_11target_archE1201ELNS1_3gpuE5ELNS1_3repE0EEENS1_30default_config_static_selectorELNS0_4arch9wavefront6targetE0EEEvT1_.uses_vcc, 0
	.set _ZN7rocprim17ROCPRIM_400000_NS6detail17trampoline_kernelINS0_14default_configENS1_33run_length_encode_config_selectorIfjNS0_4plusIjEEEEZZNS1_33reduce_by_key_impl_wrapped_configILNS1_25lookback_scan_determinismE0ES3_S7_PKfNS0_17constant_iteratorIjlEEPfPlSF_S6_NS0_8equal_toIfEEEE10hipError_tPvRmT2_T3_mT4_T5_T6_T7_T8_P12ihipStream_tbENKUlT_T0_E_clISt17integral_constantIbLb1EESZ_EEDaSU_SV_EUlSU_E_NS1_11comp_targetILNS1_3genE10ELNS1_11target_archE1201ELNS1_3gpuE5ELNS1_3repE0EEENS1_30default_config_static_selectorELNS0_4arch9wavefront6targetE0EEEvT1_.uses_flat_scratch, 0
	.set _ZN7rocprim17ROCPRIM_400000_NS6detail17trampoline_kernelINS0_14default_configENS1_33run_length_encode_config_selectorIfjNS0_4plusIjEEEEZZNS1_33reduce_by_key_impl_wrapped_configILNS1_25lookback_scan_determinismE0ES3_S7_PKfNS0_17constant_iteratorIjlEEPfPlSF_S6_NS0_8equal_toIfEEEE10hipError_tPvRmT2_T3_mT4_T5_T6_T7_T8_P12ihipStream_tbENKUlT_T0_E_clISt17integral_constantIbLb1EESZ_EEDaSU_SV_EUlSU_E_NS1_11comp_targetILNS1_3genE10ELNS1_11target_archE1201ELNS1_3gpuE5ELNS1_3repE0EEENS1_30default_config_static_selectorELNS0_4arch9wavefront6targetE0EEEvT1_.has_dyn_sized_stack, 0
	.set _ZN7rocprim17ROCPRIM_400000_NS6detail17trampoline_kernelINS0_14default_configENS1_33run_length_encode_config_selectorIfjNS0_4plusIjEEEEZZNS1_33reduce_by_key_impl_wrapped_configILNS1_25lookback_scan_determinismE0ES3_S7_PKfNS0_17constant_iteratorIjlEEPfPlSF_S6_NS0_8equal_toIfEEEE10hipError_tPvRmT2_T3_mT4_T5_T6_T7_T8_P12ihipStream_tbENKUlT_T0_E_clISt17integral_constantIbLb1EESZ_EEDaSU_SV_EUlSU_E_NS1_11comp_targetILNS1_3genE10ELNS1_11target_archE1201ELNS1_3gpuE5ELNS1_3repE0EEENS1_30default_config_static_selectorELNS0_4arch9wavefront6targetE0EEEvT1_.has_recursion, 0
	.set _ZN7rocprim17ROCPRIM_400000_NS6detail17trampoline_kernelINS0_14default_configENS1_33run_length_encode_config_selectorIfjNS0_4plusIjEEEEZZNS1_33reduce_by_key_impl_wrapped_configILNS1_25lookback_scan_determinismE0ES3_S7_PKfNS0_17constant_iteratorIjlEEPfPlSF_S6_NS0_8equal_toIfEEEE10hipError_tPvRmT2_T3_mT4_T5_T6_T7_T8_P12ihipStream_tbENKUlT_T0_E_clISt17integral_constantIbLb1EESZ_EEDaSU_SV_EUlSU_E_NS1_11comp_targetILNS1_3genE10ELNS1_11target_archE1201ELNS1_3gpuE5ELNS1_3repE0EEENS1_30default_config_static_selectorELNS0_4arch9wavefront6targetE0EEEvT1_.has_indirect_call, 0
	.section	.AMDGPU.csdata,"",@progbits
; Kernel info:
; codeLenInByte = 0
; TotalNumSgprs: 0
; NumVgprs: 0
; ScratchSize: 0
; MemoryBound: 0
; FloatMode: 240
; IeeeMode: 1
; LDSByteSize: 0 bytes/workgroup (compile time only)
; SGPRBlocks: 0
; VGPRBlocks: 0
; NumSGPRsForWavesPerEU: 1
; NumVGPRsForWavesPerEU: 1
; NamedBarCnt: 0
; Occupancy: 16
; WaveLimiterHint : 0
; COMPUTE_PGM_RSRC2:SCRATCH_EN: 0
; COMPUTE_PGM_RSRC2:USER_SGPR: 2
; COMPUTE_PGM_RSRC2:TRAP_HANDLER: 0
; COMPUTE_PGM_RSRC2:TGID_X_EN: 1
; COMPUTE_PGM_RSRC2:TGID_Y_EN: 0
; COMPUTE_PGM_RSRC2:TGID_Z_EN: 0
; COMPUTE_PGM_RSRC2:TIDIG_COMP_CNT: 0
	.section	.text._ZN7rocprim17ROCPRIM_400000_NS6detail17trampoline_kernelINS0_14default_configENS1_33run_length_encode_config_selectorIfjNS0_4plusIjEEEEZZNS1_33reduce_by_key_impl_wrapped_configILNS1_25lookback_scan_determinismE0ES3_S7_PKfNS0_17constant_iteratorIjlEEPfPlSF_S6_NS0_8equal_toIfEEEE10hipError_tPvRmT2_T3_mT4_T5_T6_T7_T8_P12ihipStream_tbENKUlT_T0_E_clISt17integral_constantIbLb1EESZ_EEDaSU_SV_EUlSU_E_NS1_11comp_targetILNS1_3genE10ELNS1_11target_archE1200ELNS1_3gpuE4ELNS1_3repE0EEENS1_30default_config_static_selectorELNS0_4arch9wavefront6targetE0EEEvT1_,"axG",@progbits,_ZN7rocprim17ROCPRIM_400000_NS6detail17trampoline_kernelINS0_14default_configENS1_33run_length_encode_config_selectorIfjNS0_4plusIjEEEEZZNS1_33reduce_by_key_impl_wrapped_configILNS1_25lookback_scan_determinismE0ES3_S7_PKfNS0_17constant_iteratorIjlEEPfPlSF_S6_NS0_8equal_toIfEEEE10hipError_tPvRmT2_T3_mT4_T5_T6_T7_T8_P12ihipStream_tbENKUlT_T0_E_clISt17integral_constantIbLb1EESZ_EEDaSU_SV_EUlSU_E_NS1_11comp_targetILNS1_3genE10ELNS1_11target_archE1200ELNS1_3gpuE4ELNS1_3repE0EEENS1_30default_config_static_selectorELNS0_4arch9wavefront6targetE0EEEvT1_,comdat
	.protected	_ZN7rocprim17ROCPRIM_400000_NS6detail17trampoline_kernelINS0_14default_configENS1_33run_length_encode_config_selectorIfjNS0_4plusIjEEEEZZNS1_33reduce_by_key_impl_wrapped_configILNS1_25lookback_scan_determinismE0ES3_S7_PKfNS0_17constant_iteratorIjlEEPfPlSF_S6_NS0_8equal_toIfEEEE10hipError_tPvRmT2_T3_mT4_T5_T6_T7_T8_P12ihipStream_tbENKUlT_T0_E_clISt17integral_constantIbLb1EESZ_EEDaSU_SV_EUlSU_E_NS1_11comp_targetILNS1_3genE10ELNS1_11target_archE1200ELNS1_3gpuE4ELNS1_3repE0EEENS1_30default_config_static_selectorELNS0_4arch9wavefront6targetE0EEEvT1_ ; -- Begin function _ZN7rocprim17ROCPRIM_400000_NS6detail17trampoline_kernelINS0_14default_configENS1_33run_length_encode_config_selectorIfjNS0_4plusIjEEEEZZNS1_33reduce_by_key_impl_wrapped_configILNS1_25lookback_scan_determinismE0ES3_S7_PKfNS0_17constant_iteratorIjlEEPfPlSF_S6_NS0_8equal_toIfEEEE10hipError_tPvRmT2_T3_mT4_T5_T6_T7_T8_P12ihipStream_tbENKUlT_T0_E_clISt17integral_constantIbLb1EESZ_EEDaSU_SV_EUlSU_E_NS1_11comp_targetILNS1_3genE10ELNS1_11target_archE1200ELNS1_3gpuE4ELNS1_3repE0EEENS1_30default_config_static_selectorELNS0_4arch9wavefront6targetE0EEEvT1_
	.globl	_ZN7rocprim17ROCPRIM_400000_NS6detail17trampoline_kernelINS0_14default_configENS1_33run_length_encode_config_selectorIfjNS0_4plusIjEEEEZZNS1_33reduce_by_key_impl_wrapped_configILNS1_25lookback_scan_determinismE0ES3_S7_PKfNS0_17constant_iteratorIjlEEPfPlSF_S6_NS0_8equal_toIfEEEE10hipError_tPvRmT2_T3_mT4_T5_T6_T7_T8_P12ihipStream_tbENKUlT_T0_E_clISt17integral_constantIbLb1EESZ_EEDaSU_SV_EUlSU_E_NS1_11comp_targetILNS1_3genE10ELNS1_11target_archE1200ELNS1_3gpuE4ELNS1_3repE0EEENS1_30default_config_static_selectorELNS0_4arch9wavefront6targetE0EEEvT1_
	.p2align	8
	.type	_ZN7rocprim17ROCPRIM_400000_NS6detail17trampoline_kernelINS0_14default_configENS1_33run_length_encode_config_selectorIfjNS0_4plusIjEEEEZZNS1_33reduce_by_key_impl_wrapped_configILNS1_25lookback_scan_determinismE0ES3_S7_PKfNS0_17constant_iteratorIjlEEPfPlSF_S6_NS0_8equal_toIfEEEE10hipError_tPvRmT2_T3_mT4_T5_T6_T7_T8_P12ihipStream_tbENKUlT_T0_E_clISt17integral_constantIbLb1EESZ_EEDaSU_SV_EUlSU_E_NS1_11comp_targetILNS1_3genE10ELNS1_11target_archE1200ELNS1_3gpuE4ELNS1_3repE0EEENS1_30default_config_static_selectorELNS0_4arch9wavefront6targetE0EEEvT1_,@function
_ZN7rocprim17ROCPRIM_400000_NS6detail17trampoline_kernelINS0_14default_configENS1_33run_length_encode_config_selectorIfjNS0_4plusIjEEEEZZNS1_33reduce_by_key_impl_wrapped_configILNS1_25lookback_scan_determinismE0ES3_S7_PKfNS0_17constant_iteratorIjlEEPfPlSF_S6_NS0_8equal_toIfEEEE10hipError_tPvRmT2_T3_mT4_T5_T6_T7_T8_P12ihipStream_tbENKUlT_T0_E_clISt17integral_constantIbLb1EESZ_EEDaSU_SV_EUlSU_E_NS1_11comp_targetILNS1_3genE10ELNS1_11target_archE1200ELNS1_3gpuE4ELNS1_3repE0EEENS1_30default_config_static_selectorELNS0_4arch9wavefront6targetE0EEEvT1_: ; @_ZN7rocprim17ROCPRIM_400000_NS6detail17trampoline_kernelINS0_14default_configENS1_33run_length_encode_config_selectorIfjNS0_4plusIjEEEEZZNS1_33reduce_by_key_impl_wrapped_configILNS1_25lookback_scan_determinismE0ES3_S7_PKfNS0_17constant_iteratorIjlEEPfPlSF_S6_NS0_8equal_toIfEEEE10hipError_tPvRmT2_T3_mT4_T5_T6_T7_T8_P12ihipStream_tbENKUlT_T0_E_clISt17integral_constantIbLb1EESZ_EEDaSU_SV_EUlSU_E_NS1_11comp_targetILNS1_3genE10ELNS1_11target_archE1200ELNS1_3gpuE4ELNS1_3repE0EEENS1_30default_config_static_selectorELNS0_4arch9wavefront6targetE0EEEvT1_
; %bb.0:
	.section	.rodata,"a",@progbits
	.p2align	6, 0x0
	.amdhsa_kernel _ZN7rocprim17ROCPRIM_400000_NS6detail17trampoline_kernelINS0_14default_configENS1_33run_length_encode_config_selectorIfjNS0_4plusIjEEEEZZNS1_33reduce_by_key_impl_wrapped_configILNS1_25lookback_scan_determinismE0ES3_S7_PKfNS0_17constant_iteratorIjlEEPfPlSF_S6_NS0_8equal_toIfEEEE10hipError_tPvRmT2_T3_mT4_T5_T6_T7_T8_P12ihipStream_tbENKUlT_T0_E_clISt17integral_constantIbLb1EESZ_EEDaSU_SV_EUlSU_E_NS1_11comp_targetILNS1_3genE10ELNS1_11target_archE1200ELNS1_3gpuE4ELNS1_3repE0EEENS1_30default_config_static_selectorELNS0_4arch9wavefront6targetE0EEEvT1_
		.amdhsa_group_segment_fixed_size 0
		.amdhsa_private_segment_fixed_size 0
		.amdhsa_kernarg_size 128
		.amdhsa_user_sgpr_count 2
		.amdhsa_user_sgpr_dispatch_ptr 0
		.amdhsa_user_sgpr_queue_ptr 0
		.amdhsa_user_sgpr_kernarg_segment_ptr 1
		.amdhsa_user_sgpr_dispatch_id 0
		.amdhsa_user_sgpr_kernarg_preload_length 0
		.amdhsa_user_sgpr_kernarg_preload_offset 0
		.amdhsa_user_sgpr_private_segment_size 0
		.amdhsa_wavefront_size32 1
		.amdhsa_uses_dynamic_stack 0
		.amdhsa_enable_private_segment 0
		.amdhsa_system_sgpr_workgroup_id_x 1
		.amdhsa_system_sgpr_workgroup_id_y 0
		.amdhsa_system_sgpr_workgroup_id_z 0
		.amdhsa_system_sgpr_workgroup_info 0
		.amdhsa_system_vgpr_workitem_id 0
		.amdhsa_next_free_vgpr 1
		.amdhsa_next_free_sgpr 1
		.amdhsa_named_barrier_count 0
		.amdhsa_reserve_vcc 0
		.amdhsa_float_round_mode_32 0
		.amdhsa_float_round_mode_16_64 0
		.amdhsa_float_denorm_mode_32 3
		.amdhsa_float_denorm_mode_16_64 3
		.amdhsa_fp16_overflow 0
		.amdhsa_memory_ordered 1
		.amdhsa_forward_progress 1
		.amdhsa_inst_pref_size 0
		.amdhsa_round_robin_scheduling 0
		.amdhsa_exception_fp_ieee_invalid_op 0
		.amdhsa_exception_fp_denorm_src 0
		.amdhsa_exception_fp_ieee_div_zero 0
		.amdhsa_exception_fp_ieee_overflow 0
		.amdhsa_exception_fp_ieee_underflow 0
		.amdhsa_exception_fp_ieee_inexact 0
		.amdhsa_exception_int_div_zero 0
	.end_amdhsa_kernel
	.section	.text._ZN7rocprim17ROCPRIM_400000_NS6detail17trampoline_kernelINS0_14default_configENS1_33run_length_encode_config_selectorIfjNS0_4plusIjEEEEZZNS1_33reduce_by_key_impl_wrapped_configILNS1_25lookback_scan_determinismE0ES3_S7_PKfNS0_17constant_iteratorIjlEEPfPlSF_S6_NS0_8equal_toIfEEEE10hipError_tPvRmT2_T3_mT4_T5_T6_T7_T8_P12ihipStream_tbENKUlT_T0_E_clISt17integral_constantIbLb1EESZ_EEDaSU_SV_EUlSU_E_NS1_11comp_targetILNS1_3genE10ELNS1_11target_archE1200ELNS1_3gpuE4ELNS1_3repE0EEENS1_30default_config_static_selectorELNS0_4arch9wavefront6targetE0EEEvT1_,"axG",@progbits,_ZN7rocprim17ROCPRIM_400000_NS6detail17trampoline_kernelINS0_14default_configENS1_33run_length_encode_config_selectorIfjNS0_4plusIjEEEEZZNS1_33reduce_by_key_impl_wrapped_configILNS1_25lookback_scan_determinismE0ES3_S7_PKfNS0_17constant_iteratorIjlEEPfPlSF_S6_NS0_8equal_toIfEEEE10hipError_tPvRmT2_T3_mT4_T5_T6_T7_T8_P12ihipStream_tbENKUlT_T0_E_clISt17integral_constantIbLb1EESZ_EEDaSU_SV_EUlSU_E_NS1_11comp_targetILNS1_3genE10ELNS1_11target_archE1200ELNS1_3gpuE4ELNS1_3repE0EEENS1_30default_config_static_selectorELNS0_4arch9wavefront6targetE0EEEvT1_,comdat
.Lfunc_end388:
	.size	_ZN7rocprim17ROCPRIM_400000_NS6detail17trampoline_kernelINS0_14default_configENS1_33run_length_encode_config_selectorIfjNS0_4plusIjEEEEZZNS1_33reduce_by_key_impl_wrapped_configILNS1_25lookback_scan_determinismE0ES3_S7_PKfNS0_17constant_iteratorIjlEEPfPlSF_S6_NS0_8equal_toIfEEEE10hipError_tPvRmT2_T3_mT4_T5_T6_T7_T8_P12ihipStream_tbENKUlT_T0_E_clISt17integral_constantIbLb1EESZ_EEDaSU_SV_EUlSU_E_NS1_11comp_targetILNS1_3genE10ELNS1_11target_archE1200ELNS1_3gpuE4ELNS1_3repE0EEENS1_30default_config_static_selectorELNS0_4arch9wavefront6targetE0EEEvT1_, .Lfunc_end388-_ZN7rocprim17ROCPRIM_400000_NS6detail17trampoline_kernelINS0_14default_configENS1_33run_length_encode_config_selectorIfjNS0_4plusIjEEEEZZNS1_33reduce_by_key_impl_wrapped_configILNS1_25lookback_scan_determinismE0ES3_S7_PKfNS0_17constant_iteratorIjlEEPfPlSF_S6_NS0_8equal_toIfEEEE10hipError_tPvRmT2_T3_mT4_T5_T6_T7_T8_P12ihipStream_tbENKUlT_T0_E_clISt17integral_constantIbLb1EESZ_EEDaSU_SV_EUlSU_E_NS1_11comp_targetILNS1_3genE10ELNS1_11target_archE1200ELNS1_3gpuE4ELNS1_3repE0EEENS1_30default_config_static_selectorELNS0_4arch9wavefront6targetE0EEEvT1_
                                        ; -- End function
	.set _ZN7rocprim17ROCPRIM_400000_NS6detail17trampoline_kernelINS0_14default_configENS1_33run_length_encode_config_selectorIfjNS0_4plusIjEEEEZZNS1_33reduce_by_key_impl_wrapped_configILNS1_25lookback_scan_determinismE0ES3_S7_PKfNS0_17constant_iteratorIjlEEPfPlSF_S6_NS0_8equal_toIfEEEE10hipError_tPvRmT2_T3_mT4_T5_T6_T7_T8_P12ihipStream_tbENKUlT_T0_E_clISt17integral_constantIbLb1EESZ_EEDaSU_SV_EUlSU_E_NS1_11comp_targetILNS1_3genE10ELNS1_11target_archE1200ELNS1_3gpuE4ELNS1_3repE0EEENS1_30default_config_static_selectorELNS0_4arch9wavefront6targetE0EEEvT1_.num_vgpr, 0
	.set _ZN7rocprim17ROCPRIM_400000_NS6detail17trampoline_kernelINS0_14default_configENS1_33run_length_encode_config_selectorIfjNS0_4plusIjEEEEZZNS1_33reduce_by_key_impl_wrapped_configILNS1_25lookback_scan_determinismE0ES3_S7_PKfNS0_17constant_iteratorIjlEEPfPlSF_S6_NS0_8equal_toIfEEEE10hipError_tPvRmT2_T3_mT4_T5_T6_T7_T8_P12ihipStream_tbENKUlT_T0_E_clISt17integral_constantIbLb1EESZ_EEDaSU_SV_EUlSU_E_NS1_11comp_targetILNS1_3genE10ELNS1_11target_archE1200ELNS1_3gpuE4ELNS1_3repE0EEENS1_30default_config_static_selectorELNS0_4arch9wavefront6targetE0EEEvT1_.num_agpr, 0
	.set _ZN7rocprim17ROCPRIM_400000_NS6detail17trampoline_kernelINS0_14default_configENS1_33run_length_encode_config_selectorIfjNS0_4plusIjEEEEZZNS1_33reduce_by_key_impl_wrapped_configILNS1_25lookback_scan_determinismE0ES3_S7_PKfNS0_17constant_iteratorIjlEEPfPlSF_S6_NS0_8equal_toIfEEEE10hipError_tPvRmT2_T3_mT4_T5_T6_T7_T8_P12ihipStream_tbENKUlT_T0_E_clISt17integral_constantIbLb1EESZ_EEDaSU_SV_EUlSU_E_NS1_11comp_targetILNS1_3genE10ELNS1_11target_archE1200ELNS1_3gpuE4ELNS1_3repE0EEENS1_30default_config_static_selectorELNS0_4arch9wavefront6targetE0EEEvT1_.numbered_sgpr, 0
	.set _ZN7rocprim17ROCPRIM_400000_NS6detail17trampoline_kernelINS0_14default_configENS1_33run_length_encode_config_selectorIfjNS0_4plusIjEEEEZZNS1_33reduce_by_key_impl_wrapped_configILNS1_25lookback_scan_determinismE0ES3_S7_PKfNS0_17constant_iteratorIjlEEPfPlSF_S6_NS0_8equal_toIfEEEE10hipError_tPvRmT2_T3_mT4_T5_T6_T7_T8_P12ihipStream_tbENKUlT_T0_E_clISt17integral_constantIbLb1EESZ_EEDaSU_SV_EUlSU_E_NS1_11comp_targetILNS1_3genE10ELNS1_11target_archE1200ELNS1_3gpuE4ELNS1_3repE0EEENS1_30default_config_static_selectorELNS0_4arch9wavefront6targetE0EEEvT1_.num_named_barrier, 0
	.set _ZN7rocprim17ROCPRIM_400000_NS6detail17trampoline_kernelINS0_14default_configENS1_33run_length_encode_config_selectorIfjNS0_4plusIjEEEEZZNS1_33reduce_by_key_impl_wrapped_configILNS1_25lookback_scan_determinismE0ES3_S7_PKfNS0_17constant_iteratorIjlEEPfPlSF_S6_NS0_8equal_toIfEEEE10hipError_tPvRmT2_T3_mT4_T5_T6_T7_T8_P12ihipStream_tbENKUlT_T0_E_clISt17integral_constantIbLb1EESZ_EEDaSU_SV_EUlSU_E_NS1_11comp_targetILNS1_3genE10ELNS1_11target_archE1200ELNS1_3gpuE4ELNS1_3repE0EEENS1_30default_config_static_selectorELNS0_4arch9wavefront6targetE0EEEvT1_.private_seg_size, 0
	.set _ZN7rocprim17ROCPRIM_400000_NS6detail17trampoline_kernelINS0_14default_configENS1_33run_length_encode_config_selectorIfjNS0_4plusIjEEEEZZNS1_33reduce_by_key_impl_wrapped_configILNS1_25lookback_scan_determinismE0ES3_S7_PKfNS0_17constant_iteratorIjlEEPfPlSF_S6_NS0_8equal_toIfEEEE10hipError_tPvRmT2_T3_mT4_T5_T6_T7_T8_P12ihipStream_tbENKUlT_T0_E_clISt17integral_constantIbLb1EESZ_EEDaSU_SV_EUlSU_E_NS1_11comp_targetILNS1_3genE10ELNS1_11target_archE1200ELNS1_3gpuE4ELNS1_3repE0EEENS1_30default_config_static_selectorELNS0_4arch9wavefront6targetE0EEEvT1_.uses_vcc, 0
	.set _ZN7rocprim17ROCPRIM_400000_NS6detail17trampoline_kernelINS0_14default_configENS1_33run_length_encode_config_selectorIfjNS0_4plusIjEEEEZZNS1_33reduce_by_key_impl_wrapped_configILNS1_25lookback_scan_determinismE0ES3_S7_PKfNS0_17constant_iteratorIjlEEPfPlSF_S6_NS0_8equal_toIfEEEE10hipError_tPvRmT2_T3_mT4_T5_T6_T7_T8_P12ihipStream_tbENKUlT_T0_E_clISt17integral_constantIbLb1EESZ_EEDaSU_SV_EUlSU_E_NS1_11comp_targetILNS1_3genE10ELNS1_11target_archE1200ELNS1_3gpuE4ELNS1_3repE0EEENS1_30default_config_static_selectorELNS0_4arch9wavefront6targetE0EEEvT1_.uses_flat_scratch, 0
	.set _ZN7rocprim17ROCPRIM_400000_NS6detail17trampoline_kernelINS0_14default_configENS1_33run_length_encode_config_selectorIfjNS0_4plusIjEEEEZZNS1_33reduce_by_key_impl_wrapped_configILNS1_25lookback_scan_determinismE0ES3_S7_PKfNS0_17constant_iteratorIjlEEPfPlSF_S6_NS0_8equal_toIfEEEE10hipError_tPvRmT2_T3_mT4_T5_T6_T7_T8_P12ihipStream_tbENKUlT_T0_E_clISt17integral_constantIbLb1EESZ_EEDaSU_SV_EUlSU_E_NS1_11comp_targetILNS1_3genE10ELNS1_11target_archE1200ELNS1_3gpuE4ELNS1_3repE0EEENS1_30default_config_static_selectorELNS0_4arch9wavefront6targetE0EEEvT1_.has_dyn_sized_stack, 0
	.set _ZN7rocprim17ROCPRIM_400000_NS6detail17trampoline_kernelINS0_14default_configENS1_33run_length_encode_config_selectorIfjNS0_4plusIjEEEEZZNS1_33reduce_by_key_impl_wrapped_configILNS1_25lookback_scan_determinismE0ES3_S7_PKfNS0_17constant_iteratorIjlEEPfPlSF_S6_NS0_8equal_toIfEEEE10hipError_tPvRmT2_T3_mT4_T5_T6_T7_T8_P12ihipStream_tbENKUlT_T0_E_clISt17integral_constantIbLb1EESZ_EEDaSU_SV_EUlSU_E_NS1_11comp_targetILNS1_3genE10ELNS1_11target_archE1200ELNS1_3gpuE4ELNS1_3repE0EEENS1_30default_config_static_selectorELNS0_4arch9wavefront6targetE0EEEvT1_.has_recursion, 0
	.set _ZN7rocprim17ROCPRIM_400000_NS6detail17trampoline_kernelINS0_14default_configENS1_33run_length_encode_config_selectorIfjNS0_4plusIjEEEEZZNS1_33reduce_by_key_impl_wrapped_configILNS1_25lookback_scan_determinismE0ES3_S7_PKfNS0_17constant_iteratorIjlEEPfPlSF_S6_NS0_8equal_toIfEEEE10hipError_tPvRmT2_T3_mT4_T5_T6_T7_T8_P12ihipStream_tbENKUlT_T0_E_clISt17integral_constantIbLb1EESZ_EEDaSU_SV_EUlSU_E_NS1_11comp_targetILNS1_3genE10ELNS1_11target_archE1200ELNS1_3gpuE4ELNS1_3repE0EEENS1_30default_config_static_selectorELNS0_4arch9wavefront6targetE0EEEvT1_.has_indirect_call, 0
	.section	.AMDGPU.csdata,"",@progbits
; Kernel info:
; codeLenInByte = 0
; TotalNumSgprs: 0
; NumVgprs: 0
; ScratchSize: 0
; MemoryBound: 0
; FloatMode: 240
; IeeeMode: 1
; LDSByteSize: 0 bytes/workgroup (compile time only)
; SGPRBlocks: 0
; VGPRBlocks: 0
; NumSGPRsForWavesPerEU: 1
; NumVGPRsForWavesPerEU: 1
; NamedBarCnt: 0
; Occupancy: 16
; WaveLimiterHint : 0
; COMPUTE_PGM_RSRC2:SCRATCH_EN: 0
; COMPUTE_PGM_RSRC2:USER_SGPR: 2
; COMPUTE_PGM_RSRC2:TRAP_HANDLER: 0
; COMPUTE_PGM_RSRC2:TGID_X_EN: 1
; COMPUTE_PGM_RSRC2:TGID_Y_EN: 0
; COMPUTE_PGM_RSRC2:TGID_Z_EN: 0
; COMPUTE_PGM_RSRC2:TIDIG_COMP_CNT: 0
	.section	.text._ZN7rocprim17ROCPRIM_400000_NS6detail17trampoline_kernelINS0_14default_configENS1_33run_length_encode_config_selectorIfjNS0_4plusIjEEEEZZNS1_33reduce_by_key_impl_wrapped_configILNS1_25lookback_scan_determinismE0ES3_S7_PKfNS0_17constant_iteratorIjlEEPfPlSF_S6_NS0_8equal_toIfEEEE10hipError_tPvRmT2_T3_mT4_T5_T6_T7_T8_P12ihipStream_tbENKUlT_T0_E_clISt17integral_constantIbLb1EESZ_EEDaSU_SV_EUlSU_E_NS1_11comp_targetILNS1_3genE9ELNS1_11target_archE1100ELNS1_3gpuE3ELNS1_3repE0EEENS1_30default_config_static_selectorELNS0_4arch9wavefront6targetE0EEEvT1_,"axG",@progbits,_ZN7rocprim17ROCPRIM_400000_NS6detail17trampoline_kernelINS0_14default_configENS1_33run_length_encode_config_selectorIfjNS0_4plusIjEEEEZZNS1_33reduce_by_key_impl_wrapped_configILNS1_25lookback_scan_determinismE0ES3_S7_PKfNS0_17constant_iteratorIjlEEPfPlSF_S6_NS0_8equal_toIfEEEE10hipError_tPvRmT2_T3_mT4_T5_T6_T7_T8_P12ihipStream_tbENKUlT_T0_E_clISt17integral_constantIbLb1EESZ_EEDaSU_SV_EUlSU_E_NS1_11comp_targetILNS1_3genE9ELNS1_11target_archE1100ELNS1_3gpuE3ELNS1_3repE0EEENS1_30default_config_static_selectorELNS0_4arch9wavefront6targetE0EEEvT1_,comdat
	.protected	_ZN7rocprim17ROCPRIM_400000_NS6detail17trampoline_kernelINS0_14default_configENS1_33run_length_encode_config_selectorIfjNS0_4plusIjEEEEZZNS1_33reduce_by_key_impl_wrapped_configILNS1_25lookback_scan_determinismE0ES3_S7_PKfNS0_17constant_iteratorIjlEEPfPlSF_S6_NS0_8equal_toIfEEEE10hipError_tPvRmT2_T3_mT4_T5_T6_T7_T8_P12ihipStream_tbENKUlT_T0_E_clISt17integral_constantIbLb1EESZ_EEDaSU_SV_EUlSU_E_NS1_11comp_targetILNS1_3genE9ELNS1_11target_archE1100ELNS1_3gpuE3ELNS1_3repE0EEENS1_30default_config_static_selectorELNS0_4arch9wavefront6targetE0EEEvT1_ ; -- Begin function _ZN7rocprim17ROCPRIM_400000_NS6detail17trampoline_kernelINS0_14default_configENS1_33run_length_encode_config_selectorIfjNS0_4plusIjEEEEZZNS1_33reduce_by_key_impl_wrapped_configILNS1_25lookback_scan_determinismE0ES3_S7_PKfNS0_17constant_iteratorIjlEEPfPlSF_S6_NS0_8equal_toIfEEEE10hipError_tPvRmT2_T3_mT4_T5_T6_T7_T8_P12ihipStream_tbENKUlT_T0_E_clISt17integral_constantIbLb1EESZ_EEDaSU_SV_EUlSU_E_NS1_11comp_targetILNS1_3genE9ELNS1_11target_archE1100ELNS1_3gpuE3ELNS1_3repE0EEENS1_30default_config_static_selectorELNS0_4arch9wavefront6targetE0EEEvT1_
	.globl	_ZN7rocprim17ROCPRIM_400000_NS6detail17trampoline_kernelINS0_14default_configENS1_33run_length_encode_config_selectorIfjNS0_4plusIjEEEEZZNS1_33reduce_by_key_impl_wrapped_configILNS1_25lookback_scan_determinismE0ES3_S7_PKfNS0_17constant_iteratorIjlEEPfPlSF_S6_NS0_8equal_toIfEEEE10hipError_tPvRmT2_T3_mT4_T5_T6_T7_T8_P12ihipStream_tbENKUlT_T0_E_clISt17integral_constantIbLb1EESZ_EEDaSU_SV_EUlSU_E_NS1_11comp_targetILNS1_3genE9ELNS1_11target_archE1100ELNS1_3gpuE3ELNS1_3repE0EEENS1_30default_config_static_selectorELNS0_4arch9wavefront6targetE0EEEvT1_
	.p2align	8
	.type	_ZN7rocprim17ROCPRIM_400000_NS6detail17trampoline_kernelINS0_14default_configENS1_33run_length_encode_config_selectorIfjNS0_4plusIjEEEEZZNS1_33reduce_by_key_impl_wrapped_configILNS1_25lookback_scan_determinismE0ES3_S7_PKfNS0_17constant_iteratorIjlEEPfPlSF_S6_NS0_8equal_toIfEEEE10hipError_tPvRmT2_T3_mT4_T5_T6_T7_T8_P12ihipStream_tbENKUlT_T0_E_clISt17integral_constantIbLb1EESZ_EEDaSU_SV_EUlSU_E_NS1_11comp_targetILNS1_3genE9ELNS1_11target_archE1100ELNS1_3gpuE3ELNS1_3repE0EEENS1_30default_config_static_selectorELNS0_4arch9wavefront6targetE0EEEvT1_,@function
_ZN7rocprim17ROCPRIM_400000_NS6detail17trampoline_kernelINS0_14default_configENS1_33run_length_encode_config_selectorIfjNS0_4plusIjEEEEZZNS1_33reduce_by_key_impl_wrapped_configILNS1_25lookback_scan_determinismE0ES3_S7_PKfNS0_17constant_iteratorIjlEEPfPlSF_S6_NS0_8equal_toIfEEEE10hipError_tPvRmT2_T3_mT4_T5_T6_T7_T8_P12ihipStream_tbENKUlT_T0_E_clISt17integral_constantIbLb1EESZ_EEDaSU_SV_EUlSU_E_NS1_11comp_targetILNS1_3genE9ELNS1_11target_archE1100ELNS1_3gpuE3ELNS1_3repE0EEENS1_30default_config_static_selectorELNS0_4arch9wavefront6targetE0EEEvT1_: ; @_ZN7rocprim17ROCPRIM_400000_NS6detail17trampoline_kernelINS0_14default_configENS1_33run_length_encode_config_selectorIfjNS0_4plusIjEEEEZZNS1_33reduce_by_key_impl_wrapped_configILNS1_25lookback_scan_determinismE0ES3_S7_PKfNS0_17constant_iteratorIjlEEPfPlSF_S6_NS0_8equal_toIfEEEE10hipError_tPvRmT2_T3_mT4_T5_T6_T7_T8_P12ihipStream_tbENKUlT_T0_E_clISt17integral_constantIbLb1EESZ_EEDaSU_SV_EUlSU_E_NS1_11comp_targetILNS1_3genE9ELNS1_11target_archE1100ELNS1_3gpuE3ELNS1_3repE0EEENS1_30default_config_static_selectorELNS0_4arch9wavefront6targetE0EEEvT1_
; %bb.0:
	.section	.rodata,"a",@progbits
	.p2align	6, 0x0
	.amdhsa_kernel _ZN7rocprim17ROCPRIM_400000_NS6detail17trampoline_kernelINS0_14default_configENS1_33run_length_encode_config_selectorIfjNS0_4plusIjEEEEZZNS1_33reduce_by_key_impl_wrapped_configILNS1_25lookback_scan_determinismE0ES3_S7_PKfNS0_17constant_iteratorIjlEEPfPlSF_S6_NS0_8equal_toIfEEEE10hipError_tPvRmT2_T3_mT4_T5_T6_T7_T8_P12ihipStream_tbENKUlT_T0_E_clISt17integral_constantIbLb1EESZ_EEDaSU_SV_EUlSU_E_NS1_11comp_targetILNS1_3genE9ELNS1_11target_archE1100ELNS1_3gpuE3ELNS1_3repE0EEENS1_30default_config_static_selectorELNS0_4arch9wavefront6targetE0EEEvT1_
		.amdhsa_group_segment_fixed_size 0
		.amdhsa_private_segment_fixed_size 0
		.amdhsa_kernarg_size 128
		.amdhsa_user_sgpr_count 2
		.amdhsa_user_sgpr_dispatch_ptr 0
		.amdhsa_user_sgpr_queue_ptr 0
		.amdhsa_user_sgpr_kernarg_segment_ptr 1
		.amdhsa_user_sgpr_dispatch_id 0
		.amdhsa_user_sgpr_kernarg_preload_length 0
		.amdhsa_user_sgpr_kernarg_preload_offset 0
		.amdhsa_user_sgpr_private_segment_size 0
		.amdhsa_wavefront_size32 1
		.amdhsa_uses_dynamic_stack 0
		.amdhsa_enable_private_segment 0
		.amdhsa_system_sgpr_workgroup_id_x 1
		.amdhsa_system_sgpr_workgroup_id_y 0
		.amdhsa_system_sgpr_workgroup_id_z 0
		.amdhsa_system_sgpr_workgroup_info 0
		.amdhsa_system_vgpr_workitem_id 0
		.amdhsa_next_free_vgpr 1
		.amdhsa_next_free_sgpr 1
		.amdhsa_named_barrier_count 0
		.amdhsa_reserve_vcc 0
		.amdhsa_float_round_mode_32 0
		.amdhsa_float_round_mode_16_64 0
		.amdhsa_float_denorm_mode_32 3
		.amdhsa_float_denorm_mode_16_64 3
		.amdhsa_fp16_overflow 0
		.amdhsa_memory_ordered 1
		.amdhsa_forward_progress 1
		.amdhsa_inst_pref_size 0
		.amdhsa_round_robin_scheduling 0
		.amdhsa_exception_fp_ieee_invalid_op 0
		.amdhsa_exception_fp_denorm_src 0
		.amdhsa_exception_fp_ieee_div_zero 0
		.amdhsa_exception_fp_ieee_overflow 0
		.amdhsa_exception_fp_ieee_underflow 0
		.amdhsa_exception_fp_ieee_inexact 0
		.amdhsa_exception_int_div_zero 0
	.end_amdhsa_kernel
	.section	.text._ZN7rocprim17ROCPRIM_400000_NS6detail17trampoline_kernelINS0_14default_configENS1_33run_length_encode_config_selectorIfjNS0_4plusIjEEEEZZNS1_33reduce_by_key_impl_wrapped_configILNS1_25lookback_scan_determinismE0ES3_S7_PKfNS0_17constant_iteratorIjlEEPfPlSF_S6_NS0_8equal_toIfEEEE10hipError_tPvRmT2_T3_mT4_T5_T6_T7_T8_P12ihipStream_tbENKUlT_T0_E_clISt17integral_constantIbLb1EESZ_EEDaSU_SV_EUlSU_E_NS1_11comp_targetILNS1_3genE9ELNS1_11target_archE1100ELNS1_3gpuE3ELNS1_3repE0EEENS1_30default_config_static_selectorELNS0_4arch9wavefront6targetE0EEEvT1_,"axG",@progbits,_ZN7rocprim17ROCPRIM_400000_NS6detail17trampoline_kernelINS0_14default_configENS1_33run_length_encode_config_selectorIfjNS0_4plusIjEEEEZZNS1_33reduce_by_key_impl_wrapped_configILNS1_25lookback_scan_determinismE0ES3_S7_PKfNS0_17constant_iteratorIjlEEPfPlSF_S6_NS0_8equal_toIfEEEE10hipError_tPvRmT2_T3_mT4_T5_T6_T7_T8_P12ihipStream_tbENKUlT_T0_E_clISt17integral_constantIbLb1EESZ_EEDaSU_SV_EUlSU_E_NS1_11comp_targetILNS1_3genE9ELNS1_11target_archE1100ELNS1_3gpuE3ELNS1_3repE0EEENS1_30default_config_static_selectorELNS0_4arch9wavefront6targetE0EEEvT1_,comdat
.Lfunc_end389:
	.size	_ZN7rocprim17ROCPRIM_400000_NS6detail17trampoline_kernelINS0_14default_configENS1_33run_length_encode_config_selectorIfjNS0_4plusIjEEEEZZNS1_33reduce_by_key_impl_wrapped_configILNS1_25lookback_scan_determinismE0ES3_S7_PKfNS0_17constant_iteratorIjlEEPfPlSF_S6_NS0_8equal_toIfEEEE10hipError_tPvRmT2_T3_mT4_T5_T6_T7_T8_P12ihipStream_tbENKUlT_T0_E_clISt17integral_constantIbLb1EESZ_EEDaSU_SV_EUlSU_E_NS1_11comp_targetILNS1_3genE9ELNS1_11target_archE1100ELNS1_3gpuE3ELNS1_3repE0EEENS1_30default_config_static_selectorELNS0_4arch9wavefront6targetE0EEEvT1_, .Lfunc_end389-_ZN7rocprim17ROCPRIM_400000_NS6detail17trampoline_kernelINS0_14default_configENS1_33run_length_encode_config_selectorIfjNS0_4plusIjEEEEZZNS1_33reduce_by_key_impl_wrapped_configILNS1_25lookback_scan_determinismE0ES3_S7_PKfNS0_17constant_iteratorIjlEEPfPlSF_S6_NS0_8equal_toIfEEEE10hipError_tPvRmT2_T3_mT4_T5_T6_T7_T8_P12ihipStream_tbENKUlT_T0_E_clISt17integral_constantIbLb1EESZ_EEDaSU_SV_EUlSU_E_NS1_11comp_targetILNS1_3genE9ELNS1_11target_archE1100ELNS1_3gpuE3ELNS1_3repE0EEENS1_30default_config_static_selectorELNS0_4arch9wavefront6targetE0EEEvT1_
                                        ; -- End function
	.set _ZN7rocprim17ROCPRIM_400000_NS6detail17trampoline_kernelINS0_14default_configENS1_33run_length_encode_config_selectorIfjNS0_4plusIjEEEEZZNS1_33reduce_by_key_impl_wrapped_configILNS1_25lookback_scan_determinismE0ES3_S7_PKfNS0_17constant_iteratorIjlEEPfPlSF_S6_NS0_8equal_toIfEEEE10hipError_tPvRmT2_T3_mT4_T5_T6_T7_T8_P12ihipStream_tbENKUlT_T0_E_clISt17integral_constantIbLb1EESZ_EEDaSU_SV_EUlSU_E_NS1_11comp_targetILNS1_3genE9ELNS1_11target_archE1100ELNS1_3gpuE3ELNS1_3repE0EEENS1_30default_config_static_selectorELNS0_4arch9wavefront6targetE0EEEvT1_.num_vgpr, 0
	.set _ZN7rocprim17ROCPRIM_400000_NS6detail17trampoline_kernelINS0_14default_configENS1_33run_length_encode_config_selectorIfjNS0_4plusIjEEEEZZNS1_33reduce_by_key_impl_wrapped_configILNS1_25lookback_scan_determinismE0ES3_S7_PKfNS0_17constant_iteratorIjlEEPfPlSF_S6_NS0_8equal_toIfEEEE10hipError_tPvRmT2_T3_mT4_T5_T6_T7_T8_P12ihipStream_tbENKUlT_T0_E_clISt17integral_constantIbLb1EESZ_EEDaSU_SV_EUlSU_E_NS1_11comp_targetILNS1_3genE9ELNS1_11target_archE1100ELNS1_3gpuE3ELNS1_3repE0EEENS1_30default_config_static_selectorELNS0_4arch9wavefront6targetE0EEEvT1_.num_agpr, 0
	.set _ZN7rocprim17ROCPRIM_400000_NS6detail17trampoline_kernelINS0_14default_configENS1_33run_length_encode_config_selectorIfjNS0_4plusIjEEEEZZNS1_33reduce_by_key_impl_wrapped_configILNS1_25lookback_scan_determinismE0ES3_S7_PKfNS0_17constant_iteratorIjlEEPfPlSF_S6_NS0_8equal_toIfEEEE10hipError_tPvRmT2_T3_mT4_T5_T6_T7_T8_P12ihipStream_tbENKUlT_T0_E_clISt17integral_constantIbLb1EESZ_EEDaSU_SV_EUlSU_E_NS1_11comp_targetILNS1_3genE9ELNS1_11target_archE1100ELNS1_3gpuE3ELNS1_3repE0EEENS1_30default_config_static_selectorELNS0_4arch9wavefront6targetE0EEEvT1_.numbered_sgpr, 0
	.set _ZN7rocprim17ROCPRIM_400000_NS6detail17trampoline_kernelINS0_14default_configENS1_33run_length_encode_config_selectorIfjNS0_4plusIjEEEEZZNS1_33reduce_by_key_impl_wrapped_configILNS1_25lookback_scan_determinismE0ES3_S7_PKfNS0_17constant_iteratorIjlEEPfPlSF_S6_NS0_8equal_toIfEEEE10hipError_tPvRmT2_T3_mT4_T5_T6_T7_T8_P12ihipStream_tbENKUlT_T0_E_clISt17integral_constantIbLb1EESZ_EEDaSU_SV_EUlSU_E_NS1_11comp_targetILNS1_3genE9ELNS1_11target_archE1100ELNS1_3gpuE3ELNS1_3repE0EEENS1_30default_config_static_selectorELNS0_4arch9wavefront6targetE0EEEvT1_.num_named_barrier, 0
	.set _ZN7rocprim17ROCPRIM_400000_NS6detail17trampoline_kernelINS0_14default_configENS1_33run_length_encode_config_selectorIfjNS0_4plusIjEEEEZZNS1_33reduce_by_key_impl_wrapped_configILNS1_25lookback_scan_determinismE0ES3_S7_PKfNS0_17constant_iteratorIjlEEPfPlSF_S6_NS0_8equal_toIfEEEE10hipError_tPvRmT2_T3_mT4_T5_T6_T7_T8_P12ihipStream_tbENKUlT_T0_E_clISt17integral_constantIbLb1EESZ_EEDaSU_SV_EUlSU_E_NS1_11comp_targetILNS1_3genE9ELNS1_11target_archE1100ELNS1_3gpuE3ELNS1_3repE0EEENS1_30default_config_static_selectorELNS0_4arch9wavefront6targetE0EEEvT1_.private_seg_size, 0
	.set _ZN7rocprim17ROCPRIM_400000_NS6detail17trampoline_kernelINS0_14default_configENS1_33run_length_encode_config_selectorIfjNS0_4plusIjEEEEZZNS1_33reduce_by_key_impl_wrapped_configILNS1_25lookback_scan_determinismE0ES3_S7_PKfNS0_17constant_iteratorIjlEEPfPlSF_S6_NS0_8equal_toIfEEEE10hipError_tPvRmT2_T3_mT4_T5_T6_T7_T8_P12ihipStream_tbENKUlT_T0_E_clISt17integral_constantIbLb1EESZ_EEDaSU_SV_EUlSU_E_NS1_11comp_targetILNS1_3genE9ELNS1_11target_archE1100ELNS1_3gpuE3ELNS1_3repE0EEENS1_30default_config_static_selectorELNS0_4arch9wavefront6targetE0EEEvT1_.uses_vcc, 0
	.set _ZN7rocprim17ROCPRIM_400000_NS6detail17trampoline_kernelINS0_14default_configENS1_33run_length_encode_config_selectorIfjNS0_4plusIjEEEEZZNS1_33reduce_by_key_impl_wrapped_configILNS1_25lookback_scan_determinismE0ES3_S7_PKfNS0_17constant_iteratorIjlEEPfPlSF_S6_NS0_8equal_toIfEEEE10hipError_tPvRmT2_T3_mT4_T5_T6_T7_T8_P12ihipStream_tbENKUlT_T0_E_clISt17integral_constantIbLb1EESZ_EEDaSU_SV_EUlSU_E_NS1_11comp_targetILNS1_3genE9ELNS1_11target_archE1100ELNS1_3gpuE3ELNS1_3repE0EEENS1_30default_config_static_selectorELNS0_4arch9wavefront6targetE0EEEvT1_.uses_flat_scratch, 0
	.set _ZN7rocprim17ROCPRIM_400000_NS6detail17trampoline_kernelINS0_14default_configENS1_33run_length_encode_config_selectorIfjNS0_4plusIjEEEEZZNS1_33reduce_by_key_impl_wrapped_configILNS1_25lookback_scan_determinismE0ES3_S7_PKfNS0_17constant_iteratorIjlEEPfPlSF_S6_NS0_8equal_toIfEEEE10hipError_tPvRmT2_T3_mT4_T5_T6_T7_T8_P12ihipStream_tbENKUlT_T0_E_clISt17integral_constantIbLb1EESZ_EEDaSU_SV_EUlSU_E_NS1_11comp_targetILNS1_3genE9ELNS1_11target_archE1100ELNS1_3gpuE3ELNS1_3repE0EEENS1_30default_config_static_selectorELNS0_4arch9wavefront6targetE0EEEvT1_.has_dyn_sized_stack, 0
	.set _ZN7rocprim17ROCPRIM_400000_NS6detail17trampoline_kernelINS0_14default_configENS1_33run_length_encode_config_selectorIfjNS0_4plusIjEEEEZZNS1_33reduce_by_key_impl_wrapped_configILNS1_25lookback_scan_determinismE0ES3_S7_PKfNS0_17constant_iteratorIjlEEPfPlSF_S6_NS0_8equal_toIfEEEE10hipError_tPvRmT2_T3_mT4_T5_T6_T7_T8_P12ihipStream_tbENKUlT_T0_E_clISt17integral_constantIbLb1EESZ_EEDaSU_SV_EUlSU_E_NS1_11comp_targetILNS1_3genE9ELNS1_11target_archE1100ELNS1_3gpuE3ELNS1_3repE0EEENS1_30default_config_static_selectorELNS0_4arch9wavefront6targetE0EEEvT1_.has_recursion, 0
	.set _ZN7rocprim17ROCPRIM_400000_NS6detail17trampoline_kernelINS0_14default_configENS1_33run_length_encode_config_selectorIfjNS0_4plusIjEEEEZZNS1_33reduce_by_key_impl_wrapped_configILNS1_25lookback_scan_determinismE0ES3_S7_PKfNS0_17constant_iteratorIjlEEPfPlSF_S6_NS0_8equal_toIfEEEE10hipError_tPvRmT2_T3_mT4_T5_T6_T7_T8_P12ihipStream_tbENKUlT_T0_E_clISt17integral_constantIbLb1EESZ_EEDaSU_SV_EUlSU_E_NS1_11comp_targetILNS1_3genE9ELNS1_11target_archE1100ELNS1_3gpuE3ELNS1_3repE0EEENS1_30default_config_static_selectorELNS0_4arch9wavefront6targetE0EEEvT1_.has_indirect_call, 0
	.section	.AMDGPU.csdata,"",@progbits
; Kernel info:
; codeLenInByte = 0
; TotalNumSgprs: 0
; NumVgprs: 0
; ScratchSize: 0
; MemoryBound: 0
; FloatMode: 240
; IeeeMode: 1
; LDSByteSize: 0 bytes/workgroup (compile time only)
; SGPRBlocks: 0
; VGPRBlocks: 0
; NumSGPRsForWavesPerEU: 1
; NumVGPRsForWavesPerEU: 1
; NamedBarCnt: 0
; Occupancy: 16
; WaveLimiterHint : 0
; COMPUTE_PGM_RSRC2:SCRATCH_EN: 0
; COMPUTE_PGM_RSRC2:USER_SGPR: 2
; COMPUTE_PGM_RSRC2:TRAP_HANDLER: 0
; COMPUTE_PGM_RSRC2:TGID_X_EN: 1
; COMPUTE_PGM_RSRC2:TGID_Y_EN: 0
; COMPUTE_PGM_RSRC2:TGID_Z_EN: 0
; COMPUTE_PGM_RSRC2:TIDIG_COMP_CNT: 0
	.section	.text._ZN7rocprim17ROCPRIM_400000_NS6detail17trampoline_kernelINS0_14default_configENS1_33run_length_encode_config_selectorIfjNS0_4plusIjEEEEZZNS1_33reduce_by_key_impl_wrapped_configILNS1_25lookback_scan_determinismE0ES3_S7_PKfNS0_17constant_iteratorIjlEEPfPlSF_S6_NS0_8equal_toIfEEEE10hipError_tPvRmT2_T3_mT4_T5_T6_T7_T8_P12ihipStream_tbENKUlT_T0_E_clISt17integral_constantIbLb1EESZ_EEDaSU_SV_EUlSU_E_NS1_11comp_targetILNS1_3genE8ELNS1_11target_archE1030ELNS1_3gpuE2ELNS1_3repE0EEENS1_30default_config_static_selectorELNS0_4arch9wavefront6targetE0EEEvT1_,"axG",@progbits,_ZN7rocprim17ROCPRIM_400000_NS6detail17trampoline_kernelINS0_14default_configENS1_33run_length_encode_config_selectorIfjNS0_4plusIjEEEEZZNS1_33reduce_by_key_impl_wrapped_configILNS1_25lookback_scan_determinismE0ES3_S7_PKfNS0_17constant_iteratorIjlEEPfPlSF_S6_NS0_8equal_toIfEEEE10hipError_tPvRmT2_T3_mT4_T5_T6_T7_T8_P12ihipStream_tbENKUlT_T0_E_clISt17integral_constantIbLb1EESZ_EEDaSU_SV_EUlSU_E_NS1_11comp_targetILNS1_3genE8ELNS1_11target_archE1030ELNS1_3gpuE2ELNS1_3repE0EEENS1_30default_config_static_selectorELNS0_4arch9wavefront6targetE0EEEvT1_,comdat
	.protected	_ZN7rocprim17ROCPRIM_400000_NS6detail17trampoline_kernelINS0_14default_configENS1_33run_length_encode_config_selectorIfjNS0_4plusIjEEEEZZNS1_33reduce_by_key_impl_wrapped_configILNS1_25lookback_scan_determinismE0ES3_S7_PKfNS0_17constant_iteratorIjlEEPfPlSF_S6_NS0_8equal_toIfEEEE10hipError_tPvRmT2_T3_mT4_T5_T6_T7_T8_P12ihipStream_tbENKUlT_T0_E_clISt17integral_constantIbLb1EESZ_EEDaSU_SV_EUlSU_E_NS1_11comp_targetILNS1_3genE8ELNS1_11target_archE1030ELNS1_3gpuE2ELNS1_3repE0EEENS1_30default_config_static_selectorELNS0_4arch9wavefront6targetE0EEEvT1_ ; -- Begin function _ZN7rocprim17ROCPRIM_400000_NS6detail17trampoline_kernelINS0_14default_configENS1_33run_length_encode_config_selectorIfjNS0_4plusIjEEEEZZNS1_33reduce_by_key_impl_wrapped_configILNS1_25lookback_scan_determinismE0ES3_S7_PKfNS0_17constant_iteratorIjlEEPfPlSF_S6_NS0_8equal_toIfEEEE10hipError_tPvRmT2_T3_mT4_T5_T6_T7_T8_P12ihipStream_tbENKUlT_T0_E_clISt17integral_constantIbLb1EESZ_EEDaSU_SV_EUlSU_E_NS1_11comp_targetILNS1_3genE8ELNS1_11target_archE1030ELNS1_3gpuE2ELNS1_3repE0EEENS1_30default_config_static_selectorELNS0_4arch9wavefront6targetE0EEEvT1_
	.globl	_ZN7rocprim17ROCPRIM_400000_NS6detail17trampoline_kernelINS0_14default_configENS1_33run_length_encode_config_selectorIfjNS0_4plusIjEEEEZZNS1_33reduce_by_key_impl_wrapped_configILNS1_25lookback_scan_determinismE0ES3_S7_PKfNS0_17constant_iteratorIjlEEPfPlSF_S6_NS0_8equal_toIfEEEE10hipError_tPvRmT2_T3_mT4_T5_T6_T7_T8_P12ihipStream_tbENKUlT_T0_E_clISt17integral_constantIbLb1EESZ_EEDaSU_SV_EUlSU_E_NS1_11comp_targetILNS1_3genE8ELNS1_11target_archE1030ELNS1_3gpuE2ELNS1_3repE0EEENS1_30default_config_static_selectorELNS0_4arch9wavefront6targetE0EEEvT1_
	.p2align	8
	.type	_ZN7rocprim17ROCPRIM_400000_NS6detail17trampoline_kernelINS0_14default_configENS1_33run_length_encode_config_selectorIfjNS0_4plusIjEEEEZZNS1_33reduce_by_key_impl_wrapped_configILNS1_25lookback_scan_determinismE0ES3_S7_PKfNS0_17constant_iteratorIjlEEPfPlSF_S6_NS0_8equal_toIfEEEE10hipError_tPvRmT2_T3_mT4_T5_T6_T7_T8_P12ihipStream_tbENKUlT_T0_E_clISt17integral_constantIbLb1EESZ_EEDaSU_SV_EUlSU_E_NS1_11comp_targetILNS1_3genE8ELNS1_11target_archE1030ELNS1_3gpuE2ELNS1_3repE0EEENS1_30default_config_static_selectorELNS0_4arch9wavefront6targetE0EEEvT1_,@function
_ZN7rocprim17ROCPRIM_400000_NS6detail17trampoline_kernelINS0_14default_configENS1_33run_length_encode_config_selectorIfjNS0_4plusIjEEEEZZNS1_33reduce_by_key_impl_wrapped_configILNS1_25lookback_scan_determinismE0ES3_S7_PKfNS0_17constant_iteratorIjlEEPfPlSF_S6_NS0_8equal_toIfEEEE10hipError_tPvRmT2_T3_mT4_T5_T6_T7_T8_P12ihipStream_tbENKUlT_T0_E_clISt17integral_constantIbLb1EESZ_EEDaSU_SV_EUlSU_E_NS1_11comp_targetILNS1_3genE8ELNS1_11target_archE1030ELNS1_3gpuE2ELNS1_3repE0EEENS1_30default_config_static_selectorELNS0_4arch9wavefront6targetE0EEEvT1_: ; @_ZN7rocprim17ROCPRIM_400000_NS6detail17trampoline_kernelINS0_14default_configENS1_33run_length_encode_config_selectorIfjNS0_4plusIjEEEEZZNS1_33reduce_by_key_impl_wrapped_configILNS1_25lookback_scan_determinismE0ES3_S7_PKfNS0_17constant_iteratorIjlEEPfPlSF_S6_NS0_8equal_toIfEEEE10hipError_tPvRmT2_T3_mT4_T5_T6_T7_T8_P12ihipStream_tbENKUlT_T0_E_clISt17integral_constantIbLb1EESZ_EEDaSU_SV_EUlSU_E_NS1_11comp_targetILNS1_3genE8ELNS1_11target_archE1030ELNS1_3gpuE2ELNS1_3repE0EEENS1_30default_config_static_selectorELNS0_4arch9wavefront6targetE0EEEvT1_
; %bb.0:
	.section	.rodata,"a",@progbits
	.p2align	6, 0x0
	.amdhsa_kernel _ZN7rocprim17ROCPRIM_400000_NS6detail17trampoline_kernelINS0_14default_configENS1_33run_length_encode_config_selectorIfjNS0_4plusIjEEEEZZNS1_33reduce_by_key_impl_wrapped_configILNS1_25lookback_scan_determinismE0ES3_S7_PKfNS0_17constant_iteratorIjlEEPfPlSF_S6_NS0_8equal_toIfEEEE10hipError_tPvRmT2_T3_mT4_T5_T6_T7_T8_P12ihipStream_tbENKUlT_T0_E_clISt17integral_constantIbLb1EESZ_EEDaSU_SV_EUlSU_E_NS1_11comp_targetILNS1_3genE8ELNS1_11target_archE1030ELNS1_3gpuE2ELNS1_3repE0EEENS1_30default_config_static_selectorELNS0_4arch9wavefront6targetE0EEEvT1_
		.amdhsa_group_segment_fixed_size 0
		.amdhsa_private_segment_fixed_size 0
		.amdhsa_kernarg_size 128
		.amdhsa_user_sgpr_count 2
		.amdhsa_user_sgpr_dispatch_ptr 0
		.amdhsa_user_sgpr_queue_ptr 0
		.amdhsa_user_sgpr_kernarg_segment_ptr 1
		.amdhsa_user_sgpr_dispatch_id 0
		.amdhsa_user_sgpr_kernarg_preload_length 0
		.amdhsa_user_sgpr_kernarg_preload_offset 0
		.amdhsa_user_sgpr_private_segment_size 0
		.amdhsa_wavefront_size32 1
		.amdhsa_uses_dynamic_stack 0
		.amdhsa_enable_private_segment 0
		.amdhsa_system_sgpr_workgroup_id_x 1
		.amdhsa_system_sgpr_workgroup_id_y 0
		.amdhsa_system_sgpr_workgroup_id_z 0
		.amdhsa_system_sgpr_workgroup_info 0
		.amdhsa_system_vgpr_workitem_id 0
		.amdhsa_next_free_vgpr 1
		.amdhsa_next_free_sgpr 1
		.amdhsa_named_barrier_count 0
		.amdhsa_reserve_vcc 0
		.amdhsa_float_round_mode_32 0
		.amdhsa_float_round_mode_16_64 0
		.amdhsa_float_denorm_mode_32 3
		.amdhsa_float_denorm_mode_16_64 3
		.amdhsa_fp16_overflow 0
		.amdhsa_memory_ordered 1
		.amdhsa_forward_progress 1
		.amdhsa_inst_pref_size 0
		.amdhsa_round_robin_scheduling 0
		.amdhsa_exception_fp_ieee_invalid_op 0
		.amdhsa_exception_fp_denorm_src 0
		.amdhsa_exception_fp_ieee_div_zero 0
		.amdhsa_exception_fp_ieee_overflow 0
		.amdhsa_exception_fp_ieee_underflow 0
		.amdhsa_exception_fp_ieee_inexact 0
		.amdhsa_exception_int_div_zero 0
	.end_amdhsa_kernel
	.section	.text._ZN7rocprim17ROCPRIM_400000_NS6detail17trampoline_kernelINS0_14default_configENS1_33run_length_encode_config_selectorIfjNS0_4plusIjEEEEZZNS1_33reduce_by_key_impl_wrapped_configILNS1_25lookback_scan_determinismE0ES3_S7_PKfNS0_17constant_iteratorIjlEEPfPlSF_S6_NS0_8equal_toIfEEEE10hipError_tPvRmT2_T3_mT4_T5_T6_T7_T8_P12ihipStream_tbENKUlT_T0_E_clISt17integral_constantIbLb1EESZ_EEDaSU_SV_EUlSU_E_NS1_11comp_targetILNS1_3genE8ELNS1_11target_archE1030ELNS1_3gpuE2ELNS1_3repE0EEENS1_30default_config_static_selectorELNS0_4arch9wavefront6targetE0EEEvT1_,"axG",@progbits,_ZN7rocprim17ROCPRIM_400000_NS6detail17trampoline_kernelINS0_14default_configENS1_33run_length_encode_config_selectorIfjNS0_4plusIjEEEEZZNS1_33reduce_by_key_impl_wrapped_configILNS1_25lookback_scan_determinismE0ES3_S7_PKfNS0_17constant_iteratorIjlEEPfPlSF_S6_NS0_8equal_toIfEEEE10hipError_tPvRmT2_T3_mT4_T5_T6_T7_T8_P12ihipStream_tbENKUlT_T0_E_clISt17integral_constantIbLb1EESZ_EEDaSU_SV_EUlSU_E_NS1_11comp_targetILNS1_3genE8ELNS1_11target_archE1030ELNS1_3gpuE2ELNS1_3repE0EEENS1_30default_config_static_selectorELNS0_4arch9wavefront6targetE0EEEvT1_,comdat
.Lfunc_end390:
	.size	_ZN7rocprim17ROCPRIM_400000_NS6detail17trampoline_kernelINS0_14default_configENS1_33run_length_encode_config_selectorIfjNS0_4plusIjEEEEZZNS1_33reduce_by_key_impl_wrapped_configILNS1_25lookback_scan_determinismE0ES3_S7_PKfNS0_17constant_iteratorIjlEEPfPlSF_S6_NS0_8equal_toIfEEEE10hipError_tPvRmT2_T3_mT4_T5_T6_T7_T8_P12ihipStream_tbENKUlT_T0_E_clISt17integral_constantIbLb1EESZ_EEDaSU_SV_EUlSU_E_NS1_11comp_targetILNS1_3genE8ELNS1_11target_archE1030ELNS1_3gpuE2ELNS1_3repE0EEENS1_30default_config_static_selectorELNS0_4arch9wavefront6targetE0EEEvT1_, .Lfunc_end390-_ZN7rocprim17ROCPRIM_400000_NS6detail17trampoline_kernelINS0_14default_configENS1_33run_length_encode_config_selectorIfjNS0_4plusIjEEEEZZNS1_33reduce_by_key_impl_wrapped_configILNS1_25lookback_scan_determinismE0ES3_S7_PKfNS0_17constant_iteratorIjlEEPfPlSF_S6_NS0_8equal_toIfEEEE10hipError_tPvRmT2_T3_mT4_T5_T6_T7_T8_P12ihipStream_tbENKUlT_T0_E_clISt17integral_constantIbLb1EESZ_EEDaSU_SV_EUlSU_E_NS1_11comp_targetILNS1_3genE8ELNS1_11target_archE1030ELNS1_3gpuE2ELNS1_3repE0EEENS1_30default_config_static_selectorELNS0_4arch9wavefront6targetE0EEEvT1_
                                        ; -- End function
	.set _ZN7rocprim17ROCPRIM_400000_NS6detail17trampoline_kernelINS0_14default_configENS1_33run_length_encode_config_selectorIfjNS0_4plusIjEEEEZZNS1_33reduce_by_key_impl_wrapped_configILNS1_25lookback_scan_determinismE0ES3_S7_PKfNS0_17constant_iteratorIjlEEPfPlSF_S6_NS0_8equal_toIfEEEE10hipError_tPvRmT2_T3_mT4_T5_T6_T7_T8_P12ihipStream_tbENKUlT_T0_E_clISt17integral_constantIbLb1EESZ_EEDaSU_SV_EUlSU_E_NS1_11comp_targetILNS1_3genE8ELNS1_11target_archE1030ELNS1_3gpuE2ELNS1_3repE0EEENS1_30default_config_static_selectorELNS0_4arch9wavefront6targetE0EEEvT1_.num_vgpr, 0
	.set _ZN7rocprim17ROCPRIM_400000_NS6detail17trampoline_kernelINS0_14default_configENS1_33run_length_encode_config_selectorIfjNS0_4plusIjEEEEZZNS1_33reduce_by_key_impl_wrapped_configILNS1_25lookback_scan_determinismE0ES3_S7_PKfNS0_17constant_iteratorIjlEEPfPlSF_S6_NS0_8equal_toIfEEEE10hipError_tPvRmT2_T3_mT4_T5_T6_T7_T8_P12ihipStream_tbENKUlT_T0_E_clISt17integral_constantIbLb1EESZ_EEDaSU_SV_EUlSU_E_NS1_11comp_targetILNS1_3genE8ELNS1_11target_archE1030ELNS1_3gpuE2ELNS1_3repE0EEENS1_30default_config_static_selectorELNS0_4arch9wavefront6targetE0EEEvT1_.num_agpr, 0
	.set _ZN7rocprim17ROCPRIM_400000_NS6detail17trampoline_kernelINS0_14default_configENS1_33run_length_encode_config_selectorIfjNS0_4plusIjEEEEZZNS1_33reduce_by_key_impl_wrapped_configILNS1_25lookback_scan_determinismE0ES3_S7_PKfNS0_17constant_iteratorIjlEEPfPlSF_S6_NS0_8equal_toIfEEEE10hipError_tPvRmT2_T3_mT4_T5_T6_T7_T8_P12ihipStream_tbENKUlT_T0_E_clISt17integral_constantIbLb1EESZ_EEDaSU_SV_EUlSU_E_NS1_11comp_targetILNS1_3genE8ELNS1_11target_archE1030ELNS1_3gpuE2ELNS1_3repE0EEENS1_30default_config_static_selectorELNS0_4arch9wavefront6targetE0EEEvT1_.numbered_sgpr, 0
	.set _ZN7rocprim17ROCPRIM_400000_NS6detail17trampoline_kernelINS0_14default_configENS1_33run_length_encode_config_selectorIfjNS0_4plusIjEEEEZZNS1_33reduce_by_key_impl_wrapped_configILNS1_25lookback_scan_determinismE0ES3_S7_PKfNS0_17constant_iteratorIjlEEPfPlSF_S6_NS0_8equal_toIfEEEE10hipError_tPvRmT2_T3_mT4_T5_T6_T7_T8_P12ihipStream_tbENKUlT_T0_E_clISt17integral_constantIbLb1EESZ_EEDaSU_SV_EUlSU_E_NS1_11comp_targetILNS1_3genE8ELNS1_11target_archE1030ELNS1_3gpuE2ELNS1_3repE0EEENS1_30default_config_static_selectorELNS0_4arch9wavefront6targetE0EEEvT1_.num_named_barrier, 0
	.set _ZN7rocprim17ROCPRIM_400000_NS6detail17trampoline_kernelINS0_14default_configENS1_33run_length_encode_config_selectorIfjNS0_4plusIjEEEEZZNS1_33reduce_by_key_impl_wrapped_configILNS1_25lookback_scan_determinismE0ES3_S7_PKfNS0_17constant_iteratorIjlEEPfPlSF_S6_NS0_8equal_toIfEEEE10hipError_tPvRmT2_T3_mT4_T5_T6_T7_T8_P12ihipStream_tbENKUlT_T0_E_clISt17integral_constantIbLb1EESZ_EEDaSU_SV_EUlSU_E_NS1_11comp_targetILNS1_3genE8ELNS1_11target_archE1030ELNS1_3gpuE2ELNS1_3repE0EEENS1_30default_config_static_selectorELNS0_4arch9wavefront6targetE0EEEvT1_.private_seg_size, 0
	.set _ZN7rocprim17ROCPRIM_400000_NS6detail17trampoline_kernelINS0_14default_configENS1_33run_length_encode_config_selectorIfjNS0_4plusIjEEEEZZNS1_33reduce_by_key_impl_wrapped_configILNS1_25lookback_scan_determinismE0ES3_S7_PKfNS0_17constant_iteratorIjlEEPfPlSF_S6_NS0_8equal_toIfEEEE10hipError_tPvRmT2_T3_mT4_T5_T6_T7_T8_P12ihipStream_tbENKUlT_T0_E_clISt17integral_constantIbLb1EESZ_EEDaSU_SV_EUlSU_E_NS1_11comp_targetILNS1_3genE8ELNS1_11target_archE1030ELNS1_3gpuE2ELNS1_3repE0EEENS1_30default_config_static_selectorELNS0_4arch9wavefront6targetE0EEEvT1_.uses_vcc, 0
	.set _ZN7rocprim17ROCPRIM_400000_NS6detail17trampoline_kernelINS0_14default_configENS1_33run_length_encode_config_selectorIfjNS0_4plusIjEEEEZZNS1_33reduce_by_key_impl_wrapped_configILNS1_25lookback_scan_determinismE0ES3_S7_PKfNS0_17constant_iteratorIjlEEPfPlSF_S6_NS0_8equal_toIfEEEE10hipError_tPvRmT2_T3_mT4_T5_T6_T7_T8_P12ihipStream_tbENKUlT_T0_E_clISt17integral_constantIbLb1EESZ_EEDaSU_SV_EUlSU_E_NS1_11comp_targetILNS1_3genE8ELNS1_11target_archE1030ELNS1_3gpuE2ELNS1_3repE0EEENS1_30default_config_static_selectorELNS0_4arch9wavefront6targetE0EEEvT1_.uses_flat_scratch, 0
	.set _ZN7rocprim17ROCPRIM_400000_NS6detail17trampoline_kernelINS0_14default_configENS1_33run_length_encode_config_selectorIfjNS0_4plusIjEEEEZZNS1_33reduce_by_key_impl_wrapped_configILNS1_25lookback_scan_determinismE0ES3_S7_PKfNS0_17constant_iteratorIjlEEPfPlSF_S6_NS0_8equal_toIfEEEE10hipError_tPvRmT2_T3_mT4_T5_T6_T7_T8_P12ihipStream_tbENKUlT_T0_E_clISt17integral_constantIbLb1EESZ_EEDaSU_SV_EUlSU_E_NS1_11comp_targetILNS1_3genE8ELNS1_11target_archE1030ELNS1_3gpuE2ELNS1_3repE0EEENS1_30default_config_static_selectorELNS0_4arch9wavefront6targetE0EEEvT1_.has_dyn_sized_stack, 0
	.set _ZN7rocprim17ROCPRIM_400000_NS6detail17trampoline_kernelINS0_14default_configENS1_33run_length_encode_config_selectorIfjNS0_4plusIjEEEEZZNS1_33reduce_by_key_impl_wrapped_configILNS1_25lookback_scan_determinismE0ES3_S7_PKfNS0_17constant_iteratorIjlEEPfPlSF_S6_NS0_8equal_toIfEEEE10hipError_tPvRmT2_T3_mT4_T5_T6_T7_T8_P12ihipStream_tbENKUlT_T0_E_clISt17integral_constantIbLb1EESZ_EEDaSU_SV_EUlSU_E_NS1_11comp_targetILNS1_3genE8ELNS1_11target_archE1030ELNS1_3gpuE2ELNS1_3repE0EEENS1_30default_config_static_selectorELNS0_4arch9wavefront6targetE0EEEvT1_.has_recursion, 0
	.set _ZN7rocprim17ROCPRIM_400000_NS6detail17trampoline_kernelINS0_14default_configENS1_33run_length_encode_config_selectorIfjNS0_4plusIjEEEEZZNS1_33reduce_by_key_impl_wrapped_configILNS1_25lookback_scan_determinismE0ES3_S7_PKfNS0_17constant_iteratorIjlEEPfPlSF_S6_NS0_8equal_toIfEEEE10hipError_tPvRmT2_T3_mT4_T5_T6_T7_T8_P12ihipStream_tbENKUlT_T0_E_clISt17integral_constantIbLb1EESZ_EEDaSU_SV_EUlSU_E_NS1_11comp_targetILNS1_3genE8ELNS1_11target_archE1030ELNS1_3gpuE2ELNS1_3repE0EEENS1_30default_config_static_selectorELNS0_4arch9wavefront6targetE0EEEvT1_.has_indirect_call, 0
	.section	.AMDGPU.csdata,"",@progbits
; Kernel info:
; codeLenInByte = 0
; TotalNumSgprs: 0
; NumVgprs: 0
; ScratchSize: 0
; MemoryBound: 0
; FloatMode: 240
; IeeeMode: 1
; LDSByteSize: 0 bytes/workgroup (compile time only)
; SGPRBlocks: 0
; VGPRBlocks: 0
; NumSGPRsForWavesPerEU: 1
; NumVGPRsForWavesPerEU: 1
; NamedBarCnt: 0
; Occupancy: 16
; WaveLimiterHint : 0
; COMPUTE_PGM_RSRC2:SCRATCH_EN: 0
; COMPUTE_PGM_RSRC2:USER_SGPR: 2
; COMPUTE_PGM_RSRC2:TRAP_HANDLER: 0
; COMPUTE_PGM_RSRC2:TGID_X_EN: 1
; COMPUTE_PGM_RSRC2:TGID_Y_EN: 0
; COMPUTE_PGM_RSRC2:TGID_Z_EN: 0
; COMPUTE_PGM_RSRC2:TIDIG_COMP_CNT: 0
	.section	.text._ZN7rocprim17ROCPRIM_400000_NS6detail17trampoline_kernelINS0_14default_configENS1_33run_length_encode_config_selectorIfjNS0_4plusIjEEEEZZNS1_33reduce_by_key_impl_wrapped_configILNS1_25lookback_scan_determinismE0ES3_S7_PKfNS0_17constant_iteratorIjlEEPfPlSF_S6_NS0_8equal_toIfEEEE10hipError_tPvRmT2_T3_mT4_T5_T6_T7_T8_P12ihipStream_tbENKUlT_T0_E_clISt17integral_constantIbLb1EESY_IbLb0EEEEDaSU_SV_EUlSU_E_NS1_11comp_targetILNS1_3genE0ELNS1_11target_archE4294967295ELNS1_3gpuE0ELNS1_3repE0EEENS1_30default_config_static_selectorELNS0_4arch9wavefront6targetE0EEEvT1_,"axG",@progbits,_ZN7rocprim17ROCPRIM_400000_NS6detail17trampoline_kernelINS0_14default_configENS1_33run_length_encode_config_selectorIfjNS0_4plusIjEEEEZZNS1_33reduce_by_key_impl_wrapped_configILNS1_25lookback_scan_determinismE0ES3_S7_PKfNS0_17constant_iteratorIjlEEPfPlSF_S6_NS0_8equal_toIfEEEE10hipError_tPvRmT2_T3_mT4_T5_T6_T7_T8_P12ihipStream_tbENKUlT_T0_E_clISt17integral_constantIbLb1EESY_IbLb0EEEEDaSU_SV_EUlSU_E_NS1_11comp_targetILNS1_3genE0ELNS1_11target_archE4294967295ELNS1_3gpuE0ELNS1_3repE0EEENS1_30default_config_static_selectorELNS0_4arch9wavefront6targetE0EEEvT1_,comdat
	.protected	_ZN7rocprim17ROCPRIM_400000_NS6detail17trampoline_kernelINS0_14default_configENS1_33run_length_encode_config_selectorIfjNS0_4plusIjEEEEZZNS1_33reduce_by_key_impl_wrapped_configILNS1_25lookback_scan_determinismE0ES3_S7_PKfNS0_17constant_iteratorIjlEEPfPlSF_S6_NS0_8equal_toIfEEEE10hipError_tPvRmT2_T3_mT4_T5_T6_T7_T8_P12ihipStream_tbENKUlT_T0_E_clISt17integral_constantIbLb1EESY_IbLb0EEEEDaSU_SV_EUlSU_E_NS1_11comp_targetILNS1_3genE0ELNS1_11target_archE4294967295ELNS1_3gpuE0ELNS1_3repE0EEENS1_30default_config_static_selectorELNS0_4arch9wavefront6targetE0EEEvT1_ ; -- Begin function _ZN7rocprim17ROCPRIM_400000_NS6detail17trampoline_kernelINS0_14default_configENS1_33run_length_encode_config_selectorIfjNS0_4plusIjEEEEZZNS1_33reduce_by_key_impl_wrapped_configILNS1_25lookback_scan_determinismE0ES3_S7_PKfNS0_17constant_iteratorIjlEEPfPlSF_S6_NS0_8equal_toIfEEEE10hipError_tPvRmT2_T3_mT4_T5_T6_T7_T8_P12ihipStream_tbENKUlT_T0_E_clISt17integral_constantIbLb1EESY_IbLb0EEEEDaSU_SV_EUlSU_E_NS1_11comp_targetILNS1_3genE0ELNS1_11target_archE4294967295ELNS1_3gpuE0ELNS1_3repE0EEENS1_30default_config_static_selectorELNS0_4arch9wavefront6targetE0EEEvT1_
	.globl	_ZN7rocprim17ROCPRIM_400000_NS6detail17trampoline_kernelINS0_14default_configENS1_33run_length_encode_config_selectorIfjNS0_4plusIjEEEEZZNS1_33reduce_by_key_impl_wrapped_configILNS1_25lookback_scan_determinismE0ES3_S7_PKfNS0_17constant_iteratorIjlEEPfPlSF_S6_NS0_8equal_toIfEEEE10hipError_tPvRmT2_T3_mT4_T5_T6_T7_T8_P12ihipStream_tbENKUlT_T0_E_clISt17integral_constantIbLb1EESY_IbLb0EEEEDaSU_SV_EUlSU_E_NS1_11comp_targetILNS1_3genE0ELNS1_11target_archE4294967295ELNS1_3gpuE0ELNS1_3repE0EEENS1_30default_config_static_selectorELNS0_4arch9wavefront6targetE0EEEvT1_
	.p2align	8
	.type	_ZN7rocprim17ROCPRIM_400000_NS6detail17trampoline_kernelINS0_14default_configENS1_33run_length_encode_config_selectorIfjNS0_4plusIjEEEEZZNS1_33reduce_by_key_impl_wrapped_configILNS1_25lookback_scan_determinismE0ES3_S7_PKfNS0_17constant_iteratorIjlEEPfPlSF_S6_NS0_8equal_toIfEEEE10hipError_tPvRmT2_T3_mT4_T5_T6_T7_T8_P12ihipStream_tbENKUlT_T0_E_clISt17integral_constantIbLb1EESY_IbLb0EEEEDaSU_SV_EUlSU_E_NS1_11comp_targetILNS1_3genE0ELNS1_11target_archE4294967295ELNS1_3gpuE0ELNS1_3repE0EEENS1_30default_config_static_selectorELNS0_4arch9wavefront6targetE0EEEvT1_,@function
_ZN7rocprim17ROCPRIM_400000_NS6detail17trampoline_kernelINS0_14default_configENS1_33run_length_encode_config_selectorIfjNS0_4plusIjEEEEZZNS1_33reduce_by_key_impl_wrapped_configILNS1_25lookback_scan_determinismE0ES3_S7_PKfNS0_17constant_iteratorIjlEEPfPlSF_S6_NS0_8equal_toIfEEEE10hipError_tPvRmT2_T3_mT4_T5_T6_T7_T8_P12ihipStream_tbENKUlT_T0_E_clISt17integral_constantIbLb1EESY_IbLb0EEEEDaSU_SV_EUlSU_E_NS1_11comp_targetILNS1_3genE0ELNS1_11target_archE4294967295ELNS1_3gpuE0ELNS1_3repE0EEENS1_30default_config_static_selectorELNS0_4arch9wavefront6targetE0EEEvT1_: ; @_ZN7rocprim17ROCPRIM_400000_NS6detail17trampoline_kernelINS0_14default_configENS1_33run_length_encode_config_selectorIfjNS0_4plusIjEEEEZZNS1_33reduce_by_key_impl_wrapped_configILNS1_25lookback_scan_determinismE0ES3_S7_PKfNS0_17constant_iteratorIjlEEPfPlSF_S6_NS0_8equal_toIfEEEE10hipError_tPvRmT2_T3_mT4_T5_T6_T7_T8_P12ihipStream_tbENKUlT_T0_E_clISt17integral_constantIbLb1EESY_IbLb0EEEEDaSU_SV_EUlSU_E_NS1_11comp_targetILNS1_3genE0ELNS1_11target_archE4294967295ELNS1_3gpuE0ELNS1_3repE0EEENS1_30default_config_static_selectorELNS0_4arch9wavefront6targetE0EEEvT1_
; %bb.0:
	s_endpgm
	.section	.rodata,"a",@progbits
	.p2align	6, 0x0
	.amdhsa_kernel _ZN7rocprim17ROCPRIM_400000_NS6detail17trampoline_kernelINS0_14default_configENS1_33run_length_encode_config_selectorIfjNS0_4plusIjEEEEZZNS1_33reduce_by_key_impl_wrapped_configILNS1_25lookback_scan_determinismE0ES3_S7_PKfNS0_17constant_iteratorIjlEEPfPlSF_S6_NS0_8equal_toIfEEEE10hipError_tPvRmT2_T3_mT4_T5_T6_T7_T8_P12ihipStream_tbENKUlT_T0_E_clISt17integral_constantIbLb1EESY_IbLb0EEEEDaSU_SV_EUlSU_E_NS1_11comp_targetILNS1_3genE0ELNS1_11target_archE4294967295ELNS1_3gpuE0ELNS1_3repE0EEENS1_30default_config_static_selectorELNS0_4arch9wavefront6targetE0EEEvT1_
		.amdhsa_group_segment_fixed_size 0
		.amdhsa_private_segment_fixed_size 0
		.amdhsa_kernarg_size 128
		.amdhsa_user_sgpr_count 2
		.amdhsa_user_sgpr_dispatch_ptr 0
		.amdhsa_user_sgpr_queue_ptr 0
		.amdhsa_user_sgpr_kernarg_segment_ptr 1
		.amdhsa_user_sgpr_dispatch_id 0
		.amdhsa_user_sgpr_kernarg_preload_length 0
		.amdhsa_user_sgpr_kernarg_preload_offset 0
		.amdhsa_user_sgpr_private_segment_size 0
		.amdhsa_wavefront_size32 1
		.amdhsa_uses_dynamic_stack 0
		.amdhsa_enable_private_segment 0
		.amdhsa_system_sgpr_workgroup_id_x 1
		.amdhsa_system_sgpr_workgroup_id_y 0
		.amdhsa_system_sgpr_workgroup_id_z 0
		.amdhsa_system_sgpr_workgroup_info 0
		.amdhsa_system_vgpr_workitem_id 0
		.amdhsa_next_free_vgpr 1
		.amdhsa_next_free_sgpr 1
		.amdhsa_named_barrier_count 0
		.amdhsa_reserve_vcc 0
		.amdhsa_float_round_mode_32 0
		.amdhsa_float_round_mode_16_64 0
		.amdhsa_float_denorm_mode_32 3
		.amdhsa_float_denorm_mode_16_64 3
		.amdhsa_fp16_overflow 0
		.amdhsa_memory_ordered 1
		.amdhsa_forward_progress 1
		.amdhsa_inst_pref_size 1
		.amdhsa_round_robin_scheduling 0
		.amdhsa_exception_fp_ieee_invalid_op 0
		.amdhsa_exception_fp_denorm_src 0
		.amdhsa_exception_fp_ieee_div_zero 0
		.amdhsa_exception_fp_ieee_overflow 0
		.amdhsa_exception_fp_ieee_underflow 0
		.amdhsa_exception_fp_ieee_inexact 0
		.amdhsa_exception_int_div_zero 0
	.end_amdhsa_kernel
	.section	.text._ZN7rocprim17ROCPRIM_400000_NS6detail17trampoline_kernelINS0_14default_configENS1_33run_length_encode_config_selectorIfjNS0_4plusIjEEEEZZNS1_33reduce_by_key_impl_wrapped_configILNS1_25lookback_scan_determinismE0ES3_S7_PKfNS0_17constant_iteratorIjlEEPfPlSF_S6_NS0_8equal_toIfEEEE10hipError_tPvRmT2_T3_mT4_T5_T6_T7_T8_P12ihipStream_tbENKUlT_T0_E_clISt17integral_constantIbLb1EESY_IbLb0EEEEDaSU_SV_EUlSU_E_NS1_11comp_targetILNS1_3genE0ELNS1_11target_archE4294967295ELNS1_3gpuE0ELNS1_3repE0EEENS1_30default_config_static_selectorELNS0_4arch9wavefront6targetE0EEEvT1_,"axG",@progbits,_ZN7rocprim17ROCPRIM_400000_NS6detail17trampoline_kernelINS0_14default_configENS1_33run_length_encode_config_selectorIfjNS0_4plusIjEEEEZZNS1_33reduce_by_key_impl_wrapped_configILNS1_25lookback_scan_determinismE0ES3_S7_PKfNS0_17constant_iteratorIjlEEPfPlSF_S6_NS0_8equal_toIfEEEE10hipError_tPvRmT2_T3_mT4_T5_T6_T7_T8_P12ihipStream_tbENKUlT_T0_E_clISt17integral_constantIbLb1EESY_IbLb0EEEEDaSU_SV_EUlSU_E_NS1_11comp_targetILNS1_3genE0ELNS1_11target_archE4294967295ELNS1_3gpuE0ELNS1_3repE0EEENS1_30default_config_static_selectorELNS0_4arch9wavefront6targetE0EEEvT1_,comdat
.Lfunc_end391:
	.size	_ZN7rocprim17ROCPRIM_400000_NS6detail17trampoline_kernelINS0_14default_configENS1_33run_length_encode_config_selectorIfjNS0_4plusIjEEEEZZNS1_33reduce_by_key_impl_wrapped_configILNS1_25lookback_scan_determinismE0ES3_S7_PKfNS0_17constant_iteratorIjlEEPfPlSF_S6_NS0_8equal_toIfEEEE10hipError_tPvRmT2_T3_mT4_T5_T6_T7_T8_P12ihipStream_tbENKUlT_T0_E_clISt17integral_constantIbLb1EESY_IbLb0EEEEDaSU_SV_EUlSU_E_NS1_11comp_targetILNS1_3genE0ELNS1_11target_archE4294967295ELNS1_3gpuE0ELNS1_3repE0EEENS1_30default_config_static_selectorELNS0_4arch9wavefront6targetE0EEEvT1_, .Lfunc_end391-_ZN7rocprim17ROCPRIM_400000_NS6detail17trampoline_kernelINS0_14default_configENS1_33run_length_encode_config_selectorIfjNS0_4plusIjEEEEZZNS1_33reduce_by_key_impl_wrapped_configILNS1_25lookback_scan_determinismE0ES3_S7_PKfNS0_17constant_iteratorIjlEEPfPlSF_S6_NS0_8equal_toIfEEEE10hipError_tPvRmT2_T3_mT4_T5_T6_T7_T8_P12ihipStream_tbENKUlT_T0_E_clISt17integral_constantIbLb1EESY_IbLb0EEEEDaSU_SV_EUlSU_E_NS1_11comp_targetILNS1_3genE0ELNS1_11target_archE4294967295ELNS1_3gpuE0ELNS1_3repE0EEENS1_30default_config_static_selectorELNS0_4arch9wavefront6targetE0EEEvT1_
                                        ; -- End function
	.set _ZN7rocprim17ROCPRIM_400000_NS6detail17trampoline_kernelINS0_14default_configENS1_33run_length_encode_config_selectorIfjNS0_4plusIjEEEEZZNS1_33reduce_by_key_impl_wrapped_configILNS1_25lookback_scan_determinismE0ES3_S7_PKfNS0_17constant_iteratorIjlEEPfPlSF_S6_NS0_8equal_toIfEEEE10hipError_tPvRmT2_T3_mT4_T5_T6_T7_T8_P12ihipStream_tbENKUlT_T0_E_clISt17integral_constantIbLb1EESY_IbLb0EEEEDaSU_SV_EUlSU_E_NS1_11comp_targetILNS1_3genE0ELNS1_11target_archE4294967295ELNS1_3gpuE0ELNS1_3repE0EEENS1_30default_config_static_selectorELNS0_4arch9wavefront6targetE0EEEvT1_.num_vgpr, 0
	.set _ZN7rocprim17ROCPRIM_400000_NS6detail17trampoline_kernelINS0_14default_configENS1_33run_length_encode_config_selectorIfjNS0_4plusIjEEEEZZNS1_33reduce_by_key_impl_wrapped_configILNS1_25lookback_scan_determinismE0ES3_S7_PKfNS0_17constant_iteratorIjlEEPfPlSF_S6_NS0_8equal_toIfEEEE10hipError_tPvRmT2_T3_mT4_T5_T6_T7_T8_P12ihipStream_tbENKUlT_T0_E_clISt17integral_constantIbLb1EESY_IbLb0EEEEDaSU_SV_EUlSU_E_NS1_11comp_targetILNS1_3genE0ELNS1_11target_archE4294967295ELNS1_3gpuE0ELNS1_3repE0EEENS1_30default_config_static_selectorELNS0_4arch9wavefront6targetE0EEEvT1_.num_agpr, 0
	.set _ZN7rocprim17ROCPRIM_400000_NS6detail17trampoline_kernelINS0_14default_configENS1_33run_length_encode_config_selectorIfjNS0_4plusIjEEEEZZNS1_33reduce_by_key_impl_wrapped_configILNS1_25lookback_scan_determinismE0ES3_S7_PKfNS0_17constant_iteratorIjlEEPfPlSF_S6_NS0_8equal_toIfEEEE10hipError_tPvRmT2_T3_mT4_T5_T6_T7_T8_P12ihipStream_tbENKUlT_T0_E_clISt17integral_constantIbLb1EESY_IbLb0EEEEDaSU_SV_EUlSU_E_NS1_11comp_targetILNS1_3genE0ELNS1_11target_archE4294967295ELNS1_3gpuE0ELNS1_3repE0EEENS1_30default_config_static_selectorELNS0_4arch9wavefront6targetE0EEEvT1_.numbered_sgpr, 0
	.set _ZN7rocprim17ROCPRIM_400000_NS6detail17trampoline_kernelINS0_14default_configENS1_33run_length_encode_config_selectorIfjNS0_4plusIjEEEEZZNS1_33reduce_by_key_impl_wrapped_configILNS1_25lookback_scan_determinismE0ES3_S7_PKfNS0_17constant_iteratorIjlEEPfPlSF_S6_NS0_8equal_toIfEEEE10hipError_tPvRmT2_T3_mT4_T5_T6_T7_T8_P12ihipStream_tbENKUlT_T0_E_clISt17integral_constantIbLb1EESY_IbLb0EEEEDaSU_SV_EUlSU_E_NS1_11comp_targetILNS1_3genE0ELNS1_11target_archE4294967295ELNS1_3gpuE0ELNS1_3repE0EEENS1_30default_config_static_selectorELNS0_4arch9wavefront6targetE0EEEvT1_.num_named_barrier, 0
	.set _ZN7rocprim17ROCPRIM_400000_NS6detail17trampoline_kernelINS0_14default_configENS1_33run_length_encode_config_selectorIfjNS0_4plusIjEEEEZZNS1_33reduce_by_key_impl_wrapped_configILNS1_25lookback_scan_determinismE0ES3_S7_PKfNS0_17constant_iteratorIjlEEPfPlSF_S6_NS0_8equal_toIfEEEE10hipError_tPvRmT2_T3_mT4_T5_T6_T7_T8_P12ihipStream_tbENKUlT_T0_E_clISt17integral_constantIbLb1EESY_IbLb0EEEEDaSU_SV_EUlSU_E_NS1_11comp_targetILNS1_3genE0ELNS1_11target_archE4294967295ELNS1_3gpuE0ELNS1_3repE0EEENS1_30default_config_static_selectorELNS0_4arch9wavefront6targetE0EEEvT1_.private_seg_size, 0
	.set _ZN7rocprim17ROCPRIM_400000_NS6detail17trampoline_kernelINS0_14default_configENS1_33run_length_encode_config_selectorIfjNS0_4plusIjEEEEZZNS1_33reduce_by_key_impl_wrapped_configILNS1_25lookback_scan_determinismE0ES3_S7_PKfNS0_17constant_iteratorIjlEEPfPlSF_S6_NS0_8equal_toIfEEEE10hipError_tPvRmT2_T3_mT4_T5_T6_T7_T8_P12ihipStream_tbENKUlT_T0_E_clISt17integral_constantIbLb1EESY_IbLb0EEEEDaSU_SV_EUlSU_E_NS1_11comp_targetILNS1_3genE0ELNS1_11target_archE4294967295ELNS1_3gpuE0ELNS1_3repE0EEENS1_30default_config_static_selectorELNS0_4arch9wavefront6targetE0EEEvT1_.uses_vcc, 0
	.set _ZN7rocprim17ROCPRIM_400000_NS6detail17trampoline_kernelINS0_14default_configENS1_33run_length_encode_config_selectorIfjNS0_4plusIjEEEEZZNS1_33reduce_by_key_impl_wrapped_configILNS1_25lookback_scan_determinismE0ES3_S7_PKfNS0_17constant_iteratorIjlEEPfPlSF_S6_NS0_8equal_toIfEEEE10hipError_tPvRmT2_T3_mT4_T5_T6_T7_T8_P12ihipStream_tbENKUlT_T0_E_clISt17integral_constantIbLb1EESY_IbLb0EEEEDaSU_SV_EUlSU_E_NS1_11comp_targetILNS1_3genE0ELNS1_11target_archE4294967295ELNS1_3gpuE0ELNS1_3repE0EEENS1_30default_config_static_selectorELNS0_4arch9wavefront6targetE0EEEvT1_.uses_flat_scratch, 0
	.set _ZN7rocprim17ROCPRIM_400000_NS6detail17trampoline_kernelINS0_14default_configENS1_33run_length_encode_config_selectorIfjNS0_4plusIjEEEEZZNS1_33reduce_by_key_impl_wrapped_configILNS1_25lookback_scan_determinismE0ES3_S7_PKfNS0_17constant_iteratorIjlEEPfPlSF_S6_NS0_8equal_toIfEEEE10hipError_tPvRmT2_T3_mT4_T5_T6_T7_T8_P12ihipStream_tbENKUlT_T0_E_clISt17integral_constantIbLb1EESY_IbLb0EEEEDaSU_SV_EUlSU_E_NS1_11comp_targetILNS1_3genE0ELNS1_11target_archE4294967295ELNS1_3gpuE0ELNS1_3repE0EEENS1_30default_config_static_selectorELNS0_4arch9wavefront6targetE0EEEvT1_.has_dyn_sized_stack, 0
	.set _ZN7rocprim17ROCPRIM_400000_NS6detail17trampoline_kernelINS0_14default_configENS1_33run_length_encode_config_selectorIfjNS0_4plusIjEEEEZZNS1_33reduce_by_key_impl_wrapped_configILNS1_25lookback_scan_determinismE0ES3_S7_PKfNS0_17constant_iteratorIjlEEPfPlSF_S6_NS0_8equal_toIfEEEE10hipError_tPvRmT2_T3_mT4_T5_T6_T7_T8_P12ihipStream_tbENKUlT_T0_E_clISt17integral_constantIbLb1EESY_IbLb0EEEEDaSU_SV_EUlSU_E_NS1_11comp_targetILNS1_3genE0ELNS1_11target_archE4294967295ELNS1_3gpuE0ELNS1_3repE0EEENS1_30default_config_static_selectorELNS0_4arch9wavefront6targetE0EEEvT1_.has_recursion, 0
	.set _ZN7rocprim17ROCPRIM_400000_NS6detail17trampoline_kernelINS0_14default_configENS1_33run_length_encode_config_selectorIfjNS0_4plusIjEEEEZZNS1_33reduce_by_key_impl_wrapped_configILNS1_25lookback_scan_determinismE0ES3_S7_PKfNS0_17constant_iteratorIjlEEPfPlSF_S6_NS0_8equal_toIfEEEE10hipError_tPvRmT2_T3_mT4_T5_T6_T7_T8_P12ihipStream_tbENKUlT_T0_E_clISt17integral_constantIbLb1EESY_IbLb0EEEEDaSU_SV_EUlSU_E_NS1_11comp_targetILNS1_3genE0ELNS1_11target_archE4294967295ELNS1_3gpuE0ELNS1_3repE0EEENS1_30default_config_static_selectorELNS0_4arch9wavefront6targetE0EEEvT1_.has_indirect_call, 0
	.section	.AMDGPU.csdata,"",@progbits
; Kernel info:
; codeLenInByte = 4
; TotalNumSgprs: 0
; NumVgprs: 0
; ScratchSize: 0
; MemoryBound: 0
; FloatMode: 240
; IeeeMode: 1
; LDSByteSize: 0 bytes/workgroup (compile time only)
; SGPRBlocks: 0
; VGPRBlocks: 0
; NumSGPRsForWavesPerEU: 1
; NumVGPRsForWavesPerEU: 1
; NamedBarCnt: 0
; Occupancy: 16
; WaveLimiterHint : 0
; COMPUTE_PGM_RSRC2:SCRATCH_EN: 0
; COMPUTE_PGM_RSRC2:USER_SGPR: 2
; COMPUTE_PGM_RSRC2:TRAP_HANDLER: 0
; COMPUTE_PGM_RSRC2:TGID_X_EN: 1
; COMPUTE_PGM_RSRC2:TGID_Y_EN: 0
; COMPUTE_PGM_RSRC2:TGID_Z_EN: 0
; COMPUTE_PGM_RSRC2:TIDIG_COMP_CNT: 0
	.section	.text._ZN7rocprim17ROCPRIM_400000_NS6detail17trampoline_kernelINS0_14default_configENS1_33run_length_encode_config_selectorIfjNS0_4plusIjEEEEZZNS1_33reduce_by_key_impl_wrapped_configILNS1_25lookback_scan_determinismE0ES3_S7_PKfNS0_17constant_iteratorIjlEEPfPlSF_S6_NS0_8equal_toIfEEEE10hipError_tPvRmT2_T3_mT4_T5_T6_T7_T8_P12ihipStream_tbENKUlT_T0_E_clISt17integral_constantIbLb1EESY_IbLb0EEEEDaSU_SV_EUlSU_E_NS1_11comp_targetILNS1_3genE5ELNS1_11target_archE942ELNS1_3gpuE9ELNS1_3repE0EEENS1_30default_config_static_selectorELNS0_4arch9wavefront6targetE0EEEvT1_,"axG",@progbits,_ZN7rocprim17ROCPRIM_400000_NS6detail17trampoline_kernelINS0_14default_configENS1_33run_length_encode_config_selectorIfjNS0_4plusIjEEEEZZNS1_33reduce_by_key_impl_wrapped_configILNS1_25lookback_scan_determinismE0ES3_S7_PKfNS0_17constant_iteratorIjlEEPfPlSF_S6_NS0_8equal_toIfEEEE10hipError_tPvRmT2_T3_mT4_T5_T6_T7_T8_P12ihipStream_tbENKUlT_T0_E_clISt17integral_constantIbLb1EESY_IbLb0EEEEDaSU_SV_EUlSU_E_NS1_11comp_targetILNS1_3genE5ELNS1_11target_archE942ELNS1_3gpuE9ELNS1_3repE0EEENS1_30default_config_static_selectorELNS0_4arch9wavefront6targetE0EEEvT1_,comdat
	.protected	_ZN7rocprim17ROCPRIM_400000_NS6detail17trampoline_kernelINS0_14default_configENS1_33run_length_encode_config_selectorIfjNS0_4plusIjEEEEZZNS1_33reduce_by_key_impl_wrapped_configILNS1_25lookback_scan_determinismE0ES3_S7_PKfNS0_17constant_iteratorIjlEEPfPlSF_S6_NS0_8equal_toIfEEEE10hipError_tPvRmT2_T3_mT4_T5_T6_T7_T8_P12ihipStream_tbENKUlT_T0_E_clISt17integral_constantIbLb1EESY_IbLb0EEEEDaSU_SV_EUlSU_E_NS1_11comp_targetILNS1_3genE5ELNS1_11target_archE942ELNS1_3gpuE9ELNS1_3repE0EEENS1_30default_config_static_selectorELNS0_4arch9wavefront6targetE0EEEvT1_ ; -- Begin function _ZN7rocprim17ROCPRIM_400000_NS6detail17trampoline_kernelINS0_14default_configENS1_33run_length_encode_config_selectorIfjNS0_4plusIjEEEEZZNS1_33reduce_by_key_impl_wrapped_configILNS1_25lookback_scan_determinismE0ES3_S7_PKfNS0_17constant_iteratorIjlEEPfPlSF_S6_NS0_8equal_toIfEEEE10hipError_tPvRmT2_T3_mT4_T5_T6_T7_T8_P12ihipStream_tbENKUlT_T0_E_clISt17integral_constantIbLb1EESY_IbLb0EEEEDaSU_SV_EUlSU_E_NS1_11comp_targetILNS1_3genE5ELNS1_11target_archE942ELNS1_3gpuE9ELNS1_3repE0EEENS1_30default_config_static_selectorELNS0_4arch9wavefront6targetE0EEEvT1_
	.globl	_ZN7rocprim17ROCPRIM_400000_NS6detail17trampoline_kernelINS0_14default_configENS1_33run_length_encode_config_selectorIfjNS0_4plusIjEEEEZZNS1_33reduce_by_key_impl_wrapped_configILNS1_25lookback_scan_determinismE0ES3_S7_PKfNS0_17constant_iteratorIjlEEPfPlSF_S6_NS0_8equal_toIfEEEE10hipError_tPvRmT2_T3_mT4_T5_T6_T7_T8_P12ihipStream_tbENKUlT_T0_E_clISt17integral_constantIbLb1EESY_IbLb0EEEEDaSU_SV_EUlSU_E_NS1_11comp_targetILNS1_3genE5ELNS1_11target_archE942ELNS1_3gpuE9ELNS1_3repE0EEENS1_30default_config_static_selectorELNS0_4arch9wavefront6targetE0EEEvT1_
	.p2align	8
	.type	_ZN7rocprim17ROCPRIM_400000_NS6detail17trampoline_kernelINS0_14default_configENS1_33run_length_encode_config_selectorIfjNS0_4plusIjEEEEZZNS1_33reduce_by_key_impl_wrapped_configILNS1_25lookback_scan_determinismE0ES3_S7_PKfNS0_17constant_iteratorIjlEEPfPlSF_S6_NS0_8equal_toIfEEEE10hipError_tPvRmT2_T3_mT4_T5_T6_T7_T8_P12ihipStream_tbENKUlT_T0_E_clISt17integral_constantIbLb1EESY_IbLb0EEEEDaSU_SV_EUlSU_E_NS1_11comp_targetILNS1_3genE5ELNS1_11target_archE942ELNS1_3gpuE9ELNS1_3repE0EEENS1_30default_config_static_selectorELNS0_4arch9wavefront6targetE0EEEvT1_,@function
_ZN7rocprim17ROCPRIM_400000_NS6detail17trampoline_kernelINS0_14default_configENS1_33run_length_encode_config_selectorIfjNS0_4plusIjEEEEZZNS1_33reduce_by_key_impl_wrapped_configILNS1_25lookback_scan_determinismE0ES3_S7_PKfNS0_17constant_iteratorIjlEEPfPlSF_S6_NS0_8equal_toIfEEEE10hipError_tPvRmT2_T3_mT4_T5_T6_T7_T8_P12ihipStream_tbENKUlT_T0_E_clISt17integral_constantIbLb1EESY_IbLb0EEEEDaSU_SV_EUlSU_E_NS1_11comp_targetILNS1_3genE5ELNS1_11target_archE942ELNS1_3gpuE9ELNS1_3repE0EEENS1_30default_config_static_selectorELNS0_4arch9wavefront6targetE0EEEvT1_: ; @_ZN7rocprim17ROCPRIM_400000_NS6detail17trampoline_kernelINS0_14default_configENS1_33run_length_encode_config_selectorIfjNS0_4plusIjEEEEZZNS1_33reduce_by_key_impl_wrapped_configILNS1_25lookback_scan_determinismE0ES3_S7_PKfNS0_17constant_iteratorIjlEEPfPlSF_S6_NS0_8equal_toIfEEEE10hipError_tPvRmT2_T3_mT4_T5_T6_T7_T8_P12ihipStream_tbENKUlT_T0_E_clISt17integral_constantIbLb1EESY_IbLb0EEEEDaSU_SV_EUlSU_E_NS1_11comp_targetILNS1_3genE5ELNS1_11target_archE942ELNS1_3gpuE9ELNS1_3repE0EEENS1_30default_config_static_selectorELNS0_4arch9wavefront6targetE0EEEvT1_
; %bb.0:
	.section	.rodata,"a",@progbits
	.p2align	6, 0x0
	.amdhsa_kernel _ZN7rocprim17ROCPRIM_400000_NS6detail17trampoline_kernelINS0_14default_configENS1_33run_length_encode_config_selectorIfjNS0_4plusIjEEEEZZNS1_33reduce_by_key_impl_wrapped_configILNS1_25lookback_scan_determinismE0ES3_S7_PKfNS0_17constant_iteratorIjlEEPfPlSF_S6_NS0_8equal_toIfEEEE10hipError_tPvRmT2_T3_mT4_T5_T6_T7_T8_P12ihipStream_tbENKUlT_T0_E_clISt17integral_constantIbLb1EESY_IbLb0EEEEDaSU_SV_EUlSU_E_NS1_11comp_targetILNS1_3genE5ELNS1_11target_archE942ELNS1_3gpuE9ELNS1_3repE0EEENS1_30default_config_static_selectorELNS0_4arch9wavefront6targetE0EEEvT1_
		.amdhsa_group_segment_fixed_size 0
		.amdhsa_private_segment_fixed_size 0
		.amdhsa_kernarg_size 128
		.amdhsa_user_sgpr_count 2
		.amdhsa_user_sgpr_dispatch_ptr 0
		.amdhsa_user_sgpr_queue_ptr 0
		.amdhsa_user_sgpr_kernarg_segment_ptr 1
		.amdhsa_user_sgpr_dispatch_id 0
		.amdhsa_user_sgpr_kernarg_preload_length 0
		.amdhsa_user_sgpr_kernarg_preload_offset 0
		.amdhsa_user_sgpr_private_segment_size 0
		.amdhsa_wavefront_size32 1
		.amdhsa_uses_dynamic_stack 0
		.amdhsa_enable_private_segment 0
		.amdhsa_system_sgpr_workgroup_id_x 1
		.amdhsa_system_sgpr_workgroup_id_y 0
		.amdhsa_system_sgpr_workgroup_id_z 0
		.amdhsa_system_sgpr_workgroup_info 0
		.amdhsa_system_vgpr_workitem_id 0
		.amdhsa_next_free_vgpr 1
		.amdhsa_next_free_sgpr 1
		.amdhsa_named_barrier_count 0
		.amdhsa_reserve_vcc 0
		.amdhsa_float_round_mode_32 0
		.amdhsa_float_round_mode_16_64 0
		.amdhsa_float_denorm_mode_32 3
		.amdhsa_float_denorm_mode_16_64 3
		.amdhsa_fp16_overflow 0
		.amdhsa_memory_ordered 1
		.amdhsa_forward_progress 1
		.amdhsa_inst_pref_size 0
		.amdhsa_round_robin_scheduling 0
		.amdhsa_exception_fp_ieee_invalid_op 0
		.amdhsa_exception_fp_denorm_src 0
		.amdhsa_exception_fp_ieee_div_zero 0
		.amdhsa_exception_fp_ieee_overflow 0
		.amdhsa_exception_fp_ieee_underflow 0
		.amdhsa_exception_fp_ieee_inexact 0
		.amdhsa_exception_int_div_zero 0
	.end_amdhsa_kernel
	.section	.text._ZN7rocprim17ROCPRIM_400000_NS6detail17trampoline_kernelINS0_14default_configENS1_33run_length_encode_config_selectorIfjNS0_4plusIjEEEEZZNS1_33reduce_by_key_impl_wrapped_configILNS1_25lookback_scan_determinismE0ES3_S7_PKfNS0_17constant_iteratorIjlEEPfPlSF_S6_NS0_8equal_toIfEEEE10hipError_tPvRmT2_T3_mT4_T5_T6_T7_T8_P12ihipStream_tbENKUlT_T0_E_clISt17integral_constantIbLb1EESY_IbLb0EEEEDaSU_SV_EUlSU_E_NS1_11comp_targetILNS1_3genE5ELNS1_11target_archE942ELNS1_3gpuE9ELNS1_3repE0EEENS1_30default_config_static_selectorELNS0_4arch9wavefront6targetE0EEEvT1_,"axG",@progbits,_ZN7rocprim17ROCPRIM_400000_NS6detail17trampoline_kernelINS0_14default_configENS1_33run_length_encode_config_selectorIfjNS0_4plusIjEEEEZZNS1_33reduce_by_key_impl_wrapped_configILNS1_25lookback_scan_determinismE0ES3_S7_PKfNS0_17constant_iteratorIjlEEPfPlSF_S6_NS0_8equal_toIfEEEE10hipError_tPvRmT2_T3_mT4_T5_T6_T7_T8_P12ihipStream_tbENKUlT_T0_E_clISt17integral_constantIbLb1EESY_IbLb0EEEEDaSU_SV_EUlSU_E_NS1_11comp_targetILNS1_3genE5ELNS1_11target_archE942ELNS1_3gpuE9ELNS1_3repE0EEENS1_30default_config_static_selectorELNS0_4arch9wavefront6targetE0EEEvT1_,comdat
.Lfunc_end392:
	.size	_ZN7rocprim17ROCPRIM_400000_NS6detail17trampoline_kernelINS0_14default_configENS1_33run_length_encode_config_selectorIfjNS0_4plusIjEEEEZZNS1_33reduce_by_key_impl_wrapped_configILNS1_25lookback_scan_determinismE0ES3_S7_PKfNS0_17constant_iteratorIjlEEPfPlSF_S6_NS0_8equal_toIfEEEE10hipError_tPvRmT2_T3_mT4_T5_T6_T7_T8_P12ihipStream_tbENKUlT_T0_E_clISt17integral_constantIbLb1EESY_IbLb0EEEEDaSU_SV_EUlSU_E_NS1_11comp_targetILNS1_3genE5ELNS1_11target_archE942ELNS1_3gpuE9ELNS1_3repE0EEENS1_30default_config_static_selectorELNS0_4arch9wavefront6targetE0EEEvT1_, .Lfunc_end392-_ZN7rocprim17ROCPRIM_400000_NS6detail17trampoline_kernelINS0_14default_configENS1_33run_length_encode_config_selectorIfjNS0_4plusIjEEEEZZNS1_33reduce_by_key_impl_wrapped_configILNS1_25lookback_scan_determinismE0ES3_S7_PKfNS0_17constant_iteratorIjlEEPfPlSF_S6_NS0_8equal_toIfEEEE10hipError_tPvRmT2_T3_mT4_T5_T6_T7_T8_P12ihipStream_tbENKUlT_T0_E_clISt17integral_constantIbLb1EESY_IbLb0EEEEDaSU_SV_EUlSU_E_NS1_11comp_targetILNS1_3genE5ELNS1_11target_archE942ELNS1_3gpuE9ELNS1_3repE0EEENS1_30default_config_static_selectorELNS0_4arch9wavefront6targetE0EEEvT1_
                                        ; -- End function
	.set _ZN7rocprim17ROCPRIM_400000_NS6detail17trampoline_kernelINS0_14default_configENS1_33run_length_encode_config_selectorIfjNS0_4plusIjEEEEZZNS1_33reduce_by_key_impl_wrapped_configILNS1_25lookback_scan_determinismE0ES3_S7_PKfNS0_17constant_iteratorIjlEEPfPlSF_S6_NS0_8equal_toIfEEEE10hipError_tPvRmT2_T3_mT4_T5_T6_T7_T8_P12ihipStream_tbENKUlT_T0_E_clISt17integral_constantIbLb1EESY_IbLb0EEEEDaSU_SV_EUlSU_E_NS1_11comp_targetILNS1_3genE5ELNS1_11target_archE942ELNS1_3gpuE9ELNS1_3repE0EEENS1_30default_config_static_selectorELNS0_4arch9wavefront6targetE0EEEvT1_.num_vgpr, 0
	.set _ZN7rocprim17ROCPRIM_400000_NS6detail17trampoline_kernelINS0_14default_configENS1_33run_length_encode_config_selectorIfjNS0_4plusIjEEEEZZNS1_33reduce_by_key_impl_wrapped_configILNS1_25lookback_scan_determinismE0ES3_S7_PKfNS0_17constant_iteratorIjlEEPfPlSF_S6_NS0_8equal_toIfEEEE10hipError_tPvRmT2_T3_mT4_T5_T6_T7_T8_P12ihipStream_tbENKUlT_T0_E_clISt17integral_constantIbLb1EESY_IbLb0EEEEDaSU_SV_EUlSU_E_NS1_11comp_targetILNS1_3genE5ELNS1_11target_archE942ELNS1_3gpuE9ELNS1_3repE0EEENS1_30default_config_static_selectorELNS0_4arch9wavefront6targetE0EEEvT1_.num_agpr, 0
	.set _ZN7rocprim17ROCPRIM_400000_NS6detail17trampoline_kernelINS0_14default_configENS1_33run_length_encode_config_selectorIfjNS0_4plusIjEEEEZZNS1_33reduce_by_key_impl_wrapped_configILNS1_25lookback_scan_determinismE0ES3_S7_PKfNS0_17constant_iteratorIjlEEPfPlSF_S6_NS0_8equal_toIfEEEE10hipError_tPvRmT2_T3_mT4_T5_T6_T7_T8_P12ihipStream_tbENKUlT_T0_E_clISt17integral_constantIbLb1EESY_IbLb0EEEEDaSU_SV_EUlSU_E_NS1_11comp_targetILNS1_3genE5ELNS1_11target_archE942ELNS1_3gpuE9ELNS1_3repE0EEENS1_30default_config_static_selectorELNS0_4arch9wavefront6targetE0EEEvT1_.numbered_sgpr, 0
	.set _ZN7rocprim17ROCPRIM_400000_NS6detail17trampoline_kernelINS0_14default_configENS1_33run_length_encode_config_selectorIfjNS0_4plusIjEEEEZZNS1_33reduce_by_key_impl_wrapped_configILNS1_25lookback_scan_determinismE0ES3_S7_PKfNS0_17constant_iteratorIjlEEPfPlSF_S6_NS0_8equal_toIfEEEE10hipError_tPvRmT2_T3_mT4_T5_T6_T7_T8_P12ihipStream_tbENKUlT_T0_E_clISt17integral_constantIbLb1EESY_IbLb0EEEEDaSU_SV_EUlSU_E_NS1_11comp_targetILNS1_3genE5ELNS1_11target_archE942ELNS1_3gpuE9ELNS1_3repE0EEENS1_30default_config_static_selectorELNS0_4arch9wavefront6targetE0EEEvT1_.num_named_barrier, 0
	.set _ZN7rocprim17ROCPRIM_400000_NS6detail17trampoline_kernelINS0_14default_configENS1_33run_length_encode_config_selectorIfjNS0_4plusIjEEEEZZNS1_33reduce_by_key_impl_wrapped_configILNS1_25lookback_scan_determinismE0ES3_S7_PKfNS0_17constant_iteratorIjlEEPfPlSF_S6_NS0_8equal_toIfEEEE10hipError_tPvRmT2_T3_mT4_T5_T6_T7_T8_P12ihipStream_tbENKUlT_T0_E_clISt17integral_constantIbLb1EESY_IbLb0EEEEDaSU_SV_EUlSU_E_NS1_11comp_targetILNS1_3genE5ELNS1_11target_archE942ELNS1_3gpuE9ELNS1_3repE0EEENS1_30default_config_static_selectorELNS0_4arch9wavefront6targetE0EEEvT1_.private_seg_size, 0
	.set _ZN7rocprim17ROCPRIM_400000_NS6detail17trampoline_kernelINS0_14default_configENS1_33run_length_encode_config_selectorIfjNS0_4plusIjEEEEZZNS1_33reduce_by_key_impl_wrapped_configILNS1_25lookback_scan_determinismE0ES3_S7_PKfNS0_17constant_iteratorIjlEEPfPlSF_S6_NS0_8equal_toIfEEEE10hipError_tPvRmT2_T3_mT4_T5_T6_T7_T8_P12ihipStream_tbENKUlT_T0_E_clISt17integral_constantIbLb1EESY_IbLb0EEEEDaSU_SV_EUlSU_E_NS1_11comp_targetILNS1_3genE5ELNS1_11target_archE942ELNS1_3gpuE9ELNS1_3repE0EEENS1_30default_config_static_selectorELNS0_4arch9wavefront6targetE0EEEvT1_.uses_vcc, 0
	.set _ZN7rocprim17ROCPRIM_400000_NS6detail17trampoline_kernelINS0_14default_configENS1_33run_length_encode_config_selectorIfjNS0_4plusIjEEEEZZNS1_33reduce_by_key_impl_wrapped_configILNS1_25lookback_scan_determinismE0ES3_S7_PKfNS0_17constant_iteratorIjlEEPfPlSF_S6_NS0_8equal_toIfEEEE10hipError_tPvRmT2_T3_mT4_T5_T6_T7_T8_P12ihipStream_tbENKUlT_T0_E_clISt17integral_constantIbLb1EESY_IbLb0EEEEDaSU_SV_EUlSU_E_NS1_11comp_targetILNS1_3genE5ELNS1_11target_archE942ELNS1_3gpuE9ELNS1_3repE0EEENS1_30default_config_static_selectorELNS0_4arch9wavefront6targetE0EEEvT1_.uses_flat_scratch, 0
	.set _ZN7rocprim17ROCPRIM_400000_NS6detail17trampoline_kernelINS0_14default_configENS1_33run_length_encode_config_selectorIfjNS0_4plusIjEEEEZZNS1_33reduce_by_key_impl_wrapped_configILNS1_25lookback_scan_determinismE0ES3_S7_PKfNS0_17constant_iteratorIjlEEPfPlSF_S6_NS0_8equal_toIfEEEE10hipError_tPvRmT2_T3_mT4_T5_T6_T7_T8_P12ihipStream_tbENKUlT_T0_E_clISt17integral_constantIbLb1EESY_IbLb0EEEEDaSU_SV_EUlSU_E_NS1_11comp_targetILNS1_3genE5ELNS1_11target_archE942ELNS1_3gpuE9ELNS1_3repE0EEENS1_30default_config_static_selectorELNS0_4arch9wavefront6targetE0EEEvT1_.has_dyn_sized_stack, 0
	.set _ZN7rocprim17ROCPRIM_400000_NS6detail17trampoline_kernelINS0_14default_configENS1_33run_length_encode_config_selectorIfjNS0_4plusIjEEEEZZNS1_33reduce_by_key_impl_wrapped_configILNS1_25lookback_scan_determinismE0ES3_S7_PKfNS0_17constant_iteratorIjlEEPfPlSF_S6_NS0_8equal_toIfEEEE10hipError_tPvRmT2_T3_mT4_T5_T6_T7_T8_P12ihipStream_tbENKUlT_T0_E_clISt17integral_constantIbLb1EESY_IbLb0EEEEDaSU_SV_EUlSU_E_NS1_11comp_targetILNS1_3genE5ELNS1_11target_archE942ELNS1_3gpuE9ELNS1_3repE0EEENS1_30default_config_static_selectorELNS0_4arch9wavefront6targetE0EEEvT1_.has_recursion, 0
	.set _ZN7rocprim17ROCPRIM_400000_NS6detail17trampoline_kernelINS0_14default_configENS1_33run_length_encode_config_selectorIfjNS0_4plusIjEEEEZZNS1_33reduce_by_key_impl_wrapped_configILNS1_25lookback_scan_determinismE0ES3_S7_PKfNS0_17constant_iteratorIjlEEPfPlSF_S6_NS0_8equal_toIfEEEE10hipError_tPvRmT2_T3_mT4_T5_T6_T7_T8_P12ihipStream_tbENKUlT_T0_E_clISt17integral_constantIbLb1EESY_IbLb0EEEEDaSU_SV_EUlSU_E_NS1_11comp_targetILNS1_3genE5ELNS1_11target_archE942ELNS1_3gpuE9ELNS1_3repE0EEENS1_30default_config_static_selectorELNS0_4arch9wavefront6targetE0EEEvT1_.has_indirect_call, 0
	.section	.AMDGPU.csdata,"",@progbits
; Kernel info:
; codeLenInByte = 0
; TotalNumSgprs: 0
; NumVgprs: 0
; ScratchSize: 0
; MemoryBound: 0
; FloatMode: 240
; IeeeMode: 1
; LDSByteSize: 0 bytes/workgroup (compile time only)
; SGPRBlocks: 0
; VGPRBlocks: 0
; NumSGPRsForWavesPerEU: 1
; NumVGPRsForWavesPerEU: 1
; NamedBarCnt: 0
; Occupancy: 16
; WaveLimiterHint : 0
; COMPUTE_PGM_RSRC2:SCRATCH_EN: 0
; COMPUTE_PGM_RSRC2:USER_SGPR: 2
; COMPUTE_PGM_RSRC2:TRAP_HANDLER: 0
; COMPUTE_PGM_RSRC2:TGID_X_EN: 1
; COMPUTE_PGM_RSRC2:TGID_Y_EN: 0
; COMPUTE_PGM_RSRC2:TGID_Z_EN: 0
; COMPUTE_PGM_RSRC2:TIDIG_COMP_CNT: 0
	.section	.text._ZN7rocprim17ROCPRIM_400000_NS6detail17trampoline_kernelINS0_14default_configENS1_33run_length_encode_config_selectorIfjNS0_4plusIjEEEEZZNS1_33reduce_by_key_impl_wrapped_configILNS1_25lookback_scan_determinismE0ES3_S7_PKfNS0_17constant_iteratorIjlEEPfPlSF_S6_NS0_8equal_toIfEEEE10hipError_tPvRmT2_T3_mT4_T5_T6_T7_T8_P12ihipStream_tbENKUlT_T0_E_clISt17integral_constantIbLb1EESY_IbLb0EEEEDaSU_SV_EUlSU_E_NS1_11comp_targetILNS1_3genE4ELNS1_11target_archE910ELNS1_3gpuE8ELNS1_3repE0EEENS1_30default_config_static_selectorELNS0_4arch9wavefront6targetE0EEEvT1_,"axG",@progbits,_ZN7rocprim17ROCPRIM_400000_NS6detail17trampoline_kernelINS0_14default_configENS1_33run_length_encode_config_selectorIfjNS0_4plusIjEEEEZZNS1_33reduce_by_key_impl_wrapped_configILNS1_25lookback_scan_determinismE0ES3_S7_PKfNS0_17constant_iteratorIjlEEPfPlSF_S6_NS0_8equal_toIfEEEE10hipError_tPvRmT2_T3_mT4_T5_T6_T7_T8_P12ihipStream_tbENKUlT_T0_E_clISt17integral_constantIbLb1EESY_IbLb0EEEEDaSU_SV_EUlSU_E_NS1_11comp_targetILNS1_3genE4ELNS1_11target_archE910ELNS1_3gpuE8ELNS1_3repE0EEENS1_30default_config_static_selectorELNS0_4arch9wavefront6targetE0EEEvT1_,comdat
	.protected	_ZN7rocprim17ROCPRIM_400000_NS6detail17trampoline_kernelINS0_14default_configENS1_33run_length_encode_config_selectorIfjNS0_4plusIjEEEEZZNS1_33reduce_by_key_impl_wrapped_configILNS1_25lookback_scan_determinismE0ES3_S7_PKfNS0_17constant_iteratorIjlEEPfPlSF_S6_NS0_8equal_toIfEEEE10hipError_tPvRmT2_T3_mT4_T5_T6_T7_T8_P12ihipStream_tbENKUlT_T0_E_clISt17integral_constantIbLb1EESY_IbLb0EEEEDaSU_SV_EUlSU_E_NS1_11comp_targetILNS1_3genE4ELNS1_11target_archE910ELNS1_3gpuE8ELNS1_3repE0EEENS1_30default_config_static_selectorELNS0_4arch9wavefront6targetE0EEEvT1_ ; -- Begin function _ZN7rocprim17ROCPRIM_400000_NS6detail17trampoline_kernelINS0_14default_configENS1_33run_length_encode_config_selectorIfjNS0_4plusIjEEEEZZNS1_33reduce_by_key_impl_wrapped_configILNS1_25lookback_scan_determinismE0ES3_S7_PKfNS0_17constant_iteratorIjlEEPfPlSF_S6_NS0_8equal_toIfEEEE10hipError_tPvRmT2_T3_mT4_T5_T6_T7_T8_P12ihipStream_tbENKUlT_T0_E_clISt17integral_constantIbLb1EESY_IbLb0EEEEDaSU_SV_EUlSU_E_NS1_11comp_targetILNS1_3genE4ELNS1_11target_archE910ELNS1_3gpuE8ELNS1_3repE0EEENS1_30default_config_static_selectorELNS0_4arch9wavefront6targetE0EEEvT1_
	.globl	_ZN7rocprim17ROCPRIM_400000_NS6detail17trampoline_kernelINS0_14default_configENS1_33run_length_encode_config_selectorIfjNS0_4plusIjEEEEZZNS1_33reduce_by_key_impl_wrapped_configILNS1_25lookback_scan_determinismE0ES3_S7_PKfNS0_17constant_iteratorIjlEEPfPlSF_S6_NS0_8equal_toIfEEEE10hipError_tPvRmT2_T3_mT4_T5_T6_T7_T8_P12ihipStream_tbENKUlT_T0_E_clISt17integral_constantIbLb1EESY_IbLb0EEEEDaSU_SV_EUlSU_E_NS1_11comp_targetILNS1_3genE4ELNS1_11target_archE910ELNS1_3gpuE8ELNS1_3repE0EEENS1_30default_config_static_selectorELNS0_4arch9wavefront6targetE0EEEvT1_
	.p2align	8
	.type	_ZN7rocprim17ROCPRIM_400000_NS6detail17trampoline_kernelINS0_14default_configENS1_33run_length_encode_config_selectorIfjNS0_4plusIjEEEEZZNS1_33reduce_by_key_impl_wrapped_configILNS1_25lookback_scan_determinismE0ES3_S7_PKfNS0_17constant_iteratorIjlEEPfPlSF_S6_NS0_8equal_toIfEEEE10hipError_tPvRmT2_T3_mT4_T5_T6_T7_T8_P12ihipStream_tbENKUlT_T0_E_clISt17integral_constantIbLb1EESY_IbLb0EEEEDaSU_SV_EUlSU_E_NS1_11comp_targetILNS1_3genE4ELNS1_11target_archE910ELNS1_3gpuE8ELNS1_3repE0EEENS1_30default_config_static_selectorELNS0_4arch9wavefront6targetE0EEEvT1_,@function
_ZN7rocprim17ROCPRIM_400000_NS6detail17trampoline_kernelINS0_14default_configENS1_33run_length_encode_config_selectorIfjNS0_4plusIjEEEEZZNS1_33reduce_by_key_impl_wrapped_configILNS1_25lookback_scan_determinismE0ES3_S7_PKfNS0_17constant_iteratorIjlEEPfPlSF_S6_NS0_8equal_toIfEEEE10hipError_tPvRmT2_T3_mT4_T5_T6_T7_T8_P12ihipStream_tbENKUlT_T0_E_clISt17integral_constantIbLb1EESY_IbLb0EEEEDaSU_SV_EUlSU_E_NS1_11comp_targetILNS1_3genE4ELNS1_11target_archE910ELNS1_3gpuE8ELNS1_3repE0EEENS1_30default_config_static_selectorELNS0_4arch9wavefront6targetE0EEEvT1_: ; @_ZN7rocprim17ROCPRIM_400000_NS6detail17trampoline_kernelINS0_14default_configENS1_33run_length_encode_config_selectorIfjNS0_4plusIjEEEEZZNS1_33reduce_by_key_impl_wrapped_configILNS1_25lookback_scan_determinismE0ES3_S7_PKfNS0_17constant_iteratorIjlEEPfPlSF_S6_NS0_8equal_toIfEEEE10hipError_tPvRmT2_T3_mT4_T5_T6_T7_T8_P12ihipStream_tbENKUlT_T0_E_clISt17integral_constantIbLb1EESY_IbLb0EEEEDaSU_SV_EUlSU_E_NS1_11comp_targetILNS1_3genE4ELNS1_11target_archE910ELNS1_3gpuE8ELNS1_3repE0EEENS1_30default_config_static_selectorELNS0_4arch9wavefront6targetE0EEEvT1_
; %bb.0:
	.section	.rodata,"a",@progbits
	.p2align	6, 0x0
	.amdhsa_kernel _ZN7rocprim17ROCPRIM_400000_NS6detail17trampoline_kernelINS0_14default_configENS1_33run_length_encode_config_selectorIfjNS0_4plusIjEEEEZZNS1_33reduce_by_key_impl_wrapped_configILNS1_25lookback_scan_determinismE0ES3_S7_PKfNS0_17constant_iteratorIjlEEPfPlSF_S6_NS0_8equal_toIfEEEE10hipError_tPvRmT2_T3_mT4_T5_T6_T7_T8_P12ihipStream_tbENKUlT_T0_E_clISt17integral_constantIbLb1EESY_IbLb0EEEEDaSU_SV_EUlSU_E_NS1_11comp_targetILNS1_3genE4ELNS1_11target_archE910ELNS1_3gpuE8ELNS1_3repE0EEENS1_30default_config_static_selectorELNS0_4arch9wavefront6targetE0EEEvT1_
		.amdhsa_group_segment_fixed_size 0
		.amdhsa_private_segment_fixed_size 0
		.amdhsa_kernarg_size 128
		.amdhsa_user_sgpr_count 2
		.amdhsa_user_sgpr_dispatch_ptr 0
		.amdhsa_user_sgpr_queue_ptr 0
		.amdhsa_user_sgpr_kernarg_segment_ptr 1
		.amdhsa_user_sgpr_dispatch_id 0
		.amdhsa_user_sgpr_kernarg_preload_length 0
		.amdhsa_user_sgpr_kernarg_preload_offset 0
		.amdhsa_user_sgpr_private_segment_size 0
		.amdhsa_wavefront_size32 1
		.amdhsa_uses_dynamic_stack 0
		.amdhsa_enable_private_segment 0
		.amdhsa_system_sgpr_workgroup_id_x 1
		.amdhsa_system_sgpr_workgroup_id_y 0
		.amdhsa_system_sgpr_workgroup_id_z 0
		.amdhsa_system_sgpr_workgroup_info 0
		.amdhsa_system_vgpr_workitem_id 0
		.amdhsa_next_free_vgpr 1
		.amdhsa_next_free_sgpr 1
		.amdhsa_named_barrier_count 0
		.amdhsa_reserve_vcc 0
		.amdhsa_float_round_mode_32 0
		.amdhsa_float_round_mode_16_64 0
		.amdhsa_float_denorm_mode_32 3
		.amdhsa_float_denorm_mode_16_64 3
		.amdhsa_fp16_overflow 0
		.amdhsa_memory_ordered 1
		.amdhsa_forward_progress 1
		.amdhsa_inst_pref_size 0
		.amdhsa_round_robin_scheduling 0
		.amdhsa_exception_fp_ieee_invalid_op 0
		.amdhsa_exception_fp_denorm_src 0
		.amdhsa_exception_fp_ieee_div_zero 0
		.amdhsa_exception_fp_ieee_overflow 0
		.amdhsa_exception_fp_ieee_underflow 0
		.amdhsa_exception_fp_ieee_inexact 0
		.amdhsa_exception_int_div_zero 0
	.end_amdhsa_kernel
	.section	.text._ZN7rocprim17ROCPRIM_400000_NS6detail17trampoline_kernelINS0_14default_configENS1_33run_length_encode_config_selectorIfjNS0_4plusIjEEEEZZNS1_33reduce_by_key_impl_wrapped_configILNS1_25lookback_scan_determinismE0ES3_S7_PKfNS0_17constant_iteratorIjlEEPfPlSF_S6_NS0_8equal_toIfEEEE10hipError_tPvRmT2_T3_mT4_T5_T6_T7_T8_P12ihipStream_tbENKUlT_T0_E_clISt17integral_constantIbLb1EESY_IbLb0EEEEDaSU_SV_EUlSU_E_NS1_11comp_targetILNS1_3genE4ELNS1_11target_archE910ELNS1_3gpuE8ELNS1_3repE0EEENS1_30default_config_static_selectorELNS0_4arch9wavefront6targetE0EEEvT1_,"axG",@progbits,_ZN7rocprim17ROCPRIM_400000_NS6detail17trampoline_kernelINS0_14default_configENS1_33run_length_encode_config_selectorIfjNS0_4plusIjEEEEZZNS1_33reduce_by_key_impl_wrapped_configILNS1_25lookback_scan_determinismE0ES3_S7_PKfNS0_17constant_iteratorIjlEEPfPlSF_S6_NS0_8equal_toIfEEEE10hipError_tPvRmT2_T3_mT4_T5_T6_T7_T8_P12ihipStream_tbENKUlT_T0_E_clISt17integral_constantIbLb1EESY_IbLb0EEEEDaSU_SV_EUlSU_E_NS1_11comp_targetILNS1_3genE4ELNS1_11target_archE910ELNS1_3gpuE8ELNS1_3repE0EEENS1_30default_config_static_selectorELNS0_4arch9wavefront6targetE0EEEvT1_,comdat
.Lfunc_end393:
	.size	_ZN7rocprim17ROCPRIM_400000_NS6detail17trampoline_kernelINS0_14default_configENS1_33run_length_encode_config_selectorIfjNS0_4plusIjEEEEZZNS1_33reduce_by_key_impl_wrapped_configILNS1_25lookback_scan_determinismE0ES3_S7_PKfNS0_17constant_iteratorIjlEEPfPlSF_S6_NS0_8equal_toIfEEEE10hipError_tPvRmT2_T3_mT4_T5_T6_T7_T8_P12ihipStream_tbENKUlT_T0_E_clISt17integral_constantIbLb1EESY_IbLb0EEEEDaSU_SV_EUlSU_E_NS1_11comp_targetILNS1_3genE4ELNS1_11target_archE910ELNS1_3gpuE8ELNS1_3repE0EEENS1_30default_config_static_selectorELNS0_4arch9wavefront6targetE0EEEvT1_, .Lfunc_end393-_ZN7rocprim17ROCPRIM_400000_NS6detail17trampoline_kernelINS0_14default_configENS1_33run_length_encode_config_selectorIfjNS0_4plusIjEEEEZZNS1_33reduce_by_key_impl_wrapped_configILNS1_25lookback_scan_determinismE0ES3_S7_PKfNS0_17constant_iteratorIjlEEPfPlSF_S6_NS0_8equal_toIfEEEE10hipError_tPvRmT2_T3_mT4_T5_T6_T7_T8_P12ihipStream_tbENKUlT_T0_E_clISt17integral_constantIbLb1EESY_IbLb0EEEEDaSU_SV_EUlSU_E_NS1_11comp_targetILNS1_3genE4ELNS1_11target_archE910ELNS1_3gpuE8ELNS1_3repE0EEENS1_30default_config_static_selectorELNS0_4arch9wavefront6targetE0EEEvT1_
                                        ; -- End function
	.set _ZN7rocprim17ROCPRIM_400000_NS6detail17trampoline_kernelINS0_14default_configENS1_33run_length_encode_config_selectorIfjNS0_4plusIjEEEEZZNS1_33reduce_by_key_impl_wrapped_configILNS1_25lookback_scan_determinismE0ES3_S7_PKfNS0_17constant_iteratorIjlEEPfPlSF_S6_NS0_8equal_toIfEEEE10hipError_tPvRmT2_T3_mT4_T5_T6_T7_T8_P12ihipStream_tbENKUlT_T0_E_clISt17integral_constantIbLb1EESY_IbLb0EEEEDaSU_SV_EUlSU_E_NS1_11comp_targetILNS1_3genE4ELNS1_11target_archE910ELNS1_3gpuE8ELNS1_3repE0EEENS1_30default_config_static_selectorELNS0_4arch9wavefront6targetE0EEEvT1_.num_vgpr, 0
	.set _ZN7rocprim17ROCPRIM_400000_NS6detail17trampoline_kernelINS0_14default_configENS1_33run_length_encode_config_selectorIfjNS0_4plusIjEEEEZZNS1_33reduce_by_key_impl_wrapped_configILNS1_25lookback_scan_determinismE0ES3_S7_PKfNS0_17constant_iteratorIjlEEPfPlSF_S6_NS0_8equal_toIfEEEE10hipError_tPvRmT2_T3_mT4_T5_T6_T7_T8_P12ihipStream_tbENKUlT_T0_E_clISt17integral_constantIbLb1EESY_IbLb0EEEEDaSU_SV_EUlSU_E_NS1_11comp_targetILNS1_3genE4ELNS1_11target_archE910ELNS1_3gpuE8ELNS1_3repE0EEENS1_30default_config_static_selectorELNS0_4arch9wavefront6targetE0EEEvT1_.num_agpr, 0
	.set _ZN7rocprim17ROCPRIM_400000_NS6detail17trampoline_kernelINS0_14default_configENS1_33run_length_encode_config_selectorIfjNS0_4plusIjEEEEZZNS1_33reduce_by_key_impl_wrapped_configILNS1_25lookback_scan_determinismE0ES3_S7_PKfNS0_17constant_iteratorIjlEEPfPlSF_S6_NS0_8equal_toIfEEEE10hipError_tPvRmT2_T3_mT4_T5_T6_T7_T8_P12ihipStream_tbENKUlT_T0_E_clISt17integral_constantIbLb1EESY_IbLb0EEEEDaSU_SV_EUlSU_E_NS1_11comp_targetILNS1_3genE4ELNS1_11target_archE910ELNS1_3gpuE8ELNS1_3repE0EEENS1_30default_config_static_selectorELNS0_4arch9wavefront6targetE0EEEvT1_.numbered_sgpr, 0
	.set _ZN7rocprim17ROCPRIM_400000_NS6detail17trampoline_kernelINS0_14default_configENS1_33run_length_encode_config_selectorIfjNS0_4plusIjEEEEZZNS1_33reduce_by_key_impl_wrapped_configILNS1_25lookback_scan_determinismE0ES3_S7_PKfNS0_17constant_iteratorIjlEEPfPlSF_S6_NS0_8equal_toIfEEEE10hipError_tPvRmT2_T3_mT4_T5_T6_T7_T8_P12ihipStream_tbENKUlT_T0_E_clISt17integral_constantIbLb1EESY_IbLb0EEEEDaSU_SV_EUlSU_E_NS1_11comp_targetILNS1_3genE4ELNS1_11target_archE910ELNS1_3gpuE8ELNS1_3repE0EEENS1_30default_config_static_selectorELNS0_4arch9wavefront6targetE0EEEvT1_.num_named_barrier, 0
	.set _ZN7rocprim17ROCPRIM_400000_NS6detail17trampoline_kernelINS0_14default_configENS1_33run_length_encode_config_selectorIfjNS0_4plusIjEEEEZZNS1_33reduce_by_key_impl_wrapped_configILNS1_25lookback_scan_determinismE0ES3_S7_PKfNS0_17constant_iteratorIjlEEPfPlSF_S6_NS0_8equal_toIfEEEE10hipError_tPvRmT2_T3_mT4_T5_T6_T7_T8_P12ihipStream_tbENKUlT_T0_E_clISt17integral_constantIbLb1EESY_IbLb0EEEEDaSU_SV_EUlSU_E_NS1_11comp_targetILNS1_3genE4ELNS1_11target_archE910ELNS1_3gpuE8ELNS1_3repE0EEENS1_30default_config_static_selectorELNS0_4arch9wavefront6targetE0EEEvT1_.private_seg_size, 0
	.set _ZN7rocprim17ROCPRIM_400000_NS6detail17trampoline_kernelINS0_14default_configENS1_33run_length_encode_config_selectorIfjNS0_4plusIjEEEEZZNS1_33reduce_by_key_impl_wrapped_configILNS1_25lookback_scan_determinismE0ES3_S7_PKfNS0_17constant_iteratorIjlEEPfPlSF_S6_NS0_8equal_toIfEEEE10hipError_tPvRmT2_T3_mT4_T5_T6_T7_T8_P12ihipStream_tbENKUlT_T0_E_clISt17integral_constantIbLb1EESY_IbLb0EEEEDaSU_SV_EUlSU_E_NS1_11comp_targetILNS1_3genE4ELNS1_11target_archE910ELNS1_3gpuE8ELNS1_3repE0EEENS1_30default_config_static_selectorELNS0_4arch9wavefront6targetE0EEEvT1_.uses_vcc, 0
	.set _ZN7rocprim17ROCPRIM_400000_NS6detail17trampoline_kernelINS0_14default_configENS1_33run_length_encode_config_selectorIfjNS0_4plusIjEEEEZZNS1_33reduce_by_key_impl_wrapped_configILNS1_25lookback_scan_determinismE0ES3_S7_PKfNS0_17constant_iteratorIjlEEPfPlSF_S6_NS0_8equal_toIfEEEE10hipError_tPvRmT2_T3_mT4_T5_T6_T7_T8_P12ihipStream_tbENKUlT_T0_E_clISt17integral_constantIbLb1EESY_IbLb0EEEEDaSU_SV_EUlSU_E_NS1_11comp_targetILNS1_3genE4ELNS1_11target_archE910ELNS1_3gpuE8ELNS1_3repE0EEENS1_30default_config_static_selectorELNS0_4arch9wavefront6targetE0EEEvT1_.uses_flat_scratch, 0
	.set _ZN7rocprim17ROCPRIM_400000_NS6detail17trampoline_kernelINS0_14default_configENS1_33run_length_encode_config_selectorIfjNS0_4plusIjEEEEZZNS1_33reduce_by_key_impl_wrapped_configILNS1_25lookback_scan_determinismE0ES3_S7_PKfNS0_17constant_iteratorIjlEEPfPlSF_S6_NS0_8equal_toIfEEEE10hipError_tPvRmT2_T3_mT4_T5_T6_T7_T8_P12ihipStream_tbENKUlT_T0_E_clISt17integral_constantIbLb1EESY_IbLb0EEEEDaSU_SV_EUlSU_E_NS1_11comp_targetILNS1_3genE4ELNS1_11target_archE910ELNS1_3gpuE8ELNS1_3repE0EEENS1_30default_config_static_selectorELNS0_4arch9wavefront6targetE0EEEvT1_.has_dyn_sized_stack, 0
	.set _ZN7rocprim17ROCPRIM_400000_NS6detail17trampoline_kernelINS0_14default_configENS1_33run_length_encode_config_selectorIfjNS0_4plusIjEEEEZZNS1_33reduce_by_key_impl_wrapped_configILNS1_25lookback_scan_determinismE0ES3_S7_PKfNS0_17constant_iteratorIjlEEPfPlSF_S6_NS0_8equal_toIfEEEE10hipError_tPvRmT2_T3_mT4_T5_T6_T7_T8_P12ihipStream_tbENKUlT_T0_E_clISt17integral_constantIbLb1EESY_IbLb0EEEEDaSU_SV_EUlSU_E_NS1_11comp_targetILNS1_3genE4ELNS1_11target_archE910ELNS1_3gpuE8ELNS1_3repE0EEENS1_30default_config_static_selectorELNS0_4arch9wavefront6targetE0EEEvT1_.has_recursion, 0
	.set _ZN7rocprim17ROCPRIM_400000_NS6detail17trampoline_kernelINS0_14default_configENS1_33run_length_encode_config_selectorIfjNS0_4plusIjEEEEZZNS1_33reduce_by_key_impl_wrapped_configILNS1_25lookback_scan_determinismE0ES3_S7_PKfNS0_17constant_iteratorIjlEEPfPlSF_S6_NS0_8equal_toIfEEEE10hipError_tPvRmT2_T3_mT4_T5_T6_T7_T8_P12ihipStream_tbENKUlT_T0_E_clISt17integral_constantIbLb1EESY_IbLb0EEEEDaSU_SV_EUlSU_E_NS1_11comp_targetILNS1_3genE4ELNS1_11target_archE910ELNS1_3gpuE8ELNS1_3repE0EEENS1_30default_config_static_selectorELNS0_4arch9wavefront6targetE0EEEvT1_.has_indirect_call, 0
	.section	.AMDGPU.csdata,"",@progbits
; Kernel info:
; codeLenInByte = 0
; TotalNumSgprs: 0
; NumVgprs: 0
; ScratchSize: 0
; MemoryBound: 0
; FloatMode: 240
; IeeeMode: 1
; LDSByteSize: 0 bytes/workgroup (compile time only)
; SGPRBlocks: 0
; VGPRBlocks: 0
; NumSGPRsForWavesPerEU: 1
; NumVGPRsForWavesPerEU: 1
; NamedBarCnt: 0
; Occupancy: 16
; WaveLimiterHint : 0
; COMPUTE_PGM_RSRC2:SCRATCH_EN: 0
; COMPUTE_PGM_RSRC2:USER_SGPR: 2
; COMPUTE_PGM_RSRC2:TRAP_HANDLER: 0
; COMPUTE_PGM_RSRC2:TGID_X_EN: 1
; COMPUTE_PGM_RSRC2:TGID_Y_EN: 0
; COMPUTE_PGM_RSRC2:TGID_Z_EN: 0
; COMPUTE_PGM_RSRC2:TIDIG_COMP_CNT: 0
	.section	.text._ZN7rocprim17ROCPRIM_400000_NS6detail17trampoline_kernelINS0_14default_configENS1_33run_length_encode_config_selectorIfjNS0_4plusIjEEEEZZNS1_33reduce_by_key_impl_wrapped_configILNS1_25lookback_scan_determinismE0ES3_S7_PKfNS0_17constant_iteratorIjlEEPfPlSF_S6_NS0_8equal_toIfEEEE10hipError_tPvRmT2_T3_mT4_T5_T6_T7_T8_P12ihipStream_tbENKUlT_T0_E_clISt17integral_constantIbLb1EESY_IbLb0EEEEDaSU_SV_EUlSU_E_NS1_11comp_targetILNS1_3genE3ELNS1_11target_archE908ELNS1_3gpuE7ELNS1_3repE0EEENS1_30default_config_static_selectorELNS0_4arch9wavefront6targetE0EEEvT1_,"axG",@progbits,_ZN7rocprim17ROCPRIM_400000_NS6detail17trampoline_kernelINS0_14default_configENS1_33run_length_encode_config_selectorIfjNS0_4plusIjEEEEZZNS1_33reduce_by_key_impl_wrapped_configILNS1_25lookback_scan_determinismE0ES3_S7_PKfNS0_17constant_iteratorIjlEEPfPlSF_S6_NS0_8equal_toIfEEEE10hipError_tPvRmT2_T3_mT4_T5_T6_T7_T8_P12ihipStream_tbENKUlT_T0_E_clISt17integral_constantIbLb1EESY_IbLb0EEEEDaSU_SV_EUlSU_E_NS1_11comp_targetILNS1_3genE3ELNS1_11target_archE908ELNS1_3gpuE7ELNS1_3repE0EEENS1_30default_config_static_selectorELNS0_4arch9wavefront6targetE0EEEvT1_,comdat
	.protected	_ZN7rocprim17ROCPRIM_400000_NS6detail17trampoline_kernelINS0_14default_configENS1_33run_length_encode_config_selectorIfjNS0_4plusIjEEEEZZNS1_33reduce_by_key_impl_wrapped_configILNS1_25lookback_scan_determinismE0ES3_S7_PKfNS0_17constant_iteratorIjlEEPfPlSF_S6_NS0_8equal_toIfEEEE10hipError_tPvRmT2_T3_mT4_T5_T6_T7_T8_P12ihipStream_tbENKUlT_T0_E_clISt17integral_constantIbLb1EESY_IbLb0EEEEDaSU_SV_EUlSU_E_NS1_11comp_targetILNS1_3genE3ELNS1_11target_archE908ELNS1_3gpuE7ELNS1_3repE0EEENS1_30default_config_static_selectorELNS0_4arch9wavefront6targetE0EEEvT1_ ; -- Begin function _ZN7rocprim17ROCPRIM_400000_NS6detail17trampoline_kernelINS0_14default_configENS1_33run_length_encode_config_selectorIfjNS0_4plusIjEEEEZZNS1_33reduce_by_key_impl_wrapped_configILNS1_25lookback_scan_determinismE0ES3_S7_PKfNS0_17constant_iteratorIjlEEPfPlSF_S6_NS0_8equal_toIfEEEE10hipError_tPvRmT2_T3_mT4_T5_T6_T7_T8_P12ihipStream_tbENKUlT_T0_E_clISt17integral_constantIbLb1EESY_IbLb0EEEEDaSU_SV_EUlSU_E_NS1_11comp_targetILNS1_3genE3ELNS1_11target_archE908ELNS1_3gpuE7ELNS1_3repE0EEENS1_30default_config_static_selectorELNS0_4arch9wavefront6targetE0EEEvT1_
	.globl	_ZN7rocprim17ROCPRIM_400000_NS6detail17trampoline_kernelINS0_14default_configENS1_33run_length_encode_config_selectorIfjNS0_4plusIjEEEEZZNS1_33reduce_by_key_impl_wrapped_configILNS1_25lookback_scan_determinismE0ES3_S7_PKfNS0_17constant_iteratorIjlEEPfPlSF_S6_NS0_8equal_toIfEEEE10hipError_tPvRmT2_T3_mT4_T5_T6_T7_T8_P12ihipStream_tbENKUlT_T0_E_clISt17integral_constantIbLb1EESY_IbLb0EEEEDaSU_SV_EUlSU_E_NS1_11comp_targetILNS1_3genE3ELNS1_11target_archE908ELNS1_3gpuE7ELNS1_3repE0EEENS1_30default_config_static_selectorELNS0_4arch9wavefront6targetE0EEEvT1_
	.p2align	8
	.type	_ZN7rocprim17ROCPRIM_400000_NS6detail17trampoline_kernelINS0_14default_configENS1_33run_length_encode_config_selectorIfjNS0_4plusIjEEEEZZNS1_33reduce_by_key_impl_wrapped_configILNS1_25lookback_scan_determinismE0ES3_S7_PKfNS0_17constant_iteratorIjlEEPfPlSF_S6_NS0_8equal_toIfEEEE10hipError_tPvRmT2_T3_mT4_T5_T6_T7_T8_P12ihipStream_tbENKUlT_T0_E_clISt17integral_constantIbLb1EESY_IbLb0EEEEDaSU_SV_EUlSU_E_NS1_11comp_targetILNS1_3genE3ELNS1_11target_archE908ELNS1_3gpuE7ELNS1_3repE0EEENS1_30default_config_static_selectorELNS0_4arch9wavefront6targetE0EEEvT1_,@function
_ZN7rocprim17ROCPRIM_400000_NS6detail17trampoline_kernelINS0_14default_configENS1_33run_length_encode_config_selectorIfjNS0_4plusIjEEEEZZNS1_33reduce_by_key_impl_wrapped_configILNS1_25lookback_scan_determinismE0ES3_S7_PKfNS0_17constant_iteratorIjlEEPfPlSF_S6_NS0_8equal_toIfEEEE10hipError_tPvRmT2_T3_mT4_T5_T6_T7_T8_P12ihipStream_tbENKUlT_T0_E_clISt17integral_constantIbLb1EESY_IbLb0EEEEDaSU_SV_EUlSU_E_NS1_11comp_targetILNS1_3genE3ELNS1_11target_archE908ELNS1_3gpuE7ELNS1_3repE0EEENS1_30default_config_static_selectorELNS0_4arch9wavefront6targetE0EEEvT1_: ; @_ZN7rocprim17ROCPRIM_400000_NS6detail17trampoline_kernelINS0_14default_configENS1_33run_length_encode_config_selectorIfjNS0_4plusIjEEEEZZNS1_33reduce_by_key_impl_wrapped_configILNS1_25lookback_scan_determinismE0ES3_S7_PKfNS0_17constant_iteratorIjlEEPfPlSF_S6_NS0_8equal_toIfEEEE10hipError_tPvRmT2_T3_mT4_T5_T6_T7_T8_P12ihipStream_tbENKUlT_T0_E_clISt17integral_constantIbLb1EESY_IbLb0EEEEDaSU_SV_EUlSU_E_NS1_11comp_targetILNS1_3genE3ELNS1_11target_archE908ELNS1_3gpuE7ELNS1_3repE0EEENS1_30default_config_static_selectorELNS0_4arch9wavefront6targetE0EEEvT1_
; %bb.0:
	.section	.rodata,"a",@progbits
	.p2align	6, 0x0
	.amdhsa_kernel _ZN7rocprim17ROCPRIM_400000_NS6detail17trampoline_kernelINS0_14default_configENS1_33run_length_encode_config_selectorIfjNS0_4plusIjEEEEZZNS1_33reduce_by_key_impl_wrapped_configILNS1_25lookback_scan_determinismE0ES3_S7_PKfNS0_17constant_iteratorIjlEEPfPlSF_S6_NS0_8equal_toIfEEEE10hipError_tPvRmT2_T3_mT4_T5_T6_T7_T8_P12ihipStream_tbENKUlT_T0_E_clISt17integral_constantIbLb1EESY_IbLb0EEEEDaSU_SV_EUlSU_E_NS1_11comp_targetILNS1_3genE3ELNS1_11target_archE908ELNS1_3gpuE7ELNS1_3repE0EEENS1_30default_config_static_selectorELNS0_4arch9wavefront6targetE0EEEvT1_
		.amdhsa_group_segment_fixed_size 0
		.amdhsa_private_segment_fixed_size 0
		.amdhsa_kernarg_size 128
		.amdhsa_user_sgpr_count 2
		.amdhsa_user_sgpr_dispatch_ptr 0
		.amdhsa_user_sgpr_queue_ptr 0
		.amdhsa_user_sgpr_kernarg_segment_ptr 1
		.amdhsa_user_sgpr_dispatch_id 0
		.amdhsa_user_sgpr_kernarg_preload_length 0
		.amdhsa_user_sgpr_kernarg_preload_offset 0
		.amdhsa_user_sgpr_private_segment_size 0
		.amdhsa_wavefront_size32 1
		.amdhsa_uses_dynamic_stack 0
		.amdhsa_enable_private_segment 0
		.amdhsa_system_sgpr_workgroup_id_x 1
		.amdhsa_system_sgpr_workgroup_id_y 0
		.amdhsa_system_sgpr_workgroup_id_z 0
		.amdhsa_system_sgpr_workgroup_info 0
		.amdhsa_system_vgpr_workitem_id 0
		.amdhsa_next_free_vgpr 1
		.amdhsa_next_free_sgpr 1
		.amdhsa_named_barrier_count 0
		.amdhsa_reserve_vcc 0
		.amdhsa_float_round_mode_32 0
		.amdhsa_float_round_mode_16_64 0
		.amdhsa_float_denorm_mode_32 3
		.amdhsa_float_denorm_mode_16_64 3
		.amdhsa_fp16_overflow 0
		.amdhsa_memory_ordered 1
		.amdhsa_forward_progress 1
		.amdhsa_inst_pref_size 0
		.amdhsa_round_robin_scheduling 0
		.amdhsa_exception_fp_ieee_invalid_op 0
		.amdhsa_exception_fp_denorm_src 0
		.amdhsa_exception_fp_ieee_div_zero 0
		.amdhsa_exception_fp_ieee_overflow 0
		.amdhsa_exception_fp_ieee_underflow 0
		.amdhsa_exception_fp_ieee_inexact 0
		.amdhsa_exception_int_div_zero 0
	.end_amdhsa_kernel
	.section	.text._ZN7rocprim17ROCPRIM_400000_NS6detail17trampoline_kernelINS0_14default_configENS1_33run_length_encode_config_selectorIfjNS0_4plusIjEEEEZZNS1_33reduce_by_key_impl_wrapped_configILNS1_25lookback_scan_determinismE0ES3_S7_PKfNS0_17constant_iteratorIjlEEPfPlSF_S6_NS0_8equal_toIfEEEE10hipError_tPvRmT2_T3_mT4_T5_T6_T7_T8_P12ihipStream_tbENKUlT_T0_E_clISt17integral_constantIbLb1EESY_IbLb0EEEEDaSU_SV_EUlSU_E_NS1_11comp_targetILNS1_3genE3ELNS1_11target_archE908ELNS1_3gpuE7ELNS1_3repE0EEENS1_30default_config_static_selectorELNS0_4arch9wavefront6targetE0EEEvT1_,"axG",@progbits,_ZN7rocprim17ROCPRIM_400000_NS6detail17trampoline_kernelINS0_14default_configENS1_33run_length_encode_config_selectorIfjNS0_4plusIjEEEEZZNS1_33reduce_by_key_impl_wrapped_configILNS1_25lookback_scan_determinismE0ES3_S7_PKfNS0_17constant_iteratorIjlEEPfPlSF_S6_NS0_8equal_toIfEEEE10hipError_tPvRmT2_T3_mT4_T5_T6_T7_T8_P12ihipStream_tbENKUlT_T0_E_clISt17integral_constantIbLb1EESY_IbLb0EEEEDaSU_SV_EUlSU_E_NS1_11comp_targetILNS1_3genE3ELNS1_11target_archE908ELNS1_3gpuE7ELNS1_3repE0EEENS1_30default_config_static_selectorELNS0_4arch9wavefront6targetE0EEEvT1_,comdat
.Lfunc_end394:
	.size	_ZN7rocprim17ROCPRIM_400000_NS6detail17trampoline_kernelINS0_14default_configENS1_33run_length_encode_config_selectorIfjNS0_4plusIjEEEEZZNS1_33reduce_by_key_impl_wrapped_configILNS1_25lookback_scan_determinismE0ES3_S7_PKfNS0_17constant_iteratorIjlEEPfPlSF_S6_NS0_8equal_toIfEEEE10hipError_tPvRmT2_T3_mT4_T5_T6_T7_T8_P12ihipStream_tbENKUlT_T0_E_clISt17integral_constantIbLb1EESY_IbLb0EEEEDaSU_SV_EUlSU_E_NS1_11comp_targetILNS1_3genE3ELNS1_11target_archE908ELNS1_3gpuE7ELNS1_3repE0EEENS1_30default_config_static_selectorELNS0_4arch9wavefront6targetE0EEEvT1_, .Lfunc_end394-_ZN7rocprim17ROCPRIM_400000_NS6detail17trampoline_kernelINS0_14default_configENS1_33run_length_encode_config_selectorIfjNS0_4plusIjEEEEZZNS1_33reduce_by_key_impl_wrapped_configILNS1_25lookback_scan_determinismE0ES3_S7_PKfNS0_17constant_iteratorIjlEEPfPlSF_S6_NS0_8equal_toIfEEEE10hipError_tPvRmT2_T3_mT4_T5_T6_T7_T8_P12ihipStream_tbENKUlT_T0_E_clISt17integral_constantIbLb1EESY_IbLb0EEEEDaSU_SV_EUlSU_E_NS1_11comp_targetILNS1_3genE3ELNS1_11target_archE908ELNS1_3gpuE7ELNS1_3repE0EEENS1_30default_config_static_selectorELNS0_4arch9wavefront6targetE0EEEvT1_
                                        ; -- End function
	.set _ZN7rocprim17ROCPRIM_400000_NS6detail17trampoline_kernelINS0_14default_configENS1_33run_length_encode_config_selectorIfjNS0_4plusIjEEEEZZNS1_33reduce_by_key_impl_wrapped_configILNS1_25lookback_scan_determinismE0ES3_S7_PKfNS0_17constant_iteratorIjlEEPfPlSF_S6_NS0_8equal_toIfEEEE10hipError_tPvRmT2_T3_mT4_T5_T6_T7_T8_P12ihipStream_tbENKUlT_T0_E_clISt17integral_constantIbLb1EESY_IbLb0EEEEDaSU_SV_EUlSU_E_NS1_11comp_targetILNS1_3genE3ELNS1_11target_archE908ELNS1_3gpuE7ELNS1_3repE0EEENS1_30default_config_static_selectorELNS0_4arch9wavefront6targetE0EEEvT1_.num_vgpr, 0
	.set _ZN7rocprim17ROCPRIM_400000_NS6detail17trampoline_kernelINS0_14default_configENS1_33run_length_encode_config_selectorIfjNS0_4plusIjEEEEZZNS1_33reduce_by_key_impl_wrapped_configILNS1_25lookback_scan_determinismE0ES3_S7_PKfNS0_17constant_iteratorIjlEEPfPlSF_S6_NS0_8equal_toIfEEEE10hipError_tPvRmT2_T3_mT4_T5_T6_T7_T8_P12ihipStream_tbENKUlT_T0_E_clISt17integral_constantIbLb1EESY_IbLb0EEEEDaSU_SV_EUlSU_E_NS1_11comp_targetILNS1_3genE3ELNS1_11target_archE908ELNS1_3gpuE7ELNS1_3repE0EEENS1_30default_config_static_selectorELNS0_4arch9wavefront6targetE0EEEvT1_.num_agpr, 0
	.set _ZN7rocprim17ROCPRIM_400000_NS6detail17trampoline_kernelINS0_14default_configENS1_33run_length_encode_config_selectorIfjNS0_4plusIjEEEEZZNS1_33reduce_by_key_impl_wrapped_configILNS1_25lookback_scan_determinismE0ES3_S7_PKfNS0_17constant_iteratorIjlEEPfPlSF_S6_NS0_8equal_toIfEEEE10hipError_tPvRmT2_T3_mT4_T5_T6_T7_T8_P12ihipStream_tbENKUlT_T0_E_clISt17integral_constantIbLb1EESY_IbLb0EEEEDaSU_SV_EUlSU_E_NS1_11comp_targetILNS1_3genE3ELNS1_11target_archE908ELNS1_3gpuE7ELNS1_3repE0EEENS1_30default_config_static_selectorELNS0_4arch9wavefront6targetE0EEEvT1_.numbered_sgpr, 0
	.set _ZN7rocprim17ROCPRIM_400000_NS6detail17trampoline_kernelINS0_14default_configENS1_33run_length_encode_config_selectorIfjNS0_4plusIjEEEEZZNS1_33reduce_by_key_impl_wrapped_configILNS1_25lookback_scan_determinismE0ES3_S7_PKfNS0_17constant_iteratorIjlEEPfPlSF_S6_NS0_8equal_toIfEEEE10hipError_tPvRmT2_T3_mT4_T5_T6_T7_T8_P12ihipStream_tbENKUlT_T0_E_clISt17integral_constantIbLb1EESY_IbLb0EEEEDaSU_SV_EUlSU_E_NS1_11comp_targetILNS1_3genE3ELNS1_11target_archE908ELNS1_3gpuE7ELNS1_3repE0EEENS1_30default_config_static_selectorELNS0_4arch9wavefront6targetE0EEEvT1_.num_named_barrier, 0
	.set _ZN7rocprim17ROCPRIM_400000_NS6detail17trampoline_kernelINS0_14default_configENS1_33run_length_encode_config_selectorIfjNS0_4plusIjEEEEZZNS1_33reduce_by_key_impl_wrapped_configILNS1_25lookback_scan_determinismE0ES3_S7_PKfNS0_17constant_iteratorIjlEEPfPlSF_S6_NS0_8equal_toIfEEEE10hipError_tPvRmT2_T3_mT4_T5_T6_T7_T8_P12ihipStream_tbENKUlT_T0_E_clISt17integral_constantIbLb1EESY_IbLb0EEEEDaSU_SV_EUlSU_E_NS1_11comp_targetILNS1_3genE3ELNS1_11target_archE908ELNS1_3gpuE7ELNS1_3repE0EEENS1_30default_config_static_selectorELNS0_4arch9wavefront6targetE0EEEvT1_.private_seg_size, 0
	.set _ZN7rocprim17ROCPRIM_400000_NS6detail17trampoline_kernelINS0_14default_configENS1_33run_length_encode_config_selectorIfjNS0_4plusIjEEEEZZNS1_33reduce_by_key_impl_wrapped_configILNS1_25lookback_scan_determinismE0ES3_S7_PKfNS0_17constant_iteratorIjlEEPfPlSF_S6_NS0_8equal_toIfEEEE10hipError_tPvRmT2_T3_mT4_T5_T6_T7_T8_P12ihipStream_tbENKUlT_T0_E_clISt17integral_constantIbLb1EESY_IbLb0EEEEDaSU_SV_EUlSU_E_NS1_11comp_targetILNS1_3genE3ELNS1_11target_archE908ELNS1_3gpuE7ELNS1_3repE0EEENS1_30default_config_static_selectorELNS0_4arch9wavefront6targetE0EEEvT1_.uses_vcc, 0
	.set _ZN7rocprim17ROCPRIM_400000_NS6detail17trampoline_kernelINS0_14default_configENS1_33run_length_encode_config_selectorIfjNS0_4plusIjEEEEZZNS1_33reduce_by_key_impl_wrapped_configILNS1_25lookback_scan_determinismE0ES3_S7_PKfNS0_17constant_iteratorIjlEEPfPlSF_S6_NS0_8equal_toIfEEEE10hipError_tPvRmT2_T3_mT4_T5_T6_T7_T8_P12ihipStream_tbENKUlT_T0_E_clISt17integral_constantIbLb1EESY_IbLb0EEEEDaSU_SV_EUlSU_E_NS1_11comp_targetILNS1_3genE3ELNS1_11target_archE908ELNS1_3gpuE7ELNS1_3repE0EEENS1_30default_config_static_selectorELNS0_4arch9wavefront6targetE0EEEvT1_.uses_flat_scratch, 0
	.set _ZN7rocprim17ROCPRIM_400000_NS6detail17trampoline_kernelINS0_14default_configENS1_33run_length_encode_config_selectorIfjNS0_4plusIjEEEEZZNS1_33reduce_by_key_impl_wrapped_configILNS1_25lookback_scan_determinismE0ES3_S7_PKfNS0_17constant_iteratorIjlEEPfPlSF_S6_NS0_8equal_toIfEEEE10hipError_tPvRmT2_T3_mT4_T5_T6_T7_T8_P12ihipStream_tbENKUlT_T0_E_clISt17integral_constantIbLb1EESY_IbLb0EEEEDaSU_SV_EUlSU_E_NS1_11comp_targetILNS1_3genE3ELNS1_11target_archE908ELNS1_3gpuE7ELNS1_3repE0EEENS1_30default_config_static_selectorELNS0_4arch9wavefront6targetE0EEEvT1_.has_dyn_sized_stack, 0
	.set _ZN7rocprim17ROCPRIM_400000_NS6detail17trampoline_kernelINS0_14default_configENS1_33run_length_encode_config_selectorIfjNS0_4plusIjEEEEZZNS1_33reduce_by_key_impl_wrapped_configILNS1_25lookback_scan_determinismE0ES3_S7_PKfNS0_17constant_iteratorIjlEEPfPlSF_S6_NS0_8equal_toIfEEEE10hipError_tPvRmT2_T3_mT4_T5_T6_T7_T8_P12ihipStream_tbENKUlT_T0_E_clISt17integral_constantIbLb1EESY_IbLb0EEEEDaSU_SV_EUlSU_E_NS1_11comp_targetILNS1_3genE3ELNS1_11target_archE908ELNS1_3gpuE7ELNS1_3repE0EEENS1_30default_config_static_selectorELNS0_4arch9wavefront6targetE0EEEvT1_.has_recursion, 0
	.set _ZN7rocprim17ROCPRIM_400000_NS6detail17trampoline_kernelINS0_14default_configENS1_33run_length_encode_config_selectorIfjNS0_4plusIjEEEEZZNS1_33reduce_by_key_impl_wrapped_configILNS1_25lookback_scan_determinismE0ES3_S7_PKfNS0_17constant_iteratorIjlEEPfPlSF_S6_NS0_8equal_toIfEEEE10hipError_tPvRmT2_T3_mT4_T5_T6_T7_T8_P12ihipStream_tbENKUlT_T0_E_clISt17integral_constantIbLb1EESY_IbLb0EEEEDaSU_SV_EUlSU_E_NS1_11comp_targetILNS1_3genE3ELNS1_11target_archE908ELNS1_3gpuE7ELNS1_3repE0EEENS1_30default_config_static_selectorELNS0_4arch9wavefront6targetE0EEEvT1_.has_indirect_call, 0
	.section	.AMDGPU.csdata,"",@progbits
; Kernel info:
; codeLenInByte = 0
; TotalNumSgprs: 0
; NumVgprs: 0
; ScratchSize: 0
; MemoryBound: 0
; FloatMode: 240
; IeeeMode: 1
; LDSByteSize: 0 bytes/workgroup (compile time only)
; SGPRBlocks: 0
; VGPRBlocks: 0
; NumSGPRsForWavesPerEU: 1
; NumVGPRsForWavesPerEU: 1
; NamedBarCnt: 0
; Occupancy: 16
; WaveLimiterHint : 0
; COMPUTE_PGM_RSRC2:SCRATCH_EN: 0
; COMPUTE_PGM_RSRC2:USER_SGPR: 2
; COMPUTE_PGM_RSRC2:TRAP_HANDLER: 0
; COMPUTE_PGM_RSRC2:TGID_X_EN: 1
; COMPUTE_PGM_RSRC2:TGID_Y_EN: 0
; COMPUTE_PGM_RSRC2:TGID_Z_EN: 0
; COMPUTE_PGM_RSRC2:TIDIG_COMP_CNT: 0
	.section	.text._ZN7rocprim17ROCPRIM_400000_NS6detail17trampoline_kernelINS0_14default_configENS1_33run_length_encode_config_selectorIfjNS0_4plusIjEEEEZZNS1_33reduce_by_key_impl_wrapped_configILNS1_25lookback_scan_determinismE0ES3_S7_PKfNS0_17constant_iteratorIjlEEPfPlSF_S6_NS0_8equal_toIfEEEE10hipError_tPvRmT2_T3_mT4_T5_T6_T7_T8_P12ihipStream_tbENKUlT_T0_E_clISt17integral_constantIbLb1EESY_IbLb0EEEEDaSU_SV_EUlSU_E_NS1_11comp_targetILNS1_3genE2ELNS1_11target_archE906ELNS1_3gpuE6ELNS1_3repE0EEENS1_30default_config_static_selectorELNS0_4arch9wavefront6targetE0EEEvT1_,"axG",@progbits,_ZN7rocprim17ROCPRIM_400000_NS6detail17trampoline_kernelINS0_14default_configENS1_33run_length_encode_config_selectorIfjNS0_4plusIjEEEEZZNS1_33reduce_by_key_impl_wrapped_configILNS1_25lookback_scan_determinismE0ES3_S7_PKfNS0_17constant_iteratorIjlEEPfPlSF_S6_NS0_8equal_toIfEEEE10hipError_tPvRmT2_T3_mT4_T5_T6_T7_T8_P12ihipStream_tbENKUlT_T0_E_clISt17integral_constantIbLb1EESY_IbLb0EEEEDaSU_SV_EUlSU_E_NS1_11comp_targetILNS1_3genE2ELNS1_11target_archE906ELNS1_3gpuE6ELNS1_3repE0EEENS1_30default_config_static_selectorELNS0_4arch9wavefront6targetE0EEEvT1_,comdat
	.protected	_ZN7rocprim17ROCPRIM_400000_NS6detail17trampoline_kernelINS0_14default_configENS1_33run_length_encode_config_selectorIfjNS0_4plusIjEEEEZZNS1_33reduce_by_key_impl_wrapped_configILNS1_25lookback_scan_determinismE0ES3_S7_PKfNS0_17constant_iteratorIjlEEPfPlSF_S6_NS0_8equal_toIfEEEE10hipError_tPvRmT2_T3_mT4_T5_T6_T7_T8_P12ihipStream_tbENKUlT_T0_E_clISt17integral_constantIbLb1EESY_IbLb0EEEEDaSU_SV_EUlSU_E_NS1_11comp_targetILNS1_3genE2ELNS1_11target_archE906ELNS1_3gpuE6ELNS1_3repE0EEENS1_30default_config_static_selectorELNS0_4arch9wavefront6targetE0EEEvT1_ ; -- Begin function _ZN7rocprim17ROCPRIM_400000_NS6detail17trampoline_kernelINS0_14default_configENS1_33run_length_encode_config_selectorIfjNS0_4plusIjEEEEZZNS1_33reduce_by_key_impl_wrapped_configILNS1_25lookback_scan_determinismE0ES3_S7_PKfNS0_17constant_iteratorIjlEEPfPlSF_S6_NS0_8equal_toIfEEEE10hipError_tPvRmT2_T3_mT4_T5_T6_T7_T8_P12ihipStream_tbENKUlT_T0_E_clISt17integral_constantIbLb1EESY_IbLb0EEEEDaSU_SV_EUlSU_E_NS1_11comp_targetILNS1_3genE2ELNS1_11target_archE906ELNS1_3gpuE6ELNS1_3repE0EEENS1_30default_config_static_selectorELNS0_4arch9wavefront6targetE0EEEvT1_
	.globl	_ZN7rocprim17ROCPRIM_400000_NS6detail17trampoline_kernelINS0_14default_configENS1_33run_length_encode_config_selectorIfjNS0_4plusIjEEEEZZNS1_33reduce_by_key_impl_wrapped_configILNS1_25lookback_scan_determinismE0ES3_S7_PKfNS0_17constant_iteratorIjlEEPfPlSF_S6_NS0_8equal_toIfEEEE10hipError_tPvRmT2_T3_mT4_T5_T6_T7_T8_P12ihipStream_tbENKUlT_T0_E_clISt17integral_constantIbLb1EESY_IbLb0EEEEDaSU_SV_EUlSU_E_NS1_11comp_targetILNS1_3genE2ELNS1_11target_archE906ELNS1_3gpuE6ELNS1_3repE0EEENS1_30default_config_static_selectorELNS0_4arch9wavefront6targetE0EEEvT1_
	.p2align	8
	.type	_ZN7rocprim17ROCPRIM_400000_NS6detail17trampoline_kernelINS0_14default_configENS1_33run_length_encode_config_selectorIfjNS0_4plusIjEEEEZZNS1_33reduce_by_key_impl_wrapped_configILNS1_25lookback_scan_determinismE0ES3_S7_PKfNS0_17constant_iteratorIjlEEPfPlSF_S6_NS0_8equal_toIfEEEE10hipError_tPvRmT2_T3_mT4_T5_T6_T7_T8_P12ihipStream_tbENKUlT_T0_E_clISt17integral_constantIbLb1EESY_IbLb0EEEEDaSU_SV_EUlSU_E_NS1_11comp_targetILNS1_3genE2ELNS1_11target_archE906ELNS1_3gpuE6ELNS1_3repE0EEENS1_30default_config_static_selectorELNS0_4arch9wavefront6targetE0EEEvT1_,@function
_ZN7rocprim17ROCPRIM_400000_NS6detail17trampoline_kernelINS0_14default_configENS1_33run_length_encode_config_selectorIfjNS0_4plusIjEEEEZZNS1_33reduce_by_key_impl_wrapped_configILNS1_25lookback_scan_determinismE0ES3_S7_PKfNS0_17constant_iteratorIjlEEPfPlSF_S6_NS0_8equal_toIfEEEE10hipError_tPvRmT2_T3_mT4_T5_T6_T7_T8_P12ihipStream_tbENKUlT_T0_E_clISt17integral_constantIbLb1EESY_IbLb0EEEEDaSU_SV_EUlSU_E_NS1_11comp_targetILNS1_3genE2ELNS1_11target_archE906ELNS1_3gpuE6ELNS1_3repE0EEENS1_30default_config_static_selectorELNS0_4arch9wavefront6targetE0EEEvT1_: ; @_ZN7rocprim17ROCPRIM_400000_NS6detail17trampoline_kernelINS0_14default_configENS1_33run_length_encode_config_selectorIfjNS0_4plusIjEEEEZZNS1_33reduce_by_key_impl_wrapped_configILNS1_25lookback_scan_determinismE0ES3_S7_PKfNS0_17constant_iteratorIjlEEPfPlSF_S6_NS0_8equal_toIfEEEE10hipError_tPvRmT2_T3_mT4_T5_T6_T7_T8_P12ihipStream_tbENKUlT_T0_E_clISt17integral_constantIbLb1EESY_IbLb0EEEEDaSU_SV_EUlSU_E_NS1_11comp_targetILNS1_3genE2ELNS1_11target_archE906ELNS1_3gpuE6ELNS1_3repE0EEENS1_30default_config_static_selectorELNS0_4arch9wavefront6targetE0EEEvT1_
; %bb.0:
	.section	.rodata,"a",@progbits
	.p2align	6, 0x0
	.amdhsa_kernel _ZN7rocprim17ROCPRIM_400000_NS6detail17trampoline_kernelINS0_14default_configENS1_33run_length_encode_config_selectorIfjNS0_4plusIjEEEEZZNS1_33reduce_by_key_impl_wrapped_configILNS1_25lookback_scan_determinismE0ES3_S7_PKfNS0_17constant_iteratorIjlEEPfPlSF_S6_NS0_8equal_toIfEEEE10hipError_tPvRmT2_T3_mT4_T5_T6_T7_T8_P12ihipStream_tbENKUlT_T0_E_clISt17integral_constantIbLb1EESY_IbLb0EEEEDaSU_SV_EUlSU_E_NS1_11comp_targetILNS1_3genE2ELNS1_11target_archE906ELNS1_3gpuE6ELNS1_3repE0EEENS1_30default_config_static_selectorELNS0_4arch9wavefront6targetE0EEEvT1_
		.amdhsa_group_segment_fixed_size 0
		.amdhsa_private_segment_fixed_size 0
		.amdhsa_kernarg_size 128
		.amdhsa_user_sgpr_count 2
		.amdhsa_user_sgpr_dispatch_ptr 0
		.amdhsa_user_sgpr_queue_ptr 0
		.amdhsa_user_sgpr_kernarg_segment_ptr 1
		.amdhsa_user_sgpr_dispatch_id 0
		.amdhsa_user_sgpr_kernarg_preload_length 0
		.amdhsa_user_sgpr_kernarg_preload_offset 0
		.amdhsa_user_sgpr_private_segment_size 0
		.amdhsa_wavefront_size32 1
		.amdhsa_uses_dynamic_stack 0
		.amdhsa_enable_private_segment 0
		.amdhsa_system_sgpr_workgroup_id_x 1
		.amdhsa_system_sgpr_workgroup_id_y 0
		.amdhsa_system_sgpr_workgroup_id_z 0
		.amdhsa_system_sgpr_workgroup_info 0
		.amdhsa_system_vgpr_workitem_id 0
		.amdhsa_next_free_vgpr 1
		.amdhsa_next_free_sgpr 1
		.amdhsa_named_barrier_count 0
		.amdhsa_reserve_vcc 0
		.amdhsa_float_round_mode_32 0
		.amdhsa_float_round_mode_16_64 0
		.amdhsa_float_denorm_mode_32 3
		.amdhsa_float_denorm_mode_16_64 3
		.amdhsa_fp16_overflow 0
		.amdhsa_memory_ordered 1
		.amdhsa_forward_progress 1
		.amdhsa_inst_pref_size 0
		.amdhsa_round_robin_scheduling 0
		.amdhsa_exception_fp_ieee_invalid_op 0
		.amdhsa_exception_fp_denorm_src 0
		.amdhsa_exception_fp_ieee_div_zero 0
		.amdhsa_exception_fp_ieee_overflow 0
		.amdhsa_exception_fp_ieee_underflow 0
		.amdhsa_exception_fp_ieee_inexact 0
		.amdhsa_exception_int_div_zero 0
	.end_amdhsa_kernel
	.section	.text._ZN7rocprim17ROCPRIM_400000_NS6detail17trampoline_kernelINS0_14default_configENS1_33run_length_encode_config_selectorIfjNS0_4plusIjEEEEZZNS1_33reduce_by_key_impl_wrapped_configILNS1_25lookback_scan_determinismE0ES3_S7_PKfNS0_17constant_iteratorIjlEEPfPlSF_S6_NS0_8equal_toIfEEEE10hipError_tPvRmT2_T3_mT4_T5_T6_T7_T8_P12ihipStream_tbENKUlT_T0_E_clISt17integral_constantIbLb1EESY_IbLb0EEEEDaSU_SV_EUlSU_E_NS1_11comp_targetILNS1_3genE2ELNS1_11target_archE906ELNS1_3gpuE6ELNS1_3repE0EEENS1_30default_config_static_selectorELNS0_4arch9wavefront6targetE0EEEvT1_,"axG",@progbits,_ZN7rocprim17ROCPRIM_400000_NS6detail17trampoline_kernelINS0_14default_configENS1_33run_length_encode_config_selectorIfjNS0_4plusIjEEEEZZNS1_33reduce_by_key_impl_wrapped_configILNS1_25lookback_scan_determinismE0ES3_S7_PKfNS0_17constant_iteratorIjlEEPfPlSF_S6_NS0_8equal_toIfEEEE10hipError_tPvRmT2_T3_mT4_T5_T6_T7_T8_P12ihipStream_tbENKUlT_T0_E_clISt17integral_constantIbLb1EESY_IbLb0EEEEDaSU_SV_EUlSU_E_NS1_11comp_targetILNS1_3genE2ELNS1_11target_archE906ELNS1_3gpuE6ELNS1_3repE0EEENS1_30default_config_static_selectorELNS0_4arch9wavefront6targetE0EEEvT1_,comdat
.Lfunc_end395:
	.size	_ZN7rocprim17ROCPRIM_400000_NS6detail17trampoline_kernelINS0_14default_configENS1_33run_length_encode_config_selectorIfjNS0_4plusIjEEEEZZNS1_33reduce_by_key_impl_wrapped_configILNS1_25lookback_scan_determinismE0ES3_S7_PKfNS0_17constant_iteratorIjlEEPfPlSF_S6_NS0_8equal_toIfEEEE10hipError_tPvRmT2_T3_mT4_T5_T6_T7_T8_P12ihipStream_tbENKUlT_T0_E_clISt17integral_constantIbLb1EESY_IbLb0EEEEDaSU_SV_EUlSU_E_NS1_11comp_targetILNS1_3genE2ELNS1_11target_archE906ELNS1_3gpuE6ELNS1_3repE0EEENS1_30default_config_static_selectorELNS0_4arch9wavefront6targetE0EEEvT1_, .Lfunc_end395-_ZN7rocprim17ROCPRIM_400000_NS6detail17trampoline_kernelINS0_14default_configENS1_33run_length_encode_config_selectorIfjNS0_4plusIjEEEEZZNS1_33reduce_by_key_impl_wrapped_configILNS1_25lookback_scan_determinismE0ES3_S7_PKfNS0_17constant_iteratorIjlEEPfPlSF_S6_NS0_8equal_toIfEEEE10hipError_tPvRmT2_T3_mT4_T5_T6_T7_T8_P12ihipStream_tbENKUlT_T0_E_clISt17integral_constantIbLb1EESY_IbLb0EEEEDaSU_SV_EUlSU_E_NS1_11comp_targetILNS1_3genE2ELNS1_11target_archE906ELNS1_3gpuE6ELNS1_3repE0EEENS1_30default_config_static_selectorELNS0_4arch9wavefront6targetE0EEEvT1_
                                        ; -- End function
	.set _ZN7rocprim17ROCPRIM_400000_NS6detail17trampoline_kernelINS0_14default_configENS1_33run_length_encode_config_selectorIfjNS0_4plusIjEEEEZZNS1_33reduce_by_key_impl_wrapped_configILNS1_25lookback_scan_determinismE0ES3_S7_PKfNS0_17constant_iteratorIjlEEPfPlSF_S6_NS0_8equal_toIfEEEE10hipError_tPvRmT2_T3_mT4_T5_T6_T7_T8_P12ihipStream_tbENKUlT_T0_E_clISt17integral_constantIbLb1EESY_IbLb0EEEEDaSU_SV_EUlSU_E_NS1_11comp_targetILNS1_3genE2ELNS1_11target_archE906ELNS1_3gpuE6ELNS1_3repE0EEENS1_30default_config_static_selectorELNS0_4arch9wavefront6targetE0EEEvT1_.num_vgpr, 0
	.set _ZN7rocprim17ROCPRIM_400000_NS6detail17trampoline_kernelINS0_14default_configENS1_33run_length_encode_config_selectorIfjNS0_4plusIjEEEEZZNS1_33reduce_by_key_impl_wrapped_configILNS1_25lookback_scan_determinismE0ES3_S7_PKfNS0_17constant_iteratorIjlEEPfPlSF_S6_NS0_8equal_toIfEEEE10hipError_tPvRmT2_T3_mT4_T5_T6_T7_T8_P12ihipStream_tbENKUlT_T0_E_clISt17integral_constantIbLb1EESY_IbLb0EEEEDaSU_SV_EUlSU_E_NS1_11comp_targetILNS1_3genE2ELNS1_11target_archE906ELNS1_3gpuE6ELNS1_3repE0EEENS1_30default_config_static_selectorELNS0_4arch9wavefront6targetE0EEEvT1_.num_agpr, 0
	.set _ZN7rocprim17ROCPRIM_400000_NS6detail17trampoline_kernelINS0_14default_configENS1_33run_length_encode_config_selectorIfjNS0_4plusIjEEEEZZNS1_33reduce_by_key_impl_wrapped_configILNS1_25lookback_scan_determinismE0ES3_S7_PKfNS0_17constant_iteratorIjlEEPfPlSF_S6_NS0_8equal_toIfEEEE10hipError_tPvRmT2_T3_mT4_T5_T6_T7_T8_P12ihipStream_tbENKUlT_T0_E_clISt17integral_constantIbLb1EESY_IbLb0EEEEDaSU_SV_EUlSU_E_NS1_11comp_targetILNS1_3genE2ELNS1_11target_archE906ELNS1_3gpuE6ELNS1_3repE0EEENS1_30default_config_static_selectorELNS0_4arch9wavefront6targetE0EEEvT1_.numbered_sgpr, 0
	.set _ZN7rocprim17ROCPRIM_400000_NS6detail17trampoline_kernelINS0_14default_configENS1_33run_length_encode_config_selectorIfjNS0_4plusIjEEEEZZNS1_33reduce_by_key_impl_wrapped_configILNS1_25lookback_scan_determinismE0ES3_S7_PKfNS0_17constant_iteratorIjlEEPfPlSF_S6_NS0_8equal_toIfEEEE10hipError_tPvRmT2_T3_mT4_T5_T6_T7_T8_P12ihipStream_tbENKUlT_T0_E_clISt17integral_constantIbLb1EESY_IbLb0EEEEDaSU_SV_EUlSU_E_NS1_11comp_targetILNS1_3genE2ELNS1_11target_archE906ELNS1_3gpuE6ELNS1_3repE0EEENS1_30default_config_static_selectorELNS0_4arch9wavefront6targetE0EEEvT1_.num_named_barrier, 0
	.set _ZN7rocprim17ROCPRIM_400000_NS6detail17trampoline_kernelINS0_14default_configENS1_33run_length_encode_config_selectorIfjNS0_4plusIjEEEEZZNS1_33reduce_by_key_impl_wrapped_configILNS1_25lookback_scan_determinismE0ES3_S7_PKfNS0_17constant_iteratorIjlEEPfPlSF_S6_NS0_8equal_toIfEEEE10hipError_tPvRmT2_T3_mT4_T5_T6_T7_T8_P12ihipStream_tbENKUlT_T0_E_clISt17integral_constantIbLb1EESY_IbLb0EEEEDaSU_SV_EUlSU_E_NS1_11comp_targetILNS1_3genE2ELNS1_11target_archE906ELNS1_3gpuE6ELNS1_3repE0EEENS1_30default_config_static_selectorELNS0_4arch9wavefront6targetE0EEEvT1_.private_seg_size, 0
	.set _ZN7rocprim17ROCPRIM_400000_NS6detail17trampoline_kernelINS0_14default_configENS1_33run_length_encode_config_selectorIfjNS0_4plusIjEEEEZZNS1_33reduce_by_key_impl_wrapped_configILNS1_25lookback_scan_determinismE0ES3_S7_PKfNS0_17constant_iteratorIjlEEPfPlSF_S6_NS0_8equal_toIfEEEE10hipError_tPvRmT2_T3_mT4_T5_T6_T7_T8_P12ihipStream_tbENKUlT_T0_E_clISt17integral_constantIbLb1EESY_IbLb0EEEEDaSU_SV_EUlSU_E_NS1_11comp_targetILNS1_3genE2ELNS1_11target_archE906ELNS1_3gpuE6ELNS1_3repE0EEENS1_30default_config_static_selectorELNS0_4arch9wavefront6targetE0EEEvT1_.uses_vcc, 0
	.set _ZN7rocprim17ROCPRIM_400000_NS6detail17trampoline_kernelINS0_14default_configENS1_33run_length_encode_config_selectorIfjNS0_4plusIjEEEEZZNS1_33reduce_by_key_impl_wrapped_configILNS1_25lookback_scan_determinismE0ES3_S7_PKfNS0_17constant_iteratorIjlEEPfPlSF_S6_NS0_8equal_toIfEEEE10hipError_tPvRmT2_T3_mT4_T5_T6_T7_T8_P12ihipStream_tbENKUlT_T0_E_clISt17integral_constantIbLb1EESY_IbLb0EEEEDaSU_SV_EUlSU_E_NS1_11comp_targetILNS1_3genE2ELNS1_11target_archE906ELNS1_3gpuE6ELNS1_3repE0EEENS1_30default_config_static_selectorELNS0_4arch9wavefront6targetE0EEEvT1_.uses_flat_scratch, 0
	.set _ZN7rocprim17ROCPRIM_400000_NS6detail17trampoline_kernelINS0_14default_configENS1_33run_length_encode_config_selectorIfjNS0_4plusIjEEEEZZNS1_33reduce_by_key_impl_wrapped_configILNS1_25lookback_scan_determinismE0ES3_S7_PKfNS0_17constant_iteratorIjlEEPfPlSF_S6_NS0_8equal_toIfEEEE10hipError_tPvRmT2_T3_mT4_T5_T6_T7_T8_P12ihipStream_tbENKUlT_T0_E_clISt17integral_constantIbLb1EESY_IbLb0EEEEDaSU_SV_EUlSU_E_NS1_11comp_targetILNS1_3genE2ELNS1_11target_archE906ELNS1_3gpuE6ELNS1_3repE0EEENS1_30default_config_static_selectorELNS0_4arch9wavefront6targetE0EEEvT1_.has_dyn_sized_stack, 0
	.set _ZN7rocprim17ROCPRIM_400000_NS6detail17trampoline_kernelINS0_14default_configENS1_33run_length_encode_config_selectorIfjNS0_4plusIjEEEEZZNS1_33reduce_by_key_impl_wrapped_configILNS1_25lookback_scan_determinismE0ES3_S7_PKfNS0_17constant_iteratorIjlEEPfPlSF_S6_NS0_8equal_toIfEEEE10hipError_tPvRmT2_T3_mT4_T5_T6_T7_T8_P12ihipStream_tbENKUlT_T0_E_clISt17integral_constantIbLb1EESY_IbLb0EEEEDaSU_SV_EUlSU_E_NS1_11comp_targetILNS1_3genE2ELNS1_11target_archE906ELNS1_3gpuE6ELNS1_3repE0EEENS1_30default_config_static_selectorELNS0_4arch9wavefront6targetE0EEEvT1_.has_recursion, 0
	.set _ZN7rocprim17ROCPRIM_400000_NS6detail17trampoline_kernelINS0_14default_configENS1_33run_length_encode_config_selectorIfjNS0_4plusIjEEEEZZNS1_33reduce_by_key_impl_wrapped_configILNS1_25lookback_scan_determinismE0ES3_S7_PKfNS0_17constant_iteratorIjlEEPfPlSF_S6_NS0_8equal_toIfEEEE10hipError_tPvRmT2_T3_mT4_T5_T6_T7_T8_P12ihipStream_tbENKUlT_T0_E_clISt17integral_constantIbLb1EESY_IbLb0EEEEDaSU_SV_EUlSU_E_NS1_11comp_targetILNS1_3genE2ELNS1_11target_archE906ELNS1_3gpuE6ELNS1_3repE0EEENS1_30default_config_static_selectorELNS0_4arch9wavefront6targetE0EEEvT1_.has_indirect_call, 0
	.section	.AMDGPU.csdata,"",@progbits
; Kernel info:
; codeLenInByte = 0
; TotalNumSgprs: 0
; NumVgprs: 0
; ScratchSize: 0
; MemoryBound: 0
; FloatMode: 240
; IeeeMode: 1
; LDSByteSize: 0 bytes/workgroup (compile time only)
; SGPRBlocks: 0
; VGPRBlocks: 0
; NumSGPRsForWavesPerEU: 1
; NumVGPRsForWavesPerEU: 1
; NamedBarCnt: 0
; Occupancy: 16
; WaveLimiterHint : 0
; COMPUTE_PGM_RSRC2:SCRATCH_EN: 0
; COMPUTE_PGM_RSRC2:USER_SGPR: 2
; COMPUTE_PGM_RSRC2:TRAP_HANDLER: 0
; COMPUTE_PGM_RSRC2:TGID_X_EN: 1
; COMPUTE_PGM_RSRC2:TGID_Y_EN: 0
; COMPUTE_PGM_RSRC2:TGID_Z_EN: 0
; COMPUTE_PGM_RSRC2:TIDIG_COMP_CNT: 0
	.section	.text._ZN7rocprim17ROCPRIM_400000_NS6detail17trampoline_kernelINS0_14default_configENS1_33run_length_encode_config_selectorIfjNS0_4plusIjEEEEZZNS1_33reduce_by_key_impl_wrapped_configILNS1_25lookback_scan_determinismE0ES3_S7_PKfNS0_17constant_iteratorIjlEEPfPlSF_S6_NS0_8equal_toIfEEEE10hipError_tPvRmT2_T3_mT4_T5_T6_T7_T8_P12ihipStream_tbENKUlT_T0_E_clISt17integral_constantIbLb1EESY_IbLb0EEEEDaSU_SV_EUlSU_E_NS1_11comp_targetILNS1_3genE10ELNS1_11target_archE1201ELNS1_3gpuE5ELNS1_3repE0EEENS1_30default_config_static_selectorELNS0_4arch9wavefront6targetE0EEEvT1_,"axG",@progbits,_ZN7rocprim17ROCPRIM_400000_NS6detail17trampoline_kernelINS0_14default_configENS1_33run_length_encode_config_selectorIfjNS0_4plusIjEEEEZZNS1_33reduce_by_key_impl_wrapped_configILNS1_25lookback_scan_determinismE0ES3_S7_PKfNS0_17constant_iteratorIjlEEPfPlSF_S6_NS0_8equal_toIfEEEE10hipError_tPvRmT2_T3_mT4_T5_T6_T7_T8_P12ihipStream_tbENKUlT_T0_E_clISt17integral_constantIbLb1EESY_IbLb0EEEEDaSU_SV_EUlSU_E_NS1_11comp_targetILNS1_3genE10ELNS1_11target_archE1201ELNS1_3gpuE5ELNS1_3repE0EEENS1_30default_config_static_selectorELNS0_4arch9wavefront6targetE0EEEvT1_,comdat
	.protected	_ZN7rocprim17ROCPRIM_400000_NS6detail17trampoline_kernelINS0_14default_configENS1_33run_length_encode_config_selectorIfjNS0_4plusIjEEEEZZNS1_33reduce_by_key_impl_wrapped_configILNS1_25lookback_scan_determinismE0ES3_S7_PKfNS0_17constant_iteratorIjlEEPfPlSF_S6_NS0_8equal_toIfEEEE10hipError_tPvRmT2_T3_mT4_T5_T6_T7_T8_P12ihipStream_tbENKUlT_T0_E_clISt17integral_constantIbLb1EESY_IbLb0EEEEDaSU_SV_EUlSU_E_NS1_11comp_targetILNS1_3genE10ELNS1_11target_archE1201ELNS1_3gpuE5ELNS1_3repE0EEENS1_30default_config_static_selectorELNS0_4arch9wavefront6targetE0EEEvT1_ ; -- Begin function _ZN7rocprim17ROCPRIM_400000_NS6detail17trampoline_kernelINS0_14default_configENS1_33run_length_encode_config_selectorIfjNS0_4plusIjEEEEZZNS1_33reduce_by_key_impl_wrapped_configILNS1_25lookback_scan_determinismE0ES3_S7_PKfNS0_17constant_iteratorIjlEEPfPlSF_S6_NS0_8equal_toIfEEEE10hipError_tPvRmT2_T3_mT4_T5_T6_T7_T8_P12ihipStream_tbENKUlT_T0_E_clISt17integral_constantIbLb1EESY_IbLb0EEEEDaSU_SV_EUlSU_E_NS1_11comp_targetILNS1_3genE10ELNS1_11target_archE1201ELNS1_3gpuE5ELNS1_3repE0EEENS1_30default_config_static_selectorELNS0_4arch9wavefront6targetE0EEEvT1_
	.globl	_ZN7rocprim17ROCPRIM_400000_NS6detail17trampoline_kernelINS0_14default_configENS1_33run_length_encode_config_selectorIfjNS0_4plusIjEEEEZZNS1_33reduce_by_key_impl_wrapped_configILNS1_25lookback_scan_determinismE0ES3_S7_PKfNS0_17constant_iteratorIjlEEPfPlSF_S6_NS0_8equal_toIfEEEE10hipError_tPvRmT2_T3_mT4_T5_T6_T7_T8_P12ihipStream_tbENKUlT_T0_E_clISt17integral_constantIbLb1EESY_IbLb0EEEEDaSU_SV_EUlSU_E_NS1_11comp_targetILNS1_3genE10ELNS1_11target_archE1201ELNS1_3gpuE5ELNS1_3repE0EEENS1_30default_config_static_selectorELNS0_4arch9wavefront6targetE0EEEvT1_
	.p2align	8
	.type	_ZN7rocprim17ROCPRIM_400000_NS6detail17trampoline_kernelINS0_14default_configENS1_33run_length_encode_config_selectorIfjNS0_4plusIjEEEEZZNS1_33reduce_by_key_impl_wrapped_configILNS1_25lookback_scan_determinismE0ES3_S7_PKfNS0_17constant_iteratorIjlEEPfPlSF_S6_NS0_8equal_toIfEEEE10hipError_tPvRmT2_T3_mT4_T5_T6_T7_T8_P12ihipStream_tbENKUlT_T0_E_clISt17integral_constantIbLb1EESY_IbLb0EEEEDaSU_SV_EUlSU_E_NS1_11comp_targetILNS1_3genE10ELNS1_11target_archE1201ELNS1_3gpuE5ELNS1_3repE0EEENS1_30default_config_static_selectorELNS0_4arch9wavefront6targetE0EEEvT1_,@function
_ZN7rocprim17ROCPRIM_400000_NS6detail17trampoline_kernelINS0_14default_configENS1_33run_length_encode_config_selectorIfjNS0_4plusIjEEEEZZNS1_33reduce_by_key_impl_wrapped_configILNS1_25lookback_scan_determinismE0ES3_S7_PKfNS0_17constant_iteratorIjlEEPfPlSF_S6_NS0_8equal_toIfEEEE10hipError_tPvRmT2_T3_mT4_T5_T6_T7_T8_P12ihipStream_tbENKUlT_T0_E_clISt17integral_constantIbLb1EESY_IbLb0EEEEDaSU_SV_EUlSU_E_NS1_11comp_targetILNS1_3genE10ELNS1_11target_archE1201ELNS1_3gpuE5ELNS1_3repE0EEENS1_30default_config_static_selectorELNS0_4arch9wavefront6targetE0EEEvT1_: ; @_ZN7rocprim17ROCPRIM_400000_NS6detail17trampoline_kernelINS0_14default_configENS1_33run_length_encode_config_selectorIfjNS0_4plusIjEEEEZZNS1_33reduce_by_key_impl_wrapped_configILNS1_25lookback_scan_determinismE0ES3_S7_PKfNS0_17constant_iteratorIjlEEPfPlSF_S6_NS0_8equal_toIfEEEE10hipError_tPvRmT2_T3_mT4_T5_T6_T7_T8_P12ihipStream_tbENKUlT_T0_E_clISt17integral_constantIbLb1EESY_IbLb0EEEEDaSU_SV_EUlSU_E_NS1_11comp_targetILNS1_3genE10ELNS1_11target_archE1201ELNS1_3gpuE5ELNS1_3repE0EEENS1_30default_config_static_selectorELNS0_4arch9wavefront6targetE0EEEvT1_
; %bb.0:
	.section	.rodata,"a",@progbits
	.p2align	6, 0x0
	.amdhsa_kernel _ZN7rocprim17ROCPRIM_400000_NS6detail17trampoline_kernelINS0_14default_configENS1_33run_length_encode_config_selectorIfjNS0_4plusIjEEEEZZNS1_33reduce_by_key_impl_wrapped_configILNS1_25lookback_scan_determinismE0ES3_S7_PKfNS0_17constant_iteratorIjlEEPfPlSF_S6_NS0_8equal_toIfEEEE10hipError_tPvRmT2_T3_mT4_T5_T6_T7_T8_P12ihipStream_tbENKUlT_T0_E_clISt17integral_constantIbLb1EESY_IbLb0EEEEDaSU_SV_EUlSU_E_NS1_11comp_targetILNS1_3genE10ELNS1_11target_archE1201ELNS1_3gpuE5ELNS1_3repE0EEENS1_30default_config_static_selectorELNS0_4arch9wavefront6targetE0EEEvT1_
		.amdhsa_group_segment_fixed_size 0
		.amdhsa_private_segment_fixed_size 0
		.amdhsa_kernarg_size 128
		.amdhsa_user_sgpr_count 2
		.amdhsa_user_sgpr_dispatch_ptr 0
		.amdhsa_user_sgpr_queue_ptr 0
		.amdhsa_user_sgpr_kernarg_segment_ptr 1
		.amdhsa_user_sgpr_dispatch_id 0
		.amdhsa_user_sgpr_kernarg_preload_length 0
		.amdhsa_user_sgpr_kernarg_preload_offset 0
		.amdhsa_user_sgpr_private_segment_size 0
		.amdhsa_wavefront_size32 1
		.amdhsa_uses_dynamic_stack 0
		.amdhsa_enable_private_segment 0
		.amdhsa_system_sgpr_workgroup_id_x 1
		.amdhsa_system_sgpr_workgroup_id_y 0
		.amdhsa_system_sgpr_workgroup_id_z 0
		.amdhsa_system_sgpr_workgroup_info 0
		.amdhsa_system_vgpr_workitem_id 0
		.amdhsa_next_free_vgpr 1
		.amdhsa_next_free_sgpr 1
		.amdhsa_named_barrier_count 0
		.amdhsa_reserve_vcc 0
		.amdhsa_float_round_mode_32 0
		.amdhsa_float_round_mode_16_64 0
		.amdhsa_float_denorm_mode_32 3
		.amdhsa_float_denorm_mode_16_64 3
		.amdhsa_fp16_overflow 0
		.amdhsa_memory_ordered 1
		.amdhsa_forward_progress 1
		.amdhsa_inst_pref_size 0
		.amdhsa_round_robin_scheduling 0
		.amdhsa_exception_fp_ieee_invalid_op 0
		.amdhsa_exception_fp_denorm_src 0
		.amdhsa_exception_fp_ieee_div_zero 0
		.amdhsa_exception_fp_ieee_overflow 0
		.amdhsa_exception_fp_ieee_underflow 0
		.amdhsa_exception_fp_ieee_inexact 0
		.amdhsa_exception_int_div_zero 0
	.end_amdhsa_kernel
	.section	.text._ZN7rocprim17ROCPRIM_400000_NS6detail17trampoline_kernelINS0_14default_configENS1_33run_length_encode_config_selectorIfjNS0_4plusIjEEEEZZNS1_33reduce_by_key_impl_wrapped_configILNS1_25lookback_scan_determinismE0ES3_S7_PKfNS0_17constant_iteratorIjlEEPfPlSF_S6_NS0_8equal_toIfEEEE10hipError_tPvRmT2_T3_mT4_T5_T6_T7_T8_P12ihipStream_tbENKUlT_T0_E_clISt17integral_constantIbLb1EESY_IbLb0EEEEDaSU_SV_EUlSU_E_NS1_11comp_targetILNS1_3genE10ELNS1_11target_archE1201ELNS1_3gpuE5ELNS1_3repE0EEENS1_30default_config_static_selectorELNS0_4arch9wavefront6targetE0EEEvT1_,"axG",@progbits,_ZN7rocprim17ROCPRIM_400000_NS6detail17trampoline_kernelINS0_14default_configENS1_33run_length_encode_config_selectorIfjNS0_4plusIjEEEEZZNS1_33reduce_by_key_impl_wrapped_configILNS1_25lookback_scan_determinismE0ES3_S7_PKfNS0_17constant_iteratorIjlEEPfPlSF_S6_NS0_8equal_toIfEEEE10hipError_tPvRmT2_T3_mT4_T5_T6_T7_T8_P12ihipStream_tbENKUlT_T0_E_clISt17integral_constantIbLb1EESY_IbLb0EEEEDaSU_SV_EUlSU_E_NS1_11comp_targetILNS1_3genE10ELNS1_11target_archE1201ELNS1_3gpuE5ELNS1_3repE0EEENS1_30default_config_static_selectorELNS0_4arch9wavefront6targetE0EEEvT1_,comdat
.Lfunc_end396:
	.size	_ZN7rocprim17ROCPRIM_400000_NS6detail17trampoline_kernelINS0_14default_configENS1_33run_length_encode_config_selectorIfjNS0_4plusIjEEEEZZNS1_33reduce_by_key_impl_wrapped_configILNS1_25lookback_scan_determinismE0ES3_S7_PKfNS0_17constant_iteratorIjlEEPfPlSF_S6_NS0_8equal_toIfEEEE10hipError_tPvRmT2_T3_mT4_T5_T6_T7_T8_P12ihipStream_tbENKUlT_T0_E_clISt17integral_constantIbLb1EESY_IbLb0EEEEDaSU_SV_EUlSU_E_NS1_11comp_targetILNS1_3genE10ELNS1_11target_archE1201ELNS1_3gpuE5ELNS1_3repE0EEENS1_30default_config_static_selectorELNS0_4arch9wavefront6targetE0EEEvT1_, .Lfunc_end396-_ZN7rocprim17ROCPRIM_400000_NS6detail17trampoline_kernelINS0_14default_configENS1_33run_length_encode_config_selectorIfjNS0_4plusIjEEEEZZNS1_33reduce_by_key_impl_wrapped_configILNS1_25lookback_scan_determinismE0ES3_S7_PKfNS0_17constant_iteratorIjlEEPfPlSF_S6_NS0_8equal_toIfEEEE10hipError_tPvRmT2_T3_mT4_T5_T6_T7_T8_P12ihipStream_tbENKUlT_T0_E_clISt17integral_constantIbLb1EESY_IbLb0EEEEDaSU_SV_EUlSU_E_NS1_11comp_targetILNS1_3genE10ELNS1_11target_archE1201ELNS1_3gpuE5ELNS1_3repE0EEENS1_30default_config_static_selectorELNS0_4arch9wavefront6targetE0EEEvT1_
                                        ; -- End function
	.set _ZN7rocprim17ROCPRIM_400000_NS6detail17trampoline_kernelINS0_14default_configENS1_33run_length_encode_config_selectorIfjNS0_4plusIjEEEEZZNS1_33reduce_by_key_impl_wrapped_configILNS1_25lookback_scan_determinismE0ES3_S7_PKfNS0_17constant_iteratorIjlEEPfPlSF_S6_NS0_8equal_toIfEEEE10hipError_tPvRmT2_T3_mT4_T5_T6_T7_T8_P12ihipStream_tbENKUlT_T0_E_clISt17integral_constantIbLb1EESY_IbLb0EEEEDaSU_SV_EUlSU_E_NS1_11comp_targetILNS1_3genE10ELNS1_11target_archE1201ELNS1_3gpuE5ELNS1_3repE0EEENS1_30default_config_static_selectorELNS0_4arch9wavefront6targetE0EEEvT1_.num_vgpr, 0
	.set _ZN7rocprim17ROCPRIM_400000_NS6detail17trampoline_kernelINS0_14default_configENS1_33run_length_encode_config_selectorIfjNS0_4plusIjEEEEZZNS1_33reduce_by_key_impl_wrapped_configILNS1_25lookback_scan_determinismE0ES3_S7_PKfNS0_17constant_iteratorIjlEEPfPlSF_S6_NS0_8equal_toIfEEEE10hipError_tPvRmT2_T3_mT4_T5_T6_T7_T8_P12ihipStream_tbENKUlT_T0_E_clISt17integral_constantIbLb1EESY_IbLb0EEEEDaSU_SV_EUlSU_E_NS1_11comp_targetILNS1_3genE10ELNS1_11target_archE1201ELNS1_3gpuE5ELNS1_3repE0EEENS1_30default_config_static_selectorELNS0_4arch9wavefront6targetE0EEEvT1_.num_agpr, 0
	.set _ZN7rocprim17ROCPRIM_400000_NS6detail17trampoline_kernelINS0_14default_configENS1_33run_length_encode_config_selectorIfjNS0_4plusIjEEEEZZNS1_33reduce_by_key_impl_wrapped_configILNS1_25lookback_scan_determinismE0ES3_S7_PKfNS0_17constant_iteratorIjlEEPfPlSF_S6_NS0_8equal_toIfEEEE10hipError_tPvRmT2_T3_mT4_T5_T6_T7_T8_P12ihipStream_tbENKUlT_T0_E_clISt17integral_constantIbLb1EESY_IbLb0EEEEDaSU_SV_EUlSU_E_NS1_11comp_targetILNS1_3genE10ELNS1_11target_archE1201ELNS1_3gpuE5ELNS1_3repE0EEENS1_30default_config_static_selectorELNS0_4arch9wavefront6targetE0EEEvT1_.numbered_sgpr, 0
	.set _ZN7rocprim17ROCPRIM_400000_NS6detail17trampoline_kernelINS0_14default_configENS1_33run_length_encode_config_selectorIfjNS0_4plusIjEEEEZZNS1_33reduce_by_key_impl_wrapped_configILNS1_25lookback_scan_determinismE0ES3_S7_PKfNS0_17constant_iteratorIjlEEPfPlSF_S6_NS0_8equal_toIfEEEE10hipError_tPvRmT2_T3_mT4_T5_T6_T7_T8_P12ihipStream_tbENKUlT_T0_E_clISt17integral_constantIbLb1EESY_IbLb0EEEEDaSU_SV_EUlSU_E_NS1_11comp_targetILNS1_3genE10ELNS1_11target_archE1201ELNS1_3gpuE5ELNS1_3repE0EEENS1_30default_config_static_selectorELNS0_4arch9wavefront6targetE0EEEvT1_.num_named_barrier, 0
	.set _ZN7rocprim17ROCPRIM_400000_NS6detail17trampoline_kernelINS0_14default_configENS1_33run_length_encode_config_selectorIfjNS0_4plusIjEEEEZZNS1_33reduce_by_key_impl_wrapped_configILNS1_25lookback_scan_determinismE0ES3_S7_PKfNS0_17constant_iteratorIjlEEPfPlSF_S6_NS0_8equal_toIfEEEE10hipError_tPvRmT2_T3_mT4_T5_T6_T7_T8_P12ihipStream_tbENKUlT_T0_E_clISt17integral_constantIbLb1EESY_IbLb0EEEEDaSU_SV_EUlSU_E_NS1_11comp_targetILNS1_3genE10ELNS1_11target_archE1201ELNS1_3gpuE5ELNS1_3repE0EEENS1_30default_config_static_selectorELNS0_4arch9wavefront6targetE0EEEvT1_.private_seg_size, 0
	.set _ZN7rocprim17ROCPRIM_400000_NS6detail17trampoline_kernelINS0_14default_configENS1_33run_length_encode_config_selectorIfjNS0_4plusIjEEEEZZNS1_33reduce_by_key_impl_wrapped_configILNS1_25lookback_scan_determinismE0ES3_S7_PKfNS0_17constant_iteratorIjlEEPfPlSF_S6_NS0_8equal_toIfEEEE10hipError_tPvRmT2_T3_mT4_T5_T6_T7_T8_P12ihipStream_tbENKUlT_T0_E_clISt17integral_constantIbLb1EESY_IbLb0EEEEDaSU_SV_EUlSU_E_NS1_11comp_targetILNS1_3genE10ELNS1_11target_archE1201ELNS1_3gpuE5ELNS1_3repE0EEENS1_30default_config_static_selectorELNS0_4arch9wavefront6targetE0EEEvT1_.uses_vcc, 0
	.set _ZN7rocprim17ROCPRIM_400000_NS6detail17trampoline_kernelINS0_14default_configENS1_33run_length_encode_config_selectorIfjNS0_4plusIjEEEEZZNS1_33reduce_by_key_impl_wrapped_configILNS1_25lookback_scan_determinismE0ES3_S7_PKfNS0_17constant_iteratorIjlEEPfPlSF_S6_NS0_8equal_toIfEEEE10hipError_tPvRmT2_T3_mT4_T5_T6_T7_T8_P12ihipStream_tbENKUlT_T0_E_clISt17integral_constantIbLb1EESY_IbLb0EEEEDaSU_SV_EUlSU_E_NS1_11comp_targetILNS1_3genE10ELNS1_11target_archE1201ELNS1_3gpuE5ELNS1_3repE0EEENS1_30default_config_static_selectorELNS0_4arch9wavefront6targetE0EEEvT1_.uses_flat_scratch, 0
	.set _ZN7rocprim17ROCPRIM_400000_NS6detail17trampoline_kernelINS0_14default_configENS1_33run_length_encode_config_selectorIfjNS0_4plusIjEEEEZZNS1_33reduce_by_key_impl_wrapped_configILNS1_25lookback_scan_determinismE0ES3_S7_PKfNS0_17constant_iteratorIjlEEPfPlSF_S6_NS0_8equal_toIfEEEE10hipError_tPvRmT2_T3_mT4_T5_T6_T7_T8_P12ihipStream_tbENKUlT_T0_E_clISt17integral_constantIbLb1EESY_IbLb0EEEEDaSU_SV_EUlSU_E_NS1_11comp_targetILNS1_3genE10ELNS1_11target_archE1201ELNS1_3gpuE5ELNS1_3repE0EEENS1_30default_config_static_selectorELNS0_4arch9wavefront6targetE0EEEvT1_.has_dyn_sized_stack, 0
	.set _ZN7rocprim17ROCPRIM_400000_NS6detail17trampoline_kernelINS0_14default_configENS1_33run_length_encode_config_selectorIfjNS0_4plusIjEEEEZZNS1_33reduce_by_key_impl_wrapped_configILNS1_25lookback_scan_determinismE0ES3_S7_PKfNS0_17constant_iteratorIjlEEPfPlSF_S6_NS0_8equal_toIfEEEE10hipError_tPvRmT2_T3_mT4_T5_T6_T7_T8_P12ihipStream_tbENKUlT_T0_E_clISt17integral_constantIbLb1EESY_IbLb0EEEEDaSU_SV_EUlSU_E_NS1_11comp_targetILNS1_3genE10ELNS1_11target_archE1201ELNS1_3gpuE5ELNS1_3repE0EEENS1_30default_config_static_selectorELNS0_4arch9wavefront6targetE0EEEvT1_.has_recursion, 0
	.set _ZN7rocprim17ROCPRIM_400000_NS6detail17trampoline_kernelINS0_14default_configENS1_33run_length_encode_config_selectorIfjNS0_4plusIjEEEEZZNS1_33reduce_by_key_impl_wrapped_configILNS1_25lookback_scan_determinismE0ES3_S7_PKfNS0_17constant_iteratorIjlEEPfPlSF_S6_NS0_8equal_toIfEEEE10hipError_tPvRmT2_T3_mT4_T5_T6_T7_T8_P12ihipStream_tbENKUlT_T0_E_clISt17integral_constantIbLb1EESY_IbLb0EEEEDaSU_SV_EUlSU_E_NS1_11comp_targetILNS1_3genE10ELNS1_11target_archE1201ELNS1_3gpuE5ELNS1_3repE0EEENS1_30default_config_static_selectorELNS0_4arch9wavefront6targetE0EEEvT1_.has_indirect_call, 0
	.section	.AMDGPU.csdata,"",@progbits
; Kernel info:
; codeLenInByte = 0
; TotalNumSgprs: 0
; NumVgprs: 0
; ScratchSize: 0
; MemoryBound: 0
; FloatMode: 240
; IeeeMode: 1
; LDSByteSize: 0 bytes/workgroup (compile time only)
; SGPRBlocks: 0
; VGPRBlocks: 0
; NumSGPRsForWavesPerEU: 1
; NumVGPRsForWavesPerEU: 1
; NamedBarCnt: 0
; Occupancy: 16
; WaveLimiterHint : 0
; COMPUTE_PGM_RSRC2:SCRATCH_EN: 0
; COMPUTE_PGM_RSRC2:USER_SGPR: 2
; COMPUTE_PGM_RSRC2:TRAP_HANDLER: 0
; COMPUTE_PGM_RSRC2:TGID_X_EN: 1
; COMPUTE_PGM_RSRC2:TGID_Y_EN: 0
; COMPUTE_PGM_RSRC2:TGID_Z_EN: 0
; COMPUTE_PGM_RSRC2:TIDIG_COMP_CNT: 0
	.section	.text._ZN7rocprim17ROCPRIM_400000_NS6detail17trampoline_kernelINS0_14default_configENS1_33run_length_encode_config_selectorIfjNS0_4plusIjEEEEZZNS1_33reduce_by_key_impl_wrapped_configILNS1_25lookback_scan_determinismE0ES3_S7_PKfNS0_17constant_iteratorIjlEEPfPlSF_S6_NS0_8equal_toIfEEEE10hipError_tPvRmT2_T3_mT4_T5_T6_T7_T8_P12ihipStream_tbENKUlT_T0_E_clISt17integral_constantIbLb1EESY_IbLb0EEEEDaSU_SV_EUlSU_E_NS1_11comp_targetILNS1_3genE10ELNS1_11target_archE1200ELNS1_3gpuE4ELNS1_3repE0EEENS1_30default_config_static_selectorELNS0_4arch9wavefront6targetE0EEEvT1_,"axG",@progbits,_ZN7rocprim17ROCPRIM_400000_NS6detail17trampoline_kernelINS0_14default_configENS1_33run_length_encode_config_selectorIfjNS0_4plusIjEEEEZZNS1_33reduce_by_key_impl_wrapped_configILNS1_25lookback_scan_determinismE0ES3_S7_PKfNS0_17constant_iteratorIjlEEPfPlSF_S6_NS0_8equal_toIfEEEE10hipError_tPvRmT2_T3_mT4_T5_T6_T7_T8_P12ihipStream_tbENKUlT_T0_E_clISt17integral_constantIbLb1EESY_IbLb0EEEEDaSU_SV_EUlSU_E_NS1_11comp_targetILNS1_3genE10ELNS1_11target_archE1200ELNS1_3gpuE4ELNS1_3repE0EEENS1_30default_config_static_selectorELNS0_4arch9wavefront6targetE0EEEvT1_,comdat
	.protected	_ZN7rocprim17ROCPRIM_400000_NS6detail17trampoline_kernelINS0_14default_configENS1_33run_length_encode_config_selectorIfjNS0_4plusIjEEEEZZNS1_33reduce_by_key_impl_wrapped_configILNS1_25lookback_scan_determinismE0ES3_S7_PKfNS0_17constant_iteratorIjlEEPfPlSF_S6_NS0_8equal_toIfEEEE10hipError_tPvRmT2_T3_mT4_T5_T6_T7_T8_P12ihipStream_tbENKUlT_T0_E_clISt17integral_constantIbLb1EESY_IbLb0EEEEDaSU_SV_EUlSU_E_NS1_11comp_targetILNS1_3genE10ELNS1_11target_archE1200ELNS1_3gpuE4ELNS1_3repE0EEENS1_30default_config_static_selectorELNS0_4arch9wavefront6targetE0EEEvT1_ ; -- Begin function _ZN7rocprim17ROCPRIM_400000_NS6detail17trampoline_kernelINS0_14default_configENS1_33run_length_encode_config_selectorIfjNS0_4plusIjEEEEZZNS1_33reduce_by_key_impl_wrapped_configILNS1_25lookback_scan_determinismE0ES3_S7_PKfNS0_17constant_iteratorIjlEEPfPlSF_S6_NS0_8equal_toIfEEEE10hipError_tPvRmT2_T3_mT4_T5_T6_T7_T8_P12ihipStream_tbENKUlT_T0_E_clISt17integral_constantIbLb1EESY_IbLb0EEEEDaSU_SV_EUlSU_E_NS1_11comp_targetILNS1_3genE10ELNS1_11target_archE1200ELNS1_3gpuE4ELNS1_3repE0EEENS1_30default_config_static_selectorELNS0_4arch9wavefront6targetE0EEEvT1_
	.globl	_ZN7rocprim17ROCPRIM_400000_NS6detail17trampoline_kernelINS0_14default_configENS1_33run_length_encode_config_selectorIfjNS0_4plusIjEEEEZZNS1_33reduce_by_key_impl_wrapped_configILNS1_25lookback_scan_determinismE0ES3_S7_PKfNS0_17constant_iteratorIjlEEPfPlSF_S6_NS0_8equal_toIfEEEE10hipError_tPvRmT2_T3_mT4_T5_T6_T7_T8_P12ihipStream_tbENKUlT_T0_E_clISt17integral_constantIbLb1EESY_IbLb0EEEEDaSU_SV_EUlSU_E_NS1_11comp_targetILNS1_3genE10ELNS1_11target_archE1200ELNS1_3gpuE4ELNS1_3repE0EEENS1_30default_config_static_selectorELNS0_4arch9wavefront6targetE0EEEvT1_
	.p2align	8
	.type	_ZN7rocprim17ROCPRIM_400000_NS6detail17trampoline_kernelINS0_14default_configENS1_33run_length_encode_config_selectorIfjNS0_4plusIjEEEEZZNS1_33reduce_by_key_impl_wrapped_configILNS1_25lookback_scan_determinismE0ES3_S7_PKfNS0_17constant_iteratorIjlEEPfPlSF_S6_NS0_8equal_toIfEEEE10hipError_tPvRmT2_T3_mT4_T5_T6_T7_T8_P12ihipStream_tbENKUlT_T0_E_clISt17integral_constantIbLb1EESY_IbLb0EEEEDaSU_SV_EUlSU_E_NS1_11comp_targetILNS1_3genE10ELNS1_11target_archE1200ELNS1_3gpuE4ELNS1_3repE0EEENS1_30default_config_static_selectorELNS0_4arch9wavefront6targetE0EEEvT1_,@function
_ZN7rocprim17ROCPRIM_400000_NS6detail17trampoline_kernelINS0_14default_configENS1_33run_length_encode_config_selectorIfjNS0_4plusIjEEEEZZNS1_33reduce_by_key_impl_wrapped_configILNS1_25lookback_scan_determinismE0ES3_S7_PKfNS0_17constant_iteratorIjlEEPfPlSF_S6_NS0_8equal_toIfEEEE10hipError_tPvRmT2_T3_mT4_T5_T6_T7_T8_P12ihipStream_tbENKUlT_T0_E_clISt17integral_constantIbLb1EESY_IbLb0EEEEDaSU_SV_EUlSU_E_NS1_11comp_targetILNS1_3genE10ELNS1_11target_archE1200ELNS1_3gpuE4ELNS1_3repE0EEENS1_30default_config_static_selectorELNS0_4arch9wavefront6targetE0EEEvT1_: ; @_ZN7rocprim17ROCPRIM_400000_NS6detail17trampoline_kernelINS0_14default_configENS1_33run_length_encode_config_selectorIfjNS0_4plusIjEEEEZZNS1_33reduce_by_key_impl_wrapped_configILNS1_25lookback_scan_determinismE0ES3_S7_PKfNS0_17constant_iteratorIjlEEPfPlSF_S6_NS0_8equal_toIfEEEE10hipError_tPvRmT2_T3_mT4_T5_T6_T7_T8_P12ihipStream_tbENKUlT_T0_E_clISt17integral_constantIbLb1EESY_IbLb0EEEEDaSU_SV_EUlSU_E_NS1_11comp_targetILNS1_3genE10ELNS1_11target_archE1200ELNS1_3gpuE4ELNS1_3repE0EEENS1_30default_config_static_selectorELNS0_4arch9wavefront6targetE0EEEvT1_
; %bb.0:
	.section	.rodata,"a",@progbits
	.p2align	6, 0x0
	.amdhsa_kernel _ZN7rocprim17ROCPRIM_400000_NS6detail17trampoline_kernelINS0_14default_configENS1_33run_length_encode_config_selectorIfjNS0_4plusIjEEEEZZNS1_33reduce_by_key_impl_wrapped_configILNS1_25lookback_scan_determinismE0ES3_S7_PKfNS0_17constant_iteratorIjlEEPfPlSF_S6_NS0_8equal_toIfEEEE10hipError_tPvRmT2_T3_mT4_T5_T6_T7_T8_P12ihipStream_tbENKUlT_T0_E_clISt17integral_constantIbLb1EESY_IbLb0EEEEDaSU_SV_EUlSU_E_NS1_11comp_targetILNS1_3genE10ELNS1_11target_archE1200ELNS1_3gpuE4ELNS1_3repE0EEENS1_30default_config_static_selectorELNS0_4arch9wavefront6targetE0EEEvT1_
		.amdhsa_group_segment_fixed_size 0
		.amdhsa_private_segment_fixed_size 0
		.amdhsa_kernarg_size 128
		.amdhsa_user_sgpr_count 2
		.amdhsa_user_sgpr_dispatch_ptr 0
		.amdhsa_user_sgpr_queue_ptr 0
		.amdhsa_user_sgpr_kernarg_segment_ptr 1
		.amdhsa_user_sgpr_dispatch_id 0
		.amdhsa_user_sgpr_kernarg_preload_length 0
		.amdhsa_user_sgpr_kernarg_preload_offset 0
		.amdhsa_user_sgpr_private_segment_size 0
		.amdhsa_wavefront_size32 1
		.amdhsa_uses_dynamic_stack 0
		.amdhsa_enable_private_segment 0
		.amdhsa_system_sgpr_workgroup_id_x 1
		.amdhsa_system_sgpr_workgroup_id_y 0
		.amdhsa_system_sgpr_workgroup_id_z 0
		.amdhsa_system_sgpr_workgroup_info 0
		.amdhsa_system_vgpr_workitem_id 0
		.amdhsa_next_free_vgpr 1
		.amdhsa_next_free_sgpr 1
		.amdhsa_named_barrier_count 0
		.amdhsa_reserve_vcc 0
		.amdhsa_float_round_mode_32 0
		.amdhsa_float_round_mode_16_64 0
		.amdhsa_float_denorm_mode_32 3
		.amdhsa_float_denorm_mode_16_64 3
		.amdhsa_fp16_overflow 0
		.amdhsa_memory_ordered 1
		.amdhsa_forward_progress 1
		.amdhsa_inst_pref_size 0
		.amdhsa_round_robin_scheduling 0
		.amdhsa_exception_fp_ieee_invalid_op 0
		.amdhsa_exception_fp_denorm_src 0
		.amdhsa_exception_fp_ieee_div_zero 0
		.amdhsa_exception_fp_ieee_overflow 0
		.amdhsa_exception_fp_ieee_underflow 0
		.amdhsa_exception_fp_ieee_inexact 0
		.amdhsa_exception_int_div_zero 0
	.end_amdhsa_kernel
	.section	.text._ZN7rocprim17ROCPRIM_400000_NS6detail17trampoline_kernelINS0_14default_configENS1_33run_length_encode_config_selectorIfjNS0_4plusIjEEEEZZNS1_33reduce_by_key_impl_wrapped_configILNS1_25lookback_scan_determinismE0ES3_S7_PKfNS0_17constant_iteratorIjlEEPfPlSF_S6_NS0_8equal_toIfEEEE10hipError_tPvRmT2_T3_mT4_T5_T6_T7_T8_P12ihipStream_tbENKUlT_T0_E_clISt17integral_constantIbLb1EESY_IbLb0EEEEDaSU_SV_EUlSU_E_NS1_11comp_targetILNS1_3genE10ELNS1_11target_archE1200ELNS1_3gpuE4ELNS1_3repE0EEENS1_30default_config_static_selectorELNS0_4arch9wavefront6targetE0EEEvT1_,"axG",@progbits,_ZN7rocprim17ROCPRIM_400000_NS6detail17trampoline_kernelINS0_14default_configENS1_33run_length_encode_config_selectorIfjNS0_4plusIjEEEEZZNS1_33reduce_by_key_impl_wrapped_configILNS1_25lookback_scan_determinismE0ES3_S7_PKfNS0_17constant_iteratorIjlEEPfPlSF_S6_NS0_8equal_toIfEEEE10hipError_tPvRmT2_T3_mT4_T5_T6_T7_T8_P12ihipStream_tbENKUlT_T0_E_clISt17integral_constantIbLb1EESY_IbLb0EEEEDaSU_SV_EUlSU_E_NS1_11comp_targetILNS1_3genE10ELNS1_11target_archE1200ELNS1_3gpuE4ELNS1_3repE0EEENS1_30default_config_static_selectorELNS0_4arch9wavefront6targetE0EEEvT1_,comdat
.Lfunc_end397:
	.size	_ZN7rocprim17ROCPRIM_400000_NS6detail17trampoline_kernelINS0_14default_configENS1_33run_length_encode_config_selectorIfjNS0_4plusIjEEEEZZNS1_33reduce_by_key_impl_wrapped_configILNS1_25lookback_scan_determinismE0ES3_S7_PKfNS0_17constant_iteratorIjlEEPfPlSF_S6_NS0_8equal_toIfEEEE10hipError_tPvRmT2_T3_mT4_T5_T6_T7_T8_P12ihipStream_tbENKUlT_T0_E_clISt17integral_constantIbLb1EESY_IbLb0EEEEDaSU_SV_EUlSU_E_NS1_11comp_targetILNS1_3genE10ELNS1_11target_archE1200ELNS1_3gpuE4ELNS1_3repE0EEENS1_30default_config_static_selectorELNS0_4arch9wavefront6targetE0EEEvT1_, .Lfunc_end397-_ZN7rocprim17ROCPRIM_400000_NS6detail17trampoline_kernelINS0_14default_configENS1_33run_length_encode_config_selectorIfjNS0_4plusIjEEEEZZNS1_33reduce_by_key_impl_wrapped_configILNS1_25lookback_scan_determinismE0ES3_S7_PKfNS0_17constant_iteratorIjlEEPfPlSF_S6_NS0_8equal_toIfEEEE10hipError_tPvRmT2_T3_mT4_T5_T6_T7_T8_P12ihipStream_tbENKUlT_T0_E_clISt17integral_constantIbLb1EESY_IbLb0EEEEDaSU_SV_EUlSU_E_NS1_11comp_targetILNS1_3genE10ELNS1_11target_archE1200ELNS1_3gpuE4ELNS1_3repE0EEENS1_30default_config_static_selectorELNS0_4arch9wavefront6targetE0EEEvT1_
                                        ; -- End function
	.set _ZN7rocprim17ROCPRIM_400000_NS6detail17trampoline_kernelINS0_14default_configENS1_33run_length_encode_config_selectorIfjNS0_4plusIjEEEEZZNS1_33reduce_by_key_impl_wrapped_configILNS1_25lookback_scan_determinismE0ES3_S7_PKfNS0_17constant_iteratorIjlEEPfPlSF_S6_NS0_8equal_toIfEEEE10hipError_tPvRmT2_T3_mT4_T5_T6_T7_T8_P12ihipStream_tbENKUlT_T0_E_clISt17integral_constantIbLb1EESY_IbLb0EEEEDaSU_SV_EUlSU_E_NS1_11comp_targetILNS1_3genE10ELNS1_11target_archE1200ELNS1_3gpuE4ELNS1_3repE0EEENS1_30default_config_static_selectorELNS0_4arch9wavefront6targetE0EEEvT1_.num_vgpr, 0
	.set _ZN7rocprim17ROCPRIM_400000_NS6detail17trampoline_kernelINS0_14default_configENS1_33run_length_encode_config_selectorIfjNS0_4plusIjEEEEZZNS1_33reduce_by_key_impl_wrapped_configILNS1_25lookback_scan_determinismE0ES3_S7_PKfNS0_17constant_iteratorIjlEEPfPlSF_S6_NS0_8equal_toIfEEEE10hipError_tPvRmT2_T3_mT4_T5_T6_T7_T8_P12ihipStream_tbENKUlT_T0_E_clISt17integral_constantIbLb1EESY_IbLb0EEEEDaSU_SV_EUlSU_E_NS1_11comp_targetILNS1_3genE10ELNS1_11target_archE1200ELNS1_3gpuE4ELNS1_3repE0EEENS1_30default_config_static_selectorELNS0_4arch9wavefront6targetE0EEEvT1_.num_agpr, 0
	.set _ZN7rocprim17ROCPRIM_400000_NS6detail17trampoline_kernelINS0_14default_configENS1_33run_length_encode_config_selectorIfjNS0_4plusIjEEEEZZNS1_33reduce_by_key_impl_wrapped_configILNS1_25lookback_scan_determinismE0ES3_S7_PKfNS0_17constant_iteratorIjlEEPfPlSF_S6_NS0_8equal_toIfEEEE10hipError_tPvRmT2_T3_mT4_T5_T6_T7_T8_P12ihipStream_tbENKUlT_T0_E_clISt17integral_constantIbLb1EESY_IbLb0EEEEDaSU_SV_EUlSU_E_NS1_11comp_targetILNS1_3genE10ELNS1_11target_archE1200ELNS1_3gpuE4ELNS1_3repE0EEENS1_30default_config_static_selectorELNS0_4arch9wavefront6targetE0EEEvT1_.numbered_sgpr, 0
	.set _ZN7rocprim17ROCPRIM_400000_NS6detail17trampoline_kernelINS0_14default_configENS1_33run_length_encode_config_selectorIfjNS0_4plusIjEEEEZZNS1_33reduce_by_key_impl_wrapped_configILNS1_25lookback_scan_determinismE0ES3_S7_PKfNS0_17constant_iteratorIjlEEPfPlSF_S6_NS0_8equal_toIfEEEE10hipError_tPvRmT2_T3_mT4_T5_T6_T7_T8_P12ihipStream_tbENKUlT_T0_E_clISt17integral_constantIbLb1EESY_IbLb0EEEEDaSU_SV_EUlSU_E_NS1_11comp_targetILNS1_3genE10ELNS1_11target_archE1200ELNS1_3gpuE4ELNS1_3repE0EEENS1_30default_config_static_selectorELNS0_4arch9wavefront6targetE0EEEvT1_.num_named_barrier, 0
	.set _ZN7rocprim17ROCPRIM_400000_NS6detail17trampoline_kernelINS0_14default_configENS1_33run_length_encode_config_selectorIfjNS0_4plusIjEEEEZZNS1_33reduce_by_key_impl_wrapped_configILNS1_25lookback_scan_determinismE0ES3_S7_PKfNS0_17constant_iteratorIjlEEPfPlSF_S6_NS0_8equal_toIfEEEE10hipError_tPvRmT2_T3_mT4_T5_T6_T7_T8_P12ihipStream_tbENKUlT_T0_E_clISt17integral_constantIbLb1EESY_IbLb0EEEEDaSU_SV_EUlSU_E_NS1_11comp_targetILNS1_3genE10ELNS1_11target_archE1200ELNS1_3gpuE4ELNS1_3repE0EEENS1_30default_config_static_selectorELNS0_4arch9wavefront6targetE0EEEvT1_.private_seg_size, 0
	.set _ZN7rocprim17ROCPRIM_400000_NS6detail17trampoline_kernelINS0_14default_configENS1_33run_length_encode_config_selectorIfjNS0_4plusIjEEEEZZNS1_33reduce_by_key_impl_wrapped_configILNS1_25lookback_scan_determinismE0ES3_S7_PKfNS0_17constant_iteratorIjlEEPfPlSF_S6_NS0_8equal_toIfEEEE10hipError_tPvRmT2_T3_mT4_T5_T6_T7_T8_P12ihipStream_tbENKUlT_T0_E_clISt17integral_constantIbLb1EESY_IbLb0EEEEDaSU_SV_EUlSU_E_NS1_11comp_targetILNS1_3genE10ELNS1_11target_archE1200ELNS1_3gpuE4ELNS1_3repE0EEENS1_30default_config_static_selectorELNS0_4arch9wavefront6targetE0EEEvT1_.uses_vcc, 0
	.set _ZN7rocprim17ROCPRIM_400000_NS6detail17trampoline_kernelINS0_14default_configENS1_33run_length_encode_config_selectorIfjNS0_4plusIjEEEEZZNS1_33reduce_by_key_impl_wrapped_configILNS1_25lookback_scan_determinismE0ES3_S7_PKfNS0_17constant_iteratorIjlEEPfPlSF_S6_NS0_8equal_toIfEEEE10hipError_tPvRmT2_T3_mT4_T5_T6_T7_T8_P12ihipStream_tbENKUlT_T0_E_clISt17integral_constantIbLb1EESY_IbLb0EEEEDaSU_SV_EUlSU_E_NS1_11comp_targetILNS1_3genE10ELNS1_11target_archE1200ELNS1_3gpuE4ELNS1_3repE0EEENS1_30default_config_static_selectorELNS0_4arch9wavefront6targetE0EEEvT1_.uses_flat_scratch, 0
	.set _ZN7rocprim17ROCPRIM_400000_NS6detail17trampoline_kernelINS0_14default_configENS1_33run_length_encode_config_selectorIfjNS0_4plusIjEEEEZZNS1_33reduce_by_key_impl_wrapped_configILNS1_25lookback_scan_determinismE0ES3_S7_PKfNS0_17constant_iteratorIjlEEPfPlSF_S6_NS0_8equal_toIfEEEE10hipError_tPvRmT2_T3_mT4_T5_T6_T7_T8_P12ihipStream_tbENKUlT_T0_E_clISt17integral_constantIbLb1EESY_IbLb0EEEEDaSU_SV_EUlSU_E_NS1_11comp_targetILNS1_3genE10ELNS1_11target_archE1200ELNS1_3gpuE4ELNS1_3repE0EEENS1_30default_config_static_selectorELNS0_4arch9wavefront6targetE0EEEvT1_.has_dyn_sized_stack, 0
	.set _ZN7rocprim17ROCPRIM_400000_NS6detail17trampoline_kernelINS0_14default_configENS1_33run_length_encode_config_selectorIfjNS0_4plusIjEEEEZZNS1_33reduce_by_key_impl_wrapped_configILNS1_25lookback_scan_determinismE0ES3_S7_PKfNS0_17constant_iteratorIjlEEPfPlSF_S6_NS0_8equal_toIfEEEE10hipError_tPvRmT2_T3_mT4_T5_T6_T7_T8_P12ihipStream_tbENKUlT_T0_E_clISt17integral_constantIbLb1EESY_IbLb0EEEEDaSU_SV_EUlSU_E_NS1_11comp_targetILNS1_3genE10ELNS1_11target_archE1200ELNS1_3gpuE4ELNS1_3repE0EEENS1_30default_config_static_selectorELNS0_4arch9wavefront6targetE0EEEvT1_.has_recursion, 0
	.set _ZN7rocprim17ROCPRIM_400000_NS6detail17trampoline_kernelINS0_14default_configENS1_33run_length_encode_config_selectorIfjNS0_4plusIjEEEEZZNS1_33reduce_by_key_impl_wrapped_configILNS1_25lookback_scan_determinismE0ES3_S7_PKfNS0_17constant_iteratorIjlEEPfPlSF_S6_NS0_8equal_toIfEEEE10hipError_tPvRmT2_T3_mT4_T5_T6_T7_T8_P12ihipStream_tbENKUlT_T0_E_clISt17integral_constantIbLb1EESY_IbLb0EEEEDaSU_SV_EUlSU_E_NS1_11comp_targetILNS1_3genE10ELNS1_11target_archE1200ELNS1_3gpuE4ELNS1_3repE0EEENS1_30default_config_static_selectorELNS0_4arch9wavefront6targetE0EEEvT1_.has_indirect_call, 0
	.section	.AMDGPU.csdata,"",@progbits
; Kernel info:
; codeLenInByte = 0
; TotalNumSgprs: 0
; NumVgprs: 0
; ScratchSize: 0
; MemoryBound: 0
; FloatMode: 240
; IeeeMode: 1
; LDSByteSize: 0 bytes/workgroup (compile time only)
; SGPRBlocks: 0
; VGPRBlocks: 0
; NumSGPRsForWavesPerEU: 1
; NumVGPRsForWavesPerEU: 1
; NamedBarCnt: 0
; Occupancy: 16
; WaveLimiterHint : 0
; COMPUTE_PGM_RSRC2:SCRATCH_EN: 0
; COMPUTE_PGM_RSRC2:USER_SGPR: 2
; COMPUTE_PGM_RSRC2:TRAP_HANDLER: 0
; COMPUTE_PGM_RSRC2:TGID_X_EN: 1
; COMPUTE_PGM_RSRC2:TGID_Y_EN: 0
; COMPUTE_PGM_RSRC2:TGID_Z_EN: 0
; COMPUTE_PGM_RSRC2:TIDIG_COMP_CNT: 0
	.section	.text._ZN7rocprim17ROCPRIM_400000_NS6detail17trampoline_kernelINS0_14default_configENS1_33run_length_encode_config_selectorIfjNS0_4plusIjEEEEZZNS1_33reduce_by_key_impl_wrapped_configILNS1_25lookback_scan_determinismE0ES3_S7_PKfNS0_17constant_iteratorIjlEEPfPlSF_S6_NS0_8equal_toIfEEEE10hipError_tPvRmT2_T3_mT4_T5_T6_T7_T8_P12ihipStream_tbENKUlT_T0_E_clISt17integral_constantIbLb1EESY_IbLb0EEEEDaSU_SV_EUlSU_E_NS1_11comp_targetILNS1_3genE9ELNS1_11target_archE1100ELNS1_3gpuE3ELNS1_3repE0EEENS1_30default_config_static_selectorELNS0_4arch9wavefront6targetE0EEEvT1_,"axG",@progbits,_ZN7rocprim17ROCPRIM_400000_NS6detail17trampoline_kernelINS0_14default_configENS1_33run_length_encode_config_selectorIfjNS0_4plusIjEEEEZZNS1_33reduce_by_key_impl_wrapped_configILNS1_25lookback_scan_determinismE0ES3_S7_PKfNS0_17constant_iteratorIjlEEPfPlSF_S6_NS0_8equal_toIfEEEE10hipError_tPvRmT2_T3_mT4_T5_T6_T7_T8_P12ihipStream_tbENKUlT_T0_E_clISt17integral_constantIbLb1EESY_IbLb0EEEEDaSU_SV_EUlSU_E_NS1_11comp_targetILNS1_3genE9ELNS1_11target_archE1100ELNS1_3gpuE3ELNS1_3repE0EEENS1_30default_config_static_selectorELNS0_4arch9wavefront6targetE0EEEvT1_,comdat
	.protected	_ZN7rocprim17ROCPRIM_400000_NS6detail17trampoline_kernelINS0_14default_configENS1_33run_length_encode_config_selectorIfjNS0_4plusIjEEEEZZNS1_33reduce_by_key_impl_wrapped_configILNS1_25lookback_scan_determinismE0ES3_S7_PKfNS0_17constant_iteratorIjlEEPfPlSF_S6_NS0_8equal_toIfEEEE10hipError_tPvRmT2_T3_mT4_T5_T6_T7_T8_P12ihipStream_tbENKUlT_T0_E_clISt17integral_constantIbLb1EESY_IbLb0EEEEDaSU_SV_EUlSU_E_NS1_11comp_targetILNS1_3genE9ELNS1_11target_archE1100ELNS1_3gpuE3ELNS1_3repE0EEENS1_30default_config_static_selectorELNS0_4arch9wavefront6targetE0EEEvT1_ ; -- Begin function _ZN7rocprim17ROCPRIM_400000_NS6detail17trampoline_kernelINS0_14default_configENS1_33run_length_encode_config_selectorIfjNS0_4plusIjEEEEZZNS1_33reduce_by_key_impl_wrapped_configILNS1_25lookback_scan_determinismE0ES3_S7_PKfNS0_17constant_iteratorIjlEEPfPlSF_S6_NS0_8equal_toIfEEEE10hipError_tPvRmT2_T3_mT4_T5_T6_T7_T8_P12ihipStream_tbENKUlT_T0_E_clISt17integral_constantIbLb1EESY_IbLb0EEEEDaSU_SV_EUlSU_E_NS1_11comp_targetILNS1_3genE9ELNS1_11target_archE1100ELNS1_3gpuE3ELNS1_3repE0EEENS1_30default_config_static_selectorELNS0_4arch9wavefront6targetE0EEEvT1_
	.globl	_ZN7rocprim17ROCPRIM_400000_NS6detail17trampoline_kernelINS0_14default_configENS1_33run_length_encode_config_selectorIfjNS0_4plusIjEEEEZZNS1_33reduce_by_key_impl_wrapped_configILNS1_25lookback_scan_determinismE0ES3_S7_PKfNS0_17constant_iteratorIjlEEPfPlSF_S6_NS0_8equal_toIfEEEE10hipError_tPvRmT2_T3_mT4_T5_T6_T7_T8_P12ihipStream_tbENKUlT_T0_E_clISt17integral_constantIbLb1EESY_IbLb0EEEEDaSU_SV_EUlSU_E_NS1_11comp_targetILNS1_3genE9ELNS1_11target_archE1100ELNS1_3gpuE3ELNS1_3repE0EEENS1_30default_config_static_selectorELNS0_4arch9wavefront6targetE0EEEvT1_
	.p2align	8
	.type	_ZN7rocprim17ROCPRIM_400000_NS6detail17trampoline_kernelINS0_14default_configENS1_33run_length_encode_config_selectorIfjNS0_4plusIjEEEEZZNS1_33reduce_by_key_impl_wrapped_configILNS1_25lookback_scan_determinismE0ES3_S7_PKfNS0_17constant_iteratorIjlEEPfPlSF_S6_NS0_8equal_toIfEEEE10hipError_tPvRmT2_T3_mT4_T5_T6_T7_T8_P12ihipStream_tbENKUlT_T0_E_clISt17integral_constantIbLb1EESY_IbLb0EEEEDaSU_SV_EUlSU_E_NS1_11comp_targetILNS1_3genE9ELNS1_11target_archE1100ELNS1_3gpuE3ELNS1_3repE0EEENS1_30default_config_static_selectorELNS0_4arch9wavefront6targetE0EEEvT1_,@function
_ZN7rocprim17ROCPRIM_400000_NS6detail17trampoline_kernelINS0_14default_configENS1_33run_length_encode_config_selectorIfjNS0_4plusIjEEEEZZNS1_33reduce_by_key_impl_wrapped_configILNS1_25lookback_scan_determinismE0ES3_S7_PKfNS0_17constant_iteratorIjlEEPfPlSF_S6_NS0_8equal_toIfEEEE10hipError_tPvRmT2_T3_mT4_T5_T6_T7_T8_P12ihipStream_tbENKUlT_T0_E_clISt17integral_constantIbLb1EESY_IbLb0EEEEDaSU_SV_EUlSU_E_NS1_11comp_targetILNS1_3genE9ELNS1_11target_archE1100ELNS1_3gpuE3ELNS1_3repE0EEENS1_30default_config_static_selectorELNS0_4arch9wavefront6targetE0EEEvT1_: ; @_ZN7rocprim17ROCPRIM_400000_NS6detail17trampoline_kernelINS0_14default_configENS1_33run_length_encode_config_selectorIfjNS0_4plusIjEEEEZZNS1_33reduce_by_key_impl_wrapped_configILNS1_25lookback_scan_determinismE0ES3_S7_PKfNS0_17constant_iteratorIjlEEPfPlSF_S6_NS0_8equal_toIfEEEE10hipError_tPvRmT2_T3_mT4_T5_T6_T7_T8_P12ihipStream_tbENKUlT_T0_E_clISt17integral_constantIbLb1EESY_IbLb0EEEEDaSU_SV_EUlSU_E_NS1_11comp_targetILNS1_3genE9ELNS1_11target_archE1100ELNS1_3gpuE3ELNS1_3repE0EEENS1_30default_config_static_selectorELNS0_4arch9wavefront6targetE0EEEvT1_
; %bb.0:
	.section	.rodata,"a",@progbits
	.p2align	6, 0x0
	.amdhsa_kernel _ZN7rocprim17ROCPRIM_400000_NS6detail17trampoline_kernelINS0_14default_configENS1_33run_length_encode_config_selectorIfjNS0_4plusIjEEEEZZNS1_33reduce_by_key_impl_wrapped_configILNS1_25lookback_scan_determinismE0ES3_S7_PKfNS0_17constant_iteratorIjlEEPfPlSF_S6_NS0_8equal_toIfEEEE10hipError_tPvRmT2_T3_mT4_T5_T6_T7_T8_P12ihipStream_tbENKUlT_T0_E_clISt17integral_constantIbLb1EESY_IbLb0EEEEDaSU_SV_EUlSU_E_NS1_11comp_targetILNS1_3genE9ELNS1_11target_archE1100ELNS1_3gpuE3ELNS1_3repE0EEENS1_30default_config_static_selectorELNS0_4arch9wavefront6targetE0EEEvT1_
		.amdhsa_group_segment_fixed_size 0
		.amdhsa_private_segment_fixed_size 0
		.amdhsa_kernarg_size 128
		.amdhsa_user_sgpr_count 2
		.amdhsa_user_sgpr_dispatch_ptr 0
		.amdhsa_user_sgpr_queue_ptr 0
		.amdhsa_user_sgpr_kernarg_segment_ptr 1
		.amdhsa_user_sgpr_dispatch_id 0
		.amdhsa_user_sgpr_kernarg_preload_length 0
		.amdhsa_user_sgpr_kernarg_preload_offset 0
		.amdhsa_user_sgpr_private_segment_size 0
		.amdhsa_wavefront_size32 1
		.amdhsa_uses_dynamic_stack 0
		.amdhsa_enable_private_segment 0
		.amdhsa_system_sgpr_workgroup_id_x 1
		.amdhsa_system_sgpr_workgroup_id_y 0
		.amdhsa_system_sgpr_workgroup_id_z 0
		.amdhsa_system_sgpr_workgroup_info 0
		.amdhsa_system_vgpr_workitem_id 0
		.amdhsa_next_free_vgpr 1
		.amdhsa_next_free_sgpr 1
		.amdhsa_named_barrier_count 0
		.amdhsa_reserve_vcc 0
		.amdhsa_float_round_mode_32 0
		.amdhsa_float_round_mode_16_64 0
		.amdhsa_float_denorm_mode_32 3
		.amdhsa_float_denorm_mode_16_64 3
		.amdhsa_fp16_overflow 0
		.amdhsa_memory_ordered 1
		.amdhsa_forward_progress 1
		.amdhsa_inst_pref_size 0
		.amdhsa_round_robin_scheduling 0
		.amdhsa_exception_fp_ieee_invalid_op 0
		.amdhsa_exception_fp_denorm_src 0
		.amdhsa_exception_fp_ieee_div_zero 0
		.amdhsa_exception_fp_ieee_overflow 0
		.amdhsa_exception_fp_ieee_underflow 0
		.amdhsa_exception_fp_ieee_inexact 0
		.amdhsa_exception_int_div_zero 0
	.end_amdhsa_kernel
	.section	.text._ZN7rocprim17ROCPRIM_400000_NS6detail17trampoline_kernelINS0_14default_configENS1_33run_length_encode_config_selectorIfjNS0_4plusIjEEEEZZNS1_33reduce_by_key_impl_wrapped_configILNS1_25lookback_scan_determinismE0ES3_S7_PKfNS0_17constant_iteratorIjlEEPfPlSF_S6_NS0_8equal_toIfEEEE10hipError_tPvRmT2_T3_mT4_T5_T6_T7_T8_P12ihipStream_tbENKUlT_T0_E_clISt17integral_constantIbLb1EESY_IbLb0EEEEDaSU_SV_EUlSU_E_NS1_11comp_targetILNS1_3genE9ELNS1_11target_archE1100ELNS1_3gpuE3ELNS1_3repE0EEENS1_30default_config_static_selectorELNS0_4arch9wavefront6targetE0EEEvT1_,"axG",@progbits,_ZN7rocprim17ROCPRIM_400000_NS6detail17trampoline_kernelINS0_14default_configENS1_33run_length_encode_config_selectorIfjNS0_4plusIjEEEEZZNS1_33reduce_by_key_impl_wrapped_configILNS1_25lookback_scan_determinismE0ES3_S7_PKfNS0_17constant_iteratorIjlEEPfPlSF_S6_NS0_8equal_toIfEEEE10hipError_tPvRmT2_T3_mT4_T5_T6_T7_T8_P12ihipStream_tbENKUlT_T0_E_clISt17integral_constantIbLb1EESY_IbLb0EEEEDaSU_SV_EUlSU_E_NS1_11comp_targetILNS1_3genE9ELNS1_11target_archE1100ELNS1_3gpuE3ELNS1_3repE0EEENS1_30default_config_static_selectorELNS0_4arch9wavefront6targetE0EEEvT1_,comdat
.Lfunc_end398:
	.size	_ZN7rocprim17ROCPRIM_400000_NS6detail17trampoline_kernelINS0_14default_configENS1_33run_length_encode_config_selectorIfjNS0_4plusIjEEEEZZNS1_33reduce_by_key_impl_wrapped_configILNS1_25lookback_scan_determinismE0ES3_S7_PKfNS0_17constant_iteratorIjlEEPfPlSF_S6_NS0_8equal_toIfEEEE10hipError_tPvRmT2_T3_mT4_T5_T6_T7_T8_P12ihipStream_tbENKUlT_T0_E_clISt17integral_constantIbLb1EESY_IbLb0EEEEDaSU_SV_EUlSU_E_NS1_11comp_targetILNS1_3genE9ELNS1_11target_archE1100ELNS1_3gpuE3ELNS1_3repE0EEENS1_30default_config_static_selectorELNS0_4arch9wavefront6targetE0EEEvT1_, .Lfunc_end398-_ZN7rocprim17ROCPRIM_400000_NS6detail17trampoline_kernelINS0_14default_configENS1_33run_length_encode_config_selectorIfjNS0_4plusIjEEEEZZNS1_33reduce_by_key_impl_wrapped_configILNS1_25lookback_scan_determinismE0ES3_S7_PKfNS0_17constant_iteratorIjlEEPfPlSF_S6_NS0_8equal_toIfEEEE10hipError_tPvRmT2_T3_mT4_T5_T6_T7_T8_P12ihipStream_tbENKUlT_T0_E_clISt17integral_constantIbLb1EESY_IbLb0EEEEDaSU_SV_EUlSU_E_NS1_11comp_targetILNS1_3genE9ELNS1_11target_archE1100ELNS1_3gpuE3ELNS1_3repE0EEENS1_30default_config_static_selectorELNS0_4arch9wavefront6targetE0EEEvT1_
                                        ; -- End function
	.set _ZN7rocprim17ROCPRIM_400000_NS6detail17trampoline_kernelINS0_14default_configENS1_33run_length_encode_config_selectorIfjNS0_4plusIjEEEEZZNS1_33reduce_by_key_impl_wrapped_configILNS1_25lookback_scan_determinismE0ES3_S7_PKfNS0_17constant_iteratorIjlEEPfPlSF_S6_NS0_8equal_toIfEEEE10hipError_tPvRmT2_T3_mT4_T5_T6_T7_T8_P12ihipStream_tbENKUlT_T0_E_clISt17integral_constantIbLb1EESY_IbLb0EEEEDaSU_SV_EUlSU_E_NS1_11comp_targetILNS1_3genE9ELNS1_11target_archE1100ELNS1_3gpuE3ELNS1_3repE0EEENS1_30default_config_static_selectorELNS0_4arch9wavefront6targetE0EEEvT1_.num_vgpr, 0
	.set _ZN7rocprim17ROCPRIM_400000_NS6detail17trampoline_kernelINS0_14default_configENS1_33run_length_encode_config_selectorIfjNS0_4plusIjEEEEZZNS1_33reduce_by_key_impl_wrapped_configILNS1_25lookback_scan_determinismE0ES3_S7_PKfNS0_17constant_iteratorIjlEEPfPlSF_S6_NS0_8equal_toIfEEEE10hipError_tPvRmT2_T3_mT4_T5_T6_T7_T8_P12ihipStream_tbENKUlT_T0_E_clISt17integral_constantIbLb1EESY_IbLb0EEEEDaSU_SV_EUlSU_E_NS1_11comp_targetILNS1_3genE9ELNS1_11target_archE1100ELNS1_3gpuE3ELNS1_3repE0EEENS1_30default_config_static_selectorELNS0_4arch9wavefront6targetE0EEEvT1_.num_agpr, 0
	.set _ZN7rocprim17ROCPRIM_400000_NS6detail17trampoline_kernelINS0_14default_configENS1_33run_length_encode_config_selectorIfjNS0_4plusIjEEEEZZNS1_33reduce_by_key_impl_wrapped_configILNS1_25lookback_scan_determinismE0ES3_S7_PKfNS0_17constant_iteratorIjlEEPfPlSF_S6_NS0_8equal_toIfEEEE10hipError_tPvRmT2_T3_mT4_T5_T6_T7_T8_P12ihipStream_tbENKUlT_T0_E_clISt17integral_constantIbLb1EESY_IbLb0EEEEDaSU_SV_EUlSU_E_NS1_11comp_targetILNS1_3genE9ELNS1_11target_archE1100ELNS1_3gpuE3ELNS1_3repE0EEENS1_30default_config_static_selectorELNS0_4arch9wavefront6targetE0EEEvT1_.numbered_sgpr, 0
	.set _ZN7rocprim17ROCPRIM_400000_NS6detail17trampoline_kernelINS0_14default_configENS1_33run_length_encode_config_selectorIfjNS0_4plusIjEEEEZZNS1_33reduce_by_key_impl_wrapped_configILNS1_25lookback_scan_determinismE0ES3_S7_PKfNS0_17constant_iteratorIjlEEPfPlSF_S6_NS0_8equal_toIfEEEE10hipError_tPvRmT2_T3_mT4_T5_T6_T7_T8_P12ihipStream_tbENKUlT_T0_E_clISt17integral_constantIbLb1EESY_IbLb0EEEEDaSU_SV_EUlSU_E_NS1_11comp_targetILNS1_3genE9ELNS1_11target_archE1100ELNS1_3gpuE3ELNS1_3repE0EEENS1_30default_config_static_selectorELNS0_4arch9wavefront6targetE0EEEvT1_.num_named_barrier, 0
	.set _ZN7rocprim17ROCPRIM_400000_NS6detail17trampoline_kernelINS0_14default_configENS1_33run_length_encode_config_selectorIfjNS0_4plusIjEEEEZZNS1_33reduce_by_key_impl_wrapped_configILNS1_25lookback_scan_determinismE0ES3_S7_PKfNS0_17constant_iteratorIjlEEPfPlSF_S6_NS0_8equal_toIfEEEE10hipError_tPvRmT2_T3_mT4_T5_T6_T7_T8_P12ihipStream_tbENKUlT_T0_E_clISt17integral_constantIbLb1EESY_IbLb0EEEEDaSU_SV_EUlSU_E_NS1_11comp_targetILNS1_3genE9ELNS1_11target_archE1100ELNS1_3gpuE3ELNS1_3repE0EEENS1_30default_config_static_selectorELNS0_4arch9wavefront6targetE0EEEvT1_.private_seg_size, 0
	.set _ZN7rocprim17ROCPRIM_400000_NS6detail17trampoline_kernelINS0_14default_configENS1_33run_length_encode_config_selectorIfjNS0_4plusIjEEEEZZNS1_33reduce_by_key_impl_wrapped_configILNS1_25lookback_scan_determinismE0ES3_S7_PKfNS0_17constant_iteratorIjlEEPfPlSF_S6_NS0_8equal_toIfEEEE10hipError_tPvRmT2_T3_mT4_T5_T6_T7_T8_P12ihipStream_tbENKUlT_T0_E_clISt17integral_constantIbLb1EESY_IbLb0EEEEDaSU_SV_EUlSU_E_NS1_11comp_targetILNS1_3genE9ELNS1_11target_archE1100ELNS1_3gpuE3ELNS1_3repE0EEENS1_30default_config_static_selectorELNS0_4arch9wavefront6targetE0EEEvT1_.uses_vcc, 0
	.set _ZN7rocprim17ROCPRIM_400000_NS6detail17trampoline_kernelINS0_14default_configENS1_33run_length_encode_config_selectorIfjNS0_4plusIjEEEEZZNS1_33reduce_by_key_impl_wrapped_configILNS1_25lookback_scan_determinismE0ES3_S7_PKfNS0_17constant_iteratorIjlEEPfPlSF_S6_NS0_8equal_toIfEEEE10hipError_tPvRmT2_T3_mT4_T5_T6_T7_T8_P12ihipStream_tbENKUlT_T0_E_clISt17integral_constantIbLb1EESY_IbLb0EEEEDaSU_SV_EUlSU_E_NS1_11comp_targetILNS1_3genE9ELNS1_11target_archE1100ELNS1_3gpuE3ELNS1_3repE0EEENS1_30default_config_static_selectorELNS0_4arch9wavefront6targetE0EEEvT1_.uses_flat_scratch, 0
	.set _ZN7rocprim17ROCPRIM_400000_NS6detail17trampoline_kernelINS0_14default_configENS1_33run_length_encode_config_selectorIfjNS0_4plusIjEEEEZZNS1_33reduce_by_key_impl_wrapped_configILNS1_25lookback_scan_determinismE0ES3_S7_PKfNS0_17constant_iteratorIjlEEPfPlSF_S6_NS0_8equal_toIfEEEE10hipError_tPvRmT2_T3_mT4_T5_T6_T7_T8_P12ihipStream_tbENKUlT_T0_E_clISt17integral_constantIbLb1EESY_IbLb0EEEEDaSU_SV_EUlSU_E_NS1_11comp_targetILNS1_3genE9ELNS1_11target_archE1100ELNS1_3gpuE3ELNS1_3repE0EEENS1_30default_config_static_selectorELNS0_4arch9wavefront6targetE0EEEvT1_.has_dyn_sized_stack, 0
	.set _ZN7rocprim17ROCPRIM_400000_NS6detail17trampoline_kernelINS0_14default_configENS1_33run_length_encode_config_selectorIfjNS0_4plusIjEEEEZZNS1_33reduce_by_key_impl_wrapped_configILNS1_25lookback_scan_determinismE0ES3_S7_PKfNS0_17constant_iteratorIjlEEPfPlSF_S6_NS0_8equal_toIfEEEE10hipError_tPvRmT2_T3_mT4_T5_T6_T7_T8_P12ihipStream_tbENKUlT_T0_E_clISt17integral_constantIbLb1EESY_IbLb0EEEEDaSU_SV_EUlSU_E_NS1_11comp_targetILNS1_3genE9ELNS1_11target_archE1100ELNS1_3gpuE3ELNS1_3repE0EEENS1_30default_config_static_selectorELNS0_4arch9wavefront6targetE0EEEvT1_.has_recursion, 0
	.set _ZN7rocprim17ROCPRIM_400000_NS6detail17trampoline_kernelINS0_14default_configENS1_33run_length_encode_config_selectorIfjNS0_4plusIjEEEEZZNS1_33reduce_by_key_impl_wrapped_configILNS1_25lookback_scan_determinismE0ES3_S7_PKfNS0_17constant_iteratorIjlEEPfPlSF_S6_NS0_8equal_toIfEEEE10hipError_tPvRmT2_T3_mT4_T5_T6_T7_T8_P12ihipStream_tbENKUlT_T0_E_clISt17integral_constantIbLb1EESY_IbLb0EEEEDaSU_SV_EUlSU_E_NS1_11comp_targetILNS1_3genE9ELNS1_11target_archE1100ELNS1_3gpuE3ELNS1_3repE0EEENS1_30default_config_static_selectorELNS0_4arch9wavefront6targetE0EEEvT1_.has_indirect_call, 0
	.section	.AMDGPU.csdata,"",@progbits
; Kernel info:
; codeLenInByte = 0
; TotalNumSgprs: 0
; NumVgprs: 0
; ScratchSize: 0
; MemoryBound: 0
; FloatMode: 240
; IeeeMode: 1
; LDSByteSize: 0 bytes/workgroup (compile time only)
; SGPRBlocks: 0
; VGPRBlocks: 0
; NumSGPRsForWavesPerEU: 1
; NumVGPRsForWavesPerEU: 1
; NamedBarCnt: 0
; Occupancy: 16
; WaveLimiterHint : 0
; COMPUTE_PGM_RSRC2:SCRATCH_EN: 0
; COMPUTE_PGM_RSRC2:USER_SGPR: 2
; COMPUTE_PGM_RSRC2:TRAP_HANDLER: 0
; COMPUTE_PGM_RSRC2:TGID_X_EN: 1
; COMPUTE_PGM_RSRC2:TGID_Y_EN: 0
; COMPUTE_PGM_RSRC2:TGID_Z_EN: 0
; COMPUTE_PGM_RSRC2:TIDIG_COMP_CNT: 0
	.section	.text._ZN7rocprim17ROCPRIM_400000_NS6detail17trampoline_kernelINS0_14default_configENS1_33run_length_encode_config_selectorIfjNS0_4plusIjEEEEZZNS1_33reduce_by_key_impl_wrapped_configILNS1_25lookback_scan_determinismE0ES3_S7_PKfNS0_17constant_iteratorIjlEEPfPlSF_S6_NS0_8equal_toIfEEEE10hipError_tPvRmT2_T3_mT4_T5_T6_T7_T8_P12ihipStream_tbENKUlT_T0_E_clISt17integral_constantIbLb1EESY_IbLb0EEEEDaSU_SV_EUlSU_E_NS1_11comp_targetILNS1_3genE8ELNS1_11target_archE1030ELNS1_3gpuE2ELNS1_3repE0EEENS1_30default_config_static_selectorELNS0_4arch9wavefront6targetE0EEEvT1_,"axG",@progbits,_ZN7rocprim17ROCPRIM_400000_NS6detail17trampoline_kernelINS0_14default_configENS1_33run_length_encode_config_selectorIfjNS0_4plusIjEEEEZZNS1_33reduce_by_key_impl_wrapped_configILNS1_25lookback_scan_determinismE0ES3_S7_PKfNS0_17constant_iteratorIjlEEPfPlSF_S6_NS0_8equal_toIfEEEE10hipError_tPvRmT2_T3_mT4_T5_T6_T7_T8_P12ihipStream_tbENKUlT_T0_E_clISt17integral_constantIbLb1EESY_IbLb0EEEEDaSU_SV_EUlSU_E_NS1_11comp_targetILNS1_3genE8ELNS1_11target_archE1030ELNS1_3gpuE2ELNS1_3repE0EEENS1_30default_config_static_selectorELNS0_4arch9wavefront6targetE0EEEvT1_,comdat
	.protected	_ZN7rocprim17ROCPRIM_400000_NS6detail17trampoline_kernelINS0_14default_configENS1_33run_length_encode_config_selectorIfjNS0_4plusIjEEEEZZNS1_33reduce_by_key_impl_wrapped_configILNS1_25lookback_scan_determinismE0ES3_S7_PKfNS0_17constant_iteratorIjlEEPfPlSF_S6_NS0_8equal_toIfEEEE10hipError_tPvRmT2_T3_mT4_T5_T6_T7_T8_P12ihipStream_tbENKUlT_T0_E_clISt17integral_constantIbLb1EESY_IbLb0EEEEDaSU_SV_EUlSU_E_NS1_11comp_targetILNS1_3genE8ELNS1_11target_archE1030ELNS1_3gpuE2ELNS1_3repE0EEENS1_30default_config_static_selectorELNS0_4arch9wavefront6targetE0EEEvT1_ ; -- Begin function _ZN7rocprim17ROCPRIM_400000_NS6detail17trampoline_kernelINS0_14default_configENS1_33run_length_encode_config_selectorIfjNS0_4plusIjEEEEZZNS1_33reduce_by_key_impl_wrapped_configILNS1_25lookback_scan_determinismE0ES3_S7_PKfNS0_17constant_iteratorIjlEEPfPlSF_S6_NS0_8equal_toIfEEEE10hipError_tPvRmT2_T3_mT4_T5_T6_T7_T8_P12ihipStream_tbENKUlT_T0_E_clISt17integral_constantIbLb1EESY_IbLb0EEEEDaSU_SV_EUlSU_E_NS1_11comp_targetILNS1_3genE8ELNS1_11target_archE1030ELNS1_3gpuE2ELNS1_3repE0EEENS1_30default_config_static_selectorELNS0_4arch9wavefront6targetE0EEEvT1_
	.globl	_ZN7rocprim17ROCPRIM_400000_NS6detail17trampoline_kernelINS0_14default_configENS1_33run_length_encode_config_selectorIfjNS0_4plusIjEEEEZZNS1_33reduce_by_key_impl_wrapped_configILNS1_25lookback_scan_determinismE0ES3_S7_PKfNS0_17constant_iteratorIjlEEPfPlSF_S6_NS0_8equal_toIfEEEE10hipError_tPvRmT2_T3_mT4_T5_T6_T7_T8_P12ihipStream_tbENKUlT_T0_E_clISt17integral_constantIbLb1EESY_IbLb0EEEEDaSU_SV_EUlSU_E_NS1_11comp_targetILNS1_3genE8ELNS1_11target_archE1030ELNS1_3gpuE2ELNS1_3repE0EEENS1_30default_config_static_selectorELNS0_4arch9wavefront6targetE0EEEvT1_
	.p2align	8
	.type	_ZN7rocprim17ROCPRIM_400000_NS6detail17trampoline_kernelINS0_14default_configENS1_33run_length_encode_config_selectorIfjNS0_4plusIjEEEEZZNS1_33reduce_by_key_impl_wrapped_configILNS1_25lookback_scan_determinismE0ES3_S7_PKfNS0_17constant_iteratorIjlEEPfPlSF_S6_NS0_8equal_toIfEEEE10hipError_tPvRmT2_T3_mT4_T5_T6_T7_T8_P12ihipStream_tbENKUlT_T0_E_clISt17integral_constantIbLb1EESY_IbLb0EEEEDaSU_SV_EUlSU_E_NS1_11comp_targetILNS1_3genE8ELNS1_11target_archE1030ELNS1_3gpuE2ELNS1_3repE0EEENS1_30default_config_static_selectorELNS0_4arch9wavefront6targetE0EEEvT1_,@function
_ZN7rocprim17ROCPRIM_400000_NS6detail17trampoline_kernelINS0_14default_configENS1_33run_length_encode_config_selectorIfjNS0_4plusIjEEEEZZNS1_33reduce_by_key_impl_wrapped_configILNS1_25lookback_scan_determinismE0ES3_S7_PKfNS0_17constant_iteratorIjlEEPfPlSF_S6_NS0_8equal_toIfEEEE10hipError_tPvRmT2_T3_mT4_T5_T6_T7_T8_P12ihipStream_tbENKUlT_T0_E_clISt17integral_constantIbLb1EESY_IbLb0EEEEDaSU_SV_EUlSU_E_NS1_11comp_targetILNS1_3genE8ELNS1_11target_archE1030ELNS1_3gpuE2ELNS1_3repE0EEENS1_30default_config_static_selectorELNS0_4arch9wavefront6targetE0EEEvT1_: ; @_ZN7rocprim17ROCPRIM_400000_NS6detail17trampoline_kernelINS0_14default_configENS1_33run_length_encode_config_selectorIfjNS0_4plusIjEEEEZZNS1_33reduce_by_key_impl_wrapped_configILNS1_25lookback_scan_determinismE0ES3_S7_PKfNS0_17constant_iteratorIjlEEPfPlSF_S6_NS0_8equal_toIfEEEE10hipError_tPvRmT2_T3_mT4_T5_T6_T7_T8_P12ihipStream_tbENKUlT_T0_E_clISt17integral_constantIbLb1EESY_IbLb0EEEEDaSU_SV_EUlSU_E_NS1_11comp_targetILNS1_3genE8ELNS1_11target_archE1030ELNS1_3gpuE2ELNS1_3repE0EEENS1_30default_config_static_selectorELNS0_4arch9wavefront6targetE0EEEvT1_
; %bb.0:
	.section	.rodata,"a",@progbits
	.p2align	6, 0x0
	.amdhsa_kernel _ZN7rocprim17ROCPRIM_400000_NS6detail17trampoline_kernelINS0_14default_configENS1_33run_length_encode_config_selectorIfjNS0_4plusIjEEEEZZNS1_33reduce_by_key_impl_wrapped_configILNS1_25lookback_scan_determinismE0ES3_S7_PKfNS0_17constant_iteratorIjlEEPfPlSF_S6_NS0_8equal_toIfEEEE10hipError_tPvRmT2_T3_mT4_T5_T6_T7_T8_P12ihipStream_tbENKUlT_T0_E_clISt17integral_constantIbLb1EESY_IbLb0EEEEDaSU_SV_EUlSU_E_NS1_11comp_targetILNS1_3genE8ELNS1_11target_archE1030ELNS1_3gpuE2ELNS1_3repE0EEENS1_30default_config_static_selectorELNS0_4arch9wavefront6targetE0EEEvT1_
		.amdhsa_group_segment_fixed_size 0
		.amdhsa_private_segment_fixed_size 0
		.amdhsa_kernarg_size 128
		.amdhsa_user_sgpr_count 2
		.amdhsa_user_sgpr_dispatch_ptr 0
		.amdhsa_user_sgpr_queue_ptr 0
		.amdhsa_user_sgpr_kernarg_segment_ptr 1
		.amdhsa_user_sgpr_dispatch_id 0
		.amdhsa_user_sgpr_kernarg_preload_length 0
		.amdhsa_user_sgpr_kernarg_preload_offset 0
		.amdhsa_user_sgpr_private_segment_size 0
		.amdhsa_wavefront_size32 1
		.amdhsa_uses_dynamic_stack 0
		.amdhsa_enable_private_segment 0
		.amdhsa_system_sgpr_workgroup_id_x 1
		.amdhsa_system_sgpr_workgroup_id_y 0
		.amdhsa_system_sgpr_workgroup_id_z 0
		.amdhsa_system_sgpr_workgroup_info 0
		.amdhsa_system_vgpr_workitem_id 0
		.amdhsa_next_free_vgpr 1
		.amdhsa_next_free_sgpr 1
		.amdhsa_named_barrier_count 0
		.amdhsa_reserve_vcc 0
		.amdhsa_float_round_mode_32 0
		.amdhsa_float_round_mode_16_64 0
		.amdhsa_float_denorm_mode_32 3
		.amdhsa_float_denorm_mode_16_64 3
		.amdhsa_fp16_overflow 0
		.amdhsa_memory_ordered 1
		.amdhsa_forward_progress 1
		.amdhsa_inst_pref_size 0
		.amdhsa_round_robin_scheduling 0
		.amdhsa_exception_fp_ieee_invalid_op 0
		.amdhsa_exception_fp_denorm_src 0
		.amdhsa_exception_fp_ieee_div_zero 0
		.amdhsa_exception_fp_ieee_overflow 0
		.amdhsa_exception_fp_ieee_underflow 0
		.amdhsa_exception_fp_ieee_inexact 0
		.amdhsa_exception_int_div_zero 0
	.end_amdhsa_kernel
	.section	.text._ZN7rocprim17ROCPRIM_400000_NS6detail17trampoline_kernelINS0_14default_configENS1_33run_length_encode_config_selectorIfjNS0_4plusIjEEEEZZNS1_33reduce_by_key_impl_wrapped_configILNS1_25lookback_scan_determinismE0ES3_S7_PKfNS0_17constant_iteratorIjlEEPfPlSF_S6_NS0_8equal_toIfEEEE10hipError_tPvRmT2_T3_mT4_T5_T6_T7_T8_P12ihipStream_tbENKUlT_T0_E_clISt17integral_constantIbLb1EESY_IbLb0EEEEDaSU_SV_EUlSU_E_NS1_11comp_targetILNS1_3genE8ELNS1_11target_archE1030ELNS1_3gpuE2ELNS1_3repE0EEENS1_30default_config_static_selectorELNS0_4arch9wavefront6targetE0EEEvT1_,"axG",@progbits,_ZN7rocprim17ROCPRIM_400000_NS6detail17trampoline_kernelINS0_14default_configENS1_33run_length_encode_config_selectorIfjNS0_4plusIjEEEEZZNS1_33reduce_by_key_impl_wrapped_configILNS1_25lookback_scan_determinismE0ES3_S7_PKfNS0_17constant_iteratorIjlEEPfPlSF_S6_NS0_8equal_toIfEEEE10hipError_tPvRmT2_T3_mT4_T5_T6_T7_T8_P12ihipStream_tbENKUlT_T0_E_clISt17integral_constantIbLb1EESY_IbLb0EEEEDaSU_SV_EUlSU_E_NS1_11comp_targetILNS1_3genE8ELNS1_11target_archE1030ELNS1_3gpuE2ELNS1_3repE0EEENS1_30default_config_static_selectorELNS0_4arch9wavefront6targetE0EEEvT1_,comdat
.Lfunc_end399:
	.size	_ZN7rocprim17ROCPRIM_400000_NS6detail17trampoline_kernelINS0_14default_configENS1_33run_length_encode_config_selectorIfjNS0_4plusIjEEEEZZNS1_33reduce_by_key_impl_wrapped_configILNS1_25lookback_scan_determinismE0ES3_S7_PKfNS0_17constant_iteratorIjlEEPfPlSF_S6_NS0_8equal_toIfEEEE10hipError_tPvRmT2_T3_mT4_T5_T6_T7_T8_P12ihipStream_tbENKUlT_T0_E_clISt17integral_constantIbLb1EESY_IbLb0EEEEDaSU_SV_EUlSU_E_NS1_11comp_targetILNS1_3genE8ELNS1_11target_archE1030ELNS1_3gpuE2ELNS1_3repE0EEENS1_30default_config_static_selectorELNS0_4arch9wavefront6targetE0EEEvT1_, .Lfunc_end399-_ZN7rocprim17ROCPRIM_400000_NS6detail17trampoline_kernelINS0_14default_configENS1_33run_length_encode_config_selectorIfjNS0_4plusIjEEEEZZNS1_33reduce_by_key_impl_wrapped_configILNS1_25lookback_scan_determinismE0ES3_S7_PKfNS0_17constant_iteratorIjlEEPfPlSF_S6_NS0_8equal_toIfEEEE10hipError_tPvRmT2_T3_mT4_T5_T6_T7_T8_P12ihipStream_tbENKUlT_T0_E_clISt17integral_constantIbLb1EESY_IbLb0EEEEDaSU_SV_EUlSU_E_NS1_11comp_targetILNS1_3genE8ELNS1_11target_archE1030ELNS1_3gpuE2ELNS1_3repE0EEENS1_30default_config_static_selectorELNS0_4arch9wavefront6targetE0EEEvT1_
                                        ; -- End function
	.set _ZN7rocprim17ROCPRIM_400000_NS6detail17trampoline_kernelINS0_14default_configENS1_33run_length_encode_config_selectorIfjNS0_4plusIjEEEEZZNS1_33reduce_by_key_impl_wrapped_configILNS1_25lookback_scan_determinismE0ES3_S7_PKfNS0_17constant_iteratorIjlEEPfPlSF_S6_NS0_8equal_toIfEEEE10hipError_tPvRmT2_T3_mT4_T5_T6_T7_T8_P12ihipStream_tbENKUlT_T0_E_clISt17integral_constantIbLb1EESY_IbLb0EEEEDaSU_SV_EUlSU_E_NS1_11comp_targetILNS1_3genE8ELNS1_11target_archE1030ELNS1_3gpuE2ELNS1_3repE0EEENS1_30default_config_static_selectorELNS0_4arch9wavefront6targetE0EEEvT1_.num_vgpr, 0
	.set _ZN7rocprim17ROCPRIM_400000_NS6detail17trampoline_kernelINS0_14default_configENS1_33run_length_encode_config_selectorIfjNS0_4plusIjEEEEZZNS1_33reduce_by_key_impl_wrapped_configILNS1_25lookback_scan_determinismE0ES3_S7_PKfNS0_17constant_iteratorIjlEEPfPlSF_S6_NS0_8equal_toIfEEEE10hipError_tPvRmT2_T3_mT4_T5_T6_T7_T8_P12ihipStream_tbENKUlT_T0_E_clISt17integral_constantIbLb1EESY_IbLb0EEEEDaSU_SV_EUlSU_E_NS1_11comp_targetILNS1_3genE8ELNS1_11target_archE1030ELNS1_3gpuE2ELNS1_3repE0EEENS1_30default_config_static_selectorELNS0_4arch9wavefront6targetE0EEEvT1_.num_agpr, 0
	.set _ZN7rocprim17ROCPRIM_400000_NS6detail17trampoline_kernelINS0_14default_configENS1_33run_length_encode_config_selectorIfjNS0_4plusIjEEEEZZNS1_33reduce_by_key_impl_wrapped_configILNS1_25lookback_scan_determinismE0ES3_S7_PKfNS0_17constant_iteratorIjlEEPfPlSF_S6_NS0_8equal_toIfEEEE10hipError_tPvRmT2_T3_mT4_T5_T6_T7_T8_P12ihipStream_tbENKUlT_T0_E_clISt17integral_constantIbLb1EESY_IbLb0EEEEDaSU_SV_EUlSU_E_NS1_11comp_targetILNS1_3genE8ELNS1_11target_archE1030ELNS1_3gpuE2ELNS1_3repE0EEENS1_30default_config_static_selectorELNS0_4arch9wavefront6targetE0EEEvT1_.numbered_sgpr, 0
	.set _ZN7rocprim17ROCPRIM_400000_NS6detail17trampoline_kernelINS0_14default_configENS1_33run_length_encode_config_selectorIfjNS0_4plusIjEEEEZZNS1_33reduce_by_key_impl_wrapped_configILNS1_25lookback_scan_determinismE0ES3_S7_PKfNS0_17constant_iteratorIjlEEPfPlSF_S6_NS0_8equal_toIfEEEE10hipError_tPvRmT2_T3_mT4_T5_T6_T7_T8_P12ihipStream_tbENKUlT_T0_E_clISt17integral_constantIbLb1EESY_IbLb0EEEEDaSU_SV_EUlSU_E_NS1_11comp_targetILNS1_3genE8ELNS1_11target_archE1030ELNS1_3gpuE2ELNS1_3repE0EEENS1_30default_config_static_selectorELNS0_4arch9wavefront6targetE0EEEvT1_.num_named_barrier, 0
	.set _ZN7rocprim17ROCPRIM_400000_NS6detail17trampoline_kernelINS0_14default_configENS1_33run_length_encode_config_selectorIfjNS0_4plusIjEEEEZZNS1_33reduce_by_key_impl_wrapped_configILNS1_25lookback_scan_determinismE0ES3_S7_PKfNS0_17constant_iteratorIjlEEPfPlSF_S6_NS0_8equal_toIfEEEE10hipError_tPvRmT2_T3_mT4_T5_T6_T7_T8_P12ihipStream_tbENKUlT_T0_E_clISt17integral_constantIbLb1EESY_IbLb0EEEEDaSU_SV_EUlSU_E_NS1_11comp_targetILNS1_3genE8ELNS1_11target_archE1030ELNS1_3gpuE2ELNS1_3repE0EEENS1_30default_config_static_selectorELNS0_4arch9wavefront6targetE0EEEvT1_.private_seg_size, 0
	.set _ZN7rocprim17ROCPRIM_400000_NS6detail17trampoline_kernelINS0_14default_configENS1_33run_length_encode_config_selectorIfjNS0_4plusIjEEEEZZNS1_33reduce_by_key_impl_wrapped_configILNS1_25lookback_scan_determinismE0ES3_S7_PKfNS0_17constant_iteratorIjlEEPfPlSF_S6_NS0_8equal_toIfEEEE10hipError_tPvRmT2_T3_mT4_T5_T6_T7_T8_P12ihipStream_tbENKUlT_T0_E_clISt17integral_constantIbLb1EESY_IbLb0EEEEDaSU_SV_EUlSU_E_NS1_11comp_targetILNS1_3genE8ELNS1_11target_archE1030ELNS1_3gpuE2ELNS1_3repE0EEENS1_30default_config_static_selectorELNS0_4arch9wavefront6targetE0EEEvT1_.uses_vcc, 0
	.set _ZN7rocprim17ROCPRIM_400000_NS6detail17trampoline_kernelINS0_14default_configENS1_33run_length_encode_config_selectorIfjNS0_4plusIjEEEEZZNS1_33reduce_by_key_impl_wrapped_configILNS1_25lookback_scan_determinismE0ES3_S7_PKfNS0_17constant_iteratorIjlEEPfPlSF_S6_NS0_8equal_toIfEEEE10hipError_tPvRmT2_T3_mT4_T5_T6_T7_T8_P12ihipStream_tbENKUlT_T0_E_clISt17integral_constantIbLb1EESY_IbLb0EEEEDaSU_SV_EUlSU_E_NS1_11comp_targetILNS1_3genE8ELNS1_11target_archE1030ELNS1_3gpuE2ELNS1_3repE0EEENS1_30default_config_static_selectorELNS0_4arch9wavefront6targetE0EEEvT1_.uses_flat_scratch, 0
	.set _ZN7rocprim17ROCPRIM_400000_NS6detail17trampoline_kernelINS0_14default_configENS1_33run_length_encode_config_selectorIfjNS0_4plusIjEEEEZZNS1_33reduce_by_key_impl_wrapped_configILNS1_25lookback_scan_determinismE0ES3_S7_PKfNS0_17constant_iteratorIjlEEPfPlSF_S6_NS0_8equal_toIfEEEE10hipError_tPvRmT2_T3_mT4_T5_T6_T7_T8_P12ihipStream_tbENKUlT_T0_E_clISt17integral_constantIbLb1EESY_IbLb0EEEEDaSU_SV_EUlSU_E_NS1_11comp_targetILNS1_3genE8ELNS1_11target_archE1030ELNS1_3gpuE2ELNS1_3repE0EEENS1_30default_config_static_selectorELNS0_4arch9wavefront6targetE0EEEvT1_.has_dyn_sized_stack, 0
	.set _ZN7rocprim17ROCPRIM_400000_NS6detail17trampoline_kernelINS0_14default_configENS1_33run_length_encode_config_selectorIfjNS0_4plusIjEEEEZZNS1_33reduce_by_key_impl_wrapped_configILNS1_25lookback_scan_determinismE0ES3_S7_PKfNS0_17constant_iteratorIjlEEPfPlSF_S6_NS0_8equal_toIfEEEE10hipError_tPvRmT2_T3_mT4_T5_T6_T7_T8_P12ihipStream_tbENKUlT_T0_E_clISt17integral_constantIbLb1EESY_IbLb0EEEEDaSU_SV_EUlSU_E_NS1_11comp_targetILNS1_3genE8ELNS1_11target_archE1030ELNS1_3gpuE2ELNS1_3repE0EEENS1_30default_config_static_selectorELNS0_4arch9wavefront6targetE0EEEvT1_.has_recursion, 0
	.set _ZN7rocprim17ROCPRIM_400000_NS6detail17trampoline_kernelINS0_14default_configENS1_33run_length_encode_config_selectorIfjNS0_4plusIjEEEEZZNS1_33reduce_by_key_impl_wrapped_configILNS1_25lookback_scan_determinismE0ES3_S7_PKfNS0_17constant_iteratorIjlEEPfPlSF_S6_NS0_8equal_toIfEEEE10hipError_tPvRmT2_T3_mT4_T5_T6_T7_T8_P12ihipStream_tbENKUlT_T0_E_clISt17integral_constantIbLb1EESY_IbLb0EEEEDaSU_SV_EUlSU_E_NS1_11comp_targetILNS1_3genE8ELNS1_11target_archE1030ELNS1_3gpuE2ELNS1_3repE0EEENS1_30default_config_static_selectorELNS0_4arch9wavefront6targetE0EEEvT1_.has_indirect_call, 0
	.section	.AMDGPU.csdata,"",@progbits
; Kernel info:
; codeLenInByte = 0
; TotalNumSgprs: 0
; NumVgprs: 0
; ScratchSize: 0
; MemoryBound: 0
; FloatMode: 240
; IeeeMode: 1
; LDSByteSize: 0 bytes/workgroup (compile time only)
; SGPRBlocks: 0
; VGPRBlocks: 0
; NumSGPRsForWavesPerEU: 1
; NumVGPRsForWavesPerEU: 1
; NamedBarCnt: 0
; Occupancy: 16
; WaveLimiterHint : 0
; COMPUTE_PGM_RSRC2:SCRATCH_EN: 0
; COMPUTE_PGM_RSRC2:USER_SGPR: 2
; COMPUTE_PGM_RSRC2:TRAP_HANDLER: 0
; COMPUTE_PGM_RSRC2:TGID_X_EN: 1
; COMPUTE_PGM_RSRC2:TGID_Y_EN: 0
; COMPUTE_PGM_RSRC2:TGID_Z_EN: 0
; COMPUTE_PGM_RSRC2:TIDIG_COMP_CNT: 0
	.section	.text._ZN7rocprim17ROCPRIM_400000_NS6detail17trampoline_kernelINS0_14default_configENS1_33run_length_encode_config_selectorIfjNS0_4plusIjEEEEZZNS1_33reduce_by_key_impl_wrapped_configILNS1_25lookback_scan_determinismE0ES3_S7_PKfNS0_17constant_iteratorIjlEEPfPlSF_S6_NS0_8equal_toIfEEEE10hipError_tPvRmT2_T3_mT4_T5_T6_T7_T8_P12ihipStream_tbENKUlT_T0_E_clISt17integral_constantIbLb0EESY_IbLb1EEEEDaSU_SV_EUlSU_E_NS1_11comp_targetILNS1_3genE0ELNS1_11target_archE4294967295ELNS1_3gpuE0ELNS1_3repE0EEENS1_30default_config_static_selectorELNS0_4arch9wavefront6targetE0EEEvT1_,"axG",@progbits,_ZN7rocprim17ROCPRIM_400000_NS6detail17trampoline_kernelINS0_14default_configENS1_33run_length_encode_config_selectorIfjNS0_4plusIjEEEEZZNS1_33reduce_by_key_impl_wrapped_configILNS1_25lookback_scan_determinismE0ES3_S7_PKfNS0_17constant_iteratorIjlEEPfPlSF_S6_NS0_8equal_toIfEEEE10hipError_tPvRmT2_T3_mT4_T5_T6_T7_T8_P12ihipStream_tbENKUlT_T0_E_clISt17integral_constantIbLb0EESY_IbLb1EEEEDaSU_SV_EUlSU_E_NS1_11comp_targetILNS1_3genE0ELNS1_11target_archE4294967295ELNS1_3gpuE0ELNS1_3repE0EEENS1_30default_config_static_selectorELNS0_4arch9wavefront6targetE0EEEvT1_,comdat
	.protected	_ZN7rocprim17ROCPRIM_400000_NS6detail17trampoline_kernelINS0_14default_configENS1_33run_length_encode_config_selectorIfjNS0_4plusIjEEEEZZNS1_33reduce_by_key_impl_wrapped_configILNS1_25lookback_scan_determinismE0ES3_S7_PKfNS0_17constant_iteratorIjlEEPfPlSF_S6_NS0_8equal_toIfEEEE10hipError_tPvRmT2_T3_mT4_T5_T6_T7_T8_P12ihipStream_tbENKUlT_T0_E_clISt17integral_constantIbLb0EESY_IbLb1EEEEDaSU_SV_EUlSU_E_NS1_11comp_targetILNS1_3genE0ELNS1_11target_archE4294967295ELNS1_3gpuE0ELNS1_3repE0EEENS1_30default_config_static_selectorELNS0_4arch9wavefront6targetE0EEEvT1_ ; -- Begin function _ZN7rocprim17ROCPRIM_400000_NS6detail17trampoline_kernelINS0_14default_configENS1_33run_length_encode_config_selectorIfjNS0_4plusIjEEEEZZNS1_33reduce_by_key_impl_wrapped_configILNS1_25lookback_scan_determinismE0ES3_S7_PKfNS0_17constant_iteratorIjlEEPfPlSF_S6_NS0_8equal_toIfEEEE10hipError_tPvRmT2_T3_mT4_T5_T6_T7_T8_P12ihipStream_tbENKUlT_T0_E_clISt17integral_constantIbLb0EESY_IbLb1EEEEDaSU_SV_EUlSU_E_NS1_11comp_targetILNS1_3genE0ELNS1_11target_archE4294967295ELNS1_3gpuE0ELNS1_3repE0EEENS1_30default_config_static_selectorELNS0_4arch9wavefront6targetE0EEEvT1_
	.globl	_ZN7rocprim17ROCPRIM_400000_NS6detail17trampoline_kernelINS0_14default_configENS1_33run_length_encode_config_selectorIfjNS0_4plusIjEEEEZZNS1_33reduce_by_key_impl_wrapped_configILNS1_25lookback_scan_determinismE0ES3_S7_PKfNS0_17constant_iteratorIjlEEPfPlSF_S6_NS0_8equal_toIfEEEE10hipError_tPvRmT2_T3_mT4_T5_T6_T7_T8_P12ihipStream_tbENKUlT_T0_E_clISt17integral_constantIbLb0EESY_IbLb1EEEEDaSU_SV_EUlSU_E_NS1_11comp_targetILNS1_3genE0ELNS1_11target_archE4294967295ELNS1_3gpuE0ELNS1_3repE0EEENS1_30default_config_static_selectorELNS0_4arch9wavefront6targetE0EEEvT1_
	.p2align	8
	.type	_ZN7rocprim17ROCPRIM_400000_NS6detail17trampoline_kernelINS0_14default_configENS1_33run_length_encode_config_selectorIfjNS0_4plusIjEEEEZZNS1_33reduce_by_key_impl_wrapped_configILNS1_25lookback_scan_determinismE0ES3_S7_PKfNS0_17constant_iteratorIjlEEPfPlSF_S6_NS0_8equal_toIfEEEE10hipError_tPvRmT2_T3_mT4_T5_T6_T7_T8_P12ihipStream_tbENKUlT_T0_E_clISt17integral_constantIbLb0EESY_IbLb1EEEEDaSU_SV_EUlSU_E_NS1_11comp_targetILNS1_3genE0ELNS1_11target_archE4294967295ELNS1_3gpuE0ELNS1_3repE0EEENS1_30default_config_static_selectorELNS0_4arch9wavefront6targetE0EEEvT1_,@function
_ZN7rocprim17ROCPRIM_400000_NS6detail17trampoline_kernelINS0_14default_configENS1_33run_length_encode_config_selectorIfjNS0_4plusIjEEEEZZNS1_33reduce_by_key_impl_wrapped_configILNS1_25lookback_scan_determinismE0ES3_S7_PKfNS0_17constant_iteratorIjlEEPfPlSF_S6_NS0_8equal_toIfEEEE10hipError_tPvRmT2_T3_mT4_T5_T6_T7_T8_P12ihipStream_tbENKUlT_T0_E_clISt17integral_constantIbLb0EESY_IbLb1EEEEDaSU_SV_EUlSU_E_NS1_11comp_targetILNS1_3genE0ELNS1_11target_archE4294967295ELNS1_3gpuE0ELNS1_3repE0EEENS1_30default_config_static_selectorELNS0_4arch9wavefront6targetE0EEEvT1_: ; @_ZN7rocprim17ROCPRIM_400000_NS6detail17trampoline_kernelINS0_14default_configENS1_33run_length_encode_config_selectorIfjNS0_4plusIjEEEEZZNS1_33reduce_by_key_impl_wrapped_configILNS1_25lookback_scan_determinismE0ES3_S7_PKfNS0_17constant_iteratorIjlEEPfPlSF_S6_NS0_8equal_toIfEEEE10hipError_tPvRmT2_T3_mT4_T5_T6_T7_T8_P12ihipStream_tbENKUlT_T0_E_clISt17integral_constantIbLb0EESY_IbLb1EEEEDaSU_SV_EUlSU_E_NS1_11comp_targetILNS1_3genE0ELNS1_11target_archE4294967295ELNS1_3gpuE0ELNS1_3repE0EEENS1_30default_config_static_selectorELNS0_4arch9wavefront6targetE0EEEvT1_
; %bb.0:
	s_clause 0x5
	s_load_b32 s8, s[0:1], 0x10
	s_load_b128 s[28:31], s[0:1], 0x20
	s_load_b64 s[34:35], s[0:1], 0x30
	s_load_b64 s[36:37], s[0:1], 0x70
	s_load_b128 s[16:19], s[0:1], 0x60
	s_load_b256 s[20:27], s[0:1], 0x40
	v_cmp_ne_u32_e64 s3, 0, v0
	v_cmp_eq_u32_e64 s2, 0, v0
	s_and_saveexec_b32 s4, s2
	s_cbranch_execz .LBB400_4
; %bb.1:
	s_mov_b32 s6, exec_lo
	s_mov_b32 s5, exec_lo
	v_mbcnt_lo_u32_b32 v1, s6, 0
                                        ; implicit-def: $vgpr2
	s_delay_alu instid0(VALU_DEP_1)
	v_cmpx_eq_u32_e32 0, v1
	s_cbranch_execz .LBB400_3
; %bb.2:
	s_load_b64 s[10:11], s[0:1], 0x78
	s_bcnt1_i32_b32 s6, s6
	s_delay_alu instid0(SALU_CYCLE_1)
	v_dual_mov_b32 v2, 0 :: v_dual_mov_b32 v3, s6
	s_wait_xcnt 0x0
	s_wait_kmcnt 0x0
	global_atomic_add_u32 v2, v2, v3, s[10:11] th:TH_ATOMIC_RETURN scope:SCOPE_DEV
.LBB400_3:
	s_wait_xcnt 0x0
	s_or_b32 exec_lo, exec_lo, s5
	s_wait_loadcnt 0x0
	v_readfirstlane_b32 s5, v2
	s_delay_alu instid0(VALU_DEP_1)
	v_dual_mov_b32 v2, 0 :: v_dual_add_nc_u32 v1, s5, v1
	ds_store_b32 v2, v1
.LBB400_4:
	s_or_b32 exec_lo, exec_lo, s4
	v_mov_b32_e32 v3, 0
	s_wait_dscnt 0x0
	s_barrier_signal -1
	s_barrier_wait -1
	ds_load_b32 v1, v3
	s_load_b128 s[4:7], s[0:1], 0x0
	s_wait_kmcnt 0x0
	s_mul_u64 s[0:1], s[24:25], s[22:23]
	s_mov_b32 s25, 0
	s_wait_dscnt 0x0
	s_barrier_signal -1
	s_barrier_wait -1
	v_mul_lo_u32 v2, 0xe00, v1
	v_readfirstlane_b32 s24, v1
	s_lshl_b64 s[6:7], s[6:7], 2
	s_delay_alu instid0(SALU_CYCLE_1)
	s_add_nc_u64 s[4:5], s[4:5], s[6:7]
	s_add_nc_u64 s[6:7], s[26:27], -1
	s_add_nc_u64 s[14:15], s[0:1], s[24:25]
	s_mul_i32 s38, s6, 0xfffff200
	s_cmp_eq_u64 s[14:15], s[6:7]
	s_cselect_b32 s33, -1, 0
	v_lshlrev_b64_e32 v[2:3], 2, v[2:3]
	s_cmp_lg_u64 s[14:15], s[6:7]
	s_cselect_b32 s0, -1, 0
	s_and_b32 vcc_lo, exec_lo, s33
	s_delay_alu instid0(VALU_DEP_1)
	v_add_nc_u64_e32 v[14:15], s[4:5], v[2:3]
	s_cbranch_vccnz .LBB400_6
; %bb.5:
	s_delay_alu instid0(VALU_DEP_1) | instskip(NEXT) | instid1(VALU_DEP_2)
	v_readfirstlane_b32 s4, v14
	v_readfirstlane_b32 s5, v15
	v_lshlrev_b32_e32 v17, 2, v0
	s_mov_b32 s1, 0
	s_mov_b32 s25, -1
	s_clause 0xd
	global_load_b32 v1, v0, s[4:5] scale_offset
	global_load_b32 v2, v0, s[4:5] offset:1024 scale_offset
	global_load_b32 v3, v0, s[4:5] offset:2048 scale_offset
	;; [unrolled: 1-line block ×13, first 2 shown]
	v_mad_u32_u24 v18, v0, 52, v17
	s_wait_loadcnt 0xc
	ds_store_2addr_stride64_b32 v17, v1, v2 offset1:4
	s_wait_loadcnt 0xa
	ds_store_2addr_stride64_b32 v17, v3, v4 offset0:8 offset1:12
	s_wait_loadcnt 0x8
	ds_store_2addr_stride64_b32 v17, v5, v6 offset0:16 offset1:20
	s_wait_loadcnt 0x6
	ds_store_2addr_stride64_b32 v17, v7, v8 offset0:24 offset1:28
	s_wait_loadcnt 0x4
	ds_store_2addr_stride64_b32 v17, v9, v10 offset0:32 offset1:36
	s_wait_loadcnt 0x2
	ds_store_2addr_stride64_b32 v17, v11, v12 offset0:40 offset1:44
	s_wait_loadcnt 0x0
	ds_store_2addr_stride64_b32 v17, v13, v16 offset0:48 offset1:52
	s_wait_dscnt 0x0
	s_barrier_signal -1
	s_barrier_wait -1
	ds_load_2addr_b64 v[10:13], v18 offset1:1
	ds_load_2addr_b64 v[6:9], v18 offset0:2 offset1:3
	ds_load_2addr_b64 v[2:5], v18 offset0:4 offset1:5
	ds_load_b64 v[22:23], v18 offset:48
	s_wait_dscnt 0x3
	v_dual_mov_b32 v16, v10 :: v_dual_mov_b32 v17, v12
	s_wait_dscnt 0x2
	v_dual_mov_b32 v18, v6 :: v_dual_mov_b32 v19, v8
	;; [unrolled: 2-line block ×3, first 2 shown]
	s_branch .LBB400_7
.LBB400_6:
	s_mov_b32 s1, -1
                                        ; implicit-def: $vgpr4
                                        ; implicit-def: $vgpr8
                                        ; implicit-def: $vgpr12
                                        ; implicit-def: $vgpr22_vgpr23
                                        ; implicit-def: $vgpr20_vgpr21
                                        ; implicit-def: $vgpr18_vgpr19
                                        ; implicit-def: $vgpr16_vgpr17
.LBB400_7:
	v_dual_mov_b32 v1, s8 :: v_dual_mov_b32 v50, s8
	v_dual_mov_b32 v51, s8 :: v_dual_mov_b32 v53, s8
	;; [unrolled: 1-line block ×6, first 2 shown]
	v_mov_b32_e32 v52, s8
	s_and_not1_b32 vcc_lo, exec_lo, s1
	s_add_co_i32 s38, s38, s16
                                        ; implicit-def: $vgpr76
	s_cbranch_vccnz .LBB400_37
; %bb.8:
	s_mov_b32 s1, exec_lo
                                        ; implicit-def: $vgpr1
	v_cmpx_gt_u32_e64 s38, v0
	s_cbranch_execz .LBB400_10
; %bb.9:
	v_readfirstlane_b32 s4, v14
	v_readfirstlane_b32 s5, v15
	global_load_b32 v1, v0, s[4:5] scale_offset
.LBB400_10:
	s_wait_xcnt 0x0
	s_or_b32 exec_lo, exec_lo, s1
	v_or_b32_e32 v2, 0x100, v0
	s_delay_alu instid0(VALU_DEP_1)
	v_cmp_gt_u32_e32 vcc_lo, s38, v2
                                        ; implicit-def: $vgpr2
	s_and_saveexec_b32 s1, vcc_lo
	s_cbranch_execz .LBB400_12
; %bb.11:
	v_readfirstlane_b32 s4, v14
	v_readfirstlane_b32 s5, v15
	global_load_b32 v2, v0, s[4:5] offset:1024 scale_offset
.LBB400_12:
	s_wait_xcnt 0x0
	s_or_b32 exec_lo, exec_lo, s1
	v_or_b32_e32 v3, 0x200, v0
	s_delay_alu instid0(VALU_DEP_1)
	v_cmp_gt_u32_e32 vcc_lo, s38, v3
                                        ; implicit-def: $vgpr3
	s_and_saveexec_b32 s1, vcc_lo
	s_cbranch_execz .LBB400_14
; %bb.13:
	v_readfirstlane_b32 s4, v14
	v_readfirstlane_b32 s5, v15
	global_load_b32 v3, v0, s[4:5] offset:2048 scale_offset
.LBB400_14:
	s_wait_xcnt 0x0
	s_or_b32 exec_lo, exec_lo, s1
	v_or_b32_e32 v4, 0x300, v0
	s_delay_alu instid0(VALU_DEP_1)
	v_cmp_gt_u32_e32 vcc_lo, s38, v4
                                        ; implicit-def: $vgpr4
	s_and_saveexec_b32 s1, vcc_lo
	s_cbranch_execz .LBB400_16
; %bb.15:
	v_readfirstlane_b32 s4, v14
	v_readfirstlane_b32 s5, v15
	global_load_b32 v4, v0, s[4:5] offset:3072 scale_offset
.LBB400_16:
	s_wait_xcnt 0x0
	s_or_b32 exec_lo, exec_lo, s1
	v_or_b32_e32 v5, 0x400, v0
	s_delay_alu instid0(VALU_DEP_1)
	v_cmp_gt_u32_e32 vcc_lo, s38, v5
                                        ; implicit-def: $vgpr5
	s_and_saveexec_b32 s1, vcc_lo
	s_cbranch_execz .LBB400_18
; %bb.17:
	v_readfirstlane_b32 s4, v14
	v_readfirstlane_b32 s5, v15
	global_load_b32 v5, v0, s[4:5] offset:4096 scale_offset
.LBB400_18:
	s_wait_xcnt 0x0
	s_or_b32 exec_lo, exec_lo, s1
	v_or_b32_e32 v6, 0x500, v0
	s_delay_alu instid0(VALU_DEP_1)
	v_cmp_gt_u32_e32 vcc_lo, s38, v6
                                        ; implicit-def: $vgpr6
	s_and_saveexec_b32 s1, vcc_lo
	s_cbranch_execz .LBB400_20
; %bb.19:
	v_readfirstlane_b32 s4, v14
	v_readfirstlane_b32 s5, v15
	global_load_b32 v6, v0, s[4:5] offset:5120 scale_offset
.LBB400_20:
	s_wait_xcnt 0x0
	s_or_b32 exec_lo, exec_lo, s1
	v_or_b32_e32 v7, 0x600, v0
	s_delay_alu instid0(VALU_DEP_1)
	v_cmp_gt_u32_e32 vcc_lo, s38, v7
                                        ; implicit-def: $vgpr7
	s_and_saveexec_b32 s1, vcc_lo
	s_cbranch_execz .LBB400_22
; %bb.21:
	v_readfirstlane_b32 s4, v14
	v_readfirstlane_b32 s5, v15
	global_load_b32 v7, v0, s[4:5] offset:6144 scale_offset
.LBB400_22:
	s_wait_xcnt 0x0
	s_or_b32 exec_lo, exec_lo, s1
	v_or_b32_e32 v8, 0x700, v0
	s_delay_alu instid0(VALU_DEP_1)
	v_cmp_gt_u32_e32 vcc_lo, s38, v8
                                        ; implicit-def: $vgpr8
	s_and_saveexec_b32 s1, vcc_lo
	s_cbranch_execz .LBB400_24
; %bb.23:
	v_readfirstlane_b32 s4, v14
	v_readfirstlane_b32 s5, v15
	global_load_b32 v8, v0, s[4:5] offset:7168 scale_offset
.LBB400_24:
	s_wait_xcnt 0x0
	s_or_b32 exec_lo, exec_lo, s1
	v_or_b32_e32 v9, 0x800, v0
	s_delay_alu instid0(VALU_DEP_1)
	v_cmp_gt_u32_e32 vcc_lo, s38, v9
                                        ; implicit-def: $vgpr9
	s_and_saveexec_b32 s1, vcc_lo
	s_cbranch_execz .LBB400_26
; %bb.25:
	v_readfirstlane_b32 s4, v14
	v_readfirstlane_b32 s5, v15
	global_load_b32 v9, v0, s[4:5] offset:8192 scale_offset
.LBB400_26:
	s_wait_xcnt 0x0
	s_or_b32 exec_lo, exec_lo, s1
	v_or_b32_e32 v10, 0x900, v0
	s_delay_alu instid0(VALU_DEP_1)
	v_cmp_gt_u32_e32 vcc_lo, s38, v10
                                        ; implicit-def: $vgpr10
	s_and_saveexec_b32 s1, vcc_lo
	s_cbranch_execz .LBB400_28
; %bb.27:
	v_readfirstlane_b32 s4, v14
	v_readfirstlane_b32 s5, v15
	global_load_b32 v10, v0, s[4:5] offset:9216 scale_offset
.LBB400_28:
	s_wait_xcnt 0x0
	s_or_b32 exec_lo, exec_lo, s1
	v_or_b32_e32 v11, 0xa00, v0
	s_delay_alu instid0(VALU_DEP_1)
	v_cmp_gt_u32_e32 vcc_lo, s38, v11
                                        ; implicit-def: $vgpr11
	s_and_saveexec_b32 s1, vcc_lo
	s_cbranch_execz .LBB400_30
; %bb.29:
	v_readfirstlane_b32 s4, v14
	v_readfirstlane_b32 s5, v15
	global_load_b32 v11, v0, s[4:5] offset:10240 scale_offset
.LBB400_30:
	s_wait_xcnt 0x0
	s_or_b32 exec_lo, exec_lo, s1
	v_or_b32_e32 v12, 0xb00, v0
	s_delay_alu instid0(VALU_DEP_1)
	v_cmp_gt_u32_e32 vcc_lo, s38, v12
                                        ; implicit-def: $vgpr12
	s_and_saveexec_b32 s1, vcc_lo
	s_cbranch_execz .LBB400_32
; %bb.31:
	v_readfirstlane_b32 s4, v14
	v_readfirstlane_b32 s5, v15
	global_load_b32 v12, v0, s[4:5] offset:11264 scale_offset
.LBB400_32:
	s_wait_xcnt 0x0
	s_or_b32 exec_lo, exec_lo, s1
	v_or_b32_e32 v13, 0xc00, v0
	s_delay_alu instid0(VALU_DEP_1)
	v_cmp_gt_u32_e32 vcc_lo, s38, v13
                                        ; implicit-def: $vgpr13
	s_and_saveexec_b32 s1, vcc_lo
	s_cbranch_execz .LBB400_34
; %bb.33:
	v_readfirstlane_b32 s4, v14
	v_readfirstlane_b32 s5, v15
	global_load_b32 v13, v0, s[4:5] offset:12288 scale_offset
.LBB400_34:
	s_wait_xcnt 0x0
	s_or_b32 exec_lo, exec_lo, s1
	v_or_b32_e32 v16, 0xd00, v0
	s_delay_alu instid0(VALU_DEP_1)
	v_cmp_gt_u32_e32 vcc_lo, s38, v16
                                        ; implicit-def: $vgpr16
	s_and_saveexec_b32 s1, vcc_lo
	s_cbranch_execz .LBB400_36
; %bb.35:
	v_readfirstlane_b32 s4, v14
	v_readfirstlane_b32 s5, v15
	global_load_b32 v16, v0, s[4:5] offset:13312 scale_offset
.LBB400_36:
	s_wait_xcnt 0x0
	s_or_b32 exec_lo, exec_lo, s1
	v_lshlrev_b32_e32 v17, 2, v0
	v_mad_u32_u24 v18, v0, 14, 13
	v_mov_b32_e32 v76, 0
	s_wait_loadcnt 0x0
	ds_store_2addr_stride64_b32 v17, v1, v2 offset1:4
	ds_store_2addr_stride64_b32 v17, v3, v4 offset0:8 offset1:12
	ds_store_2addr_stride64_b32 v17, v5, v6 offset0:16 offset1:20
	ds_store_2addr_stride64_b32 v17, v7, v8 offset0:24 offset1:28
	ds_store_2addr_stride64_b32 v17, v9, v10 offset0:32 offset1:36
	ds_store_2addr_stride64_b32 v17, v11, v12 offset0:40 offset1:44
	ds_store_2addr_stride64_b32 v17, v13, v16 offset0:48 offset1:52
	v_mad_u32_u24 v1, v0, 52, v17
	s_wait_dscnt 0x0
	s_barrier_signal -1
	s_barrier_wait -1
	ds_load_2addr_b64 v[10:13], v1 offset1:1
	ds_load_2addr_b64 v[6:9], v1 offset0:2 offset1:3
	v_mul_u32_u24_e32 v16, 14, v0
	ds_load_2addr_b64 v[2:5], v1 offset0:4 offset1:5
	ds_load_b64 v[22:23], v1 offset:48
	v_mad_u32_u24 v1, v0, 14, 2
	v_cmp_gt_u32_e64 s25, s38, v18
	v_or_b32_e32 v17, 1, v16
	v_cmp_gt_u32_e32 vcc_lo, s38, v16
	v_mad_u32_u24 v16, v0, 14, 3
	v_cndmask_b32_e64 v52, 0, s8, vcc_lo
	s_wait_dscnt 0x2
	v_mov_b32_e32 v18, v6
	v_cmp_gt_u32_e32 vcc_lo, s38, v17
	v_mad_u32_u24 v17, v0, 14, 4
	s_wait_dscnt 0x1
	v_dual_mov_b32 v20, v2 :: v_dual_mov_b32 v21, v4
	v_mov_b32_e32 v19, v8
	v_cndmask_b32_e64 v68, 0, s8, vcc_lo
	v_cmp_gt_u32_e32 vcc_lo, s38, v1
	v_mad_u32_u24 v1, v0, 14, 5
	v_cndmask_b32_e64 v72, 0, s8, vcc_lo
	v_cmp_gt_u32_e32 vcc_lo, s38, v16
	v_mad_u32_u24 v16, v0, 14, 6
	;; [unrolled: 3-line block ×8, first 2 shown]
	v_cndmask_b32_e64 v53, 0, s8, vcc_lo
	v_cmp_gt_u32_e32 vcc_lo, s38, v1
	v_cndmask_b32_e64 v51, 0, s8, vcc_lo
	s_delay_alu instid0(VALU_DEP_4)
	v_cmp_gt_u32_e32 vcc_lo, s38, v16
	v_mov_b32_e32 v16, v10
	v_cndmask_b32_e64 v50, 0, s8, vcc_lo
	v_cmp_gt_u32_e32 vcc_lo, s38, v17
	v_mov_b32_e32 v17, v12
	v_cndmask_b32_e64 v1, 0, s8, vcc_lo
.LBB400_37:
	s_and_saveexec_b32 s1, s25
; %bb.38:
	v_mov_b32_e32 v76, s8
; %bb.39:
	s_or_b32 exec_lo, exec_lo, s1
	s_cmp_eq_u64 s[14:15], 0
	s_wait_dscnt 0x0
	s_cselect_b32 s25, -1, 0
	s_cmp_lg_u64 s[14:15], 0
	s_barrier_signal -1
	s_cselect_b32 s26, -1, 0
	s_and_b32 vcc_lo, exec_lo, s0
	s_barrier_wait -1
	s_cbranch_vccz .LBB400_44
; %bb.40:
	s_and_b32 vcc_lo, exec_lo, s26
	s_cbranch_vccz .LBB400_45
; %bb.41:
	global_load_b32 v24, v[14:15], off offset:-4
	v_lshlrev_b32_e32 v25, 2, v0
	ds_store_b32 v25, v23
	s_wait_loadcnt_dscnt 0x0
	s_barrier_signal -1
	s_barrier_wait -1
	s_and_saveexec_b32 s0, s3
; %bb.42:
	v_add_nc_u32_e32 v24, -4, v25
	ds_load_b32 v24, v24
; %bb.43:
	s_or_b32 exec_lo, exec_lo, s0
	v_cmp_neq_f32_e32 vcc_lo, v22, v23
	s_wait_dscnt 0x0
	v_cmp_neq_f32_e64 s40, v24, v10
	s_mov_b32 s39, -1
	v_cndmask_b32_e64 v56, 0, 1, vcc_lo
	v_cmp_neq_f32_e32 vcc_lo, v16, v11
	v_cndmask_b32_e64 v66, 0, 1, vcc_lo
	v_cmp_neq_f32_e32 vcc_lo, v17, v11
	;; [unrolled: 2-line block ×12, first 2 shown]
	v_cndmask_b32_e64 v62, 0, 1, vcc_lo
	s_branch .LBB400_49
.LBB400_44:
	s_mov_b32 s39, 0
                                        ; implicit-def: $sgpr40
                                        ; implicit-def: $vgpr56
                                        ; implicit-def: $vgpr62
                                        ; implicit-def: $vgpr55
                                        ; implicit-def: $vgpr54
                                        ; implicit-def: $vgpr57
                                        ; implicit-def: $vgpr58
                                        ; implicit-def: $vgpr59
                                        ; implicit-def: $vgpr60
                                        ; implicit-def: $vgpr65
                                        ; implicit-def: $vgpr61
                                        ; implicit-def: $vgpr63
                                        ; implicit-def: $vgpr64
                                        ; implicit-def: $vgpr66
	s_cbranch_execnz .LBB400_50
	s_branch .LBB400_58
.LBB400_45:
	s_mov_b32 s39, 0
                                        ; implicit-def: $sgpr40
                                        ; implicit-def: $vgpr56
                                        ; implicit-def: $vgpr62
                                        ; implicit-def: $vgpr55
                                        ; implicit-def: $vgpr54
                                        ; implicit-def: $vgpr57
                                        ; implicit-def: $vgpr58
                                        ; implicit-def: $vgpr59
                                        ; implicit-def: $vgpr60
                                        ; implicit-def: $vgpr65
                                        ; implicit-def: $vgpr61
                                        ; implicit-def: $vgpr63
                                        ; implicit-def: $vgpr64
                                        ; implicit-def: $vgpr66
	s_cbranch_execz .LBB400_49
; %bb.46:
	v_lshlrev_b32_e32 v24, 2, v0
	v_cmp_neq_f32_e64 s6, v22, v23
	v_cmp_neq_f32_e64 s0, v21, v5
	;; [unrolled: 1-line block ×12, first 2 shown]
	v_cmp_neq_f32_e32 vcc_lo, v22, v5
	ds_store_b32 v24, v23
	s_wait_dscnt 0x0
	s_barrier_signal -1
	s_barrier_wait -1
                                        ; implicit-def: $sgpr40
	s_and_saveexec_b32 s27, s3
	s_delay_alu instid0(SALU_CYCLE_1)
	s_xor_b32 s27, exec_lo, s27
	s_cbranch_execz .LBB400_48
; %bb.47:
	v_add_nc_u32_e32 v16, -4, v24
	s_or_b32 s39, s39, exec_lo
	ds_load_b32 v16, v16
	s_wait_dscnt 0x0
	v_cmp_neq_f32_e64 s40, v16, v10
.LBB400_48:
	s_or_b32 exec_lo, exec_lo, s27
	v_cndmask_b32_e64 v56, 0, 1, s6
	v_cndmask_b32_e64 v66, 0, 1, s13
	;; [unrolled: 1-line block ×12, first 2 shown]
	v_cndmask_b32_e64 v62, 0, 1, vcc_lo
.LBB400_49:
	s_branch .LBB400_58
.LBB400_50:
	s_mov_b64 s[0:1], 0xfffffffffffff200
	v_cmp_neq_f32_e64 s12, v5, v22
	s_mul_u64 s[40:41], s[14:15], s[0:1]
	v_cmp_neq_f32_e64 s14, v22, v23
	v_cmp_neq_f32_e64 s13, v4, v5
	;; [unrolled: 1-line block ×12, first 2 shown]
	v_mul_u32_u24_e32 v16, 14, v0
	v_mad_u32_u24 v18, v0, 14, 13
	v_mad_u32_u24 v42, v0, 14, 12
	;; [unrolled: 1-line block ×12, first 2 shown]
	s_and_b32 vcc_lo, exec_lo, s26
	s_add_nc_u64 s[26:27], s[40:41], s[16:17]
	s_cbranch_vccz .LBB400_54
; %bb.51:
	global_load_b32 v14, v[14:15], off offset:-4
	s_wait_xcnt 0x0
	v_dual_mov_b32 v19, 0 :: v_dual_lshlrev_b32 v15, 2, v0
	s_delay_alu instid0(VALU_DEP_1) | instskip(SKIP_4) | instid1(VALU_DEP_3)
	v_dual_mov_b32 v21, v19 :: v_dual_bitop2_b32 v44, 1, v16 bitop3:0x54
	v_cmp_gt_u64_e32 vcc_lo, s[26:27], v[18:19]
	v_dual_mov_b32 v43, v19 :: v_dual_mov_b32 v41, v19
	v_dual_mov_b32 v39, v19 :: v_dual_mov_b32 v37, v19
	;; [unrolled: 1-line block ×3, first 2 shown]
	v_cmp_gt_u64_e64 s15, s[26:27], v[42:43]
	s_delay_alu instid0(VALU_DEP_4)
	v_cmp_gt_u64_e64 s16, s[26:27], v[40:41]
	s_and_b32 s39, vcc_lo, s14
	v_cmp_gt_u64_e32 vcc_lo, s[26:27], v[38:39]
	v_cmp_gt_u64_e64 s14, s[26:27], v[36:37]
	v_cmp_gt_u64_e64 s17, s[26:27], v[34:35]
	v_dual_mov_b32 v31, v19 :: v_dual_mov_b32 v29, v19
	v_dual_mov_b32 v27, v19 :: v_dual_mov_b32 v25, v19
	v_mov_b32_e32 v45, v19
	s_and_b32 s40, s15, s12
	s_and_b32 s41, s16, s13
	s_and_b32 s42, vcc_lo, s9
	s_and_b32 s15, s14, s10
	s_and_b32 s16, s17, s11
	v_cmp_gt_u64_e32 vcc_lo, s[26:27], v[32:33]
	v_cmp_gt_u64_e64 s9, s[26:27], v[30:31]
	v_cmp_gt_u64_e64 s10, s[26:27], v[28:29]
	;; [unrolled: 1-line block ×6, first 2 shown]
	s_and_b32 s17, vcc_lo, s0
	s_and_b32 s9, s9, s1
	s_and_b32 s0, s10, s4
	;; [unrolled: 1-line block ×6, first 2 shown]
	ds_store_b32 v15, v23
	s_wait_loadcnt_dscnt 0x0
	s_barrier_signal -1
	s_barrier_wait -1
	s_and_saveexec_b32 s7, s3
; %bb.52:
	v_add_nc_u32_e32 v14, -4, v15
	ds_load_b32 v14, v14
; %bb.53:
	s_or_b32 exec_lo, exec_lo, s7
	v_mov_b32_e32 v17, v19
	v_cndmask_b32_e64 v65, 0, 1, s0
	s_wait_dscnt 0x0
	v_cmp_neq_f32_e64 s0, v14, v10
	v_cndmask_b32_e64 v56, 0, 1, s39
	v_cndmask_b32_e64 v62, 0, 1, s40
	v_cmp_gt_u64_e32 vcc_lo, s[26:27], v[16:17]
	v_cndmask_b32_e64 v55, 0, 1, s41
	v_cndmask_b32_e64 v54, 0, 1, s42
	;; [unrolled: 1-line block ×10, first 2 shown]
	s_and_b32 s40, vcc_lo, s0
	s_mov_b32 s39, -1
	s_branch .LBB400_58
.LBB400_54:
                                        ; implicit-def: $sgpr40
                                        ; implicit-def: $vgpr56
                                        ; implicit-def: $vgpr62
                                        ; implicit-def: $vgpr55
                                        ; implicit-def: $vgpr54
                                        ; implicit-def: $vgpr57
                                        ; implicit-def: $vgpr58
                                        ; implicit-def: $vgpr59
                                        ; implicit-def: $vgpr60
                                        ; implicit-def: $vgpr65
                                        ; implicit-def: $vgpr61
                                        ; implicit-def: $vgpr63
                                        ; implicit-def: $vgpr64
                                        ; implicit-def: $vgpr66
	s_cbranch_execz .LBB400_58
; %bb.55:
	v_dual_mov_b32 v19, 0 :: v_dual_lshlrev_b32 v14, 2, v0
	v_cmp_neq_f32_e32 vcc_lo, v22, v23
	v_cmp_neq_f32_e64 s0, v5, v22
	v_cmp_neq_f32_e64 s1, v4, v5
	s_delay_alu instid0(VALU_DEP_4) | instskip(SKIP_2) | instid1(VALU_DEP_3)
	v_dual_mov_b32 v43, v19 :: v_dual_mov_b32 v41, v19
	v_dual_mov_b32 v39, v19 :: v_dual_mov_b32 v37, v19
	v_cmp_gt_u64_e64 s4, s[26:27], v[18:19]
	v_cmp_gt_u64_e64 s5, s[26:27], v[42:43]
	s_delay_alu instid0(VALU_DEP_4) | instskip(NEXT) | instid1(VALU_DEP_4)
	v_cmp_gt_u64_e64 s6, s[26:27], v[40:41]
	v_cmp_gt_u64_e64 s7, s[26:27], v[38:39]
	v_cmp_neq_f32_e64 s8, v3, v4
	v_dual_mov_b32 v35, v19 :: v_dual_mov_b32 v33, v19
	s_and_b32 s11, s4, vcc_lo
	v_cmp_gt_u64_e32 vcc_lo, s[26:27], v[36:37]
	v_dual_mov_b32 v31, v19 :: v_dual_mov_b32 v29, v19
	s_and_b32 s12, s5, s0
	v_cmp_neq_f32_e64 s0, v2, v3
	s_and_b32 s13, s6, s1
	s_and_b32 s14, s7, s8
	v_cmp_gt_u64_e64 s1, s[26:27], v[34:35]
	v_cmp_gt_u64_e64 s5, s[26:27], v[32:33]
	;; [unrolled: 1-line block ×3, first 2 shown]
	v_cmp_neq_f32_e64 s4, v9, v2
	v_cmp_neq_f32_e64 s6, v8, v9
	s_and_b32 s15, vcc_lo, s0
	v_cmp_neq_f32_e32 vcc_lo, v7, v8
	v_dual_mov_b32 v27, v19 :: v_dual_mov_b32 v25, v19
	v_dual_mov_b32 v21, v19 :: v_dual_bitop2_b32 v18, 1, v16 bitop3:0x54
	s_and_b32 s16, s1, s4
	s_and_b32 s17, s5, s6
	s_and_b32 s41, s7, vcc_lo
	v_cmp_gt_u64_e32 vcc_lo, s[26:27], v[28:29]
	v_cmp_gt_u64_e64 s1, s[26:27], v[26:27]
	v_cmp_gt_u64_e64 s5, s[26:27], v[24:25]
	;; [unrolled: 1-line block ×4, first 2 shown]
	v_cmp_neq_f32_e64 s0, v6, v7
	v_cmp_neq_f32_e64 s4, v13, v6
	;; [unrolled: 1-line block ×5, first 2 shown]
	s_and_b32 s42, vcc_lo, s0
	s_and_b32 s1, s1, s4
	s_and_b32 s4, s5, s6
	;; [unrolled: 1-line block ×4, first 2 shown]
	ds_store_b32 v14, v23
	s_wait_dscnt 0x0
	s_barrier_signal -1
	s_barrier_wait -1
                                        ; implicit-def: $sgpr40
	s_and_saveexec_b32 s7, s3
	s_cbranch_execz .LBB400_57
; %bb.56:
	v_dual_mov_b32 v17, v19 :: v_dual_add_nc_u32 v14, -4, v14
	s_or_b32 s39, s39, exec_lo
	ds_load_b32 v14, v14
	v_cmp_gt_u64_e32 vcc_lo, s[26:27], v[16:17]
	s_wait_dscnt 0x0
	v_cmp_neq_f32_e64 s0, v14, v10
	s_and_b32 s40, vcc_lo, s0
.LBB400_57:
	s_or_b32 exec_lo, exec_lo, s7
	v_cndmask_b32_e64 v56, 0, 1, s11
	v_cndmask_b32_e64 v62, 0, 1, s12
	;; [unrolled: 1-line block ×13, first 2 shown]
.LBB400_58:
	v_mov_b32_e32 v67, 1
	s_and_saveexec_b32 s0, s39
; %bb.59:
	v_cndmask_b32_e64 v67, 0, 1, s40
; %bb.60:
	s_or_b32 exec_lo, exec_lo, s0
	s_delay_alu instid0(VALU_DEP_1) | instskip(SKIP_3) | instid1(VALU_DEP_4)
	v_dual_add_nc_u32 v14, v66, v67 :: v_dual_lshrrev_b32 v78, 5, v0
	v_cmp_eq_u32_e64 s12, 0, v66
	v_cmp_eq_u32_e64 s11, 0, v64
	;; [unrolled: 1-line block ×3, first 2 shown]
	v_add3_u32 v80, v14, v64, v63
	v_cmp_eq_u32_e64 s9, 0, v61
	v_cmp_eq_u32_e64 s8, 0, v65
	;; [unrolled: 1-line block ×9, first 2 shown]
	v_mbcnt_lo_u32_b32 v77, -1, 0
	v_or_b32_e32 v79, 31, v0
	s_cmp_eq_u64 s[22:23], 0
	v_cmp_eq_u32_e32 vcc_lo, 0, v56
	s_cselect_b32 s16, -1, 0
	s_cmp_lg_u32 s24, 0
	s_cbranch_scc0 .LBB400_81
; %bb.61:
	v_dual_cndmask_b32 v14, 0, v52, s12 :: v_dual_bitop2_b32 v17, 15, v77 bitop3:0x40
	v_add3_u32 v15, v80, v61, v65
	s_delay_alu instid0(VALU_DEP_2) | instskip(NEXT) | instid1(VALU_DEP_2)
	v_add_nc_u32_e32 v14, v14, v68
	v_add3_u32 v15, v15, v60, v59
	s_delay_alu instid0(VALU_DEP_2) | instskip(NEXT) | instid1(VALU_DEP_2)
	v_cndmask_b32_e64 v14, 0, v14, s11
	v_add3_u32 v15, v15, v58, v57
	s_delay_alu instid0(VALU_DEP_2) | instskip(NEXT) | instid1(VALU_DEP_2)
	v_add_nc_u32_e32 v14, v14, v72
	v_add3_u32 v15, v15, v54, v55
	s_delay_alu instid0(VALU_DEP_1) | instskip(NEXT) | instid1(VALU_DEP_3)
	v_add3_u32 v15, v15, v62, v56
	v_cndmask_b32_e64 v14, 0, v14, s10
	s_delay_alu instid0(VALU_DEP_2) | instskip(NEXT) | instid1(VALU_DEP_2)
	v_mov_b32_dpp v18, v15 row_shr:1 row_mask:0xf bank_mask:0xf
	v_add_nc_u32_e32 v14, v14, v74
	s_delay_alu instid0(VALU_DEP_1) | instskip(NEXT) | instid1(VALU_DEP_1)
	v_cndmask_b32_e64 v14, 0, v14, s9
	v_add_nc_u32_e32 v14, v14, v70
	s_delay_alu instid0(VALU_DEP_1) | instskip(NEXT) | instid1(VALU_DEP_1)
	v_cndmask_b32_e64 v14, 0, v14, s8
	;; [unrolled: 3-line block ×9, first 2 shown]
	v_add_nc_u32_e32 v14, v14, v1
	s_delay_alu instid0(VALU_DEP_1) | instskip(SKIP_1) | instid1(VALU_DEP_2)
	v_cndmask_b32_e32 v14, 0, v14, vcc_lo
	v_cmp_eq_u32_e32 vcc_lo, 0, v15
	v_add_nc_u32_e32 v14, v14, v76
	s_delay_alu instid0(VALU_DEP_1) | instskip(NEXT) | instid1(VALU_DEP_1)
	v_mov_b32_dpp v16, v14 row_shr:1 row_mask:0xf bank_mask:0xf
	v_cndmask_b32_e32 v16, 0, v16, vcc_lo
	v_cmp_eq_u32_e32 vcc_lo, 0, v17
	v_cndmask_b32_e64 v18, v18, 0, vcc_lo
	s_delay_alu instid0(VALU_DEP_3) | instskip(SKIP_1) | instid1(VALU_DEP_2)
	v_cndmask_b32_e64 v16, v16, 0, vcc_lo
	v_cmp_lt_u32_e32 vcc_lo, 1, v17
	v_dual_add_nc_u32 v15, v18, v15 :: v_dual_add_nc_u32 v14, v16, v14
	s_delay_alu instid0(VALU_DEP_1) | instskip(SKIP_1) | instid1(VALU_DEP_3)
	v_mov_b32_dpp v16, v15 row_shr:2 row_mask:0xf bank_mask:0xf
	v_cmp_eq_u32_e64 s13, 0, v15
	v_mov_b32_dpp v18, v14 row_shr:2 row_mask:0xf bank_mask:0xf
	s_delay_alu instid0(VALU_DEP_3) | instskip(SKIP_1) | instid1(VALU_DEP_2)
	v_cndmask_b32_e32 v16, 0, v16, vcc_lo
	s_and_b32 vcc_lo, vcc_lo, s13
	v_cndmask_b32_e32 v18, 0, v18, vcc_lo
	v_cmp_lt_u32_e32 vcc_lo, 3, v17
	s_delay_alu instid0(VALU_DEP_2) | instskip(NEXT) | instid1(VALU_DEP_1)
	v_dual_add_nc_u32 v15, v15, v16 :: v_dual_add_nc_u32 v14, v18, v14
	v_mov_b32_dpp v16, v15 row_shr:4 row_mask:0xf bank_mask:0xf
	v_cmp_eq_u32_e64 s13, 0, v15
	s_delay_alu instid0(VALU_DEP_3) | instskip(NEXT) | instid1(VALU_DEP_3)
	v_mov_b32_dpp v18, v14 row_shr:4 row_mask:0xf bank_mask:0xf
	v_cndmask_b32_e32 v16, 0, v16, vcc_lo
	s_and_b32 vcc_lo, vcc_lo, s13
	s_delay_alu instid0(VALU_DEP_2) | instskip(SKIP_1) | instid1(VALU_DEP_2)
	v_cndmask_b32_e32 v18, 0, v18, vcc_lo
	v_cmp_lt_u32_e32 vcc_lo, 7, v17
	v_dual_add_nc_u32 v15, v16, v15 :: v_dual_add_nc_u32 v14, v14, v18
	v_bfe_i32 v18, v77, 4, 1
	s_delay_alu instid0(VALU_DEP_2) | instskip(SKIP_1) | instid1(VALU_DEP_4)
	v_mov_b32_dpp v16, v15 row_shr:8 row_mask:0xf bank_mask:0xf
	v_cmp_eq_u32_e64 s13, 0, v15
	v_mov_b32_dpp v17, v14 row_shr:8 row_mask:0xf bank_mask:0xf
	s_delay_alu instid0(VALU_DEP_3) | instskip(SKIP_2) | instid1(VALU_DEP_2)
	v_cndmask_b32_e32 v16, 0, v16, vcc_lo
	s_and_b32 vcc_lo, vcc_lo, s13
	s_mov_b32 s13, exec_lo
	v_cndmask_b32_e32 v17, 0, v17, vcc_lo
	s_delay_alu instid0(VALU_DEP_1)
	v_dual_add_nc_u32 v17, v17, v14 :: v_dual_add_nc_u32 v14, v16, v15
	ds_swizzle_b32 v15, v17 offset:swizzle(BROADCAST,32,15)
	ds_swizzle_b32 v16, v14 offset:swizzle(BROADCAST,32,15)
	v_cmp_eq_u32_e32 vcc_lo, 0, v14
	s_wait_dscnt 0x0
	v_dual_cndmask_b32 v15, 0, v15, vcc_lo :: v_dual_bitop2_b32 v16, v18, v16 bitop3:0x40
	s_delay_alu instid0(VALU_DEP_1) | instskip(NEXT) | instid1(VALU_DEP_1)
	v_dual_add_nc_u32 v14, v16, v14 :: v_dual_bitop2_b32 v15, v18, v15 bitop3:0x40
	v_dual_lshlrev_b32 v16, 3, v78 :: v_dual_add_nc_u32 v15, v15, v17
	v_cmpx_eq_u32_e64 v0, v79
; %bb.62:
	ds_store_b64 v16, v[14:15] offset:2064
; %bb.63:
	s_or_b32 exec_lo, exec_lo, s13
	s_delay_alu instid0(SALU_CYCLE_1)
	s_mov_b32 s14, exec_lo
	s_wait_dscnt 0x0
	s_barrier_signal -1
	s_barrier_wait -1
	v_cmpx_gt_u32_e32 8, v0
	s_cbranch_execz .LBB400_65
; %bb.64:
	v_dual_lshlrev_b32 v17, 3, v0 :: v_dual_bitop2_b32 v21, 7, v77 bitop3:0x40
	ds_load_b64 v[18:19], v17 offset:2064
	s_wait_dscnt 0x0
	v_mov_b32_dpp v20, v19 row_shr:1 row_mask:0xf bank_mask:0xf
	v_cmp_eq_u32_e32 vcc_lo, 0, v18
	v_mov_b32_dpp v24, v18 row_shr:1 row_mask:0xf bank_mask:0xf
	s_delay_alu instid0(VALU_DEP_3) | instskip(SKIP_1) | instid1(VALU_DEP_3)
	v_cndmask_b32_e32 v20, 0, v20, vcc_lo
	v_cmp_eq_u32_e32 vcc_lo, 0, v21
	v_cndmask_b32_e64 v24, v24, 0, vcc_lo
	s_delay_alu instid0(VALU_DEP_1) | instskip(NEXT) | instid1(VALU_DEP_4)
	v_add_nc_u32_e32 v18, v24, v18
	v_cndmask_b32_e64 v20, v20, 0, vcc_lo
	v_cmp_lt_u32_e32 vcc_lo, 1, v21
	s_delay_alu instid0(VALU_DEP_3) | instskip(NEXT) | instid1(VALU_DEP_3)
	v_cmp_eq_u32_e64 s13, 0, v18
	v_add_nc_u32_e32 v19, v20, v19
	v_mov_b32_dpp v20, v18 row_shr:2 row_mask:0xf bank_mask:0xf
	s_delay_alu instid0(VALU_DEP_1) | instskip(NEXT) | instid1(VALU_DEP_3)
	v_cndmask_b32_e32 v20, 0, v20, vcc_lo
	v_mov_b32_dpp v24, v19 row_shr:2 row_mask:0xf bank_mask:0xf
	s_and_b32 vcc_lo, vcc_lo, s13
	s_delay_alu instid0(VALU_DEP_1) | instid1(SALU_CYCLE_1)
	v_dual_add_nc_u32 v18, v20, v18 :: v_dual_cndmask_b32 v24, 0, v24, vcc_lo
	v_cmp_lt_u32_e32 vcc_lo, 3, v21
	s_delay_alu instid0(VALU_DEP_2) | instskip(NEXT) | instid1(VALU_DEP_3)
	v_mov_b32_dpp v20, v18 row_shr:4 row_mask:0xf bank_mask:0xf
	v_add_nc_u32_e32 v19, v24, v19
	v_cmp_eq_u32_e64 s13, 0, v18
	s_delay_alu instid0(VALU_DEP_3) | instskip(NEXT) | instid1(VALU_DEP_3)
	v_cndmask_b32_e32 v20, 0, v20, vcc_lo
	v_mov_b32_dpp v21, v19 row_shr:4 row_mask:0xf bank_mask:0xf
	s_and_b32 vcc_lo, vcc_lo, s13
	s_delay_alu instid0(VALU_DEP_1) | instskip(NEXT) | instid1(VALU_DEP_1)
	v_dual_cndmask_b32 v21, 0, v21 :: v_dual_add_nc_u32 v18, v20, v18
	v_add_nc_u32_e32 v19, v21, v19
	ds_store_b64 v17, v[18:19] offset:2064
.LBB400_65:
	s_or_b32 exec_lo, exec_lo, s14
	v_dual_mov_b32 v24, 0 :: v_dual_mov_b32 v25, 0
	s_mov_b32 s14, exec_lo
	v_cmp_gt_u32_e32 vcc_lo, 32, v0
	s_wait_dscnt 0x0
	s_barrier_signal -1
	s_barrier_wait -1
	v_cmpx_lt_u32_e32 31, v0
	s_cbranch_execz .LBB400_67
; %bb.66:
	ds_load_b64 v[24:25], v16 offset:2056
	v_cmp_eq_u32_e64 s13, 0, v14
	s_wait_dscnt 0x0
	s_delay_alu instid0(VALU_DEP_1) | instskip(NEXT) | instid1(VALU_DEP_1)
	v_dual_cndmask_b32 v16, 0, v25, s13 :: v_dual_add_nc_u32 v14, v24, v14
	v_add_nc_u32_e32 v15, v16, v15
.LBB400_67:
	s_or_b32 exec_lo, exec_lo, s14
	v_sub_co_u32 v16, s13, v77, 1
	s_delay_alu instid0(VALU_DEP_1) | instskip(NEXT) | instid1(VALU_DEP_1)
	v_cmp_gt_i32_e64 s14, 0, v16
	v_cndmask_b32_e64 v16, v16, v77, s14
	s_delay_alu instid0(VALU_DEP_1)
	v_lshlrev_b32_e32 v16, 2, v16
	ds_bpermute_b32 v30, v16, v14
	ds_bpermute_b32 v31, v16, v15
	s_and_saveexec_b32 s17, vcc_lo
	s_cbranch_execz .LBB400_86
; %bb.68:
	v_mov_b32_e32 v17, 0
	ds_load_b64 v[14:15], v17 offset:2120
	s_and_saveexec_b32 s14, s13
	s_cbranch_execz .LBB400_70
; %bb.69:
	s_add_co_i32 s22, s24, 32
	s_mov_b32 s23, 0
	v_mov_b32_e32 v16, 1
	s_lshl_b64 s[22:23], s[22:23], 4
	s_delay_alu instid0(SALU_CYCLE_1) | instskip(NEXT) | instid1(SALU_CYCLE_1)
	s_add_nc_u64 s[22:23], s[20:21], s[22:23]
	v_mov_b64_e32 v[18:19], s[22:23]
	s_wait_dscnt 0x0
	;;#ASMSTART
	global_store_b128 v[18:19], v[14:17] off scope:SCOPE_DEV	
s_wait_storecnt 0x0
	;;#ASMEND
.LBB400_70:
	s_or_b32 exec_lo, exec_lo, s14
	v_xad_u32 v26, v77, -1, s24
	s_mov_b32 s15, 0
	s_mov_b32 s14, exec_lo
	s_delay_alu instid0(VALU_DEP_1) | instskip(NEXT) | instid1(VALU_DEP_1)
	v_add_nc_u32_e32 v16, 32, v26
	v_lshl_add_u64 v[16:17], v[16:17], 4, s[20:21]
	;;#ASMSTART
	global_load_b128 v[18:21], v[16:17] off scope:SCOPE_DEV	
s_wait_loadcnt 0x0
	;;#ASMEND
	v_and_b32_e32 v21, 0xff, v20
	s_delay_alu instid0(VALU_DEP_1)
	v_cmpx_eq_u16_e32 0, v21
	s_cbranch_execz .LBB400_73
.LBB400_71:                             ; =>This Inner Loop Header: Depth=1
	;;#ASMSTART
	global_load_b128 v[18:21], v[16:17] off scope:SCOPE_DEV	
s_wait_loadcnt 0x0
	;;#ASMEND
	v_and_b32_e32 v21, 0xff, v20
	s_delay_alu instid0(VALU_DEP_1) | instskip(SKIP_1) | instid1(SALU_CYCLE_1)
	v_cmp_ne_u16_e32 vcc_lo, 0, v21
	s_or_b32 s15, vcc_lo, s15
	s_and_not1_b32 exec_lo, exec_lo, s15
	s_cbranch_execnz .LBB400_71
; %bb.72:
	s_or_b32 exec_lo, exec_lo, s15
.LBB400_73:
	s_delay_alu instid0(SALU_CYCLE_1)
	s_or_b32 exec_lo, exec_lo, s14
	v_cmp_ne_u32_e32 vcc_lo, 31, v77
	v_lshlrev_b32_e64 v33, v77, -1
	v_cmp_gt_u32_e64 s15, 30, v77
	v_lshl_or_b32 v40, v77, 2, 64
	v_add_nc_u32_e32 v35, 2, v77
	v_add_co_ci_u32_e64 v16, null, 0, v77, vcc_lo
	s_delay_alu instid0(VALU_DEP_4) | instskip(SKIP_1) | instid1(VALU_DEP_3)
	v_cndmask_b32_e64 v27, 0, 2, s15
	v_dual_add_nc_u32 v37, 4, v77 :: v_dual_add_nc_u32 v39, 8, v77
	v_lshlrev_b32_e32 v32, 2, v16
	v_and_b32_e32 v16, 0xff, v20
	s_delay_alu instid0(VALU_DEP_4)
	v_add_lshl_u32 v34, v27, v77, 2
	v_add_nc_u32_e32 v41, 16, v77
	ds_bpermute_b32 v17, v32, v18
	v_cmp_eq_u16_e32 vcc_lo, 2, v16
	v_and_or_b32 v21, vcc_lo, v33, 0x80000000
	v_cmp_eq_u32_e32 vcc_lo, 0, v18
	s_delay_alu instid0(VALU_DEP_2) | instskip(NEXT) | instid1(VALU_DEP_1)
	v_ctz_i32_b32_e32 v21, v21
	v_cmp_lt_u32_e64 s14, v77, v21
	s_wait_dscnt 0x0
	s_delay_alu instid0(VALU_DEP_1) | instskip(SKIP_4) | instid1(VALU_DEP_1)
	v_cndmask_b32_e64 v17, 0, v17, s14
	ds_bpermute_b32 v16, v32, v19
	s_and_b32 vcc_lo, s14, vcc_lo
	s_wait_dscnt 0x0
	v_dual_cndmask_b32 v16, 0, v16 :: v_dual_add_nc_u32 v17, v17, v18
	v_cmp_eq_u32_e32 vcc_lo, 0, v17
	s_delay_alu instid0(VALU_DEP_2)
	v_add_nc_u32_e32 v16, v16, v19
	ds_bpermute_b32 v19, v34, v16
	s_wait_dscnt 0x0
	v_cndmask_b32_e32 v18, 0, v19, vcc_lo
	ds_bpermute_b32 v19, v34, v17
	v_cmp_gt_u32_e32 vcc_lo, 28, v77
	v_cndmask_b32_e64 v27, 0, 4, vcc_lo
	v_cmp_gt_u32_e32 vcc_lo, v35, v21
	s_delay_alu instid0(VALU_DEP_2) | instskip(SKIP_2) | instid1(VALU_DEP_1)
	v_add_lshl_u32 v36, v27, v77, 2
	s_wait_dscnt 0x0
	v_cndmask_b32_e64 v19, v19, 0, vcc_lo
	v_add_nc_u32_e32 v17, v17, v19
	v_cndmask_b32_e64 v18, v18, 0, vcc_lo
	ds_bpermute_b32 v19, v36, v17
	v_add_nc_u32_e32 v16, v18, v16
	v_cmp_eq_u32_e32 vcc_lo, 0, v17
	ds_bpermute_b32 v18, v36, v16
	s_wait_dscnt 0x0
	v_cndmask_b32_e32 v18, 0, v18, vcc_lo
	v_cmp_gt_u32_e32 vcc_lo, 24, v77
	v_cndmask_b32_e64 v27, 0, 8, vcc_lo
	v_cmp_gt_u32_e32 vcc_lo, v37, v21
	s_delay_alu instid0(VALU_DEP_2) | instskip(SKIP_1) | instid1(VALU_DEP_1)
	v_add_lshl_u32 v38, v27, v77, 2
	v_cndmask_b32_e64 v19, v19, 0, vcc_lo
	v_dual_mov_b32 v27, 0 :: v_dual_add_nc_u32 v17, v17, v19
	v_cndmask_b32_e64 v18, v18, 0, vcc_lo
	ds_bpermute_b32 v19, v38, v17
	v_add_nc_u32_e32 v16, v16, v18
	v_cmp_eq_u32_e32 vcc_lo, 0, v17
	ds_bpermute_b32 v18, v38, v16
	s_wait_dscnt 0x0
	v_cndmask_b32_e32 v18, 0, v18, vcc_lo
	v_cmp_gt_u32_e32 vcc_lo, v39, v21
	s_delay_alu instid0(VALU_DEP_2) | instskip(NEXT) | instid1(VALU_DEP_1)
	v_cndmask_b32_e64 v18, v18, 0, vcc_lo
	v_add_nc_u32_e32 v16, v16, v18
	v_cndmask_b32_e64 v18, v19, 0, vcc_lo
	s_delay_alu instid0(VALU_DEP_1)
	v_add_nc_u32_e32 v17, v17, v18
	ds_bpermute_b32 v19, v40, v16
	ds_bpermute_b32 v18, v40, v17
	v_cmp_eq_u32_e32 vcc_lo, 0, v17
	s_wait_dscnt 0x1
	v_cndmask_b32_e32 v19, 0, v19, vcc_lo
	v_cmp_gt_u32_e32 vcc_lo, v41, v21
	s_wait_dscnt 0x0
	v_cndmask_b32_e64 v18, v18, 0, vcc_lo
	s_delay_alu instid0(VALU_DEP_1) | instskip(SKIP_1) | instid1(VALU_DEP_1)
	v_add_nc_u32_e32 v18, v18, v17
	v_cndmask_b32_e64 v19, v19, 0, vcc_lo
	v_add_nc_u32_e32 v19, v19, v16
	s_branch .LBB400_77
.LBB400_74:                             ;   in Loop: Header=BB400_77 Depth=1
	s_or_b32 exec_lo, exec_lo, s15
.LBB400_75:                             ;   in Loop: Header=BB400_77 Depth=1
	s_delay_alu instid0(SALU_CYCLE_1)
	s_or_b32 exec_lo, exec_lo, s14
	v_and_b32_e32 v21, 0xff, v20
	ds_bpermute_b32 v28, v32, v18
	v_subrev_nc_u32_e32 v26, 32, v26
	v_cmp_eq_u16_e32 vcc_lo, 2, v21
	ds_bpermute_b32 v21, v32, v19
	v_and_or_b32 v29, vcc_lo, v33, 0x80000000
	v_cmp_eq_u32_e32 vcc_lo, 0, v18
	s_delay_alu instid0(VALU_DEP_2) | instskip(NEXT) | instid1(VALU_DEP_1)
	v_ctz_i32_b32_e32 v29, v29
	v_cmp_lt_u32_e64 s14, v77, v29
	s_and_b32 vcc_lo, s14, vcc_lo
	s_wait_dscnt 0x0
	v_dual_cndmask_b32 v28, 0, v28, s14 :: v_dual_cndmask_b32 v21, 0, v21, vcc_lo
	s_mov_b32 s14, 0
	s_delay_alu instid0(VALU_DEP_1)
	v_dual_add_nc_u32 v18, v28, v18 :: v_dual_add_nc_u32 v19, v21, v19
	ds_bpermute_b32 v28, v34, v18
	ds_bpermute_b32 v21, v34, v19
	v_cmp_eq_u32_e32 vcc_lo, 0, v18
	s_wait_dscnt 0x0
	v_cndmask_b32_e32 v21, 0, v21, vcc_lo
	v_cmp_gt_u32_e32 vcc_lo, v35, v29
	v_cndmask_b32_e64 v28, v28, 0, vcc_lo
	s_delay_alu instid0(VALU_DEP_1) | instskip(NEXT) | instid1(VALU_DEP_4)
	v_add_nc_u32_e32 v18, v18, v28
	v_cndmask_b32_e64 v21, v21, 0, vcc_lo
	s_delay_alu instid0(VALU_DEP_2) | instskip(NEXT) | instid1(VALU_DEP_2)
	v_cmp_eq_u32_e32 vcc_lo, 0, v18
	v_add_nc_u32_e32 v19, v21, v19
	ds_bpermute_b32 v28, v36, v18
	ds_bpermute_b32 v21, v36, v19
	s_wait_dscnt 0x0
	v_cndmask_b32_e32 v21, 0, v21, vcc_lo
	v_cmp_gt_u32_e32 vcc_lo, v37, v29
	s_delay_alu instid0(VALU_DEP_2) | instskip(SKIP_1) | instid1(VALU_DEP_1)
	v_cndmask_b32_e64 v21, v21, 0, vcc_lo
	v_cndmask_b32_e64 v28, v28, 0, vcc_lo
	v_dual_add_nc_u32 v19, v19, v21 :: v_dual_add_nc_u32 v18, v18, v28
	ds_bpermute_b32 v21, v38, v19
	ds_bpermute_b32 v28, v38, v18
	v_cmp_eq_u32_e32 vcc_lo, 0, v18
	s_wait_dscnt 0x1
	v_cndmask_b32_e32 v21, 0, v21, vcc_lo
	v_cmp_gt_u32_e32 vcc_lo, v39, v29
	s_wait_dscnt 0x0
	v_cndmask_b32_e64 v28, v28, 0, vcc_lo
	s_delay_alu instid0(VALU_DEP_1) | instskip(SKIP_1) | instid1(VALU_DEP_2)
	v_add_nc_u32_e32 v18, v18, v28
	v_cndmask_b32_e64 v21, v21, 0, vcc_lo
	v_cmp_eq_u32_e32 vcc_lo, 0, v18
	s_delay_alu instid0(VALU_DEP_2)
	v_add_nc_u32_e32 v19, v19, v21
	ds_bpermute_b32 v28, v40, v18
	ds_bpermute_b32 v21, v40, v19
	s_wait_dscnt 0x0
	v_cndmask_b32_e32 v21, 0, v21, vcc_lo
	v_cmp_gt_u32_e32 vcc_lo, v41, v29
	s_delay_alu instid0(VALU_DEP_2) | instskip(NEXT) | instid1(VALU_DEP_1)
	v_cndmask_b32_e64 v21, v21, 0, vcc_lo
	v_add_nc_u32_e32 v19, v21, v19
	v_cndmask_b32_e64 v21, v28, 0, vcc_lo
	v_cmp_eq_u32_e32 vcc_lo, 0, v16
	s_delay_alu instid0(VALU_DEP_2) | instskip(NEXT) | instid1(VALU_DEP_4)
	v_add3_u32 v18, v18, v16, v21
	v_cndmask_b32_e32 v19, 0, v19, vcc_lo
	s_delay_alu instid0(VALU_DEP_1)
	v_add_nc_u32_e32 v19, v19, v17
.LBB400_76:                             ;   in Loop: Header=BB400_77 Depth=1
	s_and_b32 vcc_lo, exec_lo, s14
	s_cbranch_vccnz .LBB400_82
.LBB400_77:                             ; =>This Loop Header: Depth=1
                                        ;     Child Loop BB400_80 Depth 2
	v_and_b32_e32 v16, 0xff, v20
	s_delay_alu instid0(VALU_DEP_2) | instskip(SKIP_1) | instid1(VALU_DEP_2)
	v_mov_b32_e32 v17, v19
	s_mov_b32 s14, -1
                                        ; implicit-def: $vgpr19
                                        ; implicit-def: $vgpr20
	v_cmp_ne_u16_e32 vcc_lo, 2, v16
	v_mov_b32_e32 v16, v18
                                        ; implicit-def: $vgpr18
	s_cmp_lg_u32 vcc_lo, exec_lo
	s_cbranch_scc1 .LBB400_76
; %bb.78:                               ;   in Loop: Header=BB400_77 Depth=1
	v_lshl_add_u64 v[28:29], v[26:27], 4, s[20:21]
	;;#ASMSTART
	global_load_b128 v[18:21], v[28:29] off scope:SCOPE_DEV	
s_wait_loadcnt 0x0
	;;#ASMEND
	v_and_b32_e32 v21, 0xff, v20
	s_mov_b32 s14, exec_lo
	s_delay_alu instid0(VALU_DEP_1)
	v_cmpx_eq_u16_e32 0, v21
	s_cbranch_execz .LBB400_75
; %bb.79:                               ;   in Loop: Header=BB400_77 Depth=1
	s_mov_b32 s15, 0
.LBB400_80:                             ;   Parent Loop BB400_77 Depth=1
                                        ; =>  This Inner Loop Header: Depth=2
	;;#ASMSTART
	global_load_b128 v[18:21], v[28:29] off scope:SCOPE_DEV	
s_wait_loadcnt 0x0
	;;#ASMEND
	v_and_b32_e32 v21, 0xff, v20
	s_delay_alu instid0(VALU_DEP_1) | instskip(SKIP_1) | instid1(SALU_CYCLE_1)
	v_cmp_ne_u16_e32 vcc_lo, 0, v21
	s_or_b32 s15, vcc_lo, s15
	s_and_not1_b32 exec_lo, exec_lo, s15
	s_cbranch_execnz .LBB400_80
	s_branch .LBB400_74
.LBB400_81:
                                        ; implicit-def: $vgpr14
                                        ; implicit-def: $vgpr18
                                        ; implicit-def: $vgpr20_vgpr21
                                        ; implicit-def: $vgpr28_vgpr29
                                        ; implicit-def: $vgpr36_vgpr37
                                        ; implicit-def: $vgpr30_vgpr31
                                        ; implicit-def: $vgpr44_vgpr45
                                        ; implicit-def: $vgpr48_vgpr49
                                        ; implicit-def: $vgpr46_vgpr47
                                        ; implicit-def: $vgpr42_vgpr43
                                        ; implicit-def: $vgpr38_vgpr39
                                        ; implicit-def: $vgpr32_vgpr33
                                        ; implicit-def: $vgpr34_vgpr35
                                        ; implicit-def: $vgpr40_vgpr41
                                        ; implicit-def: $vgpr24_vgpr25
                                        ; implicit-def: $vgpr26_vgpr27
	s_cbranch_execnz .LBB400_87
	s_branch .LBB400_98
.LBB400_82:
	s_and_saveexec_b32 s14, s13
	s_cbranch_execz .LBB400_84
; %bb.83:
	v_cmp_eq_u32_e32 vcc_lo, 0, v14
	s_mov_b32 s23, 0
	s_add_co_i32 s22, s24, 32
	v_mov_b32_e32 v21, 0
	s_lshl_b64 s[22:23], s[22:23], 4
	v_dual_cndmask_b32 v19, 0, v17 :: v_dual_add_nc_u32 v18, v16, v14
	s_add_nc_u64 s[22:23], s[20:21], s[22:23]
	v_mov_b32_e32 v20, 2
	v_mov_b64_e32 v[26:27], s[22:23]
	s_delay_alu instid0(VALU_DEP_3)
	v_add_nc_u32_e32 v19, v19, v15
	;;#ASMSTART
	global_store_b128 v[26:27], v[18:21] off scope:SCOPE_DEV	
s_wait_storecnt 0x0
	;;#ASMEND
	ds_store_b128 v21, v[14:17] offset:2048
.LBB400_84:
	s_or_b32 exec_lo, exec_lo, s14
	s_delay_alu instid0(SALU_CYCLE_1)
	s_and_b32 exec_lo, exec_lo, s2
; %bb.85:
	v_mov_b32_e32 v14, 0
	ds_store_b64 v14, v[16:17] offset:2120
.LBB400_86:
	s_or_b32 exec_lo, exec_lo, s17
	s_wait_dscnt 0x1
	v_dual_mov_b32 v16, 0 :: v_dual_cndmask_b32 v17, v30, v24, s13
	s_wait_dscnt 0x0
	s_barrier_signal -1
	s_barrier_wait -1
	ds_load_b64 v[14:15], v16 offset:2120
	v_cmp_eq_u32_e32 vcc_lo, 0, v17
	v_cndmask_b32_e64 v18, v31, v25, s13
	v_cndmask_b32_e64 v17, v17, 0, s2
	s_wait_dscnt 0x0
	s_barrier_signal -1
	s_barrier_wait -1
	v_cndmask_b32_e32 v19, 0, v15, vcc_lo
	v_cmp_eq_u32_e32 vcc_lo, 0, v67
	s_delay_alu instid0(VALU_DEP_2) | instskip(NEXT) | instid1(VALU_DEP_1)
	v_dual_add_nc_u32 v44, v14, v17 :: v_dual_add_nc_u32 v18, v19, v18
	v_add_nc_u32_e32 v48, v44, v67
	s_delay_alu instid0(VALU_DEP_1) | instskip(NEXT) | instid1(VALU_DEP_1)
	v_dual_cndmask_b32 v45, v18, v15, s2 :: v_dual_add_nc_u32 v46, v48, v66
	v_cndmask_b32_e32 v15, 0, v45, vcc_lo
	s_delay_alu instid0(VALU_DEP_1) | instskip(NEXT) | instid1(VALU_DEP_1)
	v_add_nc_u32_e32 v49, v15, v52
	v_cndmask_b32_e64 v15, 0, v49, s12
	s_delay_alu instid0(VALU_DEP_1) | instskip(NEXT) | instid1(VALU_DEP_1)
	v_add_nc_u32_e32 v47, v15, v68
	v_cndmask_b32_e64 v15, 0, v47, s11
	;; [unrolled: 3-line block ×7, first 2 shown]
	s_delay_alu instid0(VALU_DEP_1) | instskip(NEXT) | instid1(VALU_DEP_1)
	v_add_nc_u32_e32 v25, v14, v73
	v_dual_add_nc_u32 v42, v46, v64 :: v_dual_cndmask_b32 v14, 0, v25, s5
	s_delay_alu instid0(VALU_DEP_1) | instskip(NEXT) | instid1(VALU_DEP_2)
	v_add_nc_u32_e32 v38, v42, v63
	v_add_nc_u32_e32 v27, v14, v69
	s_delay_alu instid0(VALU_DEP_1) | instskip(NEXT) | instid1(VALU_DEP_1)
	v_dual_add_nc_u32 v32, v38, v61 :: v_dual_cndmask_b32 v14, 0, v27, s4
	v_add_nc_u32_e32 v34, v32, v65
	s_delay_alu instid0(VALU_DEP_1) | instskip(NEXT) | instid1(VALU_DEP_1)
	v_add_nc_u32_e32 v40, v34, v60
	v_add_nc_u32_e32 v24, v40, v59
	s_delay_alu instid0(VALU_DEP_1) | instskip(NEXT) | instid1(VALU_DEP_1)
	v_add_nc_u32_e32 v26, v24, v58
	v_add_nc_u32_e32 v30, v26, v57
	s_delay_alu instid0(VALU_DEP_1) | instskip(SKIP_3) | instid1(VALU_DEP_1)
	v_add_nc_u32_e32 v36, v30, v54
	v_add_nc_u32_e32 v31, v14, v53
	ds_load_b128 v[14:17], v16 offset:2048
	v_add_nc_u32_e32 v28, v36, v55
	v_dual_cndmask_b32 v18, 0, v31, s3 :: v_dual_add_nc_u32 v20, v28, v62
	s_delay_alu instid0(VALU_DEP_1) | instskip(NEXT) | instid1(VALU_DEP_1)
	v_add_nc_u32_e32 v37, v18, v51
	v_cndmask_b32_e64 v18, 0, v37, s1
	s_delay_alu instid0(VALU_DEP_1) | instskip(SKIP_2) | instid1(VALU_DEP_2)
	v_add_nc_u32_e32 v29, v18, v50
	s_wait_dscnt 0x0
	v_cmp_eq_u32_e32 vcc_lo, 0, v14
	v_cndmask_b32_e64 v18, 0, v29, s0
	v_cndmask_b32_e32 v17, 0, v17, vcc_lo
	s_delay_alu instid0(VALU_DEP_1)
	v_dual_add_nc_u32 v21, v18, v1 :: v_dual_add_nc_u32 v18, v17, v15
	s_branch .LBB400_98
.LBB400_87:
	s_cmp_eq_u64 s[36:37], 0
	v_mov_b32_e32 v18, v52
	s_cselect_b32 s0, -1, 0
	s_delay_alu instid0(SALU_CYCLE_1) | instskip(NEXT) | instid1(SALU_CYCLE_1)
	s_or_b32 s0, s16, s0
	s_and_b32 vcc_lo, exec_lo, s0
	s_cbranch_vccnz .LBB400_89
; %bb.88:
	v_mov_b32_e32 v14, 0
	global_load_b32 v18, v14, s[36:37]
.LBB400_89:
	v_add3_u32 v15, v80, v61, v65
	v_cmp_eq_u32_e64 s6, 0, v66
	v_cmp_eq_u32_e64 s7, 0, v64
	;; [unrolled: 1-line block ×4, first 2 shown]
	v_add3_u32 v15, v15, v60, v59
	s_wait_xcnt 0x0
	v_dual_cndmask_b32 v14, 0, v52, s6 :: v_dual_bitop2_b32 v17, 15, v77 bitop3:0x40
	v_cmp_eq_u32_e64 s11, 0, v65
	v_cmp_eq_u32_e64 s10, 0, v60
	v_add3_u32 v15, v15, v58, v57
	v_cmp_eq_u32_e64 s5, 0, v59
	v_cmp_eq_u32_e64 s4, 0, v58
	;; [unrolled: 1-line block ×4, first 2 shown]
	v_add3_u32 v15, v15, v54, v55
	v_cmp_eq_u32_e32 vcc_lo, 0, v55
	v_cmp_eq_u32_e64 s0, 0, v62
	v_cmp_eq_u32_e64 s12, 0, v56
	s_delay_alu instid0(VALU_DEP_4) | instskip(SKIP_1) | instid1(VALU_DEP_2)
	v_add3_u32 v15, v15, v62, v56
	v_add_nc_u32_e32 v14, v14, v68
	v_mov_b32_dpp v19, v15 row_shr:1 row_mask:0xf bank_mask:0xf
	s_delay_alu instid0(VALU_DEP_2) | instskip(NEXT) | instid1(VALU_DEP_1)
	v_cndmask_b32_e64 v14, 0, v14, s7
	v_add_nc_u32_e32 v14, v14, v72
	s_delay_alu instid0(VALU_DEP_1) | instskip(NEXT) | instid1(VALU_DEP_1)
	v_cndmask_b32_e64 v14, 0, v14, s8
	v_add_nc_u32_e32 v14, v14, v74
	s_delay_alu instid0(VALU_DEP_1) | instskip(NEXT) | instid1(VALU_DEP_1)
	;; [unrolled: 3-line block ×9, first 2 shown]
	v_cndmask_b32_e32 v14, 0, v14, vcc_lo
	v_add_nc_u32_e32 v14, v14, v50
	s_delay_alu instid0(VALU_DEP_1) | instskip(NEXT) | instid1(VALU_DEP_1)
	v_cndmask_b32_e64 v14, 0, v14, s0
	v_add_nc_u32_e32 v14, v14, v1
	s_delay_alu instid0(VALU_DEP_1) | instskip(SKIP_1) | instid1(VALU_DEP_2)
	v_cndmask_b32_e64 v14, 0, v14, s12
	v_cmp_eq_u32_e64 s12, 0, v15
	v_add_nc_u32_e32 v14, v14, v76
	s_delay_alu instid0(VALU_DEP_1) | instskip(NEXT) | instid1(VALU_DEP_1)
	v_mov_b32_dpp v16, v14 row_shr:1 row_mask:0xf bank_mask:0xf
	v_cndmask_b32_e64 v16, 0, v16, s12
	v_cmp_eq_u32_e64 s12, 0, v17
	s_delay_alu instid0(VALU_DEP_1) | instskip(NEXT) | instid1(VALU_DEP_3)
	v_cndmask_b32_e64 v19, v19, 0, s12
	v_cndmask_b32_e64 v16, v16, 0, s12
	v_cmp_lt_u32_e64 s12, 1, v17
	s_delay_alu instid0(VALU_DEP_2) | instskip(NEXT) | instid1(VALU_DEP_1)
	v_dual_add_nc_u32 v15, v19, v15 :: v_dual_add_nc_u32 v14, v16, v14
	v_mov_b32_dpp v16, v15 row_shr:2 row_mask:0xf bank_mask:0xf
	v_cmp_eq_u32_e64 s13, 0, v15
	s_delay_alu instid0(VALU_DEP_3) | instskip(NEXT) | instid1(VALU_DEP_3)
	v_mov_b32_dpp v19, v14 row_shr:2 row_mask:0xf bank_mask:0xf
	v_cndmask_b32_e64 v16, 0, v16, s12
	s_and_b32 s12, s12, s13
	s_delay_alu instid0(VALU_DEP_2) | instid1(SALU_CYCLE_1)
	v_cndmask_b32_e64 v19, 0, v19, s12
	v_cmp_lt_u32_e64 s12, 3, v17
	s_delay_alu instid0(VALU_DEP_3) | instskip(NEXT) | instid1(VALU_DEP_3)
	v_add_nc_u32_e32 v15, v15, v16
	v_add_nc_u32_e32 v14, v19, v14
	s_delay_alu instid0(VALU_DEP_2) | instskip(SKIP_1) | instid1(VALU_DEP_3)
	v_mov_b32_dpp v16, v15 row_shr:4 row_mask:0xf bank_mask:0xf
	v_cmp_eq_u32_e64 s13, 0, v15
	v_mov_b32_dpp v19, v14 row_shr:4 row_mask:0xf bank_mask:0xf
	s_delay_alu instid0(VALU_DEP_3)
	v_cndmask_b32_e64 v16, 0, v16, s12
	s_and_b32 s12, s12, s13
	s_delay_alu instid0(VALU_DEP_2) | instid1(SALU_CYCLE_1)
	v_cndmask_b32_e64 v19, 0, v19, s12
	v_cmp_lt_u32_e64 s12, 7, v17
	s_delay_alu instid0(VALU_DEP_3) | instskip(NEXT) | instid1(VALU_DEP_3)
	v_add_nc_u32_e32 v15, v16, v15
	v_add_nc_u32_e32 v14, v14, v19
	v_bfe_i32 v19, v77, 4, 1
	s_delay_alu instid0(VALU_DEP_3) | instskip(SKIP_1) | instid1(VALU_DEP_4)
	v_mov_b32_dpp v16, v15 row_shr:8 row_mask:0xf bank_mask:0xf
	v_cmp_eq_u32_e64 s13, 0, v15
	v_mov_b32_dpp v17, v14 row_shr:8 row_mask:0xf bank_mask:0xf
	s_delay_alu instid0(VALU_DEP_3) | instskip(SKIP_2) | instid1(VALU_DEP_2)
	v_cndmask_b32_e64 v16, 0, v16, s12
	s_and_b32 s12, s12, s13
	s_mov_b32 s13, exec_lo
	v_cndmask_b32_e64 v17, 0, v17, s12
	s_delay_alu instid0(VALU_DEP_1) | instskip(SKIP_4) | instid1(VALU_DEP_1)
	v_dual_add_nc_u32 v17, v17, v14 :: v_dual_add_nc_u32 v14, v16, v15
	ds_swizzle_b32 v15, v17 offset:swizzle(BROADCAST,32,15)
	ds_swizzle_b32 v16, v14 offset:swizzle(BROADCAST,32,15)
	v_cmp_eq_u32_e64 s12, 0, v14
	s_wait_dscnt 0x0
	v_dual_cndmask_b32 v15, 0, v15, s12 :: v_dual_bitop2_b32 v16, v19, v16 bitop3:0x40
	s_delay_alu instid0(VALU_DEP_1) | instskip(NEXT) | instid1(VALU_DEP_1)
	v_dual_add_nc_u32 v14, v16, v14 :: v_dual_bitop2_b32 v15, v19, v15 bitop3:0x40
	v_dual_add_nc_u32 v15, v15, v17 :: v_dual_lshlrev_b32 v17, 3, v78
	v_cmpx_eq_u32_e64 v0, v79
; %bb.90:
	ds_store_b64 v17, v[14:15] offset:2064
; %bb.91:
	s_or_b32 exec_lo, exec_lo, s13
	s_delay_alu instid0(SALU_CYCLE_1)
	s_mov_b32 s14, exec_lo
	s_wait_loadcnt_dscnt 0x0
	s_barrier_signal -1
	s_barrier_wait -1
	v_cmpx_gt_u32_e32 8, v0
	s_cbranch_execz .LBB400_93
; %bb.92:
	v_dual_lshlrev_b32 v16, 3, v0 :: v_dual_bitop2_b32 v24, 7, v77 bitop3:0x40
	ds_load_b64 v[20:21], v16 offset:2064
	s_wait_dscnt 0x0
	v_mov_b32_dpp v19, v21 row_shr:1 row_mask:0xf bank_mask:0xf
	v_cmp_eq_u32_e64 s12, 0, v20
	v_mov_b32_dpp v25, v20 row_shr:1 row_mask:0xf bank_mask:0xf
	s_delay_alu instid0(VALU_DEP_2) | instskip(SKIP_1) | instid1(VALU_DEP_1)
	v_cndmask_b32_e64 v19, 0, v19, s12
	v_cmp_eq_u32_e64 s12, 0, v24
	v_cndmask_b32_e64 v25, v25, 0, s12
	s_delay_alu instid0(VALU_DEP_1) | instskip(NEXT) | instid1(VALU_DEP_4)
	v_add_nc_u32_e32 v20, v25, v20
	v_cndmask_b32_e64 v19, v19, 0, s12
	v_cmp_lt_u32_e64 s12, 1, v24
	s_delay_alu instid0(VALU_DEP_3) | instskip(NEXT) | instid1(VALU_DEP_3)
	v_cmp_eq_u32_e64 s13, 0, v20
	v_add_nc_u32_e32 v19, v19, v21
	v_mov_b32_dpp v21, v20 row_shr:2 row_mask:0xf bank_mask:0xf
	s_delay_alu instid0(VALU_DEP_1) | instskip(NEXT) | instid1(VALU_DEP_3)
	v_cndmask_b32_e64 v21, 0, v21, s12
	v_mov_b32_dpp v25, v19 row_shr:2 row_mask:0xf bank_mask:0xf
	s_and_b32 s12, s12, s13
	s_delay_alu instid0(VALU_DEP_1) | instid1(SALU_CYCLE_1)
	v_dual_add_nc_u32 v20, v21, v20 :: v_dual_cndmask_b32 v25, 0, v25, s12
	v_cmp_lt_u32_e64 s12, 3, v24
	s_delay_alu instid0(VALU_DEP_2) | instskip(NEXT) | instid1(VALU_DEP_3)
	v_mov_b32_dpp v21, v20 row_shr:4 row_mask:0xf bank_mask:0xf
	v_add_nc_u32_e32 v19, v25, v19
	v_cmp_eq_u32_e64 s13, 0, v20
	s_delay_alu instid0(VALU_DEP_3) | instskip(NEXT) | instid1(VALU_DEP_3)
	v_cndmask_b32_e64 v21, 0, v21, s12
	v_mov_b32_dpp v24, v19 row_shr:4 row_mask:0xf bank_mask:0xf
	s_and_b32 s12, s12, s13
	s_delay_alu instid0(VALU_DEP_1) | instid1(SALU_CYCLE_1)
	v_cndmask_b32_e64 v24, 0, v24, s12
	s_delay_alu instid0(VALU_DEP_1)
	v_dual_add_nc_u32 v20, v21, v20 :: v_dual_add_nc_u32 v21, v24, v19
	ds_store_b64 v16, v[20:21] offset:2064
.LBB400_93:
	s_or_b32 exec_lo, exec_lo, s14
	v_dual_mov_b32 v19, 0 :: v_dual_mov_b32 v16, 0
	v_mov_b32_e32 v20, v18
	s_mov_b32 s13, exec_lo
	s_wait_dscnt 0x0
	s_barrier_signal -1
	s_barrier_wait -1
	v_cmpx_lt_u32_e32 31, v0
	s_cbranch_execz .LBB400_95
; %bb.94:
	ds_load_b64 v[16:17], v17 offset:2056
	s_wait_dscnt 0x0
	v_cmp_eq_u32_e64 s12, 0, v16
	s_delay_alu instid0(VALU_DEP_1) | instskip(NEXT) | instid1(VALU_DEP_1)
	v_cndmask_b32_e64 v20, 0, v18, s12
	v_add_nc_u32_e32 v20, v20, v17
.LBB400_95:
	s_or_b32 exec_lo, exec_lo, s13
	v_sub_co_u32 v17, s12, v77, 1
	s_delay_alu instid0(VALU_DEP_1) | instskip(NEXT) | instid1(VALU_DEP_1)
	v_cmp_gt_i32_e64 s13, 0, v17
	v_cndmask_b32_e64 v17, v17, v77, s13
	v_cmp_eq_u32_e64 s13, 0, v14
	s_delay_alu instid0(VALU_DEP_1) | instskip(NEXT) | instid1(VALU_DEP_3)
	v_dual_cndmask_b32 v21, 0, v20, s13 :: v_dual_add_nc_u32 v14, v16, v14
	v_lshlrev_b32_e32 v17, 2, v17
	ds_bpermute_b32 v14, v17, v14
	s_wait_dscnt 0x0
	v_dual_add_nc_u32 v15, v21, v15 :: v_dual_cndmask_b32 v14, v14, v16, s12
	ds_bpermute_b32 v15, v17, v15
	v_cndmask_b32_e64 v44, v14, 0, s2
	s_delay_alu instid0(VALU_DEP_1) | instskip(NEXT) | instid1(VALU_DEP_1)
	v_add_nc_u32_e32 v48, v44, v67
	v_add_nc_u32_e32 v46, v48, v66
	s_delay_alu instid0(VALU_DEP_1) | instskip(SKIP_3) | instid1(VALU_DEP_2)
	v_add_nc_u32_e32 v42, v46, v64
	s_wait_dscnt 0x0
	v_cndmask_b32_e64 v15, v15, v20, s12
	v_cmp_eq_u32_e64 s12, 0, v67
	v_cndmask_b32_e64 v45, v15, v18, s2
	s_delay_alu instid0(VALU_DEP_1) | instskip(NEXT) | instid1(VALU_DEP_1)
	v_cndmask_b32_e64 v15, 0, v45, s12
	v_add_nc_u32_e32 v49, v15, v52
	s_delay_alu instid0(VALU_DEP_1) | instskip(NEXT) | instid1(VALU_DEP_1)
	v_cndmask_b32_e64 v15, 0, v49, s6
	v_add_nc_u32_e32 v47, v15, v68
	;; [unrolled: 3-line block ×8, first 2 shown]
	s_delay_alu instid0(VALU_DEP_1) | instskip(NEXT) | instid1(VALU_DEP_1)
	v_dual_add_nc_u32 v38, v42, v63 :: v_dual_cndmask_b32 v14, 0, v25, s4
	v_add_nc_u32_e32 v32, v38, v61
	s_delay_alu instid0(VALU_DEP_2) | instskip(NEXT) | instid1(VALU_DEP_1)
	v_add_nc_u32_e32 v27, v14, v69
	v_dual_add_nc_u32 v34, v32, v65 :: v_dual_cndmask_b32 v14, 0, v27, s3
	s_delay_alu instid0(VALU_DEP_1) | instskip(NEXT) | instid1(VALU_DEP_2)
	v_add_nc_u32_e32 v40, v34, v60
	v_add_nc_u32_e32 v31, v14, v53
	ds_load_b64 v[14:15], v19 offset:2120
	v_add_nc_u32_e32 v24, v40, v59
	s_delay_alu instid0(VALU_DEP_1) | instskip(NEXT) | instid1(VALU_DEP_1)
	v_dual_cndmask_b32 v16, 0, v31, s1 :: v_dual_add_nc_u32 v26, v24, v58
	v_add_nc_u32_e32 v37, v16, v51
	s_delay_alu instid0(VALU_DEP_1) | instskip(NEXT) | instid1(VALU_DEP_1)
	v_cndmask_b32_e32 v16, 0, v37, vcc_lo
	v_dual_add_nc_u32 v30, v26, v57 :: v_dual_add_nc_u32 v29, v16, v50
	s_delay_alu instid0(VALU_DEP_1) | instskip(SKIP_2) | instid1(VALU_DEP_2)
	v_add_nc_u32_e32 v36, v30, v54
	s_wait_dscnt 0x0
	v_cmp_eq_u32_e32 vcc_lo, 0, v14
	v_dual_cndmask_b32 v16, 0, v29, s0 :: v_dual_add_nc_u32 v28, v36, v55
	s_delay_alu instid0(VALU_DEP_1) | instskip(NEXT) | instid1(VALU_DEP_1)
	v_dual_cndmask_b32 v17, 0, v18, vcc_lo :: v_dual_add_nc_u32 v21, v16, v1
	v_dual_add_nc_u32 v20, v28, v62 :: v_dual_add_nc_u32 v18, v17, v15
	s_and_saveexec_b32 s0, s2
	s_cbranch_execz .LBB400_97
; %bb.96:
	s_add_nc_u64 s[4:5], s[20:21], 0x200
	v_dual_mov_b32 v16, 2 :: v_dual_mov_b32 v17, 0
	v_mov_b32_e32 v15, v18
	v_mov_b64_e32 v[50:51], s[4:5]
	;;#ASMSTART
	global_store_b128 v[50:51], v[14:17] off scope:SCOPE_DEV	
s_wait_storecnt 0x0
	;;#ASMEND
.LBB400_97:
	s_or_b32 exec_lo, exec_lo, s0
	v_mov_b32_e32 v16, 0
.LBB400_98:
	s_cmp_eq_u64 s[18:19], 0
	v_mov_b64_e32 v[50:51], 0
	s_cselect_b32 s0, -1, 0
	s_delay_alu instid0(SALU_CYCLE_1)
	s_or_b32 s0, s16, s0
	s_barrier_signal -1
	s_and_b32 vcc_lo, exec_lo, s0
	s_barrier_wait -1
	s_cbranch_vccnz .LBB400_100
; %bb.99:
	v_mov_b32_e32 v1, 0
	global_load_b64 v[50:51], v1, s[18:19]
.LBB400_100:
	v_cmp_eq_u32_e32 vcc_lo, 0, v67
	s_wait_loadcnt 0x0
	v_lshlrev_b64_e32 v[52:53], 2, v[50:51]
	v_cmp_ne_u32_e64 s14, 0, v67
	v_cmp_ne_u32_e64 s13, 0, v66
	;; [unrolled: 1-line block ×3, first 2 shown]
	v_cndmask_b32_e64 v1, 1, 2, vcc_lo
	v_cmp_eq_u32_e32 vcc_lo, 0, v66
	v_cmp_ne_u32_e64 s11, 0, v63
	v_add_nc_u64_e32 v[52:53], s[28:29], v[52:53]
	v_cmp_ne_u32_e64 s10, 0, v61
	v_cmp_ne_u32_e64 s9, 0, v65
	v_cndmask_b32_e64 v15, 1, 2, vcc_lo
	v_cmp_eq_u32_e32 vcc_lo, 0, v64
	v_cmp_ne_u32_e64 s8, 0, v60
	v_cmp_ne_u32_e64 s7, 0, v59
	;; [unrolled: 1-line block ×3, first 2 shown]
	v_and_b32_e32 v1, v15, v1
	v_cndmask_b32_e64 v17, 1, 2, vcc_lo
	v_cmp_eq_u32_e32 vcc_lo, 0, v63
	v_cmp_ne_u32_e64 s5, 0, v57
	v_cmp_ne_u32_e64 s4, 0, v54
	;; [unrolled: 1-line block ×4, first 2 shown]
	v_cndmask_b32_e64 v19, 1, 2, vcc_lo
	v_cmp_eq_u32_e32 vcc_lo, 0, v61
	v_cmp_ne_u32_e64 s0, 0, v56
	s_mov_b32 s16, -1
	v_bitop3_b16 v1, v1, v19, v17 bitop3:0x80
	v_cndmask_b32_e64 v15, 1, 2, vcc_lo
	v_cmp_eq_u32_e32 vcc_lo, 0, v65
	v_mov_b32_e32 v17, 0
	v_cndmask_b32_e64 v19, 1, 2, vcc_lo
	v_cmp_eq_u32_e32 vcc_lo, 0, v60
	s_delay_alu instid0(VALU_DEP_3) | instskip(NEXT) | instid1(VALU_DEP_3)
	v_lshlrev_b64_e32 v[68:69], 2, v[16:17]
	v_bitop3_b16 v1, v1, v19, v15 bitop3:0x80
	v_cndmask_b32_e64 v15, 1, 2, vcc_lo
	v_cmp_eq_u32_e32 vcc_lo, 0, v59
	s_delay_alu instid0(VALU_DEP_4) | instskip(SKIP_2) | instid1(VALU_DEP_2)
	v_add_nc_u64_e32 v[52:53], v[52:53], v[68:69]
	v_cndmask_b32_e64 v19, 1, 2, vcc_lo
	v_cmp_eq_u32_e32 vcc_lo, 0, v58
	v_bitop3_b16 v1, v1, v19, v15 bitop3:0x80
	v_cndmask_b32_e64 v15, 1, 2, vcc_lo
	v_cmp_eq_u32_e32 vcc_lo, 0, v57
	v_cndmask_b32_e64 v19, 1, 2, vcc_lo
	v_cmp_eq_u32_e32 vcc_lo, 0, v54
	s_delay_alu instid0(VALU_DEP_2) | instskip(SKIP_4) | instid1(VALU_DEP_2)
	v_bitop3_b16 v1, v1, v19, v15 bitop3:0x80
	v_cndmask_b32_e64 v15, 1, 2, vcc_lo
	v_cmp_eq_u32_e32 vcc_lo, 0, v55
	v_cndmask_b32_e64 v19, 1, 2, vcc_lo
	v_cmp_eq_u32_e32 vcc_lo, 0, v62
	v_bitop3_b16 v1, v1, v19, v15 bitop3:0x80
	v_cndmask_b32_e64 v15, 1, 2, vcc_lo
	v_cmp_eq_u32_e32 vcc_lo, 0, v56
	v_cndmask_b32_e64 v19, 1, 2, vcc_lo
	v_cmp_gt_u32_e32 vcc_lo, 0x100, v14
	s_delay_alu instid0(VALU_DEP_2) | instskip(NEXT) | instid1(VALU_DEP_1)
	v_bitop3_b16 v1, v1, v19, v15 bitop3:0x80
	v_cmp_gt_i16_e64 s15, 2, v1
	s_cbranch_vccz .LBB400_107
; %bb.101:
	s_and_saveexec_b32 s16, s15
	s_cbranch_execz .LBB400_106
; %bb.102:
	s_mov_b32 s17, 0
	s_mov_b32 s15, exec_lo
	v_cmpx_ne_u16_e32 1, v1
	s_xor_b32 s15, exec_lo, s15
	s_cbranch_execnz .LBB400_150
; %bb.103:
	s_and_not1_saveexec_b32 s15, s15
	s_cbranch_execnz .LBB400_165
.LBB400_104:
	s_or_b32 exec_lo, exec_lo, s15
	s_delay_alu instid0(SALU_CYCLE_1)
	s_and_b32 exec_lo, exec_lo, s17
	s_cbranch_execz .LBB400_106
.LBB400_105:
	v_sub_nc_u32_e32 v15, v20, v16
	v_readfirstlane_b32 s18, v52
	v_readfirstlane_b32 s19, v53
	global_store_b32 v15, v23, s[18:19] scale_offset
.LBB400_106:
	s_wait_xcnt 0x0
	s_or_b32 exec_lo, exec_lo, s16
	s_mov_b32 s16, 0
.LBB400_107:
	s_delay_alu instid0(SALU_CYCLE_1)
	s_and_b32 vcc_lo, exec_lo, s16
	s_cbranch_vccz .LBB400_129
; %bb.108:
	s_mov_b32 s15, exec_lo
	v_cmpx_gt_i16_e32 2, v1
	s_cbranch_execz .LBB400_113
; %bb.109:
	s_mov_b32 s17, 0
	s_mov_b32 s16, exec_lo
	v_cmpx_ne_u16_e32 1, v1
	s_xor_b32 s16, exec_lo, s16
	s_cbranch_execnz .LBB400_166
; %bb.110:
	s_and_not1_saveexec_b32 s0, s16
	s_cbranch_execnz .LBB400_181
.LBB400_111:
	s_or_b32 exec_lo, exec_lo, s0
	s_delay_alu instid0(SALU_CYCLE_1)
	s_and_b32 exec_lo, exec_lo, s17
.LBB400_112:
	v_sub_nc_u32_e32 v1, v20, v16
	s_delay_alu instid0(VALU_DEP_1)
	v_lshlrev_b32_e32 v1, 2, v1
	ds_store_b32 v1, v23
.LBB400_113:
	s_or_b32 exec_lo, exec_lo, s15
	s_delay_alu instid0(SALU_CYCLE_1)
	s_mov_b32 s0, exec_lo
	s_wait_storecnt_dscnt 0x0
	s_barrier_signal -1
	s_barrier_wait -1
	v_cmpx_lt_u32_e64 v0, v14
	s_cbranch_execz .LBB400_128
; %bb.114:
	v_xad_u32 v2, v0, -1, v14
	v_mov_b32_e32 v1, v0
	s_mov_b32 s5, -1
	s_mov_b32 s3, exec_lo
	s_delay_alu instid0(VALU_DEP_2)
	v_cmp_gt_u32_e64 s1, 0x1900, v2
	v_cmpx_lt_u32_e32 0x18ff, v2
	s_cbranch_execz .LBB400_125
; %bb.115:
	v_sub_nc_u32_e32 v1, v0, v14
	s_delay_alu instid0(VALU_DEP_1) | instskip(NEXT) | instid1(VALU_DEP_1)
	v_or_b32_e32 v1, 0xff, v1
	v_cmp_ge_u32_e32 vcc_lo, v1, v0
	v_mov_b32_e32 v1, v0
	s_and_saveexec_b32 s4, vcc_lo
	s_cbranch_execz .LBB400_124
; %bb.116:
	v_lshrrev_b32_e32 v6, 8, v2
	v_or_b32_e32 v1, 0x100, v0
	s_delay_alu instid0(VALU_DEP_2) | instskip(NEXT) | instid1(VALU_DEP_1)
	v_dual_mov_b32 v10, 0 :: v_dual_add_nc_u32 v2, -1, v6
	v_lshrrev_b32_e32 v3, 1, v2
	v_cmp_lt_u32_e32 vcc_lo, 13, v2
	s_delay_alu instid0(VALU_DEP_2)
	v_add_nc_u32_e32 v7, 1, v3
	v_mov_b64_e32 v[2:3], v[0:1]
	s_and_saveexec_b32 s5, vcc_lo
	s_cbranch_execz .LBB400_120
; %bb.117:
	v_mov_b64_e32 v[2:3], v[0:1]
	v_dual_lshlrev_b32 v9, 2, v0 :: v_dual_bitop2_b32 v8, -8, v7 bitop3:0x40
	v_mov_b32_e32 v5, 0
	s_mov_b32 s6, 0
	s_mov_b32 s7, 0
.LBB400_118:                            ; =>This Inner Loop Header: Depth=1
	s_delay_alu instid0(VALU_DEP_1)
	v_dual_mov_b32 v4, v2 :: v_dual_mov_b32 v23, v5
	ds_load_2addr_stride64_b32 v[12:13], v9 offset1:4
	v_add_nc_u32_e32 v8, -8, v8
	ds_load_2addr_stride64_b32 v[68:69], v9 offset0:8 offset1:12
	v_lshl_add_u64 v[94:95], v[4:5], 2, v[52:53]
	v_mov_b32_e32 v4, v3
	ds_load_2addr_stride64_b32 v[72:73], v9 offset0:16 offset1:20
	ds_load_2addr_stride64_b32 v[76:77], v9 offset0:24 offset1:28
	v_dual_mov_b32 v71, v5 :: v_dual_add_nc_u32 v22, 0x200, v3
	v_lshl_add_u64 v[96:97], v[4:5], 2, v[52:53]
	v_add_nc_u32_e32 v4, 0x200, v2
	ds_load_2addr_stride64_b32 v[80:81], v9 offset0:32 offset1:36
	v_lshl_add_u64 v[22:23], v[22:23], 2, v[52:53]
	ds_load_2addr_stride64_b32 v[84:85], v9 offset0:40 offset1:44
	ds_load_2addr_stride64_b32 v[88:89], v9 offset0:48 offset1:52
	v_lshl_add_u64 v[98:99], v[4:5], 2, v[52:53]
	v_add_nc_u32_e32 v4, 0x400, v2
	ds_load_2addr_stride64_b32 v[92:93], v9 offset0:56 offset1:60
	s_wait_dscnt 0x7
	s_clause 0x1
	global_store_b32 v[94:95], v12, off
	global_store_b32 v[96:97], v13, off
	s_wait_dscnt 0x6
	s_clause 0x1
	global_store_b32 v[98:99], v68, off
	global_store_b32 v[22:23], v69, off
	v_lshl_add_u64 v[100:101], v[4:5], 2, v[52:53]
	v_add_nc_u32_e32 v4, 0x600, v2
	v_dual_mov_b32 v75, v5 :: v_dual_add_nc_u32 v70, 0x400, v3
	v_dual_mov_b32 v79, v5 :: v_dual_add_nc_u32 v74, 0x600, v3
	s_wait_xcnt 0x2
	s_delay_alu instid0(VALU_DEP_3)
	v_lshl_add_u64 v[12:13], v[4:5], 2, v[52:53]
	v_add_nc_u32_e32 v4, 0x800, v2
	v_lshl_add_u64 v[70:71], v[70:71], 2, v[52:53]
	v_dual_mov_b32 v83, v5 :: v_dual_add_nc_u32 v78, 0x800, v3
	v_lshl_add_u64 v[74:75], v[74:75], 2, v[52:53]
	s_wait_xcnt 0x0
	v_lshl_add_u64 v[22:23], v[4:5], 2, v[52:53]
	v_add_nc_u32_e32 v4, 0xa00, v2
	s_wait_dscnt 0x5
	s_clause 0x1
	global_store_b32 v[100:101], v72, off
	global_store_b32 v[70:71], v73, off
	s_wait_dscnt 0x4
	global_store_b32 v[12:13], v76, off
	v_dual_mov_b32 v87, v5 :: v_dual_add_nc_u32 v82, 0xa00, v3
	s_wait_xcnt 0x0
	v_lshl_add_u64 v[12:13], v[4:5], 2, v[52:53]
	v_add_nc_u32_e32 v4, 0xc00, v2
	v_dual_mov_b32 v91, v5 :: v_dual_add_nc_u32 v86, 0xc00, v3
	v_lshl_add_u64 v[78:79], v[78:79], 2, v[52:53]
	global_store_b32 v[74:75], v77, off
	s_wait_dscnt 0x3
	global_store_b32 v[22:23], v80, off
	s_wait_xcnt 0x0
	v_lshl_add_u64 v[22:23], v[4:5], 2, v[52:53]
	v_add_nc_u32_e32 v4, 0xe00, v2
	v_add_nc_u32_e32 v90, 0xe00, v3
	s_add_co_i32 s7, s7, 16
	v_cmp_eq_u32_e32 vcc_lo, 0, v8
	v_lshl_add_u64 v[82:83], v[82:83], 2, v[52:53]
	v_dual_mov_b32 v10, s7 :: v_dual_add_nc_u32 v9, 0x4000, v9
	v_add_nc_u32_e32 v3, 0x1000, v3
	v_add_nc_u32_e32 v2, 0x1000, v2
	v_lshl_add_u64 v[86:87], v[86:87], 2, v[52:53]
	global_store_b32 v[78:79], v81, off
	s_wait_dscnt 0x2
	s_clause 0x1
	global_store_b32 v[12:13], v84, off
	global_store_b32 v[82:83], v85, off
	s_wait_xcnt 0x1
	v_lshl_add_u64 v[12:13], v[4:5], 2, v[52:53]
	v_lshl_add_u64 v[90:91], v[90:91], 2, v[52:53]
	s_or_b32 s6, vcc_lo, s6
	s_wait_dscnt 0x1
	s_clause 0x1
	global_store_b32 v[22:23], v88, off
	global_store_b32 v[86:87], v89, off
	s_wait_dscnt 0x0
	s_clause 0x1
	global_store_b32 v[12:13], v92, off
	global_store_b32 v[90:91], v93, off
	s_wait_xcnt 0x0
	s_and_not1_b32 exec_lo, exec_lo, s6
	s_cbranch_execnz .LBB400_118
; %bb.119:
	s_or_b32 exec_lo, exec_lo, s6
.LBB400_120:
	s_delay_alu instid0(SALU_CYCLE_1) | instskip(SKIP_3) | instid1(VALU_DEP_1)
	s_or_b32 exec_lo, exec_lo, s5
	v_and_b32_e32 v1, 7, v7
	s_mov_b32 s6, 0
	s_mov_b32 s5, exec_lo
	v_cmpx_ne_u32_e32 0, v1
	s_cbranch_execz .LBB400_123
; %bb.121:
	v_dual_mov_b32 v5, 0 :: v_dual_lshlrev_b32 v4, 2, v0
	s_delay_alu instid0(VALU_DEP_1)
	v_lshl_or_b32 v7, v10, 10, v4
.LBB400_122:                            ; =>This Inner Loop Header: Depth=1
	ds_load_2addr_stride64_b32 v[8:9], v7 offset1:4
	v_dual_mov_b32 v4, v2 :: v_dual_add_nc_u32 v1, -1, v1
	v_add_nc_u32_e32 v2, 0x200, v2
	v_add_nc_u32_e32 v7, 0x800, v7
	s_delay_alu instid0(VALU_DEP_3) | instskip(SKIP_3) | instid1(VALU_DEP_3)
	v_lshl_add_u64 v[10:11], v[4:5], 2, v[52:53]
	v_mov_b32_e32 v4, v3
	v_cmp_eq_u32_e32 vcc_lo, 0, v1
	v_add_nc_u32_e32 v3, 0x200, v3
	v_lshl_add_u64 v[12:13], v[4:5], 2, v[52:53]
	s_or_b32 s6, vcc_lo, s6
	s_wait_dscnt 0x0
	s_clause 0x1
	global_store_b32 v[10:11], v8, off
	global_store_b32 v[12:13], v9, off
	s_wait_xcnt 0x0
	s_and_not1_b32 exec_lo, exec_lo, s6
	s_cbranch_execnz .LBB400_122
.LBB400_123:
	s_or_b32 exec_lo, exec_lo, s5
	v_add_nc_u32_e32 v1, 1, v6
	s_delay_alu instid0(VALU_DEP_1) | instskip(NEXT) | instid1(VALU_DEP_1)
	v_and_b32_e32 v2, 0x1fffffe, v1
	v_cmp_ne_u32_e32 vcc_lo, v1, v2
	v_lshl_or_b32 v1, v2, 8, v0
	s_or_not1_b32 s5, vcc_lo, exec_lo
.LBB400_124:
	s_or_b32 exec_lo, exec_lo, s4
	s_delay_alu instid0(SALU_CYCLE_1) | instskip(SKIP_1) | instid1(SALU_CYCLE_1)
	s_and_not1_b32 s1, s1, exec_lo
	s_and_b32 s4, s5, exec_lo
	s_or_b32 s1, s1, s4
.LBB400_125:
	s_or_b32 exec_lo, exec_lo, s3
	s_delay_alu instid0(SALU_CYCLE_1)
	s_and_b32 exec_lo, exec_lo, s1
	s_cbranch_execz .LBB400_128
; %bb.126:
	v_lshlrev_b32_e32 v2, 2, v1
	s_mov_b32 s1, 0
.LBB400_127:                            ; =>This Inner Loop Header: Depth=1
	ds_load_b32 v3, v2
	v_readfirstlane_b32 s4, v52
	v_readfirstlane_b32 s5, v53
	v_add_nc_u32_e32 v2, 0x400, v2
	s_wait_dscnt 0x0
	global_store_b32 v1, v3, s[4:5] scale_offset
	s_wait_xcnt 0x0
	v_add_nc_u32_e32 v1, 0x100, v1
	s_delay_alu instid0(VALU_DEP_1) | instskip(SKIP_1) | instid1(SALU_CYCLE_1)
	v_cmp_ge_u32_e32 vcc_lo, v1, v14
	s_or_b32 s1, vcc_lo, s1
	s_and_not1_b32 exec_lo, exec_lo, s1
	s_cbranch_execnz .LBB400_127
.LBB400_128:
	s_or_b32 exec_lo, exec_lo, s0
.LBB400_129:
	s_cmp_lg_u32 s38, 0xe00
	v_cndmask_b32_e64 v6, 0, 1, s25
	s_cselect_b32 s0, -1, 0
	s_lshr_b32 s1, s38, 1
	s_and_b32 s0, s0, s33
	v_mad_i32_i24 v3, v0, -14, s38
	v_cndmask_b32_e64 v2, 0, 1, s0
	s_mul_hi_u32 s0, s1, 0x92492493
	s_and_b32 s1, s2, s25
	s_lshr_b32 s0, s0, 2
	v_cndmask_b32_e64 v4, v67, 0, s1
	v_cmp_eq_u32_e32 vcc_lo, s0, v0
	v_cmp_ne_u32_e64 s0, 0, v3
	v_sub_nc_u32_e32 v1, v14, v6
	s_mov_b32 s15, -1
	s_wait_storecnt 0x0
	s_and_b32 vcc_lo, vcc_lo, s33
	s_barrier_signal -1
	v_dual_add_nc_u32 v1, v1, v2 :: v_dual_cndmask_b32 v2, 1, v4, s0
	v_cmp_ne_u32_e64 s0, 1, v3
	s_barrier_wait -1
	s_delay_alu instid0(VALU_DEP_1) | instskip(SKIP_1) | instid1(VALU_DEP_1)
	v_cndmask_b32_e64 v5, 1, v66, s0
	v_cmp_ne_u32_e64 s0, 2, v3
	v_cndmask_b32_e64 v7, 1, v64, s0
	v_cmp_ne_u32_e64 s0, 3, v3
	s_delay_alu instid0(VALU_DEP_2) | instskip(NEXT) | instid1(VALU_DEP_2)
	v_cndmask_b32_e32 v7, v64, v7, vcc_lo
	v_cndmask_b32_e64 v8, 1, v63, s0
	v_cmp_ne_u32_e64 s0, 4, v3
	v_cndmask_b32_e32 v53, v4, v2, vcc_lo
	s_delay_alu instid0(VALU_DEP_4) | instskip(NEXT) | instid1(VALU_DEP_3)
	v_cmp_ne_u32_e64 s11, 0, v7
	v_cndmask_b32_e64 v9, 1, v61, s0
	v_cmp_ne_u32_e64 s0, 5, v3
	s_delay_alu instid0(VALU_DEP_1) | instskip(SKIP_1) | instid1(VALU_DEP_1)
	v_cndmask_b32_e64 v10, 1, v65, s0
	v_cmp_ne_u32_e64 s0, 6, v3
	v_cndmask_b32_e64 v11, 1, v60, s0
	v_cmp_ne_u32_e64 s0, 7, v3
	s_delay_alu instid0(VALU_DEP_2) | instskip(NEXT) | instid1(VALU_DEP_2)
	v_dual_cndmask_b32 v9, v61, v9, vcc_lo :: v_dual_cndmask_b32 v11, v60, v11, vcc_lo
	v_cndmask_b32_e64 v12, 1, v59, s0
	v_cmp_ne_u32_e64 s0, 8, v3
	v_cndmask_b32_e32 v10, v65, v10, vcc_lo
	s_delay_alu instid0(VALU_DEP_4) | instskip(NEXT) | instid1(VALU_DEP_3)
	v_cmp_ne_u32_e64 s7, 0, v11
	v_cndmask_b32_e64 v13, 1, v58, s0
	v_cmp_ne_u32_e64 s0, 9, v3
	s_delay_alu instid0(VALU_DEP_4) | instskip(NEXT) | instid1(VALU_DEP_2)
	v_cmp_ne_u32_e64 s8, 0, v10
	v_cndmask_b32_e64 v15, 1, v57, s0
	v_cmp_ne_u32_e64 s0, 10, v3
	s_delay_alu instid0(VALU_DEP_2) | instskip(NEXT) | instid1(VALU_DEP_2)
	v_dual_cndmask_b32 v13, v58, v13, vcc_lo :: v_dual_cndmask_b32 v15, v57, v15, vcc_lo
	v_cndmask_b32_e64 v19, 1, v54, s0
	v_cmp_ne_u32_e64 s0, 13, v3
	s_delay_alu instid0(VALU_DEP_3) | instskip(NEXT) | instid1(VALU_DEP_2)
	v_cmp_ne_u32_e64 s5, 0, v13
	v_cndmask_b32_e64 v22, 1, v56, s0
	v_cmp_ne_u32_e64 s0, 12, v3
	v_dual_cndmask_b32 v12, v59, v12 :: v_dual_cndmask_b32 v19, v54, v19
	s_delay_alu instid0(VALU_DEP_2) | instskip(SKIP_2) | instid1(VALU_DEP_4)
	v_cndmask_b32_e64 v23, 1, v62, s0
	v_cmp_ne_u32_e64 s0, 11, v3
	v_lshlrev_b64_e32 v[2:3], 3, v[50:51]
	v_cmp_ne_u32_e64 s6, 0, v12
	v_cmp_ne_u32_e64 s3, 0, v19
	s_delay_alu instid0(VALU_DEP_4)
	v_dual_cndmask_b32 v52, 1, v55, s0 :: v_dual_cndmask_b32 v22, v56, v22, vcc_lo
	v_cndmask_b32_e32 v23, v62, v23, vcc_lo
	v_cndmask_b32_e32 v56, v66, v5, vcc_lo
	v_cmp_eq_u32_e64 s0, 0, v53
	v_add_nc_u64_e32 v[2:3], s[30:31], v[2:3]
	v_lshlrev_b64_e32 v[4:5], 3, v[16:17]
	v_cndmask_b32_e32 v52, v55, v52, vcc_lo
	v_cmp_ne_u32_e64 s13, 0, v53
	v_cndmask_b32_e64 v62, 1, 2, s0
	v_cmp_eq_u32_e64 s0, 0, v56
	v_cmp_ne_u32_e64 s12, 0, v56
	v_cmp_ne_u32_e64 s2, 0, v52
	v_add_nc_u64_e32 v[2:3], v[2:3], v[4:5]
	v_lshlrev_b32_e32 v4, 3, v6
	v_cndmask_b32_e64 v65, 1, 2, s0
	v_cndmask_b32_e32 v8, v63, v8, vcc_lo
	v_cmp_eq_u32_e64 s0, 0, v7
	v_mov_b32_e32 v5, 0
	v_cmp_eq_u32_e32 vcc_lo, 0, v13
	v_and_b32_e32 v62, v65, v62
	v_add_nc_u32_e32 v6, v16, v6
	v_cndmask_b32_e64 v63, 1, 2, s0
	v_cmp_eq_u32_e64 s0, 0, v8
	v_cmp_ne_u32_e64 s10, 0, v8
	v_cmp_ne_u32_e64 s9, 0, v9
	v_add_nc_u64_e32 v[4:5], v[2:3], v[4:5]
	v_cmp_ne_u32_e64 s4, 0, v15
	v_cndmask_b32_e64 v64, 1, 2, s0
	v_cmp_eq_u32_e64 s0, 0, v9
	v_cmp_ne_u32_e64 s1, 0, v23
	s_delay_alu instid0(VALU_DEP_3) | instskip(NEXT) | instid1(VALU_DEP_3)
	v_bitop3_b16 v61, v62, v64, v63 bitop3:0x80
	v_cndmask_b32_e64 v62, 1, 2, s0
	v_cmp_eq_u32_e64 s0, 0, v10
	v_add_nc_u64_e32 v[4:5], -8, v[4:5]
	s_delay_alu instid0(VALU_DEP_2) | instskip(SKIP_1) | instid1(VALU_DEP_2)
	v_cndmask_b32_e64 v63, 1, 2, s0
	v_cmp_eq_u32_e64 s0, 0, v11
	v_bitop3_b16 v55, v61, v63, v62 bitop3:0x80
	s_delay_alu instid0(VALU_DEP_2) | instskip(SKIP_1) | instid1(VALU_DEP_1)
	v_cndmask_b32_e64 v59, 1, 2, s0
	v_cmp_eq_u32_e64 s0, 0, v12
	v_cndmask_b32_e64 v60, 1, 2, s0
	v_cmp_ne_u32_e64 s0, 0, v22
	s_delay_alu instid0(VALU_DEP_2) | instskip(SKIP_4) | instid1(VALU_DEP_2)
	v_bitop3_b16 v54, v55, v60, v59 bitop3:0x80
	v_cndmask_b32_e64 v55, 1, 2, vcc_lo
	v_cmp_eq_u32_e32 vcc_lo, 0, v15
	v_cndmask_b32_e64 v57, 1, 2, vcc_lo
	v_cmp_eq_u32_e32 vcc_lo, 0, v19
	v_bitop3_b16 v7, v54, v57, v55 bitop3:0x80
	v_cndmask_b32_e64 v53, 1, 2, vcc_lo
	v_cmp_eq_u32_e32 vcc_lo, 0, v52
	v_cndmask_b32_e64 v54, 1, 2, vcc_lo
	v_cmp_eq_u32_e32 vcc_lo, 0, v23
	s_delay_alu instid0(VALU_DEP_2) | instskip(SKIP_4) | instid1(VALU_DEP_2)
	v_bitop3_b16 v7, v7, v54, v53 bitop3:0x80
	v_cndmask_b32_e64 v8, 1, 2, vcc_lo
	v_cmp_eq_u32_e32 vcc_lo, 0, v22
	v_cndmask_b32_e64 v9, 1, 2, vcc_lo
	v_cmp_gt_u32_e32 vcc_lo, 0x100, v1
	v_bitop3_b16 v7, v7, v9, v8 bitop3:0x80
	s_delay_alu instid0(VALU_DEP_1)
	v_cmp_gt_i16_e64 s14, 2, v7
	s_cbranch_vccnz .LBB400_133
; %bb.130:
	s_and_b32 vcc_lo, exec_lo, s15
	s_cbranch_vccnz .LBB400_139
.LBB400_131:
	v_cmp_eq_u32_e32 vcc_lo, 0xff, v0
	s_and_b32 s0, vcc_lo, s33
	s_delay_alu instid0(SALU_CYCLE_1)
	s_and_saveexec_b32 s1, s0
	s_cbranch_execnz .LBB400_148
.LBB400_132:
	s_sendmsg sendmsg(MSG_DEALLOC_VGPRS)
	s_endpgm
.LBB400_133:
	s_and_saveexec_b32 s15, s14
	s_cbranch_execz .LBB400_138
; %bb.134:
	s_mov_b32 s16, 0
	s_mov_b32 s14, exec_lo
	v_cmpx_ne_u16_e32 1, v7
	s_xor_b32 s14, exec_lo, s14
	s_cbranch_execnz .LBB400_182
; %bb.135:
	s_and_not1_saveexec_b32 s14, s14
	s_cbranch_execnz .LBB400_197
.LBB400_136:
	s_or_b32 exec_lo, exec_lo, s14
	s_delay_alu instid0(SALU_CYCLE_1)
	s_and_b32 exec_lo, exec_lo, s16
	s_cbranch_execz .LBB400_138
.LBB400_137:
	v_dual_mov_b32 v9, 0 :: v_dual_mov_b32 v8, v21
	v_sub_nc_u32_e32 v10, v20, v6
	v_readfirstlane_b32 s16, v4
	v_readfirstlane_b32 s17, v5
	global_store_b64 v10, v[8:9], s[16:17] scale_offset
.LBB400_138:
	s_wait_xcnt 0x0
	s_or_b32 exec_lo, exec_lo, s15
	s_branch .LBB400_131
.LBB400_139:
	s_mov_b32 s14, exec_lo
	v_cmpx_gt_i16_e32 2, v7
	s_cbranch_execz .LBB400_144
; %bb.140:
	s_mov_b32 s16, 0
	s_mov_b32 s15, exec_lo
	v_cmpx_ne_u16_e32 1, v7
	s_xor_b32 s15, exec_lo, s15
	s_cbranch_execnz .LBB400_198
; %bb.141:
	s_and_not1_saveexec_b32 s0, s15
	s_cbranch_execnz .LBB400_213
.LBB400_142:
	s_or_b32 exec_lo, exec_lo, s0
	s_delay_alu instid0(SALU_CYCLE_1)
	s_and_b32 exec_lo, exec_lo, s16
.LBB400_143:
	v_sub_nc_u32_e32 v6, v20, v6
	s_delay_alu instid0(VALU_DEP_1)
	v_lshlrev_b32_e32 v6, 2, v6
	ds_store_b32 v6, v21
.LBB400_144:
	s_or_b32 exec_lo, exec_lo, s14
	s_delay_alu instid0(SALU_CYCLE_1)
	s_mov_b32 s0, exec_lo
	s_wait_storecnt_dscnt 0x0
	s_barrier_signal -1
	s_barrier_wait -1
	v_cmpx_lt_u32_e64 v0, v1
	s_cbranch_execz .LBB400_147
; %bb.145:
	v_dual_mov_b32 v7, 0 :: v_dual_lshlrev_b32 v8, 2, v0
	v_mov_b32_e32 v9, v0
	s_mov_b32 s1, 0
.LBB400_146:                            ; =>This Inner Loop Header: Depth=1
	ds_load_b32 v6, v8
	v_readfirstlane_b32 s2, v4
	v_readfirstlane_b32 s3, v5
	v_add_nc_u32_e32 v8, 0x400, v8
	s_wait_dscnt 0x0
	global_store_b64 v9, v[6:7], s[2:3] scale_offset
	s_wait_xcnt 0x0
	v_add_nc_u32_e32 v9, 0x100, v9
	s_delay_alu instid0(VALU_DEP_1) | instskip(SKIP_1) | instid1(SALU_CYCLE_1)
	v_cmp_ge_u32_e32 vcc_lo, v9, v1
	s_or_b32 s1, vcc_lo, s1
	s_and_not1_b32 exec_lo, exec_lo, s1
	s_cbranch_execnz .LBB400_146
.LBB400_147:
	s_or_b32 exec_lo, exec_lo, s0
	v_cmp_eq_u32_e32 vcc_lo, 0xff, v0
	s_and_b32 s0, vcc_lo, s33
	s_delay_alu instid0(SALU_CYCLE_1)
	s_and_saveexec_b32 s1, s0
	s_cbranch_execz .LBB400_132
.LBB400_148:
	v_mov_b32_e32 v15, 0
	s_cmp_lg_u32 s38, 0xe00
	s_delay_alu instid0(VALU_DEP_1) | instskip(NEXT) | instid1(VALU_DEP_1)
	v_add_nc_u64_e32 v[0:1], v[14:15], v[16:17]
	v_add_nc_u64_e32 v[0:1], v[0:1], v[50:51]
	global_store_b64 v15, v[0:1], s[34:35]
	s_cbranch_scc1 .LBB400_132
; %bb.149:
	s_wait_xcnt 0x0
	v_lshlrev_b64_e32 v[0:1], 3, v[14:15]
	v_mov_b32_e32 v19, v15
	s_delay_alu instid0(VALU_DEP_2)
	v_add_nc_u64_e32 v[0:1], v[2:3], v[0:1]
	global_store_b64 v[0:1], v[18:19], off offset:-8
	s_sendmsg sendmsg(MSG_DEALLOC_VGPRS)
	s_endpgm
.LBB400_150:
	s_and_saveexec_b32 s17, s14
	s_cbranch_execnz .LBB400_214
; %bb.151:
	s_or_b32 exec_lo, exec_lo, s17
	s_and_saveexec_b32 s17, s13
	s_cbranch_execnz .LBB400_215
.LBB400_152:
	s_or_b32 exec_lo, exec_lo, s17
	s_and_saveexec_b32 s17, s12
	s_cbranch_execnz .LBB400_216
.LBB400_153:
	s_or_b32 exec_lo, exec_lo, s17
	s_and_saveexec_b32 s17, s11
	s_cbranch_execnz .LBB400_217
.LBB400_154:
	s_or_b32 exec_lo, exec_lo, s17
	s_and_saveexec_b32 s17, s10
	s_cbranch_execnz .LBB400_218
.LBB400_155:
	s_or_b32 exec_lo, exec_lo, s17
	s_and_saveexec_b32 s17, s9
	s_cbranch_execnz .LBB400_219
.LBB400_156:
	s_or_b32 exec_lo, exec_lo, s17
	s_and_saveexec_b32 s17, s8
	s_cbranch_execnz .LBB400_220
.LBB400_157:
	s_or_b32 exec_lo, exec_lo, s17
	s_and_saveexec_b32 s17, s7
	s_cbranch_execnz .LBB400_221
.LBB400_158:
	s_or_b32 exec_lo, exec_lo, s17
	s_and_saveexec_b32 s17, s6
	s_cbranch_execnz .LBB400_222
.LBB400_159:
	s_or_b32 exec_lo, exec_lo, s17
	s_and_saveexec_b32 s17, s5
	s_cbranch_execnz .LBB400_223
.LBB400_160:
	s_or_b32 exec_lo, exec_lo, s17
	s_and_saveexec_b32 s17, s4
	s_cbranch_execnz .LBB400_224
.LBB400_161:
	s_or_b32 exec_lo, exec_lo, s17
	s_and_saveexec_b32 s17, s3
	s_cbranch_execnz .LBB400_225
.LBB400_162:
	s_or_b32 exec_lo, exec_lo, s17
	s_and_saveexec_b32 s17, s1
	s_cbranch_execz .LBB400_164
.LBB400_163:
	v_sub_nc_u32_e32 v15, v28, v16
	v_readfirstlane_b32 s18, v52
	v_readfirstlane_b32 s19, v53
	global_store_b32 v15, v22, s[18:19] scale_offset
.LBB400_164:
	s_wait_xcnt 0x0
	s_or_b32 exec_lo, exec_lo, s17
	s_delay_alu instid0(SALU_CYCLE_1)
	s_and_b32 s17, s0, exec_lo
	s_and_not1_saveexec_b32 s15, s15
	s_cbranch_execz .LBB400_104
.LBB400_165:
	v_dual_sub_nc_u32 v15, v44, v16 :: v_dual_sub_nc_u32 v68, v46, v16
	v_readfirstlane_b32 s18, v52
	v_readfirstlane_b32 s19, v53
	v_sub_nc_u32_e32 v19, v48, v16
	s_clause 0x1
	global_store_b32 v15, v10, s[18:19] scale_offset
	global_store_b32 v19, v11, s[18:19] scale_offset
	s_wait_xcnt 0x1
	v_sub_nc_u32_e32 v15, v42, v16
	s_wait_xcnt 0x0
	v_sub_nc_u32_e32 v19, v38, v16
	global_store_b32 v68, v12, s[18:19] scale_offset
	s_wait_xcnt 0x0
	v_dual_sub_nc_u32 v68, v32, v16 :: v_dual_sub_nc_u32 v69, v34, v16
	global_store_b32 v15, v13, s[18:19] scale_offset
	s_wait_xcnt 0x0
	v_sub_nc_u32_e32 v15, v40, v16
	s_clause 0x2
	global_store_b32 v19, v6, s[18:19] scale_offset
	global_store_b32 v68, v7, s[18:19] scale_offset
	global_store_b32 v69, v8, s[18:19] scale_offset
	s_wait_xcnt 0x1
	v_dual_sub_nc_u32 v19, v24, v16 :: v_dual_sub_nc_u32 v68, v30, v16
	s_wait_xcnt 0x0
	v_sub_nc_u32_e32 v69, v36, v16
	global_store_b32 v15, v9, s[18:19] scale_offset
	s_wait_xcnt 0x0
	v_sub_nc_u32_e32 v15, v26, v16
	global_store_b32 v19, v2, s[18:19] scale_offset
	s_wait_xcnt 0x0
	v_sub_nc_u32_e32 v19, v28, v16
	s_or_b32 s17, s17, exec_lo
	s_clause 0x3
	global_store_b32 v15, v3, s[18:19] scale_offset
	global_store_b32 v68, v4, s[18:19] scale_offset
	;; [unrolled: 1-line block ×4, first 2 shown]
	s_wait_xcnt 0x0
	s_or_b32 exec_lo, exec_lo, s15
	s_delay_alu instid0(SALU_CYCLE_1)
	s_and_b32 exec_lo, exec_lo, s17
	s_cbranch_execnz .LBB400_105
	s_branch .LBB400_106
.LBB400_166:
	s_and_saveexec_b32 s17, s14
	s_cbranch_execnz .LBB400_226
; %bb.167:
	s_or_b32 exec_lo, exec_lo, s17
	s_and_saveexec_b32 s14, s13
	s_cbranch_execnz .LBB400_227
.LBB400_168:
	s_or_b32 exec_lo, exec_lo, s14
	s_and_saveexec_b32 s13, s12
	s_cbranch_execnz .LBB400_228
.LBB400_169:
	s_or_b32 exec_lo, exec_lo, s13
	s_and_saveexec_b32 s12, s11
	s_cbranch_execnz .LBB400_229
.LBB400_170:
	s_or_b32 exec_lo, exec_lo, s12
	s_and_saveexec_b32 s11, s10
	s_cbranch_execnz .LBB400_230
.LBB400_171:
	s_or_b32 exec_lo, exec_lo, s11
	s_and_saveexec_b32 s10, s9
	s_cbranch_execnz .LBB400_231
.LBB400_172:
	s_or_b32 exec_lo, exec_lo, s10
	s_and_saveexec_b32 s9, s8
	s_cbranch_execnz .LBB400_232
.LBB400_173:
	s_or_b32 exec_lo, exec_lo, s9
	s_and_saveexec_b32 s8, s7
	s_cbranch_execnz .LBB400_233
.LBB400_174:
	s_or_b32 exec_lo, exec_lo, s8
	s_and_saveexec_b32 s7, s6
	s_cbranch_execnz .LBB400_234
.LBB400_175:
	s_or_b32 exec_lo, exec_lo, s7
	s_and_saveexec_b32 s6, s5
	s_cbranch_execnz .LBB400_235
.LBB400_176:
	s_or_b32 exec_lo, exec_lo, s6
	s_and_saveexec_b32 s5, s4
	s_cbranch_execnz .LBB400_236
.LBB400_177:
	s_or_b32 exec_lo, exec_lo, s5
	s_and_saveexec_b32 s4, s3
	s_cbranch_execnz .LBB400_237
.LBB400_178:
	s_or_b32 exec_lo, exec_lo, s4
	s_and_saveexec_b32 s3, s1
.LBB400_179:
	v_sub_nc_u32_e32 v1, v28, v16
	s_delay_alu instid0(VALU_DEP_1)
	v_lshlrev_b32_e32 v1, 2, v1
	ds_store_b32 v1, v22
.LBB400_180:
	s_or_b32 exec_lo, exec_lo, s3
	s_delay_alu instid0(SALU_CYCLE_1)
	s_and_b32 s17, s0, exec_lo
                                        ; implicit-def: $vgpr4
                                        ; implicit-def: $vgpr8
                                        ; implicit-def: $vgpr12
	s_and_not1_saveexec_b32 s0, s16
	s_cbranch_execz .LBB400_111
.LBB400_181:
	v_dual_sub_nc_u32 v1, v44, v16 :: v_dual_sub_nc_u32 v19, v46, v16
	v_sub_nc_u32_e32 v15, v48, v16
	s_or_b32 s17, s17, exec_lo
	s_delay_alu instid0(VALU_DEP_2) | instskip(NEXT) | instid1(VALU_DEP_3)
	v_dual_sub_nc_u32 v68, v42, v16 :: v_dual_lshlrev_b32 v1, 2, v1
	v_dual_lshlrev_b32 v19, 2, v19 :: v_dual_sub_nc_u32 v69, v38, v16
	s_delay_alu instid0(VALU_DEP_3)
	v_lshlrev_b32_e32 v15, 2, v15
	ds_store_b32 v1, v10
	ds_store_b32 v15, v11
	;; [unrolled: 1-line block ×3, first 2 shown]
	v_dual_sub_nc_u32 v1, v32, v16 :: v_dual_sub_nc_u32 v10, v34, v16
	v_dual_lshlrev_b32 v11, 2, v68 :: v_dual_lshlrev_b32 v15, 2, v69
	s_delay_alu instid0(VALU_DEP_2) | instskip(NEXT) | instid1(VALU_DEP_3)
	v_dual_sub_nc_u32 v12, v40, v16 :: v_dual_lshlrev_b32 v1, 2, v1
	v_lshlrev_b32_e32 v10, 2, v10
	ds_store_b32 v11, v13
	v_lshlrev_b32_e32 v11, 2, v12
	ds_store_b32 v15, v6
	ds_store_b32 v1, v7
	;; [unrolled: 1-line block ×3, first 2 shown]
	v_dual_sub_nc_u32 v1, v24, v16 :: v_dual_sub_nc_u32 v6, v26, v16
	v_dual_sub_nc_u32 v7, v30, v16 :: v_dual_sub_nc_u32 v8, v36, v16
	ds_store_b32 v11, v9
	v_dual_lshlrev_b32 v1, 2, v1 :: v_dual_sub_nc_u32 v9, v28, v16
	v_dual_lshlrev_b32 v6, 2, v6 :: v_dual_lshlrev_b32 v7, 2, v7
	v_lshlrev_b32_e32 v8, 2, v8
	ds_store_b32 v1, v2
	v_lshlrev_b32_e32 v1, 2, v9
	ds_store_b32 v6, v3
	ds_store_b32 v7, v4
	;; [unrolled: 1-line block ×4, first 2 shown]
	s_or_b32 exec_lo, exec_lo, s0
	s_delay_alu instid0(SALU_CYCLE_1)
	s_and_b32 exec_lo, exec_lo, s17
	s_cbranch_execnz .LBB400_112
	s_branch .LBB400_113
.LBB400_182:
	s_and_saveexec_b32 s16, s13
	s_cbranch_execnz .LBB400_238
; %bb.183:
	s_or_b32 exec_lo, exec_lo, s16
	s_and_saveexec_b32 s16, s12
	s_cbranch_execnz .LBB400_239
.LBB400_184:
	s_or_b32 exec_lo, exec_lo, s16
	s_and_saveexec_b32 s16, s11
	s_cbranch_execnz .LBB400_240
.LBB400_185:
	s_or_b32 exec_lo, exec_lo, s16
	s_and_saveexec_b32 s16, s10
	s_cbranch_execnz .LBB400_241
.LBB400_186:
	s_or_b32 exec_lo, exec_lo, s16
	s_and_saveexec_b32 s16, s9
	s_cbranch_execnz .LBB400_242
.LBB400_187:
	s_or_b32 exec_lo, exec_lo, s16
	s_and_saveexec_b32 s16, s8
	s_cbranch_execnz .LBB400_243
.LBB400_188:
	s_or_b32 exec_lo, exec_lo, s16
	s_and_saveexec_b32 s16, s7
	s_cbranch_execnz .LBB400_244
.LBB400_189:
	s_or_b32 exec_lo, exec_lo, s16
	s_and_saveexec_b32 s16, s6
	s_cbranch_execnz .LBB400_245
.LBB400_190:
	s_or_b32 exec_lo, exec_lo, s16
	s_and_saveexec_b32 s16, s5
	s_cbranch_execnz .LBB400_246
.LBB400_191:
	s_or_b32 exec_lo, exec_lo, s16
	s_and_saveexec_b32 s16, s4
	s_cbranch_execnz .LBB400_247
.LBB400_192:
	s_or_b32 exec_lo, exec_lo, s16
	s_and_saveexec_b32 s16, s3
	s_cbranch_execnz .LBB400_248
.LBB400_193:
	s_or_b32 exec_lo, exec_lo, s16
	s_and_saveexec_b32 s16, s2
	s_cbranch_execnz .LBB400_249
.LBB400_194:
	s_or_b32 exec_lo, exec_lo, s16
	s_and_saveexec_b32 s16, s1
	s_cbranch_execz .LBB400_196
.LBB400_195:
	v_dual_mov_b32 v9, 0 :: v_dual_sub_nc_u32 v10, v28, v6
	v_mov_b32_e32 v8, v29
	v_readfirstlane_b32 s18, v4
	v_readfirstlane_b32 s19, v5
	global_store_b64 v10, v[8:9], s[18:19] scale_offset
.LBB400_196:
	s_wait_xcnt 0x0
	s_or_b32 exec_lo, exec_lo, s16
	s_delay_alu instid0(SALU_CYCLE_1)
	s_and_b32 s16, s0, exec_lo
	s_and_not1_saveexec_b32 s14, s14
	s_cbranch_execz .LBB400_136
.LBB400_197:
	v_dual_mov_b32 v9, 0 :: v_dual_mov_b32 v8, v45
	v_sub_nc_u32_e32 v10, v44, v6
	v_readfirstlane_b32 s18, v4
	v_readfirstlane_b32 s19, v5
	v_sub_nc_u32_e32 v11, v46, v6
	s_or_b32 s16, s16, exec_lo
	global_store_b64 v10, v[8:9], s[18:19] scale_offset
	s_wait_xcnt 0x0
	v_dual_sub_nc_u32 v10, v48, v6 :: v_dual_mov_b32 v8, v49
	global_store_b64 v10, v[8:9], s[18:19] scale_offset
	s_wait_xcnt 0x0
	v_dual_mov_b32 v8, v47 :: v_dual_sub_nc_u32 v10, v42, v6
	global_store_b64 v11, v[8:9], s[18:19] scale_offset
	s_wait_xcnt 0x0
	v_dual_mov_b32 v8, v43 :: v_dual_sub_nc_u32 v11, v38, v6
	;; [unrolled: 3-line block ×9, first 2 shown]
	global_store_b64 v11, v[8:9], s[18:19] scale_offset
	s_wait_xcnt 0x0
	v_mov_b32_e32 v8, v37
	global_store_b64 v10, v[8:9], s[18:19] scale_offset
	s_wait_xcnt 0x0
	v_dual_mov_b32 v8, v29 :: v_dual_sub_nc_u32 v10, v28, v6
	global_store_b64 v10, v[8:9], s[18:19] scale_offset
	s_wait_xcnt 0x0
	s_or_b32 exec_lo, exec_lo, s14
	s_delay_alu instid0(SALU_CYCLE_1)
	s_and_b32 exec_lo, exec_lo, s16
	s_cbranch_execnz .LBB400_137
	s_branch .LBB400_138
.LBB400_198:
	s_and_saveexec_b32 s16, s13
	s_cbranch_execnz .LBB400_250
; %bb.199:
	s_or_b32 exec_lo, exec_lo, s16
	s_and_saveexec_b32 s13, s12
	s_cbranch_execnz .LBB400_251
.LBB400_200:
	s_or_b32 exec_lo, exec_lo, s13
	s_and_saveexec_b32 s12, s11
	s_cbranch_execnz .LBB400_252
.LBB400_201:
	s_or_b32 exec_lo, exec_lo, s12
	s_and_saveexec_b32 s11, s10
	s_cbranch_execnz .LBB400_253
.LBB400_202:
	s_or_b32 exec_lo, exec_lo, s11
	s_and_saveexec_b32 s10, s9
	s_cbranch_execnz .LBB400_254
.LBB400_203:
	s_or_b32 exec_lo, exec_lo, s10
	s_and_saveexec_b32 s9, s8
	s_cbranch_execnz .LBB400_255
.LBB400_204:
	s_or_b32 exec_lo, exec_lo, s9
	s_and_saveexec_b32 s8, s7
	s_cbranch_execnz .LBB400_256
.LBB400_205:
	s_or_b32 exec_lo, exec_lo, s8
	s_and_saveexec_b32 s7, s6
	s_cbranch_execnz .LBB400_257
.LBB400_206:
	s_or_b32 exec_lo, exec_lo, s7
	s_and_saveexec_b32 s6, s5
	s_cbranch_execnz .LBB400_258
.LBB400_207:
	s_or_b32 exec_lo, exec_lo, s6
	s_and_saveexec_b32 s5, s4
	s_cbranch_execnz .LBB400_259
.LBB400_208:
	s_or_b32 exec_lo, exec_lo, s5
	s_and_saveexec_b32 s4, s3
	s_cbranch_execnz .LBB400_260
.LBB400_209:
	s_or_b32 exec_lo, exec_lo, s4
	s_and_saveexec_b32 s3, s2
	s_cbranch_execnz .LBB400_261
.LBB400_210:
	s_or_b32 exec_lo, exec_lo, s3
	s_and_saveexec_b32 s2, s1
.LBB400_211:
	v_sub_nc_u32_e32 v7, v28, v6
	s_delay_alu instid0(VALU_DEP_1)
	v_lshlrev_b32_e32 v7, 2, v7
	ds_store_b32 v7, v29
.LBB400_212:
	s_or_b32 exec_lo, exec_lo, s2
	s_delay_alu instid0(SALU_CYCLE_1)
	s_and_b32 s16, s0, exec_lo
                                        ; implicit-def: $vgpr28_vgpr29
                                        ; implicit-def: $vgpr36_vgpr37
                                        ; implicit-def: $vgpr30_vgpr31
                                        ; implicit-def: $vgpr44_vgpr45
                                        ; implicit-def: $vgpr48_vgpr49
                                        ; implicit-def: $vgpr46_vgpr47
                                        ; implicit-def: $vgpr42_vgpr43
                                        ; implicit-def: $vgpr38_vgpr39
                                        ; implicit-def: $vgpr32_vgpr33
                                        ; implicit-def: $vgpr34_vgpr35
                                        ; implicit-def: $vgpr40_vgpr41
                                        ; implicit-def: $vgpr24_vgpr25
                                        ; implicit-def: $vgpr26_vgpr27
	s_and_not1_saveexec_b32 s0, s15
	s_cbranch_execz .LBB400_142
.LBB400_213:
	v_dual_sub_nc_u32 v7, v44, v6 :: v_dual_sub_nc_u32 v9, v46, v6
	v_dual_sub_nc_u32 v8, v48, v6 :: v_dual_sub_nc_u32 v10, v42, v6
	s_delay_alu instid0(VALU_DEP_2) | instskip(NEXT) | instid1(VALU_DEP_2)
	v_dual_sub_nc_u32 v11, v38, v6 :: v_dual_lshlrev_b32 v7, 2, v7
	v_dual_lshlrev_b32 v9, 2, v9 :: v_dual_lshlrev_b32 v8, 2, v8
	s_or_b32 s16, s16, exec_lo
	ds_store_b32 v7, v45
	ds_store_b32 v8, v49
	;; [unrolled: 1-line block ×3, first 2 shown]
	v_sub_nc_u32_e32 v7, v32, v6
	v_lshlrev_b32_e32 v9, 2, v10
	v_dual_sub_nc_u32 v10, v40, v6 :: v_dual_sub_nc_u32 v8, v34, v6
	v_lshlrev_b32_e32 v11, 2, v11
	s_delay_alu instid0(VALU_DEP_4)
	v_lshlrev_b32_e32 v7, 2, v7
	ds_store_b32 v9, v43
	v_dual_lshlrev_b32 v9, 2, v10 :: v_dual_lshlrev_b32 v8, 2, v8
	ds_store_b32 v11, v39
	ds_store_b32 v7, v33
	;; [unrolled: 1-line block ×3, first 2 shown]
	v_dual_sub_nc_u32 v7, v24, v6 :: v_dual_sub_nc_u32 v8, v26, v6
	ds_store_b32 v9, v41
	v_dual_sub_nc_u32 v9, v30, v6 :: v_dual_sub_nc_u32 v10, v36, v6
	v_dual_lshlrev_b32 v7, 2, v7 :: v_dual_sub_nc_u32 v11, v28, v6
	s_delay_alu instid0(VALU_DEP_2) | instskip(NEXT) | instid1(VALU_DEP_3)
	v_dual_lshlrev_b32 v8, 2, v8 :: v_dual_lshlrev_b32 v9, 2, v9
	v_lshlrev_b32_e32 v10, 2, v10
	ds_store_b32 v7, v25
	v_lshlrev_b32_e32 v7, 2, v11
	ds_store_b32 v8, v27
	ds_store_b32 v9, v31
	;; [unrolled: 1-line block ×4, first 2 shown]
	s_or_b32 exec_lo, exec_lo, s0
	s_delay_alu instid0(SALU_CYCLE_1)
	s_and_b32 exec_lo, exec_lo, s16
	s_cbranch_execnz .LBB400_143
	s_branch .LBB400_144
.LBB400_214:
	v_sub_nc_u32_e32 v15, v44, v16
	v_readfirstlane_b32 s18, v52
	v_readfirstlane_b32 s19, v53
	global_store_b32 v15, v10, s[18:19] scale_offset
	s_wait_xcnt 0x0
	s_or_b32 exec_lo, exec_lo, s17
	s_and_saveexec_b32 s17, s13
	s_cbranch_execz .LBB400_152
.LBB400_215:
	v_sub_nc_u32_e32 v15, v48, v16
	v_readfirstlane_b32 s18, v52
	v_readfirstlane_b32 s19, v53
	global_store_b32 v15, v11, s[18:19] scale_offset
	s_wait_xcnt 0x0
	s_or_b32 exec_lo, exec_lo, s17
	s_and_saveexec_b32 s17, s12
	s_cbranch_execz .LBB400_153
.LBB400_216:
	v_sub_nc_u32_e32 v15, v46, v16
	v_readfirstlane_b32 s18, v52
	v_readfirstlane_b32 s19, v53
	global_store_b32 v15, v12, s[18:19] scale_offset
	s_wait_xcnt 0x0
	s_or_b32 exec_lo, exec_lo, s17
	s_and_saveexec_b32 s17, s11
	s_cbranch_execz .LBB400_154
.LBB400_217:
	v_sub_nc_u32_e32 v15, v42, v16
	v_readfirstlane_b32 s18, v52
	v_readfirstlane_b32 s19, v53
	global_store_b32 v15, v13, s[18:19] scale_offset
	s_wait_xcnt 0x0
	s_or_b32 exec_lo, exec_lo, s17
	s_and_saveexec_b32 s17, s10
	s_cbranch_execz .LBB400_155
.LBB400_218:
	v_sub_nc_u32_e32 v15, v38, v16
	v_readfirstlane_b32 s18, v52
	v_readfirstlane_b32 s19, v53
	global_store_b32 v15, v6, s[18:19] scale_offset
	s_wait_xcnt 0x0
	s_or_b32 exec_lo, exec_lo, s17
	s_and_saveexec_b32 s17, s9
	s_cbranch_execz .LBB400_156
.LBB400_219:
	v_sub_nc_u32_e32 v15, v32, v16
	v_readfirstlane_b32 s18, v52
	v_readfirstlane_b32 s19, v53
	global_store_b32 v15, v7, s[18:19] scale_offset
	s_wait_xcnt 0x0
	s_or_b32 exec_lo, exec_lo, s17
	s_and_saveexec_b32 s17, s8
	s_cbranch_execz .LBB400_157
.LBB400_220:
	v_sub_nc_u32_e32 v15, v34, v16
	v_readfirstlane_b32 s18, v52
	v_readfirstlane_b32 s19, v53
	global_store_b32 v15, v8, s[18:19] scale_offset
	s_wait_xcnt 0x0
	s_or_b32 exec_lo, exec_lo, s17
	s_and_saveexec_b32 s17, s7
	s_cbranch_execz .LBB400_158
.LBB400_221:
	v_sub_nc_u32_e32 v15, v40, v16
	v_readfirstlane_b32 s18, v52
	v_readfirstlane_b32 s19, v53
	global_store_b32 v15, v9, s[18:19] scale_offset
	s_wait_xcnt 0x0
	s_or_b32 exec_lo, exec_lo, s17
	s_and_saveexec_b32 s17, s6
	s_cbranch_execz .LBB400_159
.LBB400_222:
	v_sub_nc_u32_e32 v15, v24, v16
	v_readfirstlane_b32 s18, v52
	v_readfirstlane_b32 s19, v53
	global_store_b32 v15, v2, s[18:19] scale_offset
	s_wait_xcnt 0x0
	s_or_b32 exec_lo, exec_lo, s17
	s_and_saveexec_b32 s17, s5
	s_cbranch_execz .LBB400_160
.LBB400_223:
	v_sub_nc_u32_e32 v15, v26, v16
	v_readfirstlane_b32 s18, v52
	v_readfirstlane_b32 s19, v53
	global_store_b32 v15, v3, s[18:19] scale_offset
	s_wait_xcnt 0x0
	s_or_b32 exec_lo, exec_lo, s17
	s_and_saveexec_b32 s17, s4
	s_cbranch_execz .LBB400_161
.LBB400_224:
	v_sub_nc_u32_e32 v15, v30, v16
	v_readfirstlane_b32 s18, v52
	v_readfirstlane_b32 s19, v53
	global_store_b32 v15, v4, s[18:19] scale_offset
	s_wait_xcnt 0x0
	s_or_b32 exec_lo, exec_lo, s17
	s_and_saveexec_b32 s17, s3
	s_cbranch_execz .LBB400_162
.LBB400_225:
	v_sub_nc_u32_e32 v15, v36, v16
	v_readfirstlane_b32 s18, v52
	v_readfirstlane_b32 s19, v53
	global_store_b32 v15, v5, s[18:19] scale_offset
	s_wait_xcnt 0x0
	s_or_b32 exec_lo, exec_lo, s17
	s_and_saveexec_b32 s17, s1
	s_cbranch_execnz .LBB400_163
	s_branch .LBB400_164
.LBB400_226:
	v_sub_nc_u32_e32 v1, v44, v16
	s_delay_alu instid0(VALU_DEP_1)
	v_lshlrev_b32_e32 v1, 2, v1
	ds_store_b32 v1, v10
	s_or_b32 exec_lo, exec_lo, s17
	s_and_saveexec_b32 s14, s13
	s_cbranch_execz .LBB400_168
.LBB400_227:
	v_sub_nc_u32_e32 v1, v48, v16
	s_delay_alu instid0(VALU_DEP_1)
	v_lshlrev_b32_e32 v1, 2, v1
	ds_store_b32 v1, v11
	s_or_b32 exec_lo, exec_lo, s14
	s_and_saveexec_b32 s13, s12
	s_cbranch_execz .LBB400_169
.LBB400_228:
	v_sub_nc_u32_e32 v1, v46, v16
	s_delay_alu instid0(VALU_DEP_1)
	v_lshlrev_b32_e32 v1, 2, v1
	ds_store_b32 v1, v12
	s_or_b32 exec_lo, exec_lo, s13
	s_and_saveexec_b32 s12, s11
	s_cbranch_execz .LBB400_170
.LBB400_229:
	v_sub_nc_u32_e32 v1, v42, v16
	s_delay_alu instid0(VALU_DEP_1)
	v_lshlrev_b32_e32 v1, 2, v1
	ds_store_b32 v1, v13
	s_or_b32 exec_lo, exec_lo, s12
	s_and_saveexec_b32 s11, s10
	s_cbranch_execz .LBB400_171
.LBB400_230:
	v_sub_nc_u32_e32 v1, v38, v16
	s_delay_alu instid0(VALU_DEP_1)
	v_lshlrev_b32_e32 v1, 2, v1
	ds_store_b32 v1, v6
	s_or_b32 exec_lo, exec_lo, s11
	s_and_saveexec_b32 s10, s9
	s_cbranch_execz .LBB400_172
.LBB400_231:
	v_sub_nc_u32_e32 v1, v32, v16
	s_delay_alu instid0(VALU_DEP_1)
	v_lshlrev_b32_e32 v1, 2, v1
	ds_store_b32 v1, v7
	s_or_b32 exec_lo, exec_lo, s10
	s_and_saveexec_b32 s9, s8
	s_cbranch_execz .LBB400_173
.LBB400_232:
	v_sub_nc_u32_e32 v1, v34, v16
	s_delay_alu instid0(VALU_DEP_1)
	v_lshlrev_b32_e32 v1, 2, v1
	ds_store_b32 v1, v8
	s_or_b32 exec_lo, exec_lo, s9
	s_and_saveexec_b32 s8, s7
	s_cbranch_execz .LBB400_174
.LBB400_233:
	v_sub_nc_u32_e32 v1, v40, v16
	s_delay_alu instid0(VALU_DEP_1)
	v_lshlrev_b32_e32 v1, 2, v1
	ds_store_b32 v1, v9
	s_or_b32 exec_lo, exec_lo, s8
	s_and_saveexec_b32 s7, s6
	s_cbranch_execz .LBB400_175
.LBB400_234:
	v_sub_nc_u32_e32 v1, v24, v16
	s_delay_alu instid0(VALU_DEP_1)
	v_lshlrev_b32_e32 v1, 2, v1
	ds_store_b32 v1, v2
	s_or_b32 exec_lo, exec_lo, s7
	s_and_saveexec_b32 s6, s5
	s_cbranch_execz .LBB400_176
.LBB400_235:
	v_sub_nc_u32_e32 v1, v26, v16
	s_delay_alu instid0(VALU_DEP_1)
	v_lshlrev_b32_e32 v1, 2, v1
	ds_store_b32 v1, v3
	s_or_b32 exec_lo, exec_lo, s6
	s_and_saveexec_b32 s5, s4
	s_cbranch_execz .LBB400_177
.LBB400_236:
	v_sub_nc_u32_e32 v1, v30, v16
	s_delay_alu instid0(VALU_DEP_1)
	v_lshlrev_b32_e32 v1, 2, v1
	ds_store_b32 v1, v4
	s_or_b32 exec_lo, exec_lo, s5
	s_and_saveexec_b32 s4, s3
	s_cbranch_execz .LBB400_178
.LBB400_237:
	v_sub_nc_u32_e32 v1, v36, v16
	s_delay_alu instid0(VALU_DEP_1)
	v_lshlrev_b32_e32 v1, 2, v1
	ds_store_b32 v1, v5
	s_or_b32 exec_lo, exec_lo, s4
	s_and_saveexec_b32 s3, s1
	s_cbranch_execnz .LBB400_179
	s_branch .LBB400_180
.LBB400_238:
	v_dual_mov_b32 v9, 0 :: v_dual_sub_nc_u32 v10, v44, v6
	v_mov_b32_e32 v8, v45
	v_readfirstlane_b32 s18, v4
	v_readfirstlane_b32 s19, v5
	global_store_b64 v10, v[8:9], s[18:19] scale_offset
	s_wait_xcnt 0x0
	s_or_b32 exec_lo, exec_lo, s16
	s_and_saveexec_b32 s16, s12
	s_cbranch_execz .LBB400_184
.LBB400_239:
	v_dual_mov_b32 v9, 0 :: v_dual_sub_nc_u32 v10, v48, v6
	v_mov_b32_e32 v8, v49
	v_readfirstlane_b32 s18, v4
	v_readfirstlane_b32 s19, v5
	global_store_b64 v10, v[8:9], s[18:19] scale_offset
	s_wait_xcnt 0x0
	s_or_b32 exec_lo, exec_lo, s16
	s_and_saveexec_b32 s16, s11
	s_cbranch_execz .LBB400_185
.LBB400_240:
	v_dual_mov_b32 v9, 0 :: v_dual_sub_nc_u32 v10, v46, v6
	v_mov_b32_e32 v8, v47
	v_readfirstlane_b32 s18, v4
	v_readfirstlane_b32 s19, v5
	global_store_b64 v10, v[8:9], s[18:19] scale_offset
	s_wait_xcnt 0x0
	s_or_b32 exec_lo, exec_lo, s16
	s_and_saveexec_b32 s16, s10
	s_cbranch_execz .LBB400_186
.LBB400_241:
	v_dual_mov_b32 v9, 0 :: v_dual_sub_nc_u32 v10, v42, v6
	v_mov_b32_e32 v8, v43
	v_readfirstlane_b32 s18, v4
	v_readfirstlane_b32 s19, v5
	global_store_b64 v10, v[8:9], s[18:19] scale_offset
	s_wait_xcnt 0x0
	s_or_b32 exec_lo, exec_lo, s16
	s_and_saveexec_b32 s16, s9
	s_cbranch_execz .LBB400_187
.LBB400_242:
	v_dual_mov_b32 v9, 0 :: v_dual_sub_nc_u32 v10, v38, v6
	v_mov_b32_e32 v8, v39
	v_readfirstlane_b32 s18, v4
	v_readfirstlane_b32 s19, v5
	global_store_b64 v10, v[8:9], s[18:19] scale_offset
	s_wait_xcnt 0x0
	s_or_b32 exec_lo, exec_lo, s16
	s_and_saveexec_b32 s16, s8
	s_cbranch_execz .LBB400_188
.LBB400_243:
	v_dual_mov_b32 v9, 0 :: v_dual_sub_nc_u32 v10, v32, v6
	v_mov_b32_e32 v8, v33
	v_readfirstlane_b32 s18, v4
	v_readfirstlane_b32 s19, v5
	global_store_b64 v10, v[8:9], s[18:19] scale_offset
	s_wait_xcnt 0x0
	s_or_b32 exec_lo, exec_lo, s16
	s_and_saveexec_b32 s16, s7
	s_cbranch_execz .LBB400_189
.LBB400_244:
	v_dual_mov_b32 v9, 0 :: v_dual_sub_nc_u32 v10, v34, v6
	v_mov_b32_e32 v8, v35
	v_readfirstlane_b32 s18, v4
	v_readfirstlane_b32 s19, v5
	global_store_b64 v10, v[8:9], s[18:19] scale_offset
	s_wait_xcnt 0x0
	s_or_b32 exec_lo, exec_lo, s16
	s_and_saveexec_b32 s16, s6
	s_cbranch_execz .LBB400_190
.LBB400_245:
	v_dual_mov_b32 v9, 0 :: v_dual_sub_nc_u32 v10, v40, v6
	v_mov_b32_e32 v8, v41
	v_readfirstlane_b32 s18, v4
	v_readfirstlane_b32 s19, v5
	global_store_b64 v10, v[8:9], s[18:19] scale_offset
	s_wait_xcnt 0x0
	s_or_b32 exec_lo, exec_lo, s16
	s_and_saveexec_b32 s16, s5
	s_cbranch_execz .LBB400_191
.LBB400_246:
	v_dual_mov_b32 v9, 0 :: v_dual_sub_nc_u32 v10, v24, v6
	v_mov_b32_e32 v8, v25
	v_readfirstlane_b32 s18, v4
	v_readfirstlane_b32 s19, v5
	global_store_b64 v10, v[8:9], s[18:19] scale_offset
	s_wait_xcnt 0x0
	s_or_b32 exec_lo, exec_lo, s16
	s_and_saveexec_b32 s16, s4
	s_cbranch_execz .LBB400_192
.LBB400_247:
	v_dual_mov_b32 v9, 0 :: v_dual_sub_nc_u32 v10, v26, v6
	v_mov_b32_e32 v8, v27
	v_readfirstlane_b32 s18, v4
	v_readfirstlane_b32 s19, v5
	global_store_b64 v10, v[8:9], s[18:19] scale_offset
	s_wait_xcnt 0x0
	s_or_b32 exec_lo, exec_lo, s16
	s_and_saveexec_b32 s16, s3
	s_cbranch_execz .LBB400_193
.LBB400_248:
	v_dual_mov_b32 v9, 0 :: v_dual_sub_nc_u32 v10, v30, v6
	v_mov_b32_e32 v8, v31
	v_readfirstlane_b32 s18, v4
	v_readfirstlane_b32 s19, v5
	global_store_b64 v10, v[8:9], s[18:19] scale_offset
	s_wait_xcnt 0x0
	s_or_b32 exec_lo, exec_lo, s16
	s_and_saveexec_b32 s16, s2
	s_cbranch_execz .LBB400_194
.LBB400_249:
	v_dual_mov_b32 v9, 0 :: v_dual_sub_nc_u32 v10, v36, v6
	v_mov_b32_e32 v8, v37
	v_readfirstlane_b32 s18, v4
	v_readfirstlane_b32 s19, v5
	global_store_b64 v10, v[8:9], s[18:19] scale_offset
	s_wait_xcnt 0x0
	s_or_b32 exec_lo, exec_lo, s16
	s_and_saveexec_b32 s16, s1
	s_cbranch_execnz .LBB400_195
	s_branch .LBB400_196
.LBB400_250:
	v_sub_nc_u32_e32 v7, v44, v6
	s_delay_alu instid0(VALU_DEP_1)
	v_lshlrev_b32_e32 v7, 2, v7
	ds_store_b32 v7, v45
	s_or_b32 exec_lo, exec_lo, s16
	s_and_saveexec_b32 s13, s12
	s_cbranch_execz .LBB400_200
.LBB400_251:
	v_sub_nc_u32_e32 v7, v48, v6
	s_delay_alu instid0(VALU_DEP_1)
	v_lshlrev_b32_e32 v7, 2, v7
	ds_store_b32 v7, v49
	s_or_b32 exec_lo, exec_lo, s13
	s_and_saveexec_b32 s12, s11
	s_cbranch_execz .LBB400_201
.LBB400_252:
	v_sub_nc_u32_e32 v7, v46, v6
	s_delay_alu instid0(VALU_DEP_1)
	v_lshlrev_b32_e32 v7, 2, v7
	ds_store_b32 v7, v47
	s_or_b32 exec_lo, exec_lo, s12
	s_and_saveexec_b32 s11, s10
	s_cbranch_execz .LBB400_202
.LBB400_253:
	v_sub_nc_u32_e32 v7, v42, v6
	s_delay_alu instid0(VALU_DEP_1)
	v_lshlrev_b32_e32 v7, 2, v7
	ds_store_b32 v7, v43
	s_or_b32 exec_lo, exec_lo, s11
	s_and_saveexec_b32 s10, s9
	s_cbranch_execz .LBB400_203
.LBB400_254:
	v_sub_nc_u32_e32 v7, v38, v6
	s_delay_alu instid0(VALU_DEP_1)
	v_lshlrev_b32_e32 v7, 2, v7
	ds_store_b32 v7, v39
	s_or_b32 exec_lo, exec_lo, s10
	s_and_saveexec_b32 s9, s8
	s_cbranch_execz .LBB400_204
.LBB400_255:
	v_sub_nc_u32_e32 v7, v32, v6
	s_delay_alu instid0(VALU_DEP_1)
	v_lshlrev_b32_e32 v7, 2, v7
	ds_store_b32 v7, v33
	s_or_b32 exec_lo, exec_lo, s9
	s_and_saveexec_b32 s8, s7
	s_cbranch_execz .LBB400_205
.LBB400_256:
	v_sub_nc_u32_e32 v7, v34, v6
	s_delay_alu instid0(VALU_DEP_1)
	v_lshlrev_b32_e32 v7, 2, v7
	ds_store_b32 v7, v35
	s_or_b32 exec_lo, exec_lo, s8
	s_and_saveexec_b32 s7, s6
	s_cbranch_execz .LBB400_206
.LBB400_257:
	v_sub_nc_u32_e32 v7, v40, v6
	s_delay_alu instid0(VALU_DEP_1)
	v_lshlrev_b32_e32 v7, 2, v7
	ds_store_b32 v7, v41
	s_or_b32 exec_lo, exec_lo, s7
	s_and_saveexec_b32 s6, s5
	s_cbranch_execz .LBB400_207
.LBB400_258:
	v_sub_nc_u32_e32 v7, v24, v6
	s_delay_alu instid0(VALU_DEP_1)
	v_lshlrev_b32_e32 v7, 2, v7
	ds_store_b32 v7, v25
	s_or_b32 exec_lo, exec_lo, s6
	s_and_saveexec_b32 s5, s4
	s_cbranch_execz .LBB400_208
.LBB400_259:
	v_sub_nc_u32_e32 v7, v26, v6
	s_delay_alu instid0(VALU_DEP_1)
	v_lshlrev_b32_e32 v7, 2, v7
	ds_store_b32 v7, v27
	s_or_b32 exec_lo, exec_lo, s5
	s_and_saveexec_b32 s4, s3
	s_cbranch_execz .LBB400_209
.LBB400_260:
	v_sub_nc_u32_e32 v7, v30, v6
	s_delay_alu instid0(VALU_DEP_1)
	v_lshlrev_b32_e32 v7, 2, v7
	ds_store_b32 v7, v31
	s_or_b32 exec_lo, exec_lo, s4
	s_and_saveexec_b32 s3, s2
	s_cbranch_execz .LBB400_210
.LBB400_261:
	v_sub_nc_u32_e32 v7, v36, v6
	s_delay_alu instid0(VALU_DEP_1)
	v_lshlrev_b32_e32 v7, 2, v7
	ds_store_b32 v7, v37
	s_or_b32 exec_lo, exec_lo, s3
	s_and_saveexec_b32 s2, s1
	s_cbranch_execnz .LBB400_211
	s_branch .LBB400_212
	.section	.rodata,"a",@progbits
	.p2align	6, 0x0
	.amdhsa_kernel _ZN7rocprim17ROCPRIM_400000_NS6detail17trampoline_kernelINS0_14default_configENS1_33run_length_encode_config_selectorIfjNS0_4plusIjEEEEZZNS1_33reduce_by_key_impl_wrapped_configILNS1_25lookback_scan_determinismE0ES3_S7_PKfNS0_17constant_iteratorIjlEEPfPlSF_S6_NS0_8equal_toIfEEEE10hipError_tPvRmT2_T3_mT4_T5_T6_T7_T8_P12ihipStream_tbENKUlT_T0_E_clISt17integral_constantIbLb0EESY_IbLb1EEEEDaSU_SV_EUlSU_E_NS1_11comp_targetILNS1_3genE0ELNS1_11target_archE4294967295ELNS1_3gpuE0ELNS1_3repE0EEENS1_30default_config_static_selectorELNS0_4arch9wavefront6targetE0EEEvT1_
		.amdhsa_group_segment_fixed_size 14336
		.amdhsa_private_segment_fixed_size 0
		.amdhsa_kernarg_size 128
		.amdhsa_user_sgpr_count 2
		.amdhsa_user_sgpr_dispatch_ptr 0
		.amdhsa_user_sgpr_queue_ptr 0
		.amdhsa_user_sgpr_kernarg_segment_ptr 1
		.amdhsa_user_sgpr_dispatch_id 0
		.amdhsa_user_sgpr_kernarg_preload_length 0
		.amdhsa_user_sgpr_kernarg_preload_offset 0
		.amdhsa_user_sgpr_private_segment_size 0
		.amdhsa_wavefront_size32 1
		.amdhsa_uses_dynamic_stack 0
		.amdhsa_enable_private_segment 0
		.amdhsa_system_sgpr_workgroup_id_x 1
		.amdhsa_system_sgpr_workgroup_id_y 0
		.amdhsa_system_sgpr_workgroup_id_z 0
		.amdhsa_system_sgpr_workgroup_info 0
		.amdhsa_system_vgpr_workitem_id 0
		.amdhsa_next_free_vgpr 102
		.amdhsa_next_free_sgpr 43
		.amdhsa_named_barrier_count 0
		.amdhsa_reserve_vcc 1
		.amdhsa_float_round_mode_32 0
		.amdhsa_float_round_mode_16_64 0
		.amdhsa_float_denorm_mode_32 3
		.amdhsa_float_denorm_mode_16_64 3
		.amdhsa_fp16_overflow 0
		.amdhsa_memory_ordered 1
		.amdhsa_forward_progress 1
		.amdhsa_inst_pref_size 119
		.amdhsa_round_robin_scheduling 0
		.amdhsa_exception_fp_ieee_invalid_op 0
		.amdhsa_exception_fp_denorm_src 0
		.amdhsa_exception_fp_ieee_div_zero 0
		.amdhsa_exception_fp_ieee_overflow 0
		.amdhsa_exception_fp_ieee_underflow 0
		.amdhsa_exception_fp_ieee_inexact 0
		.amdhsa_exception_int_div_zero 0
	.end_amdhsa_kernel
	.section	.text._ZN7rocprim17ROCPRIM_400000_NS6detail17trampoline_kernelINS0_14default_configENS1_33run_length_encode_config_selectorIfjNS0_4plusIjEEEEZZNS1_33reduce_by_key_impl_wrapped_configILNS1_25lookback_scan_determinismE0ES3_S7_PKfNS0_17constant_iteratorIjlEEPfPlSF_S6_NS0_8equal_toIfEEEE10hipError_tPvRmT2_T3_mT4_T5_T6_T7_T8_P12ihipStream_tbENKUlT_T0_E_clISt17integral_constantIbLb0EESY_IbLb1EEEEDaSU_SV_EUlSU_E_NS1_11comp_targetILNS1_3genE0ELNS1_11target_archE4294967295ELNS1_3gpuE0ELNS1_3repE0EEENS1_30default_config_static_selectorELNS0_4arch9wavefront6targetE0EEEvT1_,"axG",@progbits,_ZN7rocprim17ROCPRIM_400000_NS6detail17trampoline_kernelINS0_14default_configENS1_33run_length_encode_config_selectorIfjNS0_4plusIjEEEEZZNS1_33reduce_by_key_impl_wrapped_configILNS1_25lookback_scan_determinismE0ES3_S7_PKfNS0_17constant_iteratorIjlEEPfPlSF_S6_NS0_8equal_toIfEEEE10hipError_tPvRmT2_T3_mT4_T5_T6_T7_T8_P12ihipStream_tbENKUlT_T0_E_clISt17integral_constantIbLb0EESY_IbLb1EEEEDaSU_SV_EUlSU_E_NS1_11comp_targetILNS1_3genE0ELNS1_11target_archE4294967295ELNS1_3gpuE0ELNS1_3repE0EEENS1_30default_config_static_selectorELNS0_4arch9wavefront6targetE0EEEvT1_,comdat
.Lfunc_end400:
	.size	_ZN7rocprim17ROCPRIM_400000_NS6detail17trampoline_kernelINS0_14default_configENS1_33run_length_encode_config_selectorIfjNS0_4plusIjEEEEZZNS1_33reduce_by_key_impl_wrapped_configILNS1_25lookback_scan_determinismE0ES3_S7_PKfNS0_17constant_iteratorIjlEEPfPlSF_S6_NS0_8equal_toIfEEEE10hipError_tPvRmT2_T3_mT4_T5_T6_T7_T8_P12ihipStream_tbENKUlT_T0_E_clISt17integral_constantIbLb0EESY_IbLb1EEEEDaSU_SV_EUlSU_E_NS1_11comp_targetILNS1_3genE0ELNS1_11target_archE4294967295ELNS1_3gpuE0ELNS1_3repE0EEENS1_30default_config_static_selectorELNS0_4arch9wavefront6targetE0EEEvT1_, .Lfunc_end400-_ZN7rocprim17ROCPRIM_400000_NS6detail17trampoline_kernelINS0_14default_configENS1_33run_length_encode_config_selectorIfjNS0_4plusIjEEEEZZNS1_33reduce_by_key_impl_wrapped_configILNS1_25lookback_scan_determinismE0ES3_S7_PKfNS0_17constant_iteratorIjlEEPfPlSF_S6_NS0_8equal_toIfEEEE10hipError_tPvRmT2_T3_mT4_T5_T6_T7_T8_P12ihipStream_tbENKUlT_T0_E_clISt17integral_constantIbLb0EESY_IbLb1EEEEDaSU_SV_EUlSU_E_NS1_11comp_targetILNS1_3genE0ELNS1_11target_archE4294967295ELNS1_3gpuE0ELNS1_3repE0EEENS1_30default_config_static_selectorELNS0_4arch9wavefront6targetE0EEEvT1_
                                        ; -- End function
	.set _ZN7rocprim17ROCPRIM_400000_NS6detail17trampoline_kernelINS0_14default_configENS1_33run_length_encode_config_selectorIfjNS0_4plusIjEEEEZZNS1_33reduce_by_key_impl_wrapped_configILNS1_25lookback_scan_determinismE0ES3_S7_PKfNS0_17constant_iteratorIjlEEPfPlSF_S6_NS0_8equal_toIfEEEE10hipError_tPvRmT2_T3_mT4_T5_T6_T7_T8_P12ihipStream_tbENKUlT_T0_E_clISt17integral_constantIbLb0EESY_IbLb1EEEEDaSU_SV_EUlSU_E_NS1_11comp_targetILNS1_3genE0ELNS1_11target_archE4294967295ELNS1_3gpuE0ELNS1_3repE0EEENS1_30default_config_static_selectorELNS0_4arch9wavefront6targetE0EEEvT1_.num_vgpr, 102
	.set _ZN7rocprim17ROCPRIM_400000_NS6detail17trampoline_kernelINS0_14default_configENS1_33run_length_encode_config_selectorIfjNS0_4plusIjEEEEZZNS1_33reduce_by_key_impl_wrapped_configILNS1_25lookback_scan_determinismE0ES3_S7_PKfNS0_17constant_iteratorIjlEEPfPlSF_S6_NS0_8equal_toIfEEEE10hipError_tPvRmT2_T3_mT4_T5_T6_T7_T8_P12ihipStream_tbENKUlT_T0_E_clISt17integral_constantIbLb0EESY_IbLb1EEEEDaSU_SV_EUlSU_E_NS1_11comp_targetILNS1_3genE0ELNS1_11target_archE4294967295ELNS1_3gpuE0ELNS1_3repE0EEENS1_30default_config_static_selectorELNS0_4arch9wavefront6targetE0EEEvT1_.num_agpr, 0
	.set _ZN7rocprim17ROCPRIM_400000_NS6detail17trampoline_kernelINS0_14default_configENS1_33run_length_encode_config_selectorIfjNS0_4plusIjEEEEZZNS1_33reduce_by_key_impl_wrapped_configILNS1_25lookback_scan_determinismE0ES3_S7_PKfNS0_17constant_iteratorIjlEEPfPlSF_S6_NS0_8equal_toIfEEEE10hipError_tPvRmT2_T3_mT4_T5_T6_T7_T8_P12ihipStream_tbENKUlT_T0_E_clISt17integral_constantIbLb0EESY_IbLb1EEEEDaSU_SV_EUlSU_E_NS1_11comp_targetILNS1_3genE0ELNS1_11target_archE4294967295ELNS1_3gpuE0ELNS1_3repE0EEENS1_30default_config_static_selectorELNS0_4arch9wavefront6targetE0EEEvT1_.numbered_sgpr, 43
	.set _ZN7rocprim17ROCPRIM_400000_NS6detail17trampoline_kernelINS0_14default_configENS1_33run_length_encode_config_selectorIfjNS0_4plusIjEEEEZZNS1_33reduce_by_key_impl_wrapped_configILNS1_25lookback_scan_determinismE0ES3_S7_PKfNS0_17constant_iteratorIjlEEPfPlSF_S6_NS0_8equal_toIfEEEE10hipError_tPvRmT2_T3_mT4_T5_T6_T7_T8_P12ihipStream_tbENKUlT_T0_E_clISt17integral_constantIbLb0EESY_IbLb1EEEEDaSU_SV_EUlSU_E_NS1_11comp_targetILNS1_3genE0ELNS1_11target_archE4294967295ELNS1_3gpuE0ELNS1_3repE0EEENS1_30default_config_static_selectorELNS0_4arch9wavefront6targetE0EEEvT1_.num_named_barrier, 0
	.set _ZN7rocprim17ROCPRIM_400000_NS6detail17trampoline_kernelINS0_14default_configENS1_33run_length_encode_config_selectorIfjNS0_4plusIjEEEEZZNS1_33reduce_by_key_impl_wrapped_configILNS1_25lookback_scan_determinismE0ES3_S7_PKfNS0_17constant_iteratorIjlEEPfPlSF_S6_NS0_8equal_toIfEEEE10hipError_tPvRmT2_T3_mT4_T5_T6_T7_T8_P12ihipStream_tbENKUlT_T0_E_clISt17integral_constantIbLb0EESY_IbLb1EEEEDaSU_SV_EUlSU_E_NS1_11comp_targetILNS1_3genE0ELNS1_11target_archE4294967295ELNS1_3gpuE0ELNS1_3repE0EEENS1_30default_config_static_selectorELNS0_4arch9wavefront6targetE0EEEvT1_.private_seg_size, 0
	.set _ZN7rocprim17ROCPRIM_400000_NS6detail17trampoline_kernelINS0_14default_configENS1_33run_length_encode_config_selectorIfjNS0_4plusIjEEEEZZNS1_33reduce_by_key_impl_wrapped_configILNS1_25lookback_scan_determinismE0ES3_S7_PKfNS0_17constant_iteratorIjlEEPfPlSF_S6_NS0_8equal_toIfEEEE10hipError_tPvRmT2_T3_mT4_T5_T6_T7_T8_P12ihipStream_tbENKUlT_T0_E_clISt17integral_constantIbLb0EESY_IbLb1EEEEDaSU_SV_EUlSU_E_NS1_11comp_targetILNS1_3genE0ELNS1_11target_archE4294967295ELNS1_3gpuE0ELNS1_3repE0EEENS1_30default_config_static_selectorELNS0_4arch9wavefront6targetE0EEEvT1_.uses_vcc, 1
	.set _ZN7rocprim17ROCPRIM_400000_NS6detail17trampoline_kernelINS0_14default_configENS1_33run_length_encode_config_selectorIfjNS0_4plusIjEEEEZZNS1_33reduce_by_key_impl_wrapped_configILNS1_25lookback_scan_determinismE0ES3_S7_PKfNS0_17constant_iteratorIjlEEPfPlSF_S6_NS0_8equal_toIfEEEE10hipError_tPvRmT2_T3_mT4_T5_T6_T7_T8_P12ihipStream_tbENKUlT_T0_E_clISt17integral_constantIbLb0EESY_IbLb1EEEEDaSU_SV_EUlSU_E_NS1_11comp_targetILNS1_3genE0ELNS1_11target_archE4294967295ELNS1_3gpuE0ELNS1_3repE0EEENS1_30default_config_static_selectorELNS0_4arch9wavefront6targetE0EEEvT1_.uses_flat_scratch, 0
	.set _ZN7rocprim17ROCPRIM_400000_NS6detail17trampoline_kernelINS0_14default_configENS1_33run_length_encode_config_selectorIfjNS0_4plusIjEEEEZZNS1_33reduce_by_key_impl_wrapped_configILNS1_25lookback_scan_determinismE0ES3_S7_PKfNS0_17constant_iteratorIjlEEPfPlSF_S6_NS0_8equal_toIfEEEE10hipError_tPvRmT2_T3_mT4_T5_T6_T7_T8_P12ihipStream_tbENKUlT_T0_E_clISt17integral_constantIbLb0EESY_IbLb1EEEEDaSU_SV_EUlSU_E_NS1_11comp_targetILNS1_3genE0ELNS1_11target_archE4294967295ELNS1_3gpuE0ELNS1_3repE0EEENS1_30default_config_static_selectorELNS0_4arch9wavefront6targetE0EEEvT1_.has_dyn_sized_stack, 0
	.set _ZN7rocprim17ROCPRIM_400000_NS6detail17trampoline_kernelINS0_14default_configENS1_33run_length_encode_config_selectorIfjNS0_4plusIjEEEEZZNS1_33reduce_by_key_impl_wrapped_configILNS1_25lookback_scan_determinismE0ES3_S7_PKfNS0_17constant_iteratorIjlEEPfPlSF_S6_NS0_8equal_toIfEEEE10hipError_tPvRmT2_T3_mT4_T5_T6_T7_T8_P12ihipStream_tbENKUlT_T0_E_clISt17integral_constantIbLb0EESY_IbLb1EEEEDaSU_SV_EUlSU_E_NS1_11comp_targetILNS1_3genE0ELNS1_11target_archE4294967295ELNS1_3gpuE0ELNS1_3repE0EEENS1_30default_config_static_selectorELNS0_4arch9wavefront6targetE0EEEvT1_.has_recursion, 0
	.set _ZN7rocprim17ROCPRIM_400000_NS6detail17trampoline_kernelINS0_14default_configENS1_33run_length_encode_config_selectorIfjNS0_4plusIjEEEEZZNS1_33reduce_by_key_impl_wrapped_configILNS1_25lookback_scan_determinismE0ES3_S7_PKfNS0_17constant_iteratorIjlEEPfPlSF_S6_NS0_8equal_toIfEEEE10hipError_tPvRmT2_T3_mT4_T5_T6_T7_T8_P12ihipStream_tbENKUlT_T0_E_clISt17integral_constantIbLb0EESY_IbLb1EEEEDaSU_SV_EUlSU_E_NS1_11comp_targetILNS1_3genE0ELNS1_11target_archE4294967295ELNS1_3gpuE0ELNS1_3repE0EEENS1_30default_config_static_selectorELNS0_4arch9wavefront6targetE0EEEvT1_.has_indirect_call, 0
	.section	.AMDGPU.csdata,"",@progbits
; Kernel info:
; codeLenInByte = 15136
; TotalNumSgprs: 45
; NumVgprs: 102
; ScratchSize: 0
; MemoryBound: 0
; FloatMode: 240
; IeeeMode: 1
; LDSByteSize: 14336 bytes/workgroup (compile time only)
; SGPRBlocks: 0
; VGPRBlocks: 6
; NumSGPRsForWavesPerEU: 45
; NumVGPRsForWavesPerEU: 102
; NamedBarCnt: 0
; Occupancy: 9
; WaveLimiterHint : 1
; COMPUTE_PGM_RSRC2:SCRATCH_EN: 0
; COMPUTE_PGM_RSRC2:USER_SGPR: 2
; COMPUTE_PGM_RSRC2:TRAP_HANDLER: 0
; COMPUTE_PGM_RSRC2:TGID_X_EN: 1
; COMPUTE_PGM_RSRC2:TGID_Y_EN: 0
; COMPUTE_PGM_RSRC2:TGID_Z_EN: 0
; COMPUTE_PGM_RSRC2:TIDIG_COMP_CNT: 0
	.section	.text._ZN7rocprim17ROCPRIM_400000_NS6detail17trampoline_kernelINS0_14default_configENS1_33run_length_encode_config_selectorIfjNS0_4plusIjEEEEZZNS1_33reduce_by_key_impl_wrapped_configILNS1_25lookback_scan_determinismE0ES3_S7_PKfNS0_17constant_iteratorIjlEEPfPlSF_S6_NS0_8equal_toIfEEEE10hipError_tPvRmT2_T3_mT4_T5_T6_T7_T8_P12ihipStream_tbENKUlT_T0_E_clISt17integral_constantIbLb0EESY_IbLb1EEEEDaSU_SV_EUlSU_E_NS1_11comp_targetILNS1_3genE5ELNS1_11target_archE942ELNS1_3gpuE9ELNS1_3repE0EEENS1_30default_config_static_selectorELNS0_4arch9wavefront6targetE0EEEvT1_,"axG",@progbits,_ZN7rocprim17ROCPRIM_400000_NS6detail17trampoline_kernelINS0_14default_configENS1_33run_length_encode_config_selectorIfjNS0_4plusIjEEEEZZNS1_33reduce_by_key_impl_wrapped_configILNS1_25lookback_scan_determinismE0ES3_S7_PKfNS0_17constant_iteratorIjlEEPfPlSF_S6_NS0_8equal_toIfEEEE10hipError_tPvRmT2_T3_mT4_T5_T6_T7_T8_P12ihipStream_tbENKUlT_T0_E_clISt17integral_constantIbLb0EESY_IbLb1EEEEDaSU_SV_EUlSU_E_NS1_11comp_targetILNS1_3genE5ELNS1_11target_archE942ELNS1_3gpuE9ELNS1_3repE0EEENS1_30default_config_static_selectorELNS0_4arch9wavefront6targetE0EEEvT1_,comdat
	.protected	_ZN7rocprim17ROCPRIM_400000_NS6detail17trampoline_kernelINS0_14default_configENS1_33run_length_encode_config_selectorIfjNS0_4plusIjEEEEZZNS1_33reduce_by_key_impl_wrapped_configILNS1_25lookback_scan_determinismE0ES3_S7_PKfNS0_17constant_iteratorIjlEEPfPlSF_S6_NS0_8equal_toIfEEEE10hipError_tPvRmT2_T3_mT4_T5_T6_T7_T8_P12ihipStream_tbENKUlT_T0_E_clISt17integral_constantIbLb0EESY_IbLb1EEEEDaSU_SV_EUlSU_E_NS1_11comp_targetILNS1_3genE5ELNS1_11target_archE942ELNS1_3gpuE9ELNS1_3repE0EEENS1_30default_config_static_selectorELNS0_4arch9wavefront6targetE0EEEvT1_ ; -- Begin function _ZN7rocprim17ROCPRIM_400000_NS6detail17trampoline_kernelINS0_14default_configENS1_33run_length_encode_config_selectorIfjNS0_4plusIjEEEEZZNS1_33reduce_by_key_impl_wrapped_configILNS1_25lookback_scan_determinismE0ES3_S7_PKfNS0_17constant_iteratorIjlEEPfPlSF_S6_NS0_8equal_toIfEEEE10hipError_tPvRmT2_T3_mT4_T5_T6_T7_T8_P12ihipStream_tbENKUlT_T0_E_clISt17integral_constantIbLb0EESY_IbLb1EEEEDaSU_SV_EUlSU_E_NS1_11comp_targetILNS1_3genE5ELNS1_11target_archE942ELNS1_3gpuE9ELNS1_3repE0EEENS1_30default_config_static_selectorELNS0_4arch9wavefront6targetE0EEEvT1_
	.globl	_ZN7rocprim17ROCPRIM_400000_NS6detail17trampoline_kernelINS0_14default_configENS1_33run_length_encode_config_selectorIfjNS0_4plusIjEEEEZZNS1_33reduce_by_key_impl_wrapped_configILNS1_25lookback_scan_determinismE0ES3_S7_PKfNS0_17constant_iteratorIjlEEPfPlSF_S6_NS0_8equal_toIfEEEE10hipError_tPvRmT2_T3_mT4_T5_T6_T7_T8_P12ihipStream_tbENKUlT_T0_E_clISt17integral_constantIbLb0EESY_IbLb1EEEEDaSU_SV_EUlSU_E_NS1_11comp_targetILNS1_3genE5ELNS1_11target_archE942ELNS1_3gpuE9ELNS1_3repE0EEENS1_30default_config_static_selectorELNS0_4arch9wavefront6targetE0EEEvT1_
	.p2align	8
	.type	_ZN7rocprim17ROCPRIM_400000_NS6detail17trampoline_kernelINS0_14default_configENS1_33run_length_encode_config_selectorIfjNS0_4plusIjEEEEZZNS1_33reduce_by_key_impl_wrapped_configILNS1_25lookback_scan_determinismE0ES3_S7_PKfNS0_17constant_iteratorIjlEEPfPlSF_S6_NS0_8equal_toIfEEEE10hipError_tPvRmT2_T3_mT4_T5_T6_T7_T8_P12ihipStream_tbENKUlT_T0_E_clISt17integral_constantIbLb0EESY_IbLb1EEEEDaSU_SV_EUlSU_E_NS1_11comp_targetILNS1_3genE5ELNS1_11target_archE942ELNS1_3gpuE9ELNS1_3repE0EEENS1_30default_config_static_selectorELNS0_4arch9wavefront6targetE0EEEvT1_,@function
_ZN7rocprim17ROCPRIM_400000_NS6detail17trampoline_kernelINS0_14default_configENS1_33run_length_encode_config_selectorIfjNS0_4plusIjEEEEZZNS1_33reduce_by_key_impl_wrapped_configILNS1_25lookback_scan_determinismE0ES3_S7_PKfNS0_17constant_iteratorIjlEEPfPlSF_S6_NS0_8equal_toIfEEEE10hipError_tPvRmT2_T3_mT4_T5_T6_T7_T8_P12ihipStream_tbENKUlT_T0_E_clISt17integral_constantIbLb0EESY_IbLb1EEEEDaSU_SV_EUlSU_E_NS1_11comp_targetILNS1_3genE5ELNS1_11target_archE942ELNS1_3gpuE9ELNS1_3repE0EEENS1_30default_config_static_selectorELNS0_4arch9wavefront6targetE0EEEvT1_: ; @_ZN7rocprim17ROCPRIM_400000_NS6detail17trampoline_kernelINS0_14default_configENS1_33run_length_encode_config_selectorIfjNS0_4plusIjEEEEZZNS1_33reduce_by_key_impl_wrapped_configILNS1_25lookback_scan_determinismE0ES3_S7_PKfNS0_17constant_iteratorIjlEEPfPlSF_S6_NS0_8equal_toIfEEEE10hipError_tPvRmT2_T3_mT4_T5_T6_T7_T8_P12ihipStream_tbENKUlT_T0_E_clISt17integral_constantIbLb0EESY_IbLb1EEEEDaSU_SV_EUlSU_E_NS1_11comp_targetILNS1_3genE5ELNS1_11target_archE942ELNS1_3gpuE9ELNS1_3repE0EEENS1_30default_config_static_selectorELNS0_4arch9wavefront6targetE0EEEvT1_
; %bb.0:
	.section	.rodata,"a",@progbits
	.p2align	6, 0x0
	.amdhsa_kernel _ZN7rocprim17ROCPRIM_400000_NS6detail17trampoline_kernelINS0_14default_configENS1_33run_length_encode_config_selectorIfjNS0_4plusIjEEEEZZNS1_33reduce_by_key_impl_wrapped_configILNS1_25lookback_scan_determinismE0ES3_S7_PKfNS0_17constant_iteratorIjlEEPfPlSF_S6_NS0_8equal_toIfEEEE10hipError_tPvRmT2_T3_mT4_T5_T6_T7_T8_P12ihipStream_tbENKUlT_T0_E_clISt17integral_constantIbLb0EESY_IbLb1EEEEDaSU_SV_EUlSU_E_NS1_11comp_targetILNS1_3genE5ELNS1_11target_archE942ELNS1_3gpuE9ELNS1_3repE0EEENS1_30default_config_static_selectorELNS0_4arch9wavefront6targetE0EEEvT1_
		.amdhsa_group_segment_fixed_size 0
		.amdhsa_private_segment_fixed_size 0
		.amdhsa_kernarg_size 128
		.amdhsa_user_sgpr_count 2
		.amdhsa_user_sgpr_dispatch_ptr 0
		.amdhsa_user_sgpr_queue_ptr 0
		.amdhsa_user_sgpr_kernarg_segment_ptr 1
		.amdhsa_user_sgpr_dispatch_id 0
		.amdhsa_user_sgpr_kernarg_preload_length 0
		.amdhsa_user_sgpr_kernarg_preload_offset 0
		.amdhsa_user_sgpr_private_segment_size 0
		.amdhsa_wavefront_size32 1
		.amdhsa_uses_dynamic_stack 0
		.amdhsa_enable_private_segment 0
		.amdhsa_system_sgpr_workgroup_id_x 1
		.amdhsa_system_sgpr_workgroup_id_y 0
		.amdhsa_system_sgpr_workgroup_id_z 0
		.amdhsa_system_sgpr_workgroup_info 0
		.amdhsa_system_vgpr_workitem_id 0
		.amdhsa_next_free_vgpr 1
		.amdhsa_next_free_sgpr 1
		.amdhsa_named_barrier_count 0
		.amdhsa_reserve_vcc 0
		.amdhsa_float_round_mode_32 0
		.amdhsa_float_round_mode_16_64 0
		.amdhsa_float_denorm_mode_32 3
		.amdhsa_float_denorm_mode_16_64 3
		.amdhsa_fp16_overflow 0
		.amdhsa_memory_ordered 1
		.amdhsa_forward_progress 1
		.amdhsa_inst_pref_size 0
		.amdhsa_round_robin_scheduling 0
		.amdhsa_exception_fp_ieee_invalid_op 0
		.amdhsa_exception_fp_denorm_src 0
		.amdhsa_exception_fp_ieee_div_zero 0
		.amdhsa_exception_fp_ieee_overflow 0
		.amdhsa_exception_fp_ieee_underflow 0
		.amdhsa_exception_fp_ieee_inexact 0
		.amdhsa_exception_int_div_zero 0
	.end_amdhsa_kernel
	.section	.text._ZN7rocprim17ROCPRIM_400000_NS6detail17trampoline_kernelINS0_14default_configENS1_33run_length_encode_config_selectorIfjNS0_4plusIjEEEEZZNS1_33reduce_by_key_impl_wrapped_configILNS1_25lookback_scan_determinismE0ES3_S7_PKfNS0_17constant_iteratorIjlEEPfPlSF_S6_NS0_8equal_toIfEEEE10hipError_tPvRmT2_T3_mT4_T5_T6_T7_T8_P12ihipStream_tbENKUlT_T0_E_clISt17integral_constantIbLb0EESY_IbLb1EEEEDaSU_SV_EUlSU_E_NS1_11comp_targetILNS1_3genE5ELNS1_11target_archE942ELNS1_3gpuE9ELNS1_3repE0EEENS1_30default_config_static_selectorELNS0_4arch9wavefront6targetE0EEEvT1_,"axG",@progbits,_ZN7rocprim17ROCPRIM_400000_NS6detail17trampoline_kernelINS0_14default_configENS1_33run_length_encode_config_selectorIfjNS0_4plusIjEEEEZZNS1_33reduce_by_key_impl_wrapped_configILNS1_25lookback_scan_determinismE0ES3_S7_PKfNS0_17constant_iteratorIjlEEPfPlSF_S6_NS0_8equal_toIfEEEE10hipError_tPvRmT2_T3_mT4_T5_T6_T7_T8_P12ihipStream_tbENKUlT_T0_E_clISt17integral_constantIbLb0EESY_IbLb1EEEEDaSU_SV_EUlSU_E_NS1_11comp_targetILNS1_3genE5ELNS1_11target_archE942ELNS1_3gpuE9ELNS1_3repE0EEENS1_30default_config_static_selectorELNS0_4arch9wavefront6targetE0EEEvT1_,comdat
.Lfunc_end401:
	.size	_ZN7rocprim17ROCPRIM_400000_NS6detail17trampoline_kernelINS0_14default_configENS1_33run_length_encode_config_selectorIfjNS0_4plusIjEEEEZZNS1_33reduce_by_key_impl_wrapped_configILNS1_25lookback_scan_determinismE0ES3_S7_PKfNS0_17constant_iteratorIjlEEPfPlSF_S6_NS0_8equal_toIfEEEE10hipError_tPvRmT2_T3_mT4_T5_T6_T7_T8_P12ihipStream_tbENKUlT_T0_E_clISt17integral_constantIbLb0EESY_IbLb1EEEEDaSU_SV_EUlSU_E_NS1_11comp_targetILNS1_3genE5ELNS1_11target_archE942ELNS1_3gpuE9ELNS1_3repE0EEENS1_30default_config_static_selectorELNS0_4arch9wavefront6targetE0EEEvT1_, .Lfunc_end401-_ZN7rocprim17ROCPRIM_400000_NS6detail17trampoline_kernelINS0_14default_configENS1_33run_length_encode_config_selectorIfjNS0_4plusIjEEEEZZNS1_33reduce_by_key_impl_wrapped_configILNS1_25lookback_scan_determinismE0ES3_S7_PKfNS0_17constant_iteratorIjlEEPfPlSF_S6_NS0_8equal_toIfEEEE10hipError_tPvRmT2_T3_mT4_T5_T6_T7_T8_P12ihipStream_tbENKUlT_T0_E_clISt17integral_constantIbLb0EESY_IbLb1EEEEDaSU_SV_EUlSU_E_NS1_11comp_targetILNS1_3genE5ELNS1_11target_archE942ELNS1_3gpuE9ELNS1_3repE0EEENS1_30default_config_static_selectorELNS0_4arch9wavefront6targetE0EEEvT1_
                                        ; -- End function
	.set _ZN7rocprim17ROCPRIM_400000_NS6detail17trampoline_kernelINS0_14default_configENS1_33run_length_encode_config_selectorIfjNS0_4plusIjEEEEZZNS1_33reduce_by_key_impl_wrapped_configILNS1_25lookback_scan_determinismE0ES3_S7_PKfNS0_17constant_iteratorIjlEEPfPlSF_S6_NS0_8equal_toIfEEEE10hipError_tPvRmT2_T3_mT4_T5_T6_T7_T8_P12ihipStream_tbENKUlT_T0_E_clISt17integral_constantIbLb0EESY_IbLb1EEEEDaSU_SV_EUlSU_E_NS1_11comp_targetILNS1_3genE5ELNS1_11target_archE942ELNS1_3gpuE9ELNS1_3repE0EEENS1_30default_config_static_selectorELNS0_4arch9wavefront6targetE0EEEvT1_.num_vgpr, 0
	.set _ZN7rocprim17ROCPRIM_400000_NS6detail17trampoline_kernelINS0_14default_configENS1_33run_length_encode_config_selectorIfjNS0_4plusIjEEEEZZNS1_33reduce_by_key_impl_wrapped_configILNS1_25lookback_scan_determinismE0ES3_S7_PKfNS0_17constant_iteratorIjlEEPfPlSF_S6_NS0_8equal_toIfEEEE10hipError_tPvRmT2_T3_mT4_T5_T6_T7_T8_P12ihipStream_tbENKUlT_T0_E_clISt17integral_constantIbLb0EESY_IbLb1EEEEDaSU_SV_EUlSU_E_NS1_11comp_targetILNS1_3genE5ELNS1_11target_archE942ELNS1_3gpuE9ELNS1_3repE0EEENS1_30default_config_static_selectorELNS0_4arch9wavefront6targetE0EEEvT1_.num_agpr, 0
	.set _ZN7rocprim17ROCPRIM_400000_NS6detail17trampoline_kernelINS0_14default_configENS1_33run_length_encode_config_selectorIfjNS0_4plusIjEEEEZZNS1_33reduce_by_key_impl_wrapped_configILNS1_25lookback_scan_determinismE0ES3_S7_PKfNS0_17constant_iteratorIjlEEPfPlSF_S6_NS0_8equal_toIfEEEE10hipError_tPvRmT2_T3_mT4_T5_T6_T7_T8_P12ihipStream_tbENKUlT_T0_E_clISt17integral_constantIbLb0EESY_IbLb1EEEEDaSU_SV_EUlSU_E_NS1_11comp_targetILNS1_3genE5ELNS1_11target_archE942ELNS1_3gpuE9ELNS1_3repE0EEENS1_30default_config_static_selectorELNS0_4arch9wavefront6targetE0EEEvT1_.numbered_sgpr, 0
	.set _ZN7rocprim17ROCPRIM_400000_NS6detail17trampoline_kernelINS0_14default_configENS1_33run_length_encode_config_selectorIfjNS0_4plusIjEEEEZZNS1_33reduce_by_key_impl_wrapped_configILNS1_25lookback_scan_determinismE0ES3_S7_PKfNS0_17constant_iteratorIjlEEPfPlSF_S6_NS0_8equal_toIfEEEE10hipError_tPvRmT2_T3_mT4_T5_T6_T7_T8_P12ihipStream_tbENKUlT_T0_E_clISt17integral_constantIbLb0EESY_IbLb1EEEEDaSU_SV_EUlSU_E_NS1_11comp_targetILNS1_3genE5ELNS1_11target_archE942ELNS1_3gpuE9ELNS1_3repE0EEENS1_30default_config_static_selectorELNS0_4arch9wavefront6targetE0EEEvT1_.num_named_barrier, 0
	.set _ZN7rocprim17ROCPRIM_400000_NS6detail17trampoline_kernelINS0_14default_configENS1_33run_length_encode_config_selectorIfjNS0_4plusIjEEEEZZNS1_33reduce_by_key_impl_wrapped_configILNS1_25lookback_scan_determinismE0ES3_S7_PKfNS0_17constant_iteratorIjlEEPfPlSF_S6_NS0_8equal_toIfEEEE10hipError_tPvRmT2_T3_mT4_T5_T6_T7_T8_P12ihipStream_tbENKUlT_T0_E_clISt17integral_constantIbLb0EESY_IbLb1EEEEDaSU_SV_EUlSU_E_NS1_11comp_targetILNS1_3genE5ELNS1_11target_archE942ELNS1_3gpuE9ELNS1_3repE0EEENS1_30default_config_static_selectorELNS0_4arch9wavefront6targetE0EEEvT1_.private_seg_size, 0
	.set _ZN7rocprim17ROCPRIM_400000_NS6detail17trampoline_kernelINS0_14default_configENS1_33run_length_encode_config_selectorIfjNS0_4plusIjEEEEZZNS1_33reduce_by_key_impl_wrapped_configILNS1_25lookback_scan_determinismE0ES3_S7_PKfNS0_17constant_iteratorIjlEEPfPlSF_S6_NS0_8equal_toIfEEEE10hipError_tPvRmT2_T3_mT4_T5_T6_T7_T8_P12ihipStream_tbENKUlT_T0_E_clISt17integral_constantIbLb0EESY_IbLb1EEEEDaSU_SV_EUlSU_E_NS1_11comp_targetILNS1_3genE5ELNS1_11target_archE942ELNS1_3gpuE9ELNS1_3repE0EEENS1_30default_config_static_selectorELNS0_4arch9wavefront6targetE0EEEvT1_.uses_vcc, 0
	.set _ZN7rocprim17ROCPRIM_400000_NS6detail17trampoline_kernelINS0_14default_configENS1_33run_length_encode_config_selectorIfjNS0_4plusIjEEEEZZNS1_33reduce_by_key_impl_wrapped_configILNS1_25lookback_scan_determinismE0ES3_S7_PKfNS0_17constant_iteratorIjlEEPfPlSF_S6_NS0_8equal_toIfEEEE10hipError_tPvRmT2_T3_mT4_T5_T6_T7_T8_P12ihipStream_tbENKUlT_T0_E_clISt17integral_constantIbLb0EESY_IbLb1EEEEDaSU_SV_EUlSU_E_NS1_11comp_targetILNS1_3genE5ELNS1_11target_archE942ELNS1_3gpuE9ELNS1_3repE0EEENS1_30default_config_static_selectorELNS0_4arch9wavefront6targetE0EEEvT1_.uses_flat_scratch, 0
	.set _ZN7rocprim17ROCPRIM_400000_NS6detail17trampoline_kernelINS0_14default_configENS1_33run_length_encode_config_selectorIfjNS0_4plusIjEEEEZZNS1_33reduce_by_key_impl_wrapped_configILNS1_25lookback_scan_determinismE0ES3_S7_PKfNS0_17constant_iteratorIjlEEPfPlSF_S6_NS0_8equal_toIfEEEE10hipError_tPvRmT2_T3_mT4_T5_T6_T7_T8_P12ihipStream_tbENKUlT_T0_E_clISt17integral_constantIbLb0EESY_IbLb1EEEEDaSU_SV_EUlSU_E_NS1_11comp_targetILNS1_3genE5ELNS1_11target_archE942ELNS1_3gpuE9ELNS1_3repE0EEENS1_30default_config_static_selectorELNS0_4arch9wavefront6targetE0EEEvT1_.has_dyn_sized_stack, 0
	.set _ZN7rocprim17ROCPRIM_400000_NS6detail17trampoline_kernelINS0_14default_configENS1_33run_length_encode_config_selectorIfjNS0_4plusIjEEEEZZNS1_33reduce_by_key_impl_wrapped_configILNS1_25lookback_scan_determinismE0ES3_S7_PKfNS0_17constant_iteratorIjlEEPfPlSF_S6_NS0_8equal_toIfEEEE10hipError_tPvRmT2_T3_mT4_T5_T6_T7_T8_P12ihipStream_tbENKUlT_T0_E_clISt17integral_constantIbLb0EESY_IbLb1EEEEDaSU_SV_EUlSU_E_NS1_11comp_targetILNS1_3genE5ELNS1_11target_archE942ELNS1_3gpuE9ELNS1_3repE0EEENS1_30default_config_static_selectorELNS0_4arch9wavefront6targetE0EEEvT1_.has_recursion, 0
	.set _ZN7rocprim17ROCPRIM_400000_NS6detail17trampoline_kernelINS0_14default_configENS1_33run_length_encode_config_selectorIfjNS0_4plusIjEEEEZZNS1_33reduce_by_key_impl_wrapped_configILNS1_25lookback_scan_determinismE0ES3_S7_PKfNS0_17constant_iteratorIjlEEPfPlSF_S6_NS0_8equal_toIfEEEE10hipError_tPvRmT2_T3_mT4_T5_T6_T7_T8_P12ihipStream_tbENKUlT_T0_E_clISt17integral_constantIbLb0EESY_IbLb1EEEEDaSU_SV_EUlSU_E_NS1_11comp_targetILNS1_3genE5ELNS1_11target_archE942ELNS1_3gpuE9ELNS1_3repE0EEENS1_30default_config_static_selectorELNS0_4arch9wavefront6targetE0EEEvT1_.has_indirect_call, 0
	.section	.AMDGPU.csdata,"",@progbits
; Kernel info:
; codeLenInByte = 0
; TotalNumSgprs: 0
; NumVgprs: 0
; ScratchSize: 0
; MemoryBound: 0
; FloatMode: 240
; IeeeMode: 1
; LDSByteSize: 0 bytes/workgroup (compile time only)
; SGPRBlocks: 0
; VGPRBlocks: 0
; NumSGPRsForWavesPerEU: 1
; NumVGPRsForWavesPerEU: 1
; NamedBarCnt: 0
; Occupancy: 16
; WaveLimiterHint : 0
; COMPUTE_PGM_RSRC2:SCRATCH_EN: 0
; COMPUTE_PGM_RSRC2:USER_SGPR: 2
; COMPUTE_PGM_RSRC2:TRAP_HANDLER: 0
; COMPUTE_PGM_RSRC2:TGID_X_EN: 1
; COMPUTE_PGM_RSRC2:TGID_Y_EN: 0
; COMPUTE_PGM_RSRC2:TGID_Z_EN: 0
; COMPUTE_PGM_RSRC2:TIDIG_COMP_CNT: 0
	.section	.text._ZN7rocprim17ROCPRIM_400000_NS6detail17trampoline_kernelINS0_14default_configENS1_33run_length_encode_config_selectorIfjNS0_4plusIjEEEEZZNS1_33reduce_by_key_impl_wrapped_configILNS1_25lookback_scan_determinismE0ES3_S7_PKfNS0_17constant_iteratorIjlEEPfPlSF_S6_NS0_8equal_toIfEEEE10hipError_tPvRmT2_T3_mT4_T5_T6_T7_T8_P12ihipStream_tbENKUlT_T0_E_clISt17integral_constantIbLb0EESY_IbLb1EEEEDaSU_SV_EUlSU_E_NS1_11comp_targetILNS1_3genE4ELNS1_11target_archE910ELNS1_3gpuE8ELNS1_3repE0EEENS1_30default_config_static_selectorELNS0_4arch9wavefront6targetE0EEEvT1_,"axG",@progbits,_ZN7rocprim17ROCPRIM_400000_NS6detail17trampoline_kernelINS0_14default_configENS1_33run_length_encode_config_selectorIfjNS0_4plusIjEEEEZZNS1_33reduce_by_key_impl_wrapped_configILNS1_25lookback_scan_determinismE0ES3_S7_PKfNS0_17constant_iteratorIjlEEPfPlSF_S6_NS0_8equal_toIfEEEE10hipError_tPvRmT2_T3_mT4_T5_T6_T7_T8_P12ihipStream_tbENKUlT_T0_E_clISt17integral_constantIbLb0EESY_IbLb1EEEEDaSU_SV_EUlSU_E_NS1_11comp_targetILNS1_3genE4ELNS1_11target_archE910ELNS1_3gpuE8ELNS1_3repE0EEENS1_30default_config_static_selectorELNS0_4arch9wavefront6targetE0EEEvT1_,comdat
	.protected	_ZN7rocprim17ROCPRIM_400000_NS6detail17trampoline_kernelINS0_14default_configENS1_33run_length_encode_config_selectorIfjNS0_4plusIjEEEEZZNS1_33reduce_by_key_impl_wrapped_configILNS1_25lookback_scan_determinismE0ES3_S7_PKfNS0_17constant_iteratorIjlEEPfPlSF_S6_NS0_8equal_toIfEEEE10hipError_tPvRmT2_T3_mT4_T5_T6_T7_T8_P12ihipStream_tbENKUlT_T0_E_clISt17integral_constantIbLb0EESY_IbLb1EEEEDaSU_SV_EUlSU_E_NS1_11comp_targetILNS1_3genE4ELNS1_11target_archE910ELNS1_3gpuE8ELNS1_3repE0EEENS1_30default_config_static_selectorELNS0_4arch9wavefront6targetE0EEEvT1_ ; -- Begin function _ZN7rocprim17ROCPRIM_400000_NS6detail17trampoline_kernelINS0_14default_configENS1_33run_length_encode_config_selectorIfjNS0_4plusIjEEEEZZNS1_33reduce_by_key_impl_wrapped_configILNS1_25lookback_scan_determinismE0ES3_S7_PKfNS0_17constant_iteratorIjlEEPfPlSF_S6_NS0_8equal_toIfEEEE10hipError_tPvRmT2_T3_mT4_T5_T6_T7_T8_P12ihipStream_tbENKUlT_T0_E_clISt17integral_constantIbLb0EESY_IbLb1EEEEDaSU_SV_EUlSU_E_NS1_11comp_targetILNS1_3genE4ELNS1_11target_archE910ELNS1_3gpuE8ELNS1_3repE0EEENS1_30default_config_static_selectorELNS0_4arch9wavefront6targetE0EEEvT1_
	.globl	_ZN7rocprim17ROCPRIM_400000_NS6detail17trampoline_kernelINS0_14default_configENS1_33run_length_encode_config_selectorIfjNS0_4plusIjEEEEZZNS1_33reduce_by_key_impl_wrapped_configILNS1_25lookback_scan_determinismE0ES3_S7_PKfNS0_17constant_iteratorIjlEEPfPlSF_S6_NS0_8equal_toIfEEEE10hipError_tPvRmT2_T3_mT4_T5_T6_T7_T8_P12ihipStream_tbENKUlT_T0_E_clISt17integral_constantIbLb0EESY_IbLb1EEEEDaSU_SV_EUlSU_E_NS1_11comp_targetILNS1_3genE4ELNS1_11target_archE910ELNS1_3gpuE8ELNS1_3repE0EEENS1_30default_config_static_selectorELNS0_4arch9wavefront6targetE0EEEvT1_
	.p2align	8
	.type	_ZN7rocprim17ROCPRIM_400000_NS6detail17trampoline_kernelINS0_14default_configENS1_33run_length_encode_config_selectorIfjNS0_4plusIjEEEEZZNS1_33reduce_by_key_impl_wrapped_configILNS1_25lookback_scan_determinismE0ES3_S7_PKfNS0_17constant_iteratorIjlEEPfPlSF_S6_NS0_8equal_toIfEEEE10hipError_tPvRmT2_T3_mT4_T5_T6_T7_T8_P12ihipStream_tbENKUlT_T0_E_clISt17integral_constantIbLb0EESY_IbLb1EEEEDaSU_SV_EUlSU_E_NS1_11comp_targetILNS1_3genE4ELNS1_11target_archE910ELNS1_3gpuE8ELNS1_3repE0EEENS1_30default_config_static_selectorELNS0_4arch9wavefront6targetE0EEEvT1_,@function
_ZN7rocprim17ROCPRIM_400000_NS6detail17trampoline_kernelINS0_14default_configENS1_33run_length_encode_config_selectorIfjNS0_4plusIjEEEEZZNS1_33reduce_by_key_impl_wrapped_configILNS1_25lookback_scan_determinismE0ES3_S7_PKfNS0_17constant_iteratorIjlEEPfPlSF_S6_NS0_8equal_toIfEEEE10hipError_tPvRmT2_T3_mT4_T5_T6_T7_T8_P12ihipStream_tbENKUlT_T0_E_clISt17integral_constantIbLb0EESY_IbLb1EEEEDaSU_SV_EUlSU_E_NS1_11comp_targetILNS1_3genE4ELNS1_11target_archE910ELNS1_3gpuE8ELNS1_3repE0EEENS1_30default_config_static_selectorELNS0_4arch9wavefront6targetE0EEEvT1_: ; @_ZN7rocprim17ROCPRIM_400000_NS6detail17trampoline_kernelINS0_14default_configENS1_33run_length_encode_config_selectorIfjNS0_4plusIjEEEEZZNS1_33reduce_by_key_impl_wrapped_configILNS1_25lookback_scan_determinismE0ES3_S7_PKfNS0_17constant_iteratorIjlEEPfPlSF_S6_NS0_8equal_toIfEEEE10hipError_tPvRmT2_T3_mT4_T5_T6_T7_T8_P12ihipStream_tbENKUlT_T0_E_clISt17integral_constantIbLb0EESY_IbLb1EEEEDaSU_SV_EUlSU_E_NS1_11comp_targetILNS1_3genE4ELNS1_11target_archE910ELNS1_3gpuE8ELNS1_3repE0EEENS1_30default_config_static_selectorELNS0_4arch9wavefront6targetE0EEEvT1_
; %bb.0:
	.section	.rodata,"a",@progbits
	.p2align	6, 0x0
	.amdhsa_kernel _ZN7rocprim17ROCPRIM_400000_NS6detail17trampoline_kernelINS0_14default_configENS1_33run_length_encode_config_selectorIfjNS0_4plusIjEEEEZZNS1_33reduce_by_key_impl_wrapped_configILNS1_25lookback_scan_determinismE0ES3_S7_PKfNS0_17constant_iteratorIjlEEPfPlSF_S6_NS0_8equal_toIfEEEE10hipError_tPvRmT2_T3_mT4_T5_T6_T7_T8_P12ihipStream_tbENKUlT_T0_E_clISt17integral_constantIbLb0EESY_IbLb1EEEEDaSU_SV_EUlSU_E_NS1_11comp_targetILNS1_3genE4ELNS1_11target_archE910ELNS1_3gpuE8ELNS1_3repE0EEENS1_30default_config_static_selectorELNS0_4arch9wavefront6targetE0EEEvT1_
		.amdhsa_group_segment_fixed_size 0
		.amdhsa_private_segment_fixed_size 0
		.amdhsa_kernarg_size 128
		.amdhsa_user_sgpr_count 2
		.amdhsa_user_sgpr_dispatch_ptr 0
		.amdhsa_user_sgpr_queue_ptr 0
		.amdhsa_user_sgpr_kernarg_segment_ptr 1
		.amdhsa_user_sgpr_dispatch_id 0
		.amdhsa_user_sgpr_kernarg_preload_length 0
		.amdhsa_user_sgpr_kernarg_preload_offset 0
		.amdhsa_user_sgpr_private_segment_size 0
		.amdhsa_wavefront_size32 1
		.amdhsa_uses_dynamic_stack 0
		.amdhsa_enable_private_segment 0
		.amdhsa_system_sgpr_workgroup_id_x 1
		.amdhsa_system_sgpr_workgroup_id_y 0
		.amdhsa_system_sgpr_workgroup_id_z 0
		.amdhsa_system_sgpr_workgroup_info 0
		.amdhsa_system_vgpr_workitem_id 0
		.amdhsa_next_free_vgpr 1
		.amdhsa_next_free_sgpr 1
		.amdhsa_named_barrier_count 0
		.amdhsa_reserve_vcc 0
		.amdhsa_float_round_mode_32 0
		.amdhsa_float_round_mode_16_64 0
		.amdhsa_float_denorm_mode_32 3
		.amdhsa_float_denorm_mode_16_64 3
		.amdhsa_fp16_overflow 0
		.amdhsa_memory_ordered 1
		.amdhsa_forward_progress 1
		.amdhsa_inst_pref_size 0
		.amdhsa_round_robin_scheduling 0
		.amdhsa_exception_fp_ieee_invalid_op 0
		.amdhsa_exception_fp_denorm_src 0
		.amdhsa_exception_fp_ieee_div_zero 0
		.amdhsa_exception_fp_ieee_overflow 0
		.amdhsa_exception_fp_ieee_underflow 0
		.amdhsa_exception_fp_ieee_inexact 0
		.amdhsa_exception_int_div_zero 0
	.end_amdhsa_kernel
	.section	.text._ZN7rocprim17ROCPRIM_400000_NS6detail17trampoline_kernelINS0_14default_configENS1_33run_length_encode_config_selectorIfjNS0_4plusIjEEEEZZNS1_33reduce_by_key_impl_wrapped_configILNS1_25lookback_scan_determinismE0ES3_S7_PKfNS0_17constant_iteratorIjlEEPfPlSF_S6_NS0_8equal_toIfEEEE10hipError_tPvRmT2_T3_mT4_T5_T6_T7_T8_P12ihipStream_tbENKUlT_T0_E_clISt17integral_constantIbLb0EESY_IbLb1EEEEDaSU_SV_EUlSU_E_NS1_11comp_targetILNS1_3genE4ELNS1_11target_archE910ELNS1_3gpuE8ELNS1_3repE0EEENS1_30default_config_static_selectorELNS0_4arch9wavefront6targetE0EEEvT1_,"axG",@progbits,_ZN7rocprim17ROCPRIM_400000_NS6detail17trampoline_kernelINS0_14default_configENS1_33run_length_encode_config_selectorIfjNS0_4plusIjEEEEZZNS1_33reduce_by_key_impl_wrapped_configILNS1_25lookback_scan_determinismE0ES3_S7_PKfNS0_17constant_iteratorIjlEEPfPlSF_S6_NS0_8equal_toIfEEEE10hipError_tPvRmT2_T3_mT4_T5_T6_T7_T8_P12ihipStream_tbENKUlT_T0_E_clISt17integral_constantIbLb0EESY_IbLb1EEEEDaSU_SV_EUlSU_E_NS1_11comp_targetILNS1_3genE4ELNS1_11target_archE910ELNS1_3gpuE8ELNS1_3repE0EEENS1_30default_config_static_selectorELNS0_4arch9wavefront6targetE0EEEvT1_,comdat
.Lfunc_end402:
	.size	_ZN7rocprim17ROCPRIM_400000_NS6detail17trampoline_kernelINS0_14default_configENS1_33run_length_encode_config_selectorIfjNS0_4plusIjEEEEZZNS1_33reduce_by_key_impl_wrapped_configILNS1_25lookback_scan_determinismE0ES3_S7_PKfNS0_17constant_iteratorIjlEEPfPlSF_S6_NS0_8equal_toIfEEEE10hipError_tPvRmT2_T3_mT4_T5_T6_T7_T8_P12ihipStream_tbENKUlT_T0_E_clISt17integral_constantIbLb0EESY_IbLb1EEEEDaSU_SV_EUlSU_E_NS1_11comp_targetILNS1_3genE4ELNS1_11target_archE910ELNS1_3gpuE8ELNS1_3repE0EEENS1_30default_config_static_selectorELNS0_4arch9wavefront6targetE0EEEvT1_, .Lfunc_end402-_ZN7rocprim17ROCPRIM_400000_NS6detail17trampoline_kernelINS0_14default_configENS1_33run_length_encode_config_selectorIfjNS0_4plusIjEEEEZZNS1_33reduce_by_key_impl_wrapped_configILNS1_25lookback_scan_determinismE0ES3_S7_PKfNS0_17constant_iteratorIjlEEPfPlSF_S6_NS0_8equal_toIfEEEE10hipError_tPvRmT2_T3_mT4_T5_T6_T7_T8_P12ihipStream_tbENKUlT_T0_E_clISt17integral_constantIbLb0EESY_IbLb1EEEEDaSU_SV_EUlSU_E_NS1_11comp_targetILNS1_3genE4ELNS1_11target_archE910ELNS1_3gpuE8ELNS1_3repE0EEENS1_30default_config_static_selectorELNS0_4arch9wavefront6targetE0EEEvT1_
                                        ; -- End function
	.set _ZN7rocprim17ROCPRIM_400000_NS6detail17trampoline_kernelINS0_14default_configENS1_33run_length_encode_config_selectorIfjNS0_4plusIjEEEEZZNS1_33reduce_by_key_impl_wrapped_configILNS1_25lookback_scan_determinismE0ES3_S7_PKfNS0_17constant_iteratorIjlEEPfPlSF_S6_NS0_8equal_toIfEEEE10hipError_tPvRmT2_T3_mT4_T5_T6_T7_T8_P12ihipStream_tbENKUlT_T0_E_clISt17integral_constantIbLb0EESY_IbLb1EEEEDaSU_SV_EUlSU_E_NS1_11comp_targetILNS1_3genE4ELNS1_11target_archE910ELNS1_3gpuE8ELNS1_3repE0EEENS1_30default_config_static_selectorELNS0_4arch9wavefront6targetE0EEEvT1_.num_vgpr, 0
	.set _ZN7rocprim17ROCPRIM_400000_NS6detail17trampoline_kernelINS0_14default_configENS1_33run_length_encode_config_selectorIfjNS0_4plusIjEEEEZZNS1_33reduce_by_key_impl_wrapped_configILNS1_25lookback_scan_determinismE0ES3_S7_PKfNS0_17constant_iteratorIjlEEPfPlSF_S6_NS0_8equal_toIfEEEE10hipError_tPvRmT2_T3_mT4_T5_T6_T7_T8_P12ihipStream_tbENKUlT_T0_E_clISt17integral_constantIbLb0EESY_IbLb1EEEEDaSU_SV_EUlSU_E_NS1_11comp_targetILNS1_3genE4ELNS1_11target_archE910ELNS1_3gpuE8ELNS1_3repE0EEENS1_30default_config_static_selectorELNS0_4arch9wavefront6targetE0EEEvT1_.num_agpr, 0
	.set _ZN7rocprim17ROCPRIM_400000_NS6detail17trampoline_kernelINS0_14default_configENS1_33run_length_encode_config_selectorIfjNS0_4plusIjEEEEZZNS1_33reduce_by_key_impl_wrapped_configILNS1_25lookback_scan_determinismE0ES3_S7_PKfNS0_17constant_iteratorIjlEEPfPlSF_S6_NS0_8equal_toIfEEEE10hipError_tPvRmT2_T3_mT4_T5_T6_T7_T8_P12ihipStream_tbENKUlT_T0_E_clISt17integral_constantIbLb0EESY_IbLb1EEEEDaSU_SV_EUlSU_E_NS1_11comp_targetILNS1_3genE4ELNS1_11target_archE910ELNS1_3gpuE8ELNS1_3repE0EEENS1_30default_config_static_selectorELNS0_4arch9wavefront6targetE0EEEvT1_.numbered_sgpr, 0
	.set _ZN7rocprim17ROCPRIM_400000_NS6detail17trampoline_kernelINS0_14default_configENS1_33run_length_encode_config_selectorIfjNS0_4plusIjEEEEZZNS1_33reduce_by_key_impl_wrapped_configILNS1_25lookback_scan_determinismE0ES3_S7_PKfNS0_17constant_iteratorIjlEEPfPlSF_S6_NS0_8equal_toIfEEEE10hipError_tPvRmT2_T3_mT4_T5_T6_T7_T8_P12ihipStream_tbENKUlT_T0_E_clISt17integral_constantIbLb0EESY_IbLb1EEEEDaSU_SV_EUlSU_E_NS1_11comp_targetILNS1_3genE4ELNS1_11target_archE910ELNS1_3gpuE8ELNS1_3repE0EEENS1_30default_config_static_selectorELNS0_4arch9wavefront6targetE0EEEvT1_.num_named_barrier, 0
	.set _ZN7rocprim17ROCPRIM_400000_NS6detail17trampoline_kernelINS0_14default_configENS1_33run_length_encode_config_selectorIfjNS0_4plusIjEEEEZZNS1_33reduce_by_key_impl_wrapped_configILNS1_25lookback_scan_determinismE0ES3_S7_PKfNS0_17constant_iteratorIjlEEPfPlSF_S6_NS0_8equal_toIfEEEE10hipError_tPvRmT2_T3_mT4_T5_T6_T7_T8_P12ihipStream_tbENKUlT_T0_E_clISt17integral_constantIbLb0EESY_IbLb1EEEEDaSU_SV_EUlSU_E_NS1_11comp_targetILNS1_3genE4ELNS1_11target_archE910ELNS1_3gpuE8ELNS1_3repE0EEENS1_30default_config_static_selectorELNS0_4arch9wavefront6targetE0EEEvT1_.private_seg_size, 0
	.set _ZN7rocprim17ROCPRIM_400000_NS6detail17trampoline_kernelINS0_14default_configENS1_33run_length_encode_config_selectorIfjNS0_4plusIjEEEEZZNS1_33reduce_by_key_impl_wrapped_configILNS1_25lookback_scan_determinismE0ES3_S7_PKfNS0_17constant_iteratorIjlEEPfPlSF_S6_NS0_8equal_toIfEEEE10hipError_tPvRmT2_T3_mT4_T5_T6_T7_T8_P12ihipStream_tbENKUlT_T0_E_clISt17integral_constantIbLb0EESY_IbLb1EEEEDaSU_SV_EUlSU_E_NS1_11comp_targetILNS1_3genE4ELNS1_11target_archE910ELNS1_3gpuE8ELNS1_3repE0EEENS1_30default_config_static_selectorELNS0_4arch9wavefront6targetE0EEEvT1_.uses_vcc, 0
	.set _ZN7rocprim17ROCPRIM_400000_NS6detail17trampoline_kernelINS0_14default_configENS1_33run_length_encode_config_selectorIfjNS0_4plusIjEEEEZZNS1_33reduce_by_key_impl_wrapped_configILNS1_25lookback_scan_determinismE0ES3_S7_PKfNS0_17constant_iteratorIjlEEPfPlSF_S6_NS0_8equal_toIfEEEE10hipError_tPvRmT2_T3_mT4_T5_T6_T7_T8_P12ihipStream_tbENKUlT_T0_E_clISt17integral_constantIbLb0EESY_IbLb1EEEEDaSU_SV_EUlSU_E_NS1_11comp_targetILNS1_3genE4ELNS1_11target_archE910ELNS1_3gpuE8ELNS1_3repE0EEENS1_30default_config_static_selectorELNS0_4arch9wavefront6targetE0EEEvT1_.uses_flat_scratch, 0
	.set _ZN7rocprim17ROCPRIM_400000_NS6detail17trampoline_kernelINS0_14default_configENS1_33run_length_encode_config_selectorIfjNS0_4plusIjEEEEZZNS1_33reduce_by_key_impl_wrapped_configILNS1_25lookback_scan_determinismE0ES3_S7_PKfNS0_17constant_iteratorIjlEEPfPlSF_S6_NS0_8equal_toIfEEEE10hipError_tPvRmT2_T3_mT4_T5_T6_T7_T8_P12ihipStream_tbENKUlT_T0_E_clISt17integral_constantIbLb0EESY_IbLb1EEEEDaSU_SV_EUlSU_E_NS1_11comp_targetILNS1_3genE4ELNS1_11target_archE910ELNS1_3gpuE8ELNS1_3repE0EEENS1_30default_config_static_selectorELNS0_4arch9wavefront6targetE0EEEvT1_.has_dyn_sized_stack, 0
	.set _ZN7rocprim17ROCPRIM_400000_NS6detail17trampoline_kernelINS0_14default_configENS1_33run_length_encode_config_selectorIfjNS0_4plusIjEEEEZZNS1_33reduce_by_key_impl_wrapped_configILNS1_25lookback_scan_determinismE0ES3_S7_PKfNS0_17constant_iteratorIjlEEPfPlSF_S6_NS0_8equal_toIfEEEE10hipError_tPvRmT2_T3_mT4_T5_T6_T7_T8_P12ihipStream_tbENKUlT_T0_E_clISt17integral_constantIbLb0EESY_IbLb1EEEEDaSU_SV_EUlSU_E_NS1_11comp_targetILNS1_3genE4ELNS1_11target_archE910ELNS1_3gpuE8ELNS1_3repE0EEENS1_30default_config_static_selectorELNS0_4arch9wavefront6targetE0EEEvT1_.has_recursion, 0
	.set _ZN7rocprim17ROCPRIM_400000_NS6detail17trampoline_kernelINS0_14default_configENS1_33run_length_encode_config_selectorIfjNS0_4plusIjEEEEZZNS1_33reduce_by_key_impl_wrapped_configILNS1_25lookback_scan_determinismE0ES3_S7_PKfNS0_17constant_iteratorIjlEEPfPlSF_S6_NS0_8equal_toIfEEEE10hipError_tPvRmT2_T3_mT4_T5_T6_T7_T8_P12ihipStream_tbENKUlT_T0_E_clISt17integral_constantIbLb0EESY_IbLb1EEEEDaSU_SV_EUlSU_E_NS1_11comp_targetILNS1_3genE4ELNS1_11target_archE910ELNS1_3gpuE8ELNS1_3repE0EEENS1_30default_config_static_selectorELNS0_4arch9wavefront6targetE0EEEvT1_.has_indirect_call, 0
	.section	.AMDGPU.csdata,"",@progbits
; Kernel info:
; codeLenInByte = 0
; TotalNumSgprs: 0
; NumVgprs: 0
; ScratchSize: 0
; MemoryBound: 0
; FloatMode: 240
; IeeeMode: 1
; LDSByteSize: 0 bytes/workgroup (compile time only)
; SGPRBlocks: 0
; VGPRBlocks: 0
; NumSGPRsForWavesPerEU: 1
; NumVGPRsForWavesPerEU: 1
; NamedBarCnt: 0
; Occupancy: 16
; WaveLimiterHint : 0
; COMPUTE_PGM_RSRC2:SCRATCH_EN: 0
; COMPUTE_PGM_RSRC2:USER_SGPR: 2
; COMPUTE_PGM_RSRC2:TRAP_HANDLER: 0
; COMPUTE_PGM_RSRC2:TGID_X_EN: 1
; COMPUTE_PGM_RSRC2:TGID_Y_EN: 0
; COMPUTE_PGM_RSRC2:TGID_Z_EN: 0
; COMPUTE_PGM_RSRC2:TIDIG_COMP_CNT: 0
	.section	.text._ZN7rocprim17ROCPRIM_400000_NS6detail17trampoline_kernelINS0_14default_configENS1_33run_length_encode_config_selectorIfjNS0_4plusIjEEEEZZNS1_33reduce_by_key_impl_wrapped_configILNS1_25lookback_scan_determinismE0ES3_S7_PKfNS0_17constant_iteratorIjlEEPfPlSF_S6_NS0_8equal_toIfEEEE10hipError_tPvRmT2_T3_mT4_T5_T6_T7_T8_P12ihipStream_tbENKUlT_T0_E_clISt17integral_constantIbLb0EESY_IbLb1EEEEDaSU_SV_EUlSU_E_NS1_11comp_targetILNS1_3genE3ELNS1_11target_archE908ELNS1_3gpuE7ELNS1_3repE0EEENS1_30default_config_static_selectorELNS0_4arch9wavefront6targetE0EEEvT1_,"axG",@progbits,_ZN7rocprim17ROCPRIM_400000_NS6detail17trampoline_kernelINS0_14default_configENS1_33run_length_encode_config_selectorIfjNS0_4plusIjEEEEZZNS1_33reduce_by_key_impl_wrapped_configILNS1_25lookback_scan_determinismE0ES3_S7_PKfNS0_17constant_iteratorIjlEEPfPlSF_S6_NS0_8equal_toIfEEEE10hipError_tPvRmT2_T3_mT4_T5_T6_T7_T8_P12ihipStream_tbENKUlT_T0_E_clISt17integral_constantIbLb0EESY_IbLb1EEEEDaSU_SV_EUlSU_E_NS1_11comp_targetILNS1_3genE3ELNS1_11target_archE908ELNS1_3gpuE7ELNS1_3repE0EEENS1_30default_config_static_selectorELNS0_4arch9wavefront6targetE0EEEvT1_,comdat
	.protected	_ZN7rocprim17ROCPRIM_400000_NS6detail17trampoline_kernelINS0_14default_configENS1_33run_length_encode_config_selectorIfjNS0_4plusIjEEEEZZNS1_33reduce_by_key_impl_wrapped_configILNS1_25lookback_scan_determinismE0ES3_S7_PKfNS0_17constant_iteratorIjlEEPfPlSF_S6_NS0_8equal_toIfEEEE10hipError_tPvRmT2_T3_mT4_T5_T6_T7_T8_P12ihipStream_tbENKUlT_T0_E_clISt17integral_constantIbLb0EESY_IbLb1EEEEDaSU_SV_EUlSU_E_NS1_11comp_targetILNS1_3genE3ELNS1_11target_archE908ELNS1_3gpuE7ELNS1_3repE0EEENS1_30default_config_static_selectorELNS0_4arch9wavefront6targetE0EEEvT1_ ; -- Begin function _ZN7rocprim17ROCPRIM_400000_NS6detail17trampoline_kernelINS0_14default_configENS1_33run_length_encode_config_selectorIfjNS0_4plusIjEEEEZZNS1_33reduce_by_key_impl_wrapped_configILNS1_25lookback_scan_determinismE0ES3_S7_PKfNS0_17constant_iteratorIjlEEPfPlSF_S6_NS0_8equal_toIfEEEE10hipError_tPvRmT2_T3_mT4_T5_T6_T7_T8_P12ihipStream_tbENKUlT_T0_E_clISt17integral_constantIbLb0EESY_IbLb1EEEEDaSU_SV_EUlSU_E_NS1_11comp_targetILNS1_3genE3ELNS1_11target_archE908ELNS1_3gpuE7ELNS1_3repE0EEENS1_30default_config_static_selectorELNS0_4arch9wavefront6targetE0EEEvT1_
	.globl	_ZN7rocprim17ROCPRIM_400000_NS6detail17trampoline_kernelINS0_14default_configENS1_33run_length_encode_config_selectorIfjNS0_4plusIjEEEEZZNS1_33reduce_by_key_impl_wrapped_configILNS1_25lookback_scan_determinismE0ES3_S7_PKfNS0_17constant_iteratorIjlEEPfPlSF_S6_NS0_8equal_toIfEEEE10hipError_tPvRmT2_T3_mT4_T5_T6_T7_T8_P12ihipStream_tbENKUlT_T0_E_clISt17integral_constantIbLb0EESY_IbLb1EEEEDaSU_SV_EUlSU_E_NS1_11comp_targetILNS1_3genE3ELNS1_11target_archE908ELNS1_3gpuE7ELNS1_3repE0EEENS1_30default_config_static_selectorELNS0_4arch9wavefront6targetE0EEEvT1_
	.p2align	8
	.type	_ZN7rocprim17ROCPRIM_400000_NS6detail17trampoline_kernelINS0_14default_configENS1_33run_length_encode_config_selectorIfjNS0_4plusIjEEEEZZNS1_33reduce_by_key_impl_wrapped_configILNS1_25lookback_scan_determinismE0ES3_S7_PKfNS0_17constant_iteratorIjlEEPfPlSF_S6_NS0_8equal_toIfEEEE10hipError_tPvRmT2_T3_mT4_T5_T6_T7_T8_P12ihipStream_tbENKUlT_T0_E_clISt17integral_constantIbLb0EESY_IbLb1EEEEDaSU_SV_EUlSU_E_NS1_11comp_targetILNS1_3genE3ELNS1_11target_archE908ELNS1_3gpuE7ELNS1_3repE0EEENS1_30default_config_static_selectorELNS0_4arch9wavefront6targetE0EEEvT1_,@function
_ZN7rocprim17ROCPRIM_400000_NS6detail17trampoline_kernelINS0_14default_configENS1_33run_length_encode_config_selectorIfjNS0_4plusIjEEEEZZNS1_33reduce_by_key_impl_wrapped_configILNS1_25lookback_scan_determinismE0ES3_S7_PKfNS0_17constant_iteratorIjlEEPfPlSF_S6_NS0_8equal_toIfEEEE10hipError_tPvRmT2_T3_mT4_T5_T6_T7_T8_P12ihipStream_tbENKUlT_T0_E_clISt17integral_constantIbLb0EESY_IbLb1EEEEDaSU_SV_EUlSU_E_NS1_11comp_targetILNS1_3genE3ELNS1_11target_archE908ELNS1_3gpuE7ELNS1_3repE0EEENS1_30default_config_static_selectorELNS0_4arch9wavefront6targetE0EEEvT1_: ; @_ZN7rocprim17ROCPRIM_400000_NS6detail17trampoline_kernelINS0_14default_configENS1_33run_length_encode_config_selectorIfjNS0_4plusIjEEEEZZNS1_33reduce_by_key_impl_wrapped_configILNS1_25lookback_scan_determinismE0ES3_S7_PKfNS0_17constant_iteratorIjlEEPfPlSF_S6_NS0_8equal_toIfEEEE10hipError_tPvRmT2_T3_mT4_T5_T6_T7_T8_P12ihipStream_tbENKUlT_T0_E_clISt17integral_constantIbLb0EESY_IbLb1EEEEDaSU_SV_EUlSU_E_NS1_11comp_targetILNS1_3genE3ELNS1_11target_archE908ELNS1_3gpuE7ELNS1_3repE0EEENS1_30default_config_static_selectorELNS0_4arch9wavefront6targetE0EEEvT1_
; %bb.0:
	.section	.rodata,"a",@progbits
	.p2align	6, 0x0
	.amdhsa_kernel _ZN7rocprim17ROCPRIM_400000_NS6detail17trampoline_kernelINS0_14default_configENS1_33run_length_encode_config_selectorIfjNS0_4plusIjEEEEZZNS1_33reduce_by_key_impl_wrapped_configILNS1_25lookback_scan_determinismE0ES3_S7_PKfNS0_17constant_iteratorIjlEEPfPlSF_S6_NS0_8equal_toIfEEEE10hipError_tPvRmT2_T3_mT4_T5_T6_T7_T8_P12ihipStream_tbENKUlT_T0_E_clISt17integral_constantIbLb0EESY_IbLb1EEEEDaSU_SV_EUlSU_E_NS1_11comp_targetILNS1_3genE3ELNS1_11target_archE908ELNS1_3gpuE7ELNS1_3repE0EEENS1_30default_config_static_selectorELNS0_4arch9wavefront6targetE0EEEvT1_
		.amdhsa_group_segment_fixed_size 0
		.amdhsa_private_segment_fixed_size 0
		.amdhsa_kernarg_size 128
		.amdhsa_user_sgpr_count 2
		.amdhsa_user_sgpr_dispatch_ptr 0
		.amdhsa_user_sgpr_queue_ptr 0
		.amdhsa_user_sgpr_kernarg_segment_ptr 1
		.amdhsa_user_sgpr_dispatch_id 0
		.amdhsa_user_sgpr_kernarg_preload_length 0
		.amdhsa_user_sgpr_kernarg_preload_offset 0
		.amdhsa_user_sgpr_private_segment_size 0
		.amdhsa_wavefront_size32 1
		.amdhsa_uses_dynamic_stack 0
		.amdhsa_enable_private_segment 0
		.amdhsa_system_sgpr_workgroup_id_x 1
		.amdhsa_system_sgpr_workgroup_id_y 0
		.amdhsa_system_sgpr_workgroup_id_z 0
		.amdhsa_system_sgpr_workgroup_info 0
		.amdhsa_system_vgpr_workitem_id 0
		.amdhsa_next_free_vgpr 1
		.amdhsa_next_free_sgpr 1
		.amdhsa_named_barrier_count 0
		.amdhsa_reserve_vcc 0
		.amdhsa_float_round_mode_32 0
		.amdhsa_float_round_mode_16_64 0
		.amdhsa_float_denorm_mode_32 3
		.amdhsa_float_denorm_mode_16_64 3
		.amdhsa_fp16_overflow 0
		.amdhsa_memory_ordered 1
		.amdhsa_forward_progress 1
		.amdhsa_inst_pref_size 0
		.amdhsa_round_robin_scheduling 0
		.amdhsa_exception_fp_ieee_invalid_op 0
		.amdhsa_exception_fp_denorm_src 0
		.amdhsa_exception_fp_ieee_div_zero 0
		.amdhsa_exception_fp_ieee_overflow 0
		.amdhsa_exception_fp_ieee_underflow 0
		.amdhsa_exception_fp_ieee_inexact 0
		.amdhsa_exception_int_div_zero 0
	.end_amdhsa_kernel
	.section	.text._ZN7rocprim17ROCPRIM_400000_NS6detail17trampoline_kernelINS0_14default_configENS1_33run_length_encode_config_selectorIfjNS0_4plusIjEEEEZZNS1_33reduce_by_key_impl_wrapped_configILNS1_25lookback_scan_determinismE0ES3_S7_PKfNS0_17constant_iteratorIjlEEPfPlSF_S6_NS0_8equal_toIfEEEE10hipError_tPvRmT2_T3_mT4_T5_T6_T7_T8_P12ihipStream_tbENKUlT_T0_E_clISt17integral_constantIbLb0EESY_IbLb1EEEEDaSU_SV_EUlSU_E_NS1_11comp_targetILNS1_3genE3ELNS1_11target_archE908ELNS1_3gpuE7ELNS1_3repE0EEENS1_30default_config_static_selectorELNS0_4arch9wavefront6targetE0EEEvT1_,"axG",@progbits,_ZN7rocprim17ROCPRIM_400000_NS6detail17trampoline_kernelINS0_14default_configENS1_33run_length_encode_config_selectorIfjNS0_4plusIjEEEEZZNS1_33reduce_by_key_impl_wrapped_configILNS1_25lookback_scan_determinismE0ES3_S7_PKfNS0_17constant_iteratorIjlEEPfPlSF_S6_NS0_8equal_toIfEEEE10hipError_tPvRmT2_T3_mT4_T5_T6_T7_T8_P12ihipStream_tbENKUlT_T0_E_clISt17integral_constantIbLb0EESY_IbLb1EEEEDaSU_SV_EUlSU_E_NS1_11comp_targetILNS1_3genE3ELNS1_11target_archE908ELNS1_3gpuE7ELNS1_3repE0EEENS1_30default_config_static_selectorELNS0_4arch9wavefront6targetE0EEEvT1_,comdat
.Lfunc_end403:
	.size	_ZN7rocprim17ROCPRIM_400000_NS6detail17trampoline_kernelINS0_14default_configENS1_33run_length_encode_config_selectorIfjNS0_4plusIjEEEEZZNS1_33reduce_by_key_impl_wrapped_configILNS1_25lookback_scan_determinismE0ES3_S7_PKfNS0_17constant_iteratorIjlEEPfPlSF_S6_NS0_8equal_toIfEEEE10hipError_tPvRmT2_T3_mT4_T5_T6_T7_T8_P12ihipStream_tbENKUlT_T0_E_clISt17integral_constantIbLb0EESY_IbLb1EEEEDaSU_SV_EUlSU_E_NS1_11comp_targetILNS1_3genE3ELNS1_11target_archE908ELNS1_3gpuE7ELNS1_3repE0EEENS1_30default_config_static_selectorELNS0_4arch9wavefront6targetE0EEEvT1_, .Lfunc_end403-_ZN7rocprim17ROCPRIM_400000_NS6detail17trampoline_kernelINS0_14default_configENS1_33run_length_encode_config_selectorIfjNS0_4plusIjEEEEZZNS1_33reduce_by_key_impl_wrapped_configILNS1_25lookback_scan_determinismE0ES3_S7_PKfNS0_17constant_iteratorIjlEEPfPlSF_S6_NS0_8equal_toIfEEEE10hipError_tPvRmT2_T3_mT4_T5_T6_T7_T8_P12ihipStream_tbENKUlT_T0_E_clISt17integral_constantIbLb0EESY_IbLb1EEEEDaSU_SV_EUlSU_E_NS1_11comp_targetILNS1_3genE3ELNS1_11target_archE908ELNS1_3gpuE7ELNS1_3repE0EEENS1_30default_config_static_selectorELNS0_4arch9wavefront6targetE0EEEvT1_
                                        ; -- End function
	.set _ZN7rocprim17ROCPRIM_400000_NS6detail17trampoline_kernelINS0_14default_configENS1_33run_length_encode_config_selectorIfjNS0_4plusIjEEEEZZNS1_33reduce_by_key_impl_wrapped_configILNS1_25lookback_scan_determinismE0ES3_S7_PKfNS0_17constant_iteratorIjlEEPfPlSF_S6_NS0_8equal_toIfEEEE10hipError_tPvRmT2_T3_mT4_T5_T6_T7_T8_P12ihipStream_tbENKUlT_T0_E_clISt17integral_constantIbLb0EESY_IbLb1EEEEDaSU_SV_EUlSU_E_NS1_11comp_targetILNS1_3genE3ELNS1_11target_archE908ELNS1_3gpuE7ELNS1_3repE0EEENS1_30default_config_static_selectorELNS0_4arch9wavefront6targetE0EEEvT1_.num_vgpr, 0
	.set _ZN7rocprim17ROCPRIM_400000_NS6detail17trampoline_kernelINS0_14default_configENS1_33run_length_encode_config_selectorIfjNS0_4plusIjEEEEZZNS1_33reduce_by_key_impl_wrapped_configILNS1_25lookback_scan_determinismE0ES3_S7_PKfNS0_17constant_iteratorIjlEEPfPlSF_S6_NS0_8equal_toIfEEEE10hipError_tPvRmT2_T3_mT4_T5_T6_T7_T8_P12ihipStream_tbENKUlT_T0_E_clISt17integral_constantIbLb0EESY_IbLb1EEEEDaSU_SV_EUlSU_E_NS1_11comp_targetILNS1_3genE3ELNS1_11target_archE908ELNS1_3gpuE7ELNS1_3repE0EEENS1_30default_config_static_selectorELNS0_4arch9wavefront6targetE0EEEvT1_.num_agpr, 0
	.set _ZN7rocprim17ROCPRIM_400000_NS6detail17trampoline_kernelINS0_14default_configENS1_33run_length_encode_config_selectorIfjNS0_4plusIjEEEEZZNS1_33reduce_by_key_impl_wrapped_configILNS1_25lookback_scan_determinismE0ES3_S7_PKfNS0_17constant_iteratorIjlEEPfPlSF_S6_NS0_8equal_toIfEEEE10hipError_tPvRmT2_T3_mT4_T5_T6_T7_T8_P12ihipStream_tbENKUlT_T0_E_clISt17integral_constantIbLb0EESY_IbLb1EEEEDaSU_SV_EUlSU_E_NS1_11comp_targetILNS1_3genE3ELNS1_11target_archE908ELNS1_3gpuE7ELNS1_3repE0EEENS1_30default_config_static_selectorELNS0_4arch9wavefront6targetE0EEEvT1_.numbered_sgpr, 0
	.set _ZN7rocprim17ROCPRIM_400000_NS6detail17trampoline_kernelINS0_14default_configENS1_33run_length_encode_config_selectorIfjNS0_4plusIjEEEEZZNS1_33reduce_by_key_impl_wrapped_configILNS1_25lookback_scan_determinismE0ES3_S7_PKfNS0_17constant_iteratorIjlEEPfPlSF_S6_NS0_8equal_toIfEEEE10hipError_tPvRmT2_T3_mT4_T5_T6_T7_T8_P12ihipStream_tbENKUlT_T0_E_clISt17integral_constantIbLb0EESY_IbLb1EEEEDaSU_SV_EUlSU_E_NS1_11comp_targetILNS1_3genE3ELNS1_11target_archE908ELNS1_3gpuE7ELNS1_3repE0EEENS1_30default_config_static_selectorELNS0_4arch9wavefront6targetE0EEEvT1_.num_named_barrier, 0
	.set _ZN7rocprim17ROCPRIM_400000_NS6detail17trampoline_kernelINS0_14default_configENS1_33run_length_encode_config_selectorIfjNS0_4plusIjEEEEZZNS1_33reduce_by_key_impl_wrapped_configILNS1_25lookback_scan_determinismE0ES3_S7_PKfNS0_17constant_iteratorIjlEEPfPlSF_S6_NS0_8equal_toIfEEEE10hipError_tPvRmT2_T3_mT4_T5_T6_T7_T8_P12ihipStream_tbENKUlT_T0_E_clISt17integral_constantIbLb0EESY_IbLb1EEEEDaSU_SV_EUlSU_E_NS1_11comp_targetILNS1_3genE3ELNS1_11target_archE908ELNS1_3gpuE7ELNS1_3repE0EEENS1_30default_config_static_selectorELNS0_4arch9wavefront6targetE0EEEvT1_.private_seg_size, 0
	.set _ZN7rocprim17ROCPRIM_400000_NS6detail17trampoline_kernelINS0_14default_configENS1_33run_length_encode_config_selectorIfjNS0_4plusIjEEEEZZNS1_33reduce_by_key_impl_wrapped_configILNS1_25lookback_scan_determinismE0ES3_S7_PKfNS0_17constant_iteratorIjlEEPfPlSF_S6_NS0_8equal_toIfEEEE10hipError_tPvRmT2_T3_mT4_T5_T6_T7_T8_P12ihipStream_tbENKUlT_T0_E_clISt17integral_constantIbLb0EESY_IbLb1EEEEDaSU_SV_EUlSU_E_NS1_11comp_targetILNS1_3genE3ELNS1_11target_archE908ELNS1_3gpuE7ELNS1_3repE0EEENS1_30default_config_static_selectorELNS0_4arch9wavefront6targetE0EEEvT1_.uses_vcc, 0
	.set _ZN7rocprim17ROCPRIM_400000_NS6detail17trampoline_kernelINS0_14default_configENS1_33run_length_encode_config_selectorIfjNS0_4plusIjEEEEZZNS1_33reduce_by_key_impl_wrapped_configILNS1_25lookback_scan_determinismE0ES3_S7_PKfNS0_17constant_iteratorIjlEEPfPlSF_S6_NS0_8equal_toIfEEEE10hipError_tPvRmT2_T3_mT4_T5_T6_T7_T8_P12ihipStream_tbENKUlT_T0_E_clISt17integral_constantIbLb0EESY_IbLb1EEEEDaSU_SV_EUlSU_E_NS1_11comp_targetILNS1_3genE3ELNS1_11target_archE908ELNS1_3gpuE7ELNS1_3repE0EEENS1_30default_config_static_selectorELNS0_4arch9wavefront6targetE0EEEvT1_.uses_flat_scratch, 0
	.set _ZN7rocprim17ROCPRIM_400000_NS6detail17trampoline_kernelINS0_14default_configENS1_33run_length_encode_config_selectorIfjNS0_4plusIjEEEEZZNS1_33reduce_by_key_impl_wrapped_configILNS1_25lookback_scan_determinismE0ES3_S7_PKfNS0_17constant_iteratorIjlEEPfPlSF_S6_NS0_8equal_toIfEEEE10hipError_tPvRmT2_T3_mT4_T5_T6_T7_T8_P12ihipStream_tbENKUlT_T0_E_clISt17integral_constantIbLb0EESY_IbLb1EEEEDaSU_SV_EUlSU_E_NS1_11comp_targetILNS1_3genE3ELNS1_11target_archE908ELNS1_3gpuE7ELNS1_3repE0EEENS1_30default_config_static_selectorELNS0_4arch9wavefront6targetE0EEEvT1_.has_dyn_sized_stack, 0
	.set _ZN7rocprim17ROCPRIM_400000_NS6detail17trampoline_kernelINS0_14default_configENS1_33run_length_encode_config_selectorIfjNS0_4plusIjEEEEZZNS1_33reduce_by_key_impl_wrapped_configILNS1_25lookback_scan_determinismE0ES3_S7_PKfNS0_17constant_iteratorIjlEEPfPlSF_S6_NS0_8equal_toIfEEEE10hipError_tPvRmT2_T3_mT4_T5_T6_T7_T8_P12ihipStream_tbENKUlT_T0_E_clISt17integral_constantIbLb0EESY_IbLb1EEEEDaSU_SV_EUlSU_E_NS1_11comp_targetILNS1_3genE3ELNS1_11target_archE908ELNS1_3gpuE7ELNS1_3repE0EEENS1_30default_config_static_selectorELNS0_4arch9wavefront6targetE0EEEvT1_.has_recursion, 0
	.set _ZN7rocprim17ROCPRIM_400000_NS6detail17trampoline_kernelINS0_14default_configENS1_33run_length_encode_config_selectorIfjNS0_4plusIjEEEEZZNS1_33reduce_by_key_impl_wrapped_configILNS1_25lookback_scan_determinismE0ES3_S7_PKfNS0_17constant_iteratorIjlEEPfPlSF_S6_NS0_8equal_toIfEEEE10hipError_tPvRmT2_T3_mT4_T5_T6_T7_T8_P12ihipStream_tbENKUlT_T0_E_clISt17integral_constantIbLb0EESY_IbLb1EEEEDaSU_SV_EUlSU_E_NS1_11comp_targetILNS1_3genE3ELNS1_11target_archE908ELNS1_3gpuE7ELNS1_3repE0EEENS1_30default_config_static_selectorELNS0_4arch9wavefront6targetE0EEEvT1_.has_indirect_call, 0
	.section	.AMDGPU.csdata,"",@progbits
; Kernel info:
; codeLenInByte = 0
; TotalNumSgprs: 0
; NumVgprs: 0
; ScratchSize: 0
; MemoryBound: 0
; FloatMode: 240
; IeeeMode: 1
; LDSByteSize: 0 bytes/workgroup (compile time only)
; SGPRBlocks: 0
; VGPRBlocks: 0
; NumSGPRsForWavesPerEU: 1
; NumVGPRsForWavesPerEU: 1
; NamedBarCnt: 0
; Occupancy: 16
; WaveLimiterHint : 0
; COMPUTE_PGM_RSRC2:SCRATCH_EN: 0
; COMPUTE_PGM_RSRC2:USER_SGPR: 2
; COMPUTE_PGM_RSRC2:TRAP_HANDLER: 0
; COMPUTE_PGM_RSRC2:TGID_X_EN: 1
; COMPUTE_PGM_RSRC2:TGID_Y_EN: 0
; COMPUTE_PGM_RSRC2:TGID_Z_EN: 0
; COMPUTE_PGM_RSRC2:TIDIG_COMP_CNT: 0
	.section	.text._ZN7rocprim17ROCPRIM_400000_NS6detail17trampoline_kernelINS0_14default_configENS1_33run_length_encode_config_selectorIfjNS0_4plusIjEEEEZZNS1_33reduce_by_key_impl_wrapped_configILNS1_25lookback_scan_determinismE0ES3_S7_PKfNS0_17constant_iteratorIjlEEPfPlSF_S6_NS0_8equal_toIfEEEE10hipError_tPvRmT2_T3_mT4_T5_T6_T7_T8_P12ihipStream_tbENKUlT_T0_E_clISt17integral_constantIbLb0EESY_IbLb1EEEEDaSU_SV_EUlSU_E_NS1_11comp_targetILNS1_3genE2ELNS1_11target_archE906ELNS1_3gpuE6ELNS1_3repE0EEENS1_30default_config_static_selectorELNS0_4arch9wavefront6targetE0EEEvT1_,"axG",@progbits,_ZN7rocprim17ROCPRIM_400000_NS6detail17trampoline_kernelINS0_14default_configENS1_33run_length_encode_config_selectorIfjNS0_4plusIjEEEEZZNS1_33reduce_by_key_impl_wrapped_configILNS1_25lookback_scan_determinismE0ES3_S7_PKfNS0_17constant_iteratorIjlEEPfPlSF_S6_NS0_8equal_toIfEEEE10hipError_tPvRmT2_T3_mT4_T5_T6_T7_T8_P12ihipStream_tbENKUlT_T0_E_clISt17integral_constantIbLb0EESY_IbLb1EEEEDaSU_SV_EUlSU_E_NS1_11comp_targetILNS1_3genE2ELNS1_11target_archE906ELNS1_3gpuE6ELNS1_3repE0EEENS1_30default_config_static_selectorELNS0_4arch9wavefront6targetE0EEEvT1_,comdat
	.protected	_ZN7rocprim17ROCPRIM_400000_NS6detail17trampoline_kernelINS0_14default_configENS1_33run_length_encode_config_selectorIfjNS0_4plusIjEEEEZZNS1_33reduce_by_key_impl_wrapped_configILNS1_25lookback_scan_determinismE0ES3_S7_PKfNS0_17constant_iteratorIjlEEPfPlSF_S6_NS0_8equal_toIfEEEE10hipError_tPvRmT2_T3_mT4_T5_T6_T7_T8_P12ihipStream_tbENKUlT_T0_E_clISt17integral_constantIbLb0EESY_IbLb1EEEEDaSU_SV_EUlSU_E_NS1_11comp_targetILNS1_3genE2ELNS1_11target_archE906ELNS1_3gpuE6ELNS1_3repE0EEENS1_30default_config_static_selectorELNS0_4arch9wavefront6targetE0EEEvT1_ ; -- Begin function _ZN7rocprim17ROCPRIM_400000_NS6detail17trampoline_kernelINS0_14default_configENS1_33run_length_encode_config_selectorIfjNS0_4plusIjEEEEZZNS1_33reduce_by_key_impl_wrapped_configILNS1_25lookback_scan_determinismE0ES3_S7_PKfNS0_17constant_iteratorIjlEEPfPlSF_S6_NS0_8equal_toIfEEEE10hipError_tPvRmT2_T3_mT4_T5_T6_T7_T8_P12ihipStream_tbENKUlT_T0_E_clISt17integral_constantIbLb0EESY_IbLb1EEEEDaSU_SV_EUlSU_E_NS1_11comp_targetILNS1_3genE2ELNS1_11target_archE906ELNS1_3gpuE6ELNS1_3repE0EEENS1_30default_config_static_selectorELNS0_4arch9wavefront6targetE0EEEvT1_
	.globl	_ZN7rocprim17ROCPRIM_400000_NS6detail17trampoline_kernelINS0_14default_configENS1_33run_length_encode_config_selectorIfjNS0_4plusIjEEEEZZNS1_33reduce_by_key_impl_wrapped_configILNS1_25lookback_scan_determinismE0ES3_S7_PKfNS0_17constant_iteratorIjlEEPfPlSF_S6_NS0_8equal_toIfEEEE10hipError_tPvRmT2_T3_mT4_T5_T6_T7_T8_P12ihipStream_tbENKUlT_T0_E_clISt17integral_constantIbLb0EESY_IbLb1EEEEDaSU_SV_EUlSU_E_NS1_11comp_targetILNS1_3genE2ELNS1_11target_archE906ELNS1_3gpuE6ELNS1_3repE0EEENS1_30default_config_static_selectorELNS0_4arch9wavefront6targetE0EEEvT1_
	.p2align	8
	.type	_ZN7rocprim17ROCPRIM_400000_NS6detail17trampoline_kernelINS0_14default_configENS1_33run_length_encode_config_selectorIfjNS0_4plusIjEEEEZZNS1_33reduce_by_key_impl_wrapped_configILNS1_25lookback_scan_determinismE0ES3_S7_PKfNS0_17constant_iteratorIjlEEPfPlSF_S6_NS0_8equal_toIfEEEE10hipError_tPvRmT2_T3_mT4_T5_T6_T7_T8_P12ihipStream_tbENKUlT_T0_E_clISt17integral_constantIbLb0EESY_IbLb1EEEEDaSU_SV_EUlSU_E_NS1_11comp_targetILNS1_3genE2ELNS1_11target_archE906ELNS1_3gpuE6ELNS1_3repE0EEENS1_30default_config_static_selectorELNS0_4arch9wavefront6targetE0EEEvT1_,@function
_ZN7rocprim17ROCPRIM_400000_NS6detail17trampoline_kernelINS0_14default_configENS1_33run_length_encode_config_selectorIfjNS0_4plusIjEEEEZZNS1_33reduce_by_key_impl_wrapped_configILNS1_25lookback_scan_determinismE0ES3_S7_PKfNS0_17constant_iteratorIjlEEPfPlSF_S6_NS0_8equal_toIfEEEE10hipError_tPvRmT2_T3_mT4_T5_T6_T7_T8_P12ihipStream_tbENKUlT_T0_E_clISt17integral_constantIbLb0EESY_IbLb1EEEEDaSU_SV_EUlSU_E_NS1_11comp_targetILNS1_3genE2ELNS1_11target_archE906ELNS1_3gpuE6ELNS1_3repE0EEENS1_30default_config_static_selectorELNS0_4arch9wavefront6targetE0EEEvT1_: ; @_ZN7rocprim17ROCPRIM_400000_NS6detail17trampoline_kernelINS0_14default_configENS1_33run_length_encode_config_selectorIfjNS0_4plusIjEEEEZZNS1_33reduce_by_key_impl_wrapped_configILNS1_25lookback_scan_determinismE0ES3_S7_PKfNS0_17constant_iteratorIjlEEPfPlSF_S6_NS0_8equal_toIfEEEE10hipError_tPvRmT2_T3_mT4_T5_T6_T7_T8_P12ihipStream_tbENKUlT_T0_E_clISt17integral_constantIbLb0EESY_IbLb1EEEEDaSU_SV_EUlSU_E_NS1_11comp_targetILNS1_3genE2ELNS1_11target_archE906ELNS1_3gpuE6ELNS1_3repE0EEENS1_30default_config_static_selectorELNS0_4arch9wavefront6targetE0EEEvT1_
; %bb.0:
	.section	.rodata,"a",@progbits
	.p2align	6, 0x0
	.amdhsa_kernel _ZN7rocprim17ROCPRIM_400000_NS6detail17trampoline_kernelINS0_14default_configENS1_33run_length_encode_config_selectorIfjNS0_4plusIjEEEEZZNS1_33reduce_by_key_impl_wrapped_configILNS1_25lookback_scan_determinismE0ES3_S7_PKfNS0_17constant_iteratorIjlEEPfPlSF_S6_NS0_8equal_toIfEEEE10hipError_tPvRmT2_T3_mT4_T5_T6_T7_T8_P12ihipStream_tbENKUlT_T0_E_clISt17integral_constantIbLb0EESY_IbLb1EEEEDaSU_SV_EUlSU_E_NS1_11comp_targetILNS1_3genE2ELNS1_11target_archE906ELNS1_3gpuE6ELNS1_3repE0EEENS1_30default_config_static_selectorELNS0_4arch9wavefront6targetE0EEEvT1_
		.amdhsa_group_segment_fixed_size 0
		.amdhsa_private_segment_fixed_size 0
		.amdhsa_kernarg_size 128
		.amdhsa_user_sgpr_count 2
		.amdhsa_user_sgpr_dispatch_ptr 0
		.amdhsa_user_sgpr_queue_ptr 0
		.amdhsa_user_sgpr_kernarg_segment_ptr 1
		.amdhsa_user_sgpr_dispatch_id 0
		.amdhsa_user_sgpr_kernarg_preload_length 0
		.amdhsa_user_sgpr_kernarg_preload_offset 0
		.amdhsa_user_sgpr_private_segment_size 0
		.amdhsa_wavefront_size32 1
		.amdhsa_uses_dynamic_stack 0
		.amdhsa_enable_private_segment 0
		.amdhsa_system_sgpr_workgroup_id_x 1
		.amdhsa_system_sgpr_workgroup_id_y 0
		.amdhsa_system_sgpr_workgroup_id_z 0
		.amdhsa_system_sgpr_workgroup_info 0
		.amdhsa_system_vgpr_workitem_id 0
		.amdhsa_next_free_vgpr 1
		.amdhsa_next_free_sgpr 1
		.amdhsa_named_barrier_count 0
		.amdhsa_reserve_vcc 0
		.amdhsa_float_round_mode_32 0
		.amdhsa_float_round_mode_16_64 0
		.amdhsa_float_denorm_mode_32 3
		.amdhsa_float_denorm_mode_16_64 3
		.amdhsa_fp16_overflow 0
		.amdhsa_memory_ordered 1
		.amdhsa_forward_progress 1
		.amdhsa_inst_pref_size 0
		.amdhsa_round_robin_scheduling 0
		.amdhsa_exception_fp_ieee_invalid_op 0
		.amdhsa_exception_fp_denorm_src 0
		.amdhsa_exception_fp_ieee_div_zero 0
		.amdhsa_exception_fp_ieee_overflow 0
		.amdhsa_exception_fp_ieee_underflow 0
		.amdhsa_exception_fp_ieee_inexact 0
		.amdhsa_exception_int_div_zero 0
	.end_amdhsa_kernel
	.section	.text._ZN7rocprim17ROCPRIM_400000_NS6detail17trampoline_kernelINS0_14default_configENS1_33run_length_encode_config_selectorIfjNS0_4plusIjEEEEZZNS1_33reduce_by_key_impl_wrapped_configILNS1_25lookback_scan_determinismE0ES3_S7_PKfNS0_17constant_iteratorIjlEEPfPlSF_S6_NS0_8equal_toIfEEEE10hipError_tPvRmT2_T3_mT4_T5_T6_T7_T8_P12ihipStream_tbENKUlT_T0_E_clISt17integral_constantIbLb0EESY_IbLb1EEEEDaSU_SV_EUlSU_E_NS1_11comp_targetILNS1_3genE2ELNS1_11target_archE906ELNS1_3gpuE6ELNS1_3repE0EEENS1_30default_config_static_selectorELNS0_4arch9wavefront6targetE0EEEvT1_,"axG",@progbits,_ZN7rocprim17ROCPRIM_400000_NS6detail17trampoline_kernelINS0_14default_configENS1_33run_length_encode_config_selectorIfjNS0_4plusIjEEEEZZNS1_33reduce_by_key_impl_wrapped_configILNS1_25lookback_scan_determinismE0ES3_S7_PKfNS0_17constant_iteratorIjlEEPfPlSF_S6_NS0_8equal_toIfEEEE10hipError_tPvRmT2_T3_mT4_T5_T6_T7_T8_P12ihipStream_tbENKUlT_T0_E_clISt17integral_constantIbLb0EESY_IbLb1EEEEDaSU_SV_EUlSU_E_NS1_11comp_targetILNS1_3genE2ELNS1_11target_archE906ELNS1_3gpuE6ELNS1_3repE0EEENS1_30default_config_static_selectorELNS0_4arch9wavefront6targetE0EEEvT1_,comdat
.Lfunc_end404:
	.size	_ZN7rocprim17ROCPRIM_400000_NS6detail17trampoline_kernelINS0_14default_configENS1_33run_length_encode_config_selectorIfjNS0_4plusIjEEEEZZNS1_33reduce_by_key_impl_wrapped_configILNS1_25lookback_scan_determinismE0ES3_S7_PKfNS0_17constant_iteratorIjlEEPfPlSF_S6_NS0_8equal_toIfEEEE10hipError_tPvRmT2_T3_mT4_T5_T6_T7_T8_P12ihipStream_tbENKUlT_T0_E_clISt17integral_constantIbLb0EESY_IbLb1EEEEDaSU_SV_EUlSU_E_NS1_11comp_targetILNS1_3genE2ELNS1_11target_archE906ELNS1_3gpuE6ELNS1_3repE0EEENS1_30default_config_static_selectorELNS0_4arch9wavefront6targetE0EEEvT1_, .Lfunc_end404-_ZN7rocprim17ROCPRIM_400000_NS6detail17trampoline_kernelINS0_14default_configENS1_33run_length_encode_config_selectorIfjNS0_4plusIjEEEEZZNS1_33reduce_by_key_impl_wrapped_configILNS1_25lookback_scan_determinismE0ES3_S7_PKfNS0_17constant_iteratorIjlEEPfPlSF_S6_NS0_8equal_toIfEEEE10hipError_tPvRmT2_T3_mT4_T5_T6_T7_T8_P12ihipStream_tbENKUlT_T0_E_clISt17integral_constantIbLb0EESY_IbLb1EEEEDaSU_SV_EUlSU_E_NS1_11comp_targetILNS1_3genE2ELNS1_11target_archE906ELNS1_3gpuE6ELNS1_3repE0EEENS1_30default_config_static_selectorELNS0_4arch9wavefront6targetE0EEEvT1_
                                        ; -- End function
	.set _ZN7rocprim17ROCPRIM_400000_NS6detail17trampoline_kernelINS0_14default_configENS1_33run_length_encode_config_selectorIfjNS0_4plusIjEEEEZZNS1_33reduce_by_key_impl_wrapped_configILNS1_25lookback_scan_determinismE0ES3_S7_PKfNS0_17constant_iteratorIjlEEPfPlSF_S6_NS0_8equal_toIfEEEE10hipError_tPvRmT2_T3_mT4_T5_T6_T7_T8_P12ihipStream_tbENKUlT_T0_E_clISt17integral_constantIbLb0EESY_IbLb1EEEEDaSU_SV_EUlSU_E_NS1_11comp_targetILNS1_3genE2ELNS1_11target_archE906ELNS1_3gpuE6ELNS1_3repE0EEENS1_30default_config_static_selectorELNS0_4arch9wavefront6targetE0EEEvT1_.num_vgpr, 0
	.set _ZN7rocprim17ROCPRIM_400000_NS6detail17trampoline_kernelINS0_14default_configENS1_33run_length_encode_config_selectorIfjNS0_4plusIjEEEEZZNS1_33reduce_by_key_impl_wrapped_configILNS1_25lookback_scan_determinismE0ES3_S7_PKfNS0_17constant_iteratorIjlEEPfPlSF_S6_NS0_8equal_toIfEEEE10hipError_tPvRmT2_T3_mT4_T5_T6_T7_T8_P12ihipStream_tbENKUlT_T0_E_clISt17integral_constantIbLb0EESY_IbLb1EEEEDaSU_SV_EUlSU_E_NS1_11comp_targetILNS1_3genE2ELNS1_11target_archE906ELNS1_3gpuE6ELNS1_3repE0EEENS1_30default_config_static_selectorELNS0_4arch9wavefront6targetE0EEEvT1_.num_agpr, 0
	.set _ZN7rocprim17ROCPRIM_400000_NS6detail17trampoline_kernelINS0_14default_configENS1_33run_length_encode_config_selectorIfjNS0_4plusIjEEEEZZNS1_33reduce_by_key_impl_wrapped_configILNS1_25lookback_scan_determinismE0ES3_S7_PKfNS0_17constant_iteratorIjlEEPfPlSF_S6_NS0_8equal_toIfEEEE10hipError_tPvRmT2_T3_mT4_T5_T6_T7_T8_P12ihipStream_tbENKUlT_T0_E_clISt17integral_constantIbLb0EESY_IbLb1EEEEDaSU_SV_EUlSU_E_NS1_11comp_targetILNS1_3genE2ELNS1_11target_archE906ELNS1_3gpuE6ELNS1_3repE0EEENS1_30default_config_static_selectorELNS0_4arch9wavefront6targetE0EEEvT1_.numbered_sgpr, 0
	.set _ZN7rocprim17ROCPRIM_400000_NS6detail17trampoline_kernelINS0_14default_configENS1_33run_length_encode_config_selectorIfjNS0_4plusIjEEEEZZNS1_33reduce_by_key_impl_wrapped_configILNS1_25lookback_scan_determinismE0ES3_S7_PKfNS0_17constant_iteratorIjlEEPfPlSF_S6_NS0_8equal_toIfEEEE10hipError_tPvRmT2_T3_mT4_T5_T6_T7_T8_P12ihipStream_tbENKUlT_T0_E_clISt17integral_constantIbLb0EESY_IbLb1EEEEDaSU_SV_EUlSU_E_NS1_11comp_targetILNS1_3genE2ELNS1_11target_archE906ELNS1_3gpuE6ELNS1_3repE0EEENS1_30default_config_static_selectorELNS0_4arch9wavefront6targetE0EEEvT1_.num_named_barrier, 0
	.set _ZN7rocprim17ROCPRIM_400000_NS6detail17trampoline_kernelINS0_14default_configENS1_33run_length_encode_config_selectorIfjNS0_4plusIjEEEEZZNS1_33reduce_by_key_impl_wrapped_configILNS1_25lookback_scan_determinismE0ES3_S7_PKfNS0_17constant_iteratorIjlEEPfPlSF_S6_NS0_8equal_toIfEEEE10hipError_tPvRmT2_T3_mT4_T5_T6_T7_T8_P12ihipStream_tbENKUlT_T0_E_clISt17integral_constantIbLb0EESY_IbLb1EEEEDaSU_SV_EUlSU_E_NS1_11comp_targetILNS1_3genE2ELNS1_11target_archE906ELNS1_3gpuE6ELNS1_3repE0EEENS1_30default_config_static_selectorELNS0_4arch9wavefront6targetE0EEEvT1_.private_seg_size, 0
	.set _ZN7rocprim17ROCPRIM_400000_NS6detail17trampoline_kernelINS0_14default_configENS1_33run_length_encode_config_selectorIfjNS0_4plusIjEEEEZZNS1_33reduce_by_key_impl_wrapped_configILNS1_25lookback_scan_determinismE0ES3_S7_PKfNS0_17constant_iteratorIjlEEPfPlSF_S6_NS0_8equal_toIfEEEE10hipError_tPvRmT2_T3_mT4_T5_T6_T7_T8_P12ihipStream_tbENKUlT_T0_E_clISt17integral_constantIbLb0EESY_IbLb1EEEEDaSU_SV_EUlSU_E_NS1_11comp_targetILNS1_3genE2ELNS1_11target_archE906ELNS1_3gpuE6ELNS1_3repE0EEENS1_30default_config_static_selectorELNS0_4arch9wavefront6targetE0EEEvT1_.uses_vcc, 0
	.set _ZN7rocprim17ROCPRIM_400000_NS6detail17trampoline_kernelINS0_14default_configENS1_33run_length_encode_config_selectorIfjNS0_4plusIjEEEEZZNS1_33reduce_by_key_impl_wrapped_configILNS1_25lookback_scan_determinismE0ES3_S7_PKfNS0_17constant_iteratorIjlEEPfPlSF_S6_NS0_8equal_toIfEEEE10hipError_tPvRmT2_T3_mT4_T5_T6_T7_T8_P12ihipStream_tbENKUlT_T0_E_clISt17integral_constantIbLb0EESY_IbLb1EEEEDaSU_SV_EUlSU_E_NS1_11comp_targetILNS1_3genE2ELNS1_11target_archE906ELNS1_3gpuE6ELNS1_3repE0EEENS1_30default_config_static_selectorELNS0_4arch9wavefront6targetE0EEEvT1_.uses_flat_scratch, 0
	.set _ZN7rocprim17ROCPRIM_400000_NS6detail17trampoline_kernelINS0_14default_configENS1_33run_length_encode_config_selectorIfjNS0_4plusIjEEEEZZNS1_33reduce_by_key_impl_wrapped_configILNS1_25lookback_scan_determinismE0ES3_S7_PKfNS0_17constant_iteratorIjlEEPfPlSF_S6_NS0_8equal_toIfEEEE10hipError_tPvRmT2_T3_mT4_T5_T6_T7_T8_P12ihipStream_tbENKUlT_T0_E_clISt17integral_constantIbLb0EESY_IbLb1EEEEDaSU_SV_EUlSU_E_NS1_11comp_targetILNS1_3genE2ELNS1_11target_archE906ELNS1_3gpuE6ELNS1_3repE0EEENS1_30default_config_static_selectorELNS0_4arch9wavefront6targetE0EEEvT1_.has_dyn_sized_stack, 0
	.set _ZN7rocprim17ROCPRIM_400000_NS6detail17trampoline_kernelINS0_14default_configENS1_33run_length_encode_config_selectorIfjNS0_4plusIjEEEEZZNS1_33reduce_by_key_impl_wrapped_configILNS1_25lookback_scan_determinismE0ES3_S7_PKfNS0_17constant_iteratorIjlEEPfPlSF_S6_NS0_8equal_toIfEEEE10hipError_tPvRmT2_T3_mT4_T5_T6_T7_T8_P12ihipStream_tbENKUlT_T0_E_clISt17integral_constantIbLb0EESY_IbLb1EEEEDaSU_SV_EUlSU_E_NS1_11comp_targetILNS1_3genE2ELNS1_11target_archE906ELNS1_3gpuE6ELNS1_3repE0EEENS1_30default_config_static_selectorELNS0_4arch9wavefront6targetE0EEEvT1_.has_recursion, 0
	.set _ZN7rocprim17ROCPRIM_400000_NS6detail17trampoline_kernelINS0_14default_configENS1_33run_length_encode_config_selectorIfjNS0_4plusIjEEEEZZNS1_33reduce_by_key_impl_wrapped_configILNS1_25lookback_scan_determinismE0ES3_S7_PKfNS0_17constant_iteratorIjlEEPfPlSF_S6_NS0_8equal_toIfEEEE10hipError_tPvRmT2_T3_mT4_T5_T6_T7_T8_P12ihipStream_tbENKUlT_T0_E_clISt17integral_constantIbLb0EESY_IbLb1EEEEDaSU_SV_EUlSU_E_NS1_11comp_targetILNS1_3genE2ELNS1_11target_archE906ELNS1_3gpuE6ELNS1_3repE0EEENS1_30default_config_static_selectorELNS0_4arch9wavefront6targetE0EEEvT1_.has_indirect_call, 0
	.section	.AMDGPU.csdata,"",@progbits
; Kernel info:
; codeLenInByte = 0
; TotalNumSgprs: 0
; NumVgprs: 0
; ScratchSize: 0
; MemoryBound: 0
; FloatMode: 240
; IeeeMode: 1
; LDSByteSize: 0 bytes/workgroup (compile time only)
; SGPRBlocks: 0
; VGPRBlocks: 0
; NumSGPRsForWavesPerEU: 1
; NumVGPRsForWavesPerEU: 1
; NamedBarCnt: 0
; Occupancy: 16
; WaveLimiterHint : 0
; COMPUTE_PGM_RSRC2:SCRATCH_EN: 0
; COMPUTE_PGM_RSRC2:USER_SGPR: 2
; COMPUTE_PGM_RSRC2:TRAP_HANDLER: 0
; COMPUTE_PGM_RSRC2:TGID_X_EN: 1
; COMPUTE_PGM_RSRC2:TGID_Y_EN: 0
; COMPUTE_PGM_RSRC2:TGID_Z_EN: 0
; COMPUTE_PGM_RSRC2:TIDIG_COMP_CNT: 0
	.section	.text._ZN7rocprim17ROCPRIM_400000_NS6detail17trampoline_kernelINS0_14default_configENS1_33run_length_encode_config_selectorIfjNS0_4plusIjEEEEZZNS1_33reduce_by_key_impl_wrapped_configILNS1_25lookback_scan_determinismE0ES3_S7_PKfNS0_17constant_iteratorIjlEEPfPlSF_S6_NS0_8equal_toIfEEEE10hipError_tPvRmT2_T3_mT4_T5_T6_T7_T8_P12ihipStream_tbENKUlT_T0_E_clISt17integral_constantIbLb0EESY_IbLb1EEEEDaSU_SV_EUlSU_E_NS1_11comp_targetILNS1_3genE10ELNS1_11target_archE1201ELNS1_3gpuE5ELNS1_3repE0EEENS1_30default_config_static_selectorELNS0_4arch9wavefront6targetE0EEEvT1_,"axG",@progbits,_ZN7rocprim17ROCPRIM_400000_NS6detail17trampoline_kernelINS0_14default_configENS1_33run_length_encode_config_selectorIfjNS0_4plusIjEEEEZZNS1_33reduce_by_key_impl_wrapped_configILNS1_25lookback_scan_determinismE0ES3_S7_PKfNS0_17constant_iteratorIjlEEPfPlSF_S6_NS0_8equal_toIfEEEE10hipError_tPvRmT2_T3_mT4_T5_T6_T7_T8_P12ihipStream_tbENKUlT_T0_E_clISt17integral_constantIbLb0EESY_IbLb1EEEEDaSU_SV_EUlSU_E_NS1_11comp_targetILNS1_3genE10ELNS1_11target_archE1201ELNS1_3gpuE5ELNS1_3repE0EEENS1_30default_config_static_selectorELNS0_4arch9wavefront6targetE0EEEvT1_,comdat
	.protected	_ZN7rocprim17ROCPRIM_400000_NS6detail17trampoline_kernelINS0_14default_configENS1_33run_length_encode_config_selectorIfjNS0_4plusIjEEEEZZNS1_33reduce_by_key_impl_wrapped_configILNS1_25lookback_scan_determinismE0ES3_S7_PKfNS0_17constant_iteratorIjlEEPfPlSF_S6_NS0_8equal_toIfEEEE10hipError_tPvRmT2_T3_mT4_T5_T6_T7_T8_P12ihipStream_tbENKUlT_T0_E_clISt17integral_constantIbLb0EESY_IbLb1EEEEDaSU_SV_EUlSU_E_NS1_11comp_targetILNS1_3genE10ELNS1_11target_archE1201ELNS1_3gpuE5ELNS1_3repE0EEENS1_30default_config_static_selectorELNS0_4arch9wavefront6targetE0EEEvT1_ ; -- Begin function _ZN7rocprim17ROCPRIM_400000_NS6detail17trampoline_kernelINS0_14default_configENS1_33run_length_encode_config_selectorIfjNS0_4plusIjEEEEZZNS1_33reduce_by_key_impl_wrapped_configILNS1_25lookback_scan_determinismE0ES3_S7_PKfNS0_17constant_iteratorIjlEEPfPlSF_S6_NS0_8equal_toIfEEEE10hipError_tPvRmT2_T3_mT4_T5_T6_T7_T8_P12ihipStream_tbENKUlT_T0_E_clISt17integral_constantIbLb0EESY_IbLb1EEEEDaSU_SV_EUlSU_E_NS1_11comp_targetILNS1_3genE10ELNS1_11target_archE1201ELNS1_3gpuE5ELNS1_3repE0EEENS1_30default_config_static_selectorELNS0_4arch9wavefront6targetE0EEEvT1_
	.globl	_ZN7rocprim17ROCPRIM_400000_NS6detail17trampoline_kernelINS0_14default_configENS1_33run_length_encode_config_selectorIfjNS0_4plusIjEEEEZZNS1_33reduce_by_key_impl_wrapped_configILNS1_25lookback_scan_determinismE0ES3_S7_PKfNS0_17constant_iteratorIjlEEPfPlSF_S6_NS0_8equal_toIfEEEE10hipError_tPvRmT2_T3_mT4_T5_T6_T7_T8_P12ihipStream_tbENKUlT_T0_E_clISt17integral_constantIbLb0EESY_IbLb1EEEEDaSU_SV_EUlSU_E_NS1_11comp_targetILNS1_3genE10ELNS1_11target_archE1201ELNS1_3gpuE5ELNS1_3repE0EEENS1_30default_config_static_selectorELNS0_4arch9wavefront6targetE0EEEvT1_
	.p2align	8
	.type	_ZN7rocprim17ROCPRIM_400000_NS6detail17trampoline_kernelINS0_14default_configENS1_33run_length_encode_config_selectorIfjNS0_4plusIjEEEEZZNS1_33reduce_by_key_impl_wrapped_configILNS1_25lookback_scan_determinismE0ES3_S7_PKfNS0_17constant_iteratorIjlEEPfPlSF_S6_NS0_8equal_toIfEEEE10hipError_tPvRmT2_T3_mT4_T5_T6_T7_T8_P12ihipStream_tbENKUlT_T0_E_clISt17integral_constantIbLb0EESY_IbLb1EEEEDaSU_SV_EUlSU_E_NS1_11comp_targetILNS1_3genE10ELNS1_11target_archE1201ELNS1_3gpuE5ELNS1_3repE0EEENS1_30default_config_static_selectorELNS0_4arch9wavefront6targetE0EEEvT1_,@function
_ZN7rocprim17ROCPRIM_400000_NS6detail17trampoline_kernelINS0_14default_configENS1_33run_length_encode_config_selectorIfjNS0_4plusIjEEEEZZNS1_33reduce_by_key_impl_wrapped_configILNS1_25lookback_scan_determinismE0ES3_S7_PKfNS0_17constant_iteratorIjlEEPfPlSF_S6_NS0_8equal_toIfEEEE10hipError_tPvRmT2_T3_mT4_T5_T6_T7_T8_P12ihipStream_tbENKUlT_T0_E_clISt17integral_constantIbLb0EESY_IbLb1EEEEDaSU_SV_EUlSU_E_NS1_11comp_targetILNS1_3genE10ELNS1_11target_archE1201ELNS1_3gpuE5ELNS1_3repE0EEENS1_30default_config_static_selectorELNS0_4arch9wavefront6targetE0EEEvT1_: ; @_ZN7rocprim17ROCPRIM_400000_NS6detail17trampoline_kernelINS0_14default_configENS1_33run_length_encode_config_selectorIfjNS0_4plusIjEEEEZZNS1_33reduce_by_key_impl_wrapped_configILNS1_25lookback_scan_determinismE0ES3_S7_PKfNS0_17constant_iteratorIjlEEPfPlSF_S6_NS0_8equal_toIfEEEE10hipError_tPvRmT2_T3_mT4_T5_T6_T7_T8_P12ihipStream_tbENKUlT_T0_E_clISt17integral_constantIbLb0EESY_IbLb1EEEEDaSU_SV_EUlSU_E_NS1_11comp_targetILNS1_3genE10ELNS1_11target_archE1201ELNS1_3gpuE5ELNS1_3repE0EEENS1_30default_config_static_selectorELNS0_4arch9wavefront6targetE0EEEvT1_
; %bb.0:
	.section	.rodata,"a",@progbits
	.p2align	6, 0x0
	.amdhsa_kernel _ZN7rocprim17ROCPRIM_400000_NS6detail17trampoline_kernelINS0_14default_configENS1_33run_length_encode_config_selectorIfjNS0_4plusIjEEEEZZNS1_33reduce_by_key_impl_wrapped_configILNS1_25lookback_scan_determinismE0ES3_S7_PKfNS0_17constant_iteratorIjlEEPfPlSF_S6_NS0_8equal_toIfEEEE10hipError_tPvRmT2_T3_mT4_T5_T6_T7_T8_P12ihipStream_tbENKUlT_T0_E_clISt17integral_constantIbLb0EESY_IbLb1EEEEDaSU_SV_EUlSU_E_NS1_11comp_targetILNS1_3genE10ELNS1_11target_archE1201ELNS1_3gpuE5ELNS1_3repE0EEENS1_30default_config_static_selectorELNS0_4arch9wavefront6targetE0EEEvT1_
		.amdhsa_group_segment_fixed_size 0
		.amdhsa_private_segment_fixed_size 0
		.amdhsa_kernarg_size 128
		.amdhsa_user_sgpr_count 2
		.amdhsa_user_sgpr_dispatch_ptr 0
		.amdhsa_user_sgpr_queue_ptr 0
		.amdhsa_user_sgpr_kernarg_segment_ptr 1
		.amdhsa_user_sgpr_dispatch_id 0
		.amdhsa_user_sgpr_kernarg_preload_length 0
		.amdhsa_user_sgpr_kernarg_preload_offset 0
		.amdhsa_user_sgpr_private_segment_size 0
		.amdhsa_wavefront_size32 1
		.amdhsa_uses_dynamic_stack 0
		.amdhsa_enable_private_segment 0
		.amdhsa_system_sgpr_workgroup_id_x 1
		.amdhsa_system_sgpr_workgroup_id_y 0
		.amdhsa_system_sgpr_workgroup_id_z 0
		.amdhsa_system_sgpr_workgroup_info 0
		.amdhsa_system_vgpr_workitem_id 0
		.amdhsa_next_free_vgpr 1
		.amdhsa_next_free_sgpr 1
		.amdhsa_named_barrier_count 0
		.amdhsa_reserve_vcc 0
		.amdhsa_float_round_mode_32 0
		.amdhsa_float_round_mode_16_64 0
		.amdhsa_float_denorm_mode_32 3
		.amdhsa_float_denorm_mode_16_64 3
		.amdhsa_fp16_overflow 0
		.amdhsa_memory_ordered 1
		.amdhsa_forward_progress 1
		.amdhsa_inst_pref_size 0
		.amdhsa_round_robin_scheduling 0
		.amdhsa_exception_fp_ieee_invalid_op 0
		.amdhsa_exception_fp_denorm_src 0
		.amdhsa_exception_fp_ieee_div_zero 0
		.amdhsa_exception_fp_ieee_overflow 0
		.amdhsa_exception_fp_ieee_underflow 0
		.amdhsa_exception_fp_ieee_inexact 0
		.amdhsa_exception_int_div_zero 0
	.end_amdhsa_kernel
	.section	.text._ZN7rocprim17ROCPRIM_400000_NS6detail17trampoline_kernelINS0_14default_configENS1_33run_length_encode_config_selectorIfjNS0_4plusIjEEEEZZNS1_33reduce_by_key_impl_wrapped_configILNS1_25lookback_scan_determinismE0ES3_S7_PKfNS0_17constant_iteratorIjlEEPfPlSF_S6_NS0_8equal_toIfEEEE10hipError_tPvRmT2_T3_mT4_T5_T6_T7_T8_P12ihipStream_tbENKUlT_T0_E_clISt17integral_constantIbLb0EESY_IbLb1EEEEDaSU_SV_EUlSU_E_NS1_11comp_targetILNS1_3genE10ELNS1_11target_archE1201ELNS1_3gpuE5ELNS1_3repE0EEENS1_30default_config_static_selectorELNS0_4arch9wavefront6targetE0EEEvT1_,"axG",@progbits,_ZN7rocprim17ROCPRIM_400000_NS6detail17trampoline_kernelINS0_14default_configENS1_33run_length_encode_config_selectorIfjNS0_4plusIjEEEEZZNS1_33reduce_by_key_impl_wrapped_configILNS1_25lookback_scan_determinismE0ES3_S7_PKfNS0_17constant_iteratorIjlEEPfPlSF_S6_NS0_8equal_toIfEEEE10hipError_tPvRmT2_T3_mT4_T5_T6_T7_T8_P12ihipStream_tbENKUlT_T0_E_clISt17integral_constantIbLb0EESY_IbLb1EEEEDaSU_SV_EUlSU_E_NS1_11comp_targetILNS1_3genE10ELNS1_11target_archE1201ELNS1_3gpuE5ELNS1_3repE0EEENS1_30default_config_static_selectorELNS0_4arch9wavefront6targetE0EEEvT1_,comdat
.Lfunc_end405:
	.size	_ZN7rocprim17ROCPRIM_400000_NS6detail17trampoline_kernelINS0_14default_configENS1_33run_length_encode_config_selectorIfjNS0_4plusIjEEEEZZNS1_33reduce_by_key_impl_wrapped_configILNS1_25lookback_scan_determinismE0ES3_S7_PKfNS0_17constant_iteratorIjlEEPfPlSF_S6_NS0_8equal_toIfEEEE10hipError_tPvRmT2_T3_mT4_T5_T6_T7_T8_P12ihipStream_tbENKUlT_T0_E_clISt17integral_constantIbLb0EESY_IbLb1EEEEDaSU_SV_EUlSU_E_NS1_11comp_targetILNS1_3genE10ELNS1_11target_archE1201ELNS1_3gpuE5ELNS1_3repE0EEENS1_30default_config_static_selectorELNS0_4arch9wavefront6targetE0EEEvT1_, .Lfunc_end405-_ZN7rocprim17ROCPRIM_400000_NS6detail17trampoline_kernelINS0_14default_configENS1_33run_length_encode_config_selectorIfjNS0_4plusIjEEEEZZNS1_33reduce_by_key_impl_wrapped_configILNS1_25lookback_scan_determinismE0ES3_S7_PKfNS0_17constant_iteratorIjlEEPfPlSF_S6_NS0_8equal_toIfEEEE10hipError_tPvRmT2_T3_mT4_T5_T6_T7_T8_P12ihipStream_tbENKUlT_T0_E_clISt17integral_constantIbLb0EESY_IbLb1EEEEDaSU_SV_EUlSU_E_NS1_11comp_targetILNS1_3genE10ELNS1_11target_archE1201ELNS1_3gpuE5ELNS1_3repE0EEENS1_30default_config_static_selectorELNS0_4arch9wavefront6targetE0EEEvT1_
                                        ; -- End function
	.set _ZN7rocprim17ROCPRIM_400000_NS6detail17trampoline_kernelINS0_14default_configENS1_33run_length_encode_config_selectorIfjNS0_4plusIjEEEEZZNS1_33reduce_by_key_impl_wrapped_configILNS1_25lookback_scan_determinismE0ES3_S7_PKfNS0_17constant_iteratorIjlEEPfPlSF_S6_NS0_8equal_toIfEEEE10hipError_tPvRmT2_T3_mT4_T5_T6_T7_T8_P12ihipStream_tbENKUlT_T0_E_clISt17integral_constantIbLb0EESY_IbLb1EEEEDaSU_SV_EUlSU_E_NS1_11comp_targetILNS1_3genE10ELNS1_11target_archE1201ELNS1_3gpuE5ELNS1_3repE0EEENS1_30default_config_static_selectorELNS0_4arch9wavefront6targetE0EEEvT1_.num_vgpr, 0
	.set _ZN7rocprim17ROCPRIM_400000_NS6detail17trampoline_kernelINS0_14default_configENS1_33run_length_encode_config_selectorIfjNS0_4plusIjEEEEZZNS1_33reduce_by_key_impl_wrapped_configILNS1_25lookback_scan_determinismE0ES3_S7_PKfNS0_17constant_iteratorIjlEEPfPlSF_S6_NS0_8equal_toIfEEEE10hipError_tPvRmT2_T3_mT4_T5_T6_T7_T8_P12ihipStream_tbENKUlT_T0_E_clISt17integral_constantIbLb0EESY_IbLb1EEEEDaSU_SV_EUlSU_E_NS1_11comp_targetILNS1_3genE10ELNS1_11target_archE1201ELNS1_3gpuE5ELNS1_3repE0EEENS1_30default_config_static_selectorELNS0_4arch9wavefront6targetE0EEEvT1_.num_agpr, 0
	.set _ZN7rocprim17ROCPRIM_400000_NS6detail17trampoline_kernelINS0_14default_configENS1_33run_length_encode_config_selectorIfjNS0_4plusIjEEEEZZNS1_33reduce_by_key_impl_wrapped_configILNS1_25lookback_scan_determinismE0ES3_S7_PKfNS0_17constant_iteratorIjlEEPfPlSF_S6_NS0_8equal_toIfEEEE10hipError_tPvRmT2_T3_mT4_T5_T6_T7_T8_P12ihipStream_tbENKUlT_T0_E_clISt17integral_constantIbLb0EESY_IbLb1EEEEDaSU_SV_EUlSU_E_NS1_11comp_targetILNS1_3genE10ELNS1_11target_archE1201ELNS1_3gpuE5ELNS1_3repE0EEENS1_30default_config_static_selectorELNS0_4arch9wavefront6targetE0EEEvT1_.numbered_sgpr, 0
	.set _ZN7rocprim17ROCPRIM_400000_NS6detail17trampoline_kernelINS0_14default_configENS1_33run_length_encode_config_selectorIfjNS0_4plusIjEEEEZZNS1_33reduce_by_key_impl_wrapped_configILNS1_25lookback_scan_determinismE0ES3_S7_PKfNS0_17constant_iteratorIjlEEPfPlSF_S6_NS0_8equal_toIfEEEE10hipError_tPvRmT2_T3_mT4_T5_T6_T7_T8_P12ihipStream_tbENKUlT_T0_E_clISt17integral_constantIbLb0EESY_IbLb1EEEEDaSU_SV_EUlSU_E_NS1_11comp_targetILNS1_3genE10ELNS1_11target_archE1201ELNS1_3gpuE5ELNS1_3repE0EEENS1_30default_config_static_selectorELNS0_4arch9wavefront6targetE0EEEvT1_.num_named_barrier, 0
	.set _ZN7rocprim17ROCPRIM_400000_NS6detail17trampoline_kernelINS0_14default_configENS1_33run_length_encode_config_selectorIfjNS0_4plusIjEEEEZZNS1_33reduce_by_key_impl_wrapped_configILNS1_25lookback_scan_determinismE0ES3_S7_PKfNS0_17constant_iteratorIjlEEPfPlSF_S6_NS0_8equal_toIfEEEE10hipError_tPvRmT2_T3_mT4_T5_T6_T7_T8_P12ihipStream_tbENKUlT_T0_E_clISt17integral_constantIbLb0EESY_IbLb1EEEEDaSU_SV_EUlSU_E_NS1_11comp_targetILNS1_3genE10ELNS1_11target_archE1201ELNS1_3gpuE5ELNS1_3repE0EEENS1_30default_config_static_selectorELNS0_4arch9wavefront6targetE0EEEvT1_.private_seg_size, 0
	.set _ZN7rocprim17ROCPRIM_400000_NS6detail17trampoline_kernelINS0_14default_configENS1_33run_length_encode_config_selectorIfjNS0_4plusIjEEEEZZNS1_33reduce_by_key_impl_wrapped_configILNS1_25lookback_scan_determinismE0ES3_S7_PKfNS0_17constant_iteratorIjlEEPfPlSF_S6_NS0_8equal_toIfEEEE10hipError_tPvRmT2_T3_mT4_T5_T6_T7_T8_P12ihipStream_tbENKUlT_T0_E_clISt17integral_constantIbLb0EESY_IbLb1EEEEDaSU_SV_EUlSU_E_NS1_11comp_targetILNS1_3genE10ELNS1_11target_archE1201ELNS1_3gpuE5ELNS1_3repE0EEENS1_30default_config_static_selectorELNS0_4arch9wavefront6targetE0EEEvT1_.uses_vcc, 0
	.set _ZN7rocprim17ROCPRIM_400000_NS6detail17trampoline_kernelINS0_14default_configENS1_33run_length_encode_config_selectorIfjNS0_4plusIjEEEEZZNS1_33reduce_by_key_impl_wrapped_configILNS1_25lookback_scan_determinismE0ES3_S7_PKfNS0_17constant_iteratorIjlEEPfPlSF_S6_NS0_8equal_toIfEEEE10hipError_tPvRmT2_T3_mT4_T5_T6_T7_T8_P12ihipStream_tbENKUlT_T0_E_clISt17integral_constantIbLb0EESY_IbLb1EEEEDaSU_SV_EUlSU_E_NS1_11comp_targetILNS1_3genE10ELNS1_11target_archE1201ELNS1_3gpuE5ELNS1_3repE0EEENS1_30default_config_static_selectorELNS0_4arch9wavefront6targetE0EEEvT1_.uses_flat_scratch, 0
	.set _ZN7rocprim17ROCPRIM_400000_NS6detail17trampoline_kernelINS0_14default_configENS1_33run_length_encode_config_selectorIfjNS0_4plusIjEEEEZZNS1_33reduce_by_key_impl_wrapped_configILNS1_25lookback_scan_determinismE0ES3_S7_PKfNS0_17constant_iteratorIjlEEPfPlSF_S6_NS0_8equal_toIfEEEE10hipError_tPvRmT2_T3_mT4_T5_T6_T7_T8_P12ihipStream_tbENKUlT_T0_E_clISt17integral_constantIbLb0EESY_IbLb1EEEEDaSU_SV_EUlSU_E_NS1_11comp_targetILNS1_3genE10ELNS1_11target_archE1201ELNS1_3gpuE5ELNS1_3repE0EEENS1_30default_config_static_selectorELNS0_4arch9wavefront6targetE0EEEvT1_.has_dyn_sized_stack, 0
	.set _ZN7rocprim17ROCPRIM_400000_NS6detail17trampoline_kernelINS0_14default_configENS1_33run_length_encode_config_selectorIfjNS0_4plusIjEEEEZZNS1_33reduce_by_key_impl_wrapped_configILNS1_25lookback_scan_determinismE0ES3_S7_PKfNS0_17constant_iteratorIjlEEPfPlSF_S6_NS0_8equal_toIfEEEE10hipError_tPvRmT2_T3_mT4_T5_T6_T7_T8_P12ihipStream_tbENKUlT_T0_E_clISt17integral_constantIbLb0EESY_IbLb1EEEEDaSU_SV_EUlSU_E_NS1_11comp_targetILNS1_3genE10ELNS1_11target_archE1201ELNS1_3gpuE5ELNS1_3repE0EEENS1_30default_config_static_selectorELNS0_4arch9wavefront6targetE0EEEvT1_.has_recursion, 0
	.set _ZN7rocprim17ROCPRIM_400000_NS6detail17trampoline_kernelINS0_14default_configENS1_33run_length_encode_config_selectorIfjNS0_4plusIjEEEEZZNS1_33reduce_by_key_impl_wrapped_configILNS1_25lookback_scan_determinismE0ES3_S7_PKfNS0_17constant_iteratorIjlEEPfPlSF_S6_NS0_8equal_toIfEEEE10hipError_tPvRmT2_T3_mT4_T5_T6_T7_T8_P12ihipStream_tbENKUlT_T0_E_clISt17integral_constantIbLb0EESY_IbLb1EEEEDaSU_SV_EUlSU_E_NS1_11comp_targetILNS1_3genE10ELNS1_11target_archE1201ELNS1_3gpuE5ELNS1_3repE0EEENS1_30default_config_static_selectorELNS0_4arch9wavefront6targetE0EEEvT1_.has_indirect_call, 0
	.section	.AMDGPU.csdata,"",@progbits
; Kernel info:
; codeLenInByte = 0
; TotalNumSgprs: 0
; NumVgprs: 0
; ScratchSize: 0
; MemoryBound: 0
; FloatMode: 240
; IeeeMode: 1
; LDSByteSize: 0 bytes/workgroup (compile time only)
; SGPRBlocks: 0
; VGPRBlocks: 0
; NumSGPRsForWavesPerEU: 1
; NumVGPRsForWavesPerEU: 1
; NamedBarCnt: 0
; Occupancy: 16
; WaveLimiterHint : 0
; COMPUTE_PGM_RSRC2:SCRATCH_EN: 0
; COMPUTE_PGM_RSRC2:USER_SGPR: 2
; COMPUTE_PGM_RSRC2:TRAP_HANDLER: 0
; COMPUTE_PGM_RSRC2:TGID_X_EN: 1
; COMPUTE_PGM_RSRC2:TGID_Y_EN: 0
; COMPUTE_PGM_RSRC2:TGID_Z_EN: 0
; COMPUTE_PGM_RSRC2:TIDIG_COMP_CNT: 0
	.section	.text._ZN7rocprim17ROCPRIM_400000_NS6detail17trampoline_kernelINS0_14default_configENS1_33run_length_encode_config_selectorIfjNS0_4plusIjEEEEZZNS1_33reduce_by_key_impl_wrapped_configILNS1_25lookback_scan_determinismE0ES3_S7_PKfNS0_17constant_iteratorIjlEEPfPlSF_S6_NS0_8equal_toIfEEEE10hipError_tPvRmT2_T3_mT4_T5_T6_T7_T8_P12ihipStream_tbENKUlT_T0_E_clISt17integral_constantIbLb0EESY_IbLb1EEEEDaSU_SV_EUlSU_E_NS1_11comp_targetILNS1_3genE10ELNS1_11target_archE1200ELNS1_3gpuE4ELNS1_3repE0EEENS1_30default_config_static_selectorELNS0_4arch9wavefront6targetE0EEEvT1_,"axG",@progbits,_ZN7rocprim17ROCPRIM_400000_NS6detail17trampoline_kernelINS0_14default_configENS1_33run_length_encode_config_selectorIfjNS0_4plusIjEEEEZZNS1_33reduce_by_key_impl_wrapped_configILNS1_25lookback_scan_determinismE0ES3_S7_PKfNS0_17constant_iteratorIjlEEPfPlSF_S6_NS0_8equal_toIfEEEE10hipError_tPvRmT2_T3_mT4_T5_T6_T7_T8_P12ihipStream_tbENKUlT_T0_E_clISt17integral_constantIbLb0EESY_IbLb1EEEEDaSU_SV_EUlSU_E_NS1_11comp_targetILNS1_3genE10ELNS1_11target_archE1200ELNS1_3gpuE4ELNS1_3repE0EEENS1_30default_config_static_selectorELNS0_4arch9wavefront6targetE0EEEvT1_,comdat
	.protected	_ZN7rocprim17ROCPRIM_400000_NS6detail17trampoline_kernelINS0_14default_configENS1_33run_length_encode_config_selectorIfjNS0_4plusIjEEEEZZNS1_33reduce_by_key_impl_wrapped_configILNS1_25lookback_scan_determinismE0ES3_S7_PKfNS0_17constant_iteratorIjlEEPfPlSF_S6_NS0_8equal_toIfEEEE10hipError_tPvRmT2_T3_mT4_T5_T6_T7_T8_P12ihipStream_tbENKUlT_T0_E_clISt17integral_constantIbLb0EESY_IbLb1EEEEDaSU_SV_EUlSU_E_NS1_11comp_targetILNS1_3genE10ELNS1_11target_archE1200ELNS1_3gpuE4ELNS1_3repE0EEENS1_30default_config_static_selectorELNS0_4arch9wavefront6targetE0EEEvT1_ ; -- Begin function _ZN7rocprim17ROCPRIM_400000_NS6detail17trampoline_kernelINS0_14default_configENS1_33run_length_encode_config_selectorIfjNS0_4plusIjEEEEZZNS1_33reduce_by_key_impl_wrapped_configILNS1_25lookback_scan_determinismE0ES3_S7_PKfNS0_17constant_iteratorIjlEEPfPlSF_S6_NS0_8equal_toIfEEEE10hipError_tPvRmT2_T3_mT4_T5_T6_T7_T8_P12ihipStream_tbENKUlT_T0_E_clISt17integral_constantIbLb0EESY_IbLb1EEEEDaSU_SV_EUlSU_E_NS1_11comp_targetILNS1_3genE10ELNS1_11target_archE1200ELNS1_3gpuE4ELNS1_3repE0EEENS1_30default_config_static_selectorELNS0_4arch9wavefront6targetE0EEEvT1_
	.globl	_ZN7rocprim17ROCPRIM_400000_NS6detail17trampoline_kernelINS0_14default_configENS1_33run_length_encode_config_selectorIfjNS0_4plusIjEEEEZZNS1_33reduce_by_key_impl_wrapped_configILNS1_25lookback_scan_determinismE0ES3_S7_PKfNS0_17constant_iteratorIjlEEPfPlSF_S6_NS0_8equal_toIfEEEE10hipError_tPvRmT2_T3_mT4_T5_T6_T7_T8_P12ihipStream_tbENKUlT_T0_E_clISt17integral_constantIbLb0EESY_IbLb1EEEEDaSU_SV_EUlSU_E_NS1_11comp_targetILNS1_3genE10ELNS1_11target_archE1200ELNS1_3gpuE4ELNS1_3repE0EEENS1_30default_config_static_selectorELNS0_4arch9wavefront6targetE0EEEvT1_
	.p2align	8
	.type	_ZN7rocprim17ROCPRIM_400000_NS6detail17trampoline_kernelINS0_14default_configENS1_33run_length_encode_config_selectorIfjNS0_4plusIjEEEEZZNS1_33reduce_by_key_impl_wrapped_configILNS1_25lookback_scan_determinismE0ES3_S7_PKfNS0_17constant_iteratorIjlEEPfPlSF_S6_NS0_8equal_toIfEEEE10hipError_tPvRmT2_T3_mT4_T5_T6_T7_T8_P12ihipStream_tbENKUlT_T0_E_clISt17integral_constantIbLb0EESY_IbLb1EEEEDaSU_SV_EUlSU_E_NS1_11comp_targetILNS1_3genE10ELNS1_11target_archE1200ELNS1_3gpuE4ELNS1_3repE0EEENS1_30default_config_static_selectorELNS0_4arch9wavefront6targetE0EEEvT1_,@function
_ZN7rocprim17ROCPRIM_400000_NS6detail17trampoline_kernelINS0_14default_configENS1_33run_length_encode_config_selectorIfjNS0_4plusIjEEEEZZNS1_33reduce_by_key_impl_wrapped_configILNS1_25lookback_scan_determinismE0ES3_S7_PKfNS0_17constant_iteratorIjlEEPfPlSF_S6_NS0_8equal_toIfEEEE10hipError_tPvRmT2_T3_mT4_T5_T6_T7_T8_P12ihipStream_tbENKUlT_T0_E_clISt17integral_constantIbLb0EESY_IbLb1EEEEDaSU_SV_EUlSU_E_NS1_11comp_targetILNS1_3genE10ELNS1_11target_archE1200ELNS1_3gpuE4ELNS1_3repE0EEENS1_30default_config_static_selectorELNS0_4arch9wavefront6targetE0EEEvT1_: ; @_ZN7rocprim17ROCPRIM_400000_NS6detail17trampoline_kernelINS0_14default_configENS1_33run_length_encode_config_selectorIfjNS0_4plusIjEEEEZZNS1_33reduce_by_key_impl_wrapped_configILNS1_25lookback_scan_determinismE0ES3_S7_PKfNS0_17constant_iteratorIjlEEPfPlSF_S6_NS0_8equal_toIfEEEE10hipError_tPvRmT2_T3_mT4_T5_T6_T7_T8_P12ihipStream_tbENKUlT_T0_E_clISt17integral_constantIbLb0EESY_IbLb1EEEEDaSU_SV_EUlSU_E_NS1_11comp_targetILNS1_3genE10ELNS1_11target_archE1200ELNS1_3gpuE4ELNS1_3repE0EEENS1_30default_config_static_selectorELNS0_4arch9wavefront6targetE0EEEvT1_
; %bb.0:
	.section	.rodata,"a",@progbits
	.p2align	6, 0x0
	.amdhsa_kernel _ZN7rocprim17ROCPRIM_400000_NS6detail17trampoline_kernelINS0_14default_configENS1_33run_length_encode_config_selectorIfjNS0_4plusIjEEEEZZNS1_33reduce_by_key_impl_wrapped_configILNS1_25lookback_scan_determinismE0ES3_S7_PKfNS0_17constant_iteratorIjlEEPfPlSF_S6_NS0_8equal_toIfEEEE10hipError_tPvRmT2_T3_mT4_T5_T6_T7_T8_P12ihipStream_tbENKUlT_T0_E_clISt17integral_constantIbLb0EESY_IbLb1EEEEDaSU_SV_EUlSU_E_NS1_11comp_targetILNS1_3genE10ELNS1_11target_archE1200ELNS1_3gpuE4ELNS1_3repE0EEENS1_30default_config_static_selectorELNS0_4arch9wavefront6targetE0EEEvT1_
		.amdhsa_group_segment_fixed_size 0
		.amdhsa_private_segment_fixed_size 0
		.amdhsa_kernarg_size 128
		.amdhsa_user_sgpr_count 2
		.amdhsa_user_sgpr_dispatch_ptr 0
		.amdhsa_user_sgpr_queue_ptr 0
		.amdhsa_user_sgpr_kernarg_segment_ptr 1
		.amdhsa_user_sgpr_dispatch_id 0
		.amdhsa_user_sgpr_kernarg_preload_length 0
		.amdhsa_user_sgpr_kernarg_preload_offset 0
		.amdhsa_user_sgpr_private_segment_size 0
		.amdhsa_wavefront_size32 1
		.amdhsa_uses_dynamic_stack 0
		.amdhsa_enable_private_segment 0
		.amdhsa_system_sgpr_workgroup_id_x 1
		.amdhsa_system_sgpr_workgroup_id_y 0
		.amdhsa_system_sgpr_workgroup_id_z 0
		.amdhsa_system_sgpr_workgroup_info 0
		.amdhsa_system_vgpr_workitem_id 0
		.amdhsa_next_free_vgpr 1
		.amdhsa_next_free_sgpr 1
		.amdhsa_named_barrier_count 0
		.amdhsa_reserve_vcc 0
		.amdhsa_float_round_mode_32 0
		.amdhsa_float_round_mode_16_64 0
		.amdhsa_float_denorm_mode_32 3
		.amdhsa_float_denorm_mode_16_64 3
		.amdhsa_fp16_overflow 0
		.amdhsa_memory_ordered 1
		.amdhsa_forward_progress 1
		.amdhsa_inst_pref_size 0
		.amdhsa_round_robin_scheduling 0
		.amdhsa_exception_fp_ieee_invalid_op 0
		.amdhsa_exception_fp_denorm_src 0
		.amdhsa_exception_fp_ieee_div_zero 0
		.amdhsa_exception_fp_ieee_overflow 0
		.amdhsa_exception_fp_ieee_underflow 0
		.amdhsa_exception_fp_ieee_inexact 0
		.amdhsa_exception_int_div_zero 0
	.end_amdhsa_kernel
	.section	.text._ZN7rocprim17ROCPRIM_400000_NS6detail17trampoline_kernelINS0_14default_configENS1_33run_length_encode_config_selectorIfjNS0_4plusIjEEEEZZNS1_33reduce_by_key_impl_wrapped_configILNS1_25lookback_scan_determinismE0ES3_S7_PKfNS0_17constant_iteratorIjlEEPfPlSF_S6_NS0_8equal_toIfEEEE10hipError_tPvRmT2_T3_mT4_T5_T6_T7_T8_P12ihipStream_tbENKUlT_T0_E_clISt17integral_constantIbLb0EESY_IbLb1EEEEDaSU_SV_EUlSU_E_NS1_11comp_targetILNS1_3genE10ELNS1_11target_archE1200ELNS1_3gpuE4ELNS1_3repE0EEENS1_30default_config_static_selectorELNS0_4arch9wavefront6targetE0EEEvT1_,"axG",@progbits,_ZN7rocprim17ROCPRIM_400000_NS6detail17trampoline_kernelINS0_14default_configENS1_33run_length_encode_config_selectorIfjNS0_4plusIjEEEEZZNS1_33reduce_by_key_impl_wrapped_configILNS1_25lookback_scan_determinismE0ES3_S7_PKfNS0_17constant_iteratorIjlEEPfPlSF_S6_NS0_8equal_toIfEEEE10hipError_tPvRmT2_T3_mT4_T5_T6_T7_T8_P12ihipStream_tbENKUlT_T0_E_clISt17integral_constantIbLb0EESY_IbLb1EEEEDaSU_SV_EUlSU_E_NS1_11comp_targetILNS1_3genE10ELNS1_11target_archE1200ELNS1_3gpuE4ELNS1_3repE0EEENS1_30default_config_static_selectorELNS0_4arch9wavefront6targetE0EEEvT1_,comdat
.Lfunc_end406:
	.size	_ZN7rocprim17ROCPRIM_400000_NS6detail17trampoline_kernelINS0_14default_configENS1_33run_length_encode_config_selectorIfjNS0_4plusIjEEEEZZNS1_33reduce_by_key_impl_wrapped_configILNS1_25lookback_scan_determinismE0ES3_S7_PKfNS0_17constant_iteratorIjlEEPfPlSF_S6_NS0_8equal_toIfEEEE10hipError_tPvRmT2_T3_mT4_T5_T6_T7_T8_P12ihipStream_tbENKUlT_T0_E_clISt17integral_constantIbLb0EESY_IbLb1EEEEDaSU_SV_EUlSU_E_NS1_11comp_targetILNS1_3genE10ELNS1_11target_archE1200ELNS1_3gpuE4ELNS1_3repE0EEENS1_30default_config_static_selectorELNS0_4arch9wavefront6targetE0EEEvT1_, .Lfunc_end406-_ZN7rocprim17ROCPRIM_400000_NS6detail17trampoline_kernelINS0_14default_configENS1_33run_length_encode_config_selectorIfjNS0_4plusIjEEEEZZNS1_33reduce_by_key_impl_wrapped_configILNS1_25lookback_scan_determinismE0ES3_S7_PKfNS0_17constant_iteratorIjlEEPfPlSF_S6_NS0_8equal_toIfEEEE10hipError_tPvRmT2_T3_mT4_T5_T6_T7_T8_P12ihipStream_tbENKUlT_T0_E_clISt17integral_constantIbLb0EESY_IbLb1EEEEDaSU_SV_EUlSU_E_NS1_11comp_targetILNS1_3genE10ELNS1_11target_archE1200ELNS1_3gpuE4ELNS1_3repE0EEENS1_30default_config_static_selectorELNS0_4arch9wavefront6targetE0EEEvT1_
                                        ; -- End function
	.set _ZN7rocprim17ROCPRIM_400000_NS6detail17trampoline_kernelINS0_14default_configENS1_33run_length_encode_config_selectorIfjNS0_4plusIjEEEEZZNS1_33reduce_by_key_impl_wrapped_configILNS1_25lookback_scan_determinismE0ES3_S7_PKfNS0_17constant_iteratorIjlEEPfPlSF_S6_NS0_8equal_toIfEEEE10hipError_tPvRmT2_T3_mT4_T5_T6_T7_T8_P12ihipStream_tbENKUlT_T0_E_clISt17integral_constantIbLb0EESY_IbLb1EEEEDaSU_SV_EUlSU_E_NS1_11comp_targetILNS1_3genE10ELNS1_11target_archE1200ELNS1_3gpuE4ELNS1_3repE0EEENS1_30default_config_static_selectorELNS0_4arch9wavefront6targetE0EEEvT1_.num_vgpr, 0
	.set _ZN7rocprim17ROCPRIM_400000_NS6detail17trampoline_kernelINS0_14default_configENS1_33run_length_encode_config_selectorIfjNS0_4plusIjEEEEZZNS1_33reduce_by_key_impl_wrapped_configILNS1_25lookback_scan_determinismE0ES3_S7_PKfNS0_17constant_iteratorIjlEEPfPlSF_S6_NS0_8equal_toIfEEEE10hipError_tPvRmT2_T3_mT4_T5_T6_T7_T8_P12ihipStream_tbENKUlT_T0_E_clISt17integral_constantIbLb0EESY_IbLb1EEEEDaSU_SV_EUlSU_E_NS1_11comp_targetILNS1_3genE10ELNS1_11target_archE1200ELNS1_3gpuE4ELNS1_3repE0EEENS1_30default_config_static_selectorELNS0_4arch9wavefront6targetE0EEEvT1_.num_agpr, 0
	.set _ZN7rocprim17ROCPRIM_400000_NS6detail17trampoline_kernelINS0_14default_configENS1_33run_length_encode_config_selectorIfjNS0_4plusIjEEEEZZNS1_33reduce_by_key_impl_wrapped_configILNS1_25lookback_scan_determinismE0ES3_S7_PKfNS0_17constant_iteratorIjlEEPfPlSF_S6_NS0_8equal_toIfEEEE10hipError_tPvRmT2_T3_mT4_T5_T6_T7_T8_P12ihipStream_tbENKUlT_T0_E_clISt17integral_constantIbLb0EESY_IbLb1EEEEDaSU_SV_EUlSU_E_NS1_11comp_targetILNS1_3genE10ELNS1_11target_archE1200ELNS1_3gpuE4ELNS1_3repE0EEENS1_30default_config_static_selectorELNS0_4arch9wavefront6targetE0EEEvT1_.numbered_sgpr, 0
	.set _ZN7rocprim17ROCPRIM_400000_NS6detail17trampoline_kernelINS0_14default_configENS1_33run_length_encode_config_selectorIfjNS0_4plusIjEEEEZZNS1_33reduce_by_key_impl_wrapped_configILNS1_25lookback_scan_determinismE0ES3_S7_PKfNS0_17constant_iteratorIjlEEPfPlSF_S6_NS0_8equal_toIfEEEE10hipError_tPvRmT2_T3_mT4_T5_T6_T7_T8_P12ihipStream_tbENKUlT_T0_E_clISt17integral_constantIbLb0EESY_IbLb1EEEEDaSU_SV_EUlSU_E_NS1_11comp_targetILNS1_3genE10ELNS1_11target_archE1200ELNS1_3gpuE4ELNS1_3repE0EEENS1_30default_config_static_selectorELNS0_4arch9wavefront6targetE0EEEvT1_.num_named_barrier, 0
	.set _ZN7rocprim17ROCPRIM_400000_NS6detail17trampoline_kernelINS0_14default_configENS1_33run_length_encode_config_selectorIfjNS0_4plusIjEEEEZZNS1_33reduce_by_key_impl_wrapped_configILNS1_25lookback_scan_determinismE0ES3_S7_PKfNS0_17constant_iteratorIjlEEPfPlSF_S6_NS0_8equal_toIfEEEE10hipError_tPvRmT2_T3_mT4_T5_T6_T7_T8_P12ihipStream_tbENKUlT_T0_E_clISt17integral_constantIbLb0EESY_IbLb1EEEEDaSU_SV_EUlSU_E_NS1_11comp_targetILNS1_3genE10ELNS1_11target_archE1200ELNS1_3gpuE4ELNS1_3repE0EEENS1_30default_config_static_selectorELNS0_4arch9wavefront6targetE0EEEvT1_.private_seg_size, 0
	.set _ZN7rocprim17ROCPRIM_400000_NS6detail17trampoline_kernelINS0_14default_configENS1_33run_length_encode_config_selectorIfjNS0_4plusIjEEEEZZNS1_33reduce_by_key_impl_wrapped_configILNS1_25lookback_scan_determinismE0ES3_S7_PKfNS0_17constant_iteratorIjlEEPfPlSF_S6_NS0_8equal_toIfEEEE10hipError_tPvRmT2_T3_mT4_T5_T6_T7_T8_P12ihipStream_tbENKUlT_T0_E_clISt17integral_constantIbLb0EESY_IbLb1EEEEDaSU_SV_EUlSU_E_NS1_11comp_targetILNS1_3genE10ELNS1_11target_archE1200ELNS1_3gpuE4ELNS1_3repE0EEENS1_30default_config_static_selectorELNS0_4arch9wavefront6targetE0EEEvT1_.uses_vcc, 0
	.set _ZN7rocprim17ROCPRIM_400000_NS6detail17trampoline_kernelINS0_14default_configENS1_33run_length_encode_config_selectorIfjNS0_4plusIjEEEEZZNS1_33reduce_by_key_impl_wrapped_configILNS1_25lookback_scan_determinismE0ES3_S7_PKfNS0_17constant_iteratorIjlEEPfPlSF_S6_NS0_8equal_toIfEEEE10hipError_tPvRmT2_T3_mT4_T5_T6_T7_T8_P12ihipStream_tbENKUlT_T0_E_clISt17integral_constantIbLb0EESY_IbLb1EEEEDaSU_SV_EUlSU_E_NS1_11comp_targetILNS1_3genE10ELNS1_11target_archE1200ELNS1_3gpuE4ELNS1_3repE0EEENS1_30default_config_static_selectorELNS0_4arch9wavefront6targetE0EEEvT1_.uses_flat_scratch, 0
	.set _ZN7rocprim17ROCPRIM_400000_NS6detail17trampoline_kernelINS0_14default_configENS1_33run_length_encode_config_selectorIfjNS0_4plusIjEEEEZZNS1_33reduce_by_key_impl_wrapped_configILNS1_25lookback_scan_determinismE0ES3_S7_PKfNS0_17constant_iteratorIjlEEPfPlSF_S6_NS0_8equal_toIfEEEE10hipError_tPvRmT2_T3_mT4_T5_T6_T7_T8_P12ihipStream_tbENKUlT_T0_E_clISt17integral_constantIbLb0EESY_IbLb1EEEEDaSU_SV_EUlSU_E_NS1_11comp_targetILNS1_3genE10ELNS1_11target_archE1200ELNS1_3gpuE4ELNS1_3repE0EEENS1_30default_config_static_selectorELNS0_4arch9wavefront6targetE0EEEvT1_.has_dyn_sized_stack, 0
	.set _ZN7rocprim17ROCPRIM_400000_NS6detail17trampoline_kernelINS0_14default_configENS1_33run_length_encode_config_selectorIfjNS0_4plusIjEEEEZZNS1_33reduce_by_key_impl_wrapped_configILNS1_25lookback_scan_determinismE0ES3_S7_PKfNS0_17constant_iteratorIjlEEPfPlSF_S6_NS0_8equal_toIfEEEE10hipError_tPvRmT2_T3_mT4_T5_T6_T7_T8_P12ihipStream_tbENKUlT_T0_E_clISt17integral_constantIbLb0EESY_IbLb1EEEEDaSU_SV_EUlSU_E_NS1_11comp_targetILNS1_3genE10ELNS1_11target_archE1200ELNS1_3gpuE4ELNS1_3repE0EEENS1_30default_config_static_selectorELNS0_4arch9wavefront6targetE0EEEvT1_.has_recursion, 0
	.set _ZN7rocprim17ROCPRIM_400000_NS6detail17trampoline_kernelINS0_14default_configENS1_33run_length_encode_config_selectorIfjNS0_4plusIjEEEEZZNS1_33reduce_by_key_impl_wrapped_configILNS1_25lookback_scan_determinismE0ES3_S7_PKfNS0_17constant_iteratorIjlEEPfPlSF_S6_NS0_8equal_toIfEEEE10hipError_tPvRmT2_T3_mT4_T5_T6_T7_T8_P12ihipStream_tbENKUlT_T0_E_clISt17integral_constantIbLb0EESY_IbLb1EEEEDaSU_SV_EUlSU_E_NS1_11comp_targetILNS1_3genE10ELNS1_11target_archE1200ELNS1_3gpuE4ELNS1_3repE0EEENS1_30default_config_static_selectorELNS0_4arch9wavefront6targetE0EEEvT1_.has_indirect_call, 0
	.section	.AMDGPU.csdata,"",@progbits
; Kernel info:
; codeLenInByte = 0
; TotalNumSgprs: 0
; NumVgprs: 0
; ScratchSize: 0
; MemoryBound: 0
; FloatMode: 240
; IeeeMode: 1
; LDSByteSize: 0 bytes/workgroup (compile time only)
; SGPRBlocks: 0
; VGPRBlocks: 0
; NumSGPRsForWavesPerEU: 1
; NumVGPRsForWavesPerEU: 1
; NamedBarCnt: 0
; Occupancy: 16
; WaveLimiterHint : 0
; COMPUTE_PGM_RSRC2:SCRATCH_EN: 0
; COMPUTE_PGM_RSRC2:USER_SGPR: 2
; COMPUTE_PGM_RSRC2:TRAP_HANDLER: 0
; COMPUTE_PGM_RSRC2:TGID_X_EN: 1
; COMPUTE_PGM_RSRC2:TGID_Y_EN: 0
; COMPUTE_PGM_RSRC2:TGID_Z_EN: 0
; COMPUTE_PGM_RSRC2:TIDIG_COMP_CNT: 0
	.section	.text._ZN7rocprim17ROCPRIM_400000_NS6detail17trampoline_kernelINS0_14default_configENS1_33run_length_encode_config_selectorIfjNS0_4plusIjEEEEZZNS1_33reduce_by_key_impl_wrapped_configILNS1_25lookback_scan_determinismE0ES3_S7_PKfNS0_17constant_iteratorIjlEEPfPlSF_S6_NS0_8equal_toIfEEEE10hipError_tPvRmT2_T3_mT4_T5_T6_T7_T8_P12ihipStream_tbENKUlT_T0_E_clISt17integral_constantIbLb0EESY_IbLb1EEEEDaSU_SV_EUlSU_E_NS1_11comp_targetILNS1_3genE9ELNS1_11target_archE1100ELNS1_3gpuE3ELNS1_3repE0EEENS1_30default_config_static_selectorELNS0_4arch9wavefront6targetE0EEEvT1_,"axG",@progbits,_ZN7rocprim17ROCPRIM_400000_NS6detail17trampoline_kernelINS0_14default_configENS1_33run_length_encode_config_selectorIfjNS0_4plusIjEEEEZZNS1_33reduce_by_key_impl_wrapped_configILNS1_25lookback_scan_determinismE0ES3_S7_PKfNS0_17constant_iteratorIjlEEPfPlSF_S6_NS0_8equal_toIfEEEE10hipError_tPvRmT2_T3_mT4_T5_T6_T7_T8_P12ihipStream_tbENKUlT_T0_E_clISt17integral_constantIbLb0EESY_IbLb1EEEEDaSU_SV_EUlSU_E_NS1_11comp_targetILNS1_3genE9ELNS1_11target_archE1100ELNS1_3gpuE3ELNS1_3repE0EEENS1_30default_config_static_selectorELNS0_4arch9wavefront6targetE0EEEvT1_,comdat
	.protected	_ZN7rocprim17ROCPRIM_400000_NS6detail17trampoline_kernelINS0_14default_configENS1_33run_length_encode_config_selectorIfjNS0_4plusIjEEEEZZNS1_33reduce_by_key_impl_wrapped_configILNS1_25lookback_scan_determinismE0ES3_S7_PKfNS0_17constant_iteratorIjlEEPfPlSF_S6_NS0_8equal_toIfEEEE10hipError_tPvRmT2_T3_mT4_T5_T6_T7_T8_P12ihipStream_tbENKUlT_T0_E_clISt17integral_constantIbLb0EESY_IbLb1EEEEDaSU_SV_EUlSU_E_NS1_11comp_targetILNS1_3genE9ELNS1_11target_archE1100ELNS1_3gpuE3ELNS1_3repE0EEENS1_30default_config_static_selectorELNS0_4arch9wavefront6targetE0EEEvT1_ ; -- Begin function _ZN7rocprim17ROCPRIM_400000_NS6detail17trampoline_kernelINS0_14default_configENS1_33run_length_encode_config_selectorIfjNS0_4plusIjEEEEZZNS1_33reduce_by_key_impl_wrapped_configILNS1_25lookback_scan_determinismE0ES3_S7_PKfNS0_17constant_iteratorIjlEEPfPlSF_S6_NS0_8equal_toIfEEEE10hipError_tPvRmT2_T3_mT4_T5_T6_T7_T8_P12ihipStream_tbENKUlT_T0_E_clISt17integral_constantIbLb0EESY_IbLb1EEEEDaSU_SV_EUlSU_E_NS1_11comp_targetILNS1_3genE9ELNS1_11target_archE1100ELNS1_3gpuE3ELNS1_3repE0EEENS1_30default_config_static_selectorELNS0_4arch9wavefront6targetE0EEEvT1_
	.globl	_ZN7rocprim17ROCPRIM_400000_NS6detail17trampoline_kernelINS0_14default_configENS1_33run_length_encode_config_selectorIfjNS0_4plusIjEEEEZZNS1_33reduce_by_key_impl_wrapped_configILNS1_25lookback_scan_determinismE0ES3_S7_PKfNS0_17constant_iteratorIjlEEPfPlSF_S6_NS0_8equal_toIfEEEE10hipError_tPvRmT2_T3_mT4_T5_T6_T7_T8_P12ihipStream_tbENKUlT_T0_E_clISt17integral_constantIbLb0EESY_IbLb1EEEEDaSU_SV_EUlSU_E_NS1_11comp_targetILNS1_3genE9ELNS1_11target_archE1100ELNS1_3gpuE3ELNS1_3repE0EEENS1_30default_config_static_selectorELNS0_4arch9wavefront6targetE0EEEvT1_
	.p2align	8
	.type	_ZN7rocprim17ROCPRIM_400000_NS6detail17trampoline_kernelINS0_14default_configENS1_33run_length_encode_config_selectorIfjNS0_4plusIjEEEEZZNS1_33reduce_by_key_impl_wrapped_configILNS1_25lookback_scan_determinismE0ES3_S7_PKfNS0_17constant_iteratorIjlEEPfPlSF_S6_NS0_8equal_toIfEEEE10hipError_tPvRmT2_T3_mT4_T5_T6_T7_T8_P12ihipStream_tbENKUlT_T0_E_clISt17integral_constantIbLb0EESY_IbLb1EEEEDaSU_SV_EUlSU_E_NS1_11comp_targetILNS1_3genE9ELNS1_11target_archE1100ELNS1_3gpuE3ELNS1_3repE0EEENS1_30default_config_static_selectorELNS0_4arch9wavefront6targetE0EEEvT1_,@function
_ZN7rocprim17ROCPRIM_400000_NS6detail17trampoline_kernelINS0_14default_configENS1_33run_length_encode_config_selectorIfjNS0_4plusIjEEEEZZNS1_33reduce_by_key_impl_wrapped_configILNS1_25lookback_scan_determinismE0ES3_S7_PKfNS0_17constant_iteratorIjlEEPfPlSF_S6_NS0_8equal_toIfEEEE10hipError_tPvRmT2_T3_mT4_T5_T6_T7_T8_P12ihipStream_tbENKUlT_T0_E_clISt17integral_constantIbLb0EESY_IbLb1EEEEDaSU_SV_EUlSU_E_NS1_11comp_targetILNS1_3genE9ELNS1_11target_archE1100ELNS1_3gpuE3ELNS1_3repE0EEENS1_30default_config_static_selectorELNS0_4arch9wavefront6targetE0EEEvT1_: ; @_ZN7rocprim17ROCPRIM_400000_NS6detail17trampoline_kernelINS0_14default_configENS1_33run_length_encode_config_selectorIfjNS0_4plusIjEEEEZZNS1_33reduce_by_key_impl_wrapped_configILNS1_25lookback_scan_determinismE0ES3_S7_PKfNS0_17constant_iteratorIjlEEPfPlSF_S6_NS0_8equal_toIfEEEE10hipError_tPvRmT2_T3_mT4_T5_T6_T7_T8_P12ihipStream_tbENKUlT_T0_E_clISt17integral_constantIbLb0EESY_IbLb1EEEEDaSU_SV_EUlSU_E_NS1_11comp_targetILNS1_3genE9ELNS1_11target_archE1100ELNS1_3gpuE3ELNS1_3repE0EEENS1_30default_config_static_selectorELNS0_4arch9wavefront6targetE0EEEvT1_
; %bb.0:
	.section	.rodata,"a",@progbits
	.p2align	6, 0x0
	.amdhsa_kernel _ZN7rocprim17ROCPRIM_400000_NS6detail17trampoline_kernelINS0_14default_configENS1_33run_length_encode_config_selectorIfjNS0_4plusIjEEEEZZNS1_33reduce_by_key_impl_wrapped_configILNS1_25lookback_scan_determinismE0ES3_S7_PKfNS0_17constant_iteratorIjlEEPfPlSF_S6_NS0_8equal_toIfEEEE10hipError_tPvRmT2_T3_mT4_T5_T6_T7_T8_P12ihipStream_tbENKUlT_T0_E_clISt17integral_constantIbLb0EESY_IbLb1EEEEDaSU_SV_EUlSU_E_NS1_11comp_targetILNS1_3genE9ELNS1_11target_archE1100ELNS1_3gpuE3ELNS1_3repE0EEENS1_30default_config_static_selectorELNS0_4arch9wavefront6targetE0EEEvT1_
		.amdhsa_group_segment_fixed_size 0
		.amdhsa_private_segment_fixed_size 0
		.amdhsa_kernarg_size 128
		.amdhsa_user_sgpr_count 2
		.amdhsa_user_sgpr_dispatch_ptr 0
		.amdhsa_user_sgpr_queue_ptr 0
		.amdhsa_user_sgpr_kernarg_segment_ptr 1
		.amdhsa_user_sgpr_dispatch_id 0
		.amdhsa_user_sgpr_kernarg_preload_length 0
		.amdhsa_user_sgpr_kernarg_preload_offset 0
		.amdhsa_user_sgpr_private_segment_size 0
		.amdhsa_wavefront_size32 1
		.amdhsa_uses_dynamic_stack 0
		.amdhsa_enable_private_segment 0
		.amdhsa_system_sgpr_workgroup_id_x 1
		.amdhsa_system_sgpr_workgroup_id_y 0
		.amdhsa_system_sgpr_workgroup_id_z 0
		.amdhsa_system_sgpr_workgroup_info 0
		.amdhsa_system_vgpr_workitem_id 0
		.amdhsa_next_free_vgpr 1
		.amdhsa_next_free_sgpr 1
		.amdhsa_named_barrier_count 0
		.amdhsa_reserve_vcc 0
		.amdhsa_float_round_mode_32 0
		.amdhsa_float_round_mode_16_64 0
		.amdhsa_float_denorm_mode_32 3
		.amdhsa_float_denorm_mode_16_64 3
		.amdhsa_fp16_overflow 0
		.amdhsa_memory_ordered 1
		.amdhsa_forward_progress 1
		.amdhsa_inst_pref_size 0
		.amdhsa_round_robin_scheduling 0
		.amdhsa_exception_fp_ieee_invalid_op 0
		.amdhsa_exception_fp_denorm_src 0
		.amdhsa_exception_fp_ieee_div_zero 0
		.amdhsa_exception_fp_ieee_overflow 0
		.amdhsa_exception_fp_ieee_underflow 0
		.amdhsa_exception_fp_ieee_inexact 0
		.amdhsa_exception_int_div_zero 0
	.end_amdhsa_kernel
	.section	.text._ZN7rocprim17ROCPRIM_400000_NS6detail17trampoline_kernelINS0_14default_configENS1_33run_length_encode_config_selectorIfjNS0_4plusIjEEEEZZNS1_33reduce_by_key_impl_wrapped_configILNS1_25lookback_scan_determinismE0ES3_S7_PKfNS0_17constant_iteratorIjlEEPfPlSF_S6_NS0_8equal_toIfEEEE10hipError_tPvRmT2_T3_mT4_T5_T6_T7_T8_P12ihipStream_tbENKUlT_T0_E_clISt17integral_constantIbLb0EESY_IbLb1EEEEDaSU_SV_EUlSU_E_NS1_11comp_targetILNS1_3genE9ELNS1_11target_archE1100ELNS1_3gpuE3ELNS1_3repE0EEENS1_30default_config_static_selectorELNS0_4arch9wavefront6targetE0EEEvT1_,"axG",@progbits,_ZN7rocprim17ROCPRIM_400000_NS6detail17trampoline_kernelINS0_14default_configENS1_33run_length_encode_config_selectorIfjNS0_4plusIjEEEEZZNS1_33reduce_by_key_impl_wrapped_configILNS1_25lookback_scan_determinismE0ES3_S7_PKfNS0_17constant_iteratorIjlEEPfPlSF_S6_NS0_8equal_toIfEEEE10hipError_tPvRmT2_T3_mT4_T5_T6_T7_T8_P12ihipStream_tbENKUlT_T0_E_clISt17integral_constantIbLb0EESY_IbLb1EEEEDaSU_SV_EUlSU_E_NS1_11comp_targetILNS1_3genE9ELNS1_11target_archE1100ELNS1_3gpuE3ELNS1_3repE0EEENS1_30default_config_static_selectorELNS0_4arch9wavefront6targetE0EEEvT1_,comdat
.Lfunc_end407:
	.size	_ZN7rocprim17ROCPRIM_400000_NS6detail17trampoline_kernelINS0_14default_configENS1_33run_length_encode_config_selectorIfjNS0_4plusIjEEEEZZNS1_33reduce_by_key_impl_wrapped_configILNS1_25lookback_scan_determinismE0ES3_S7_PKfNS0_17constant_iteratorIjlEEPfPlSF_S6_NS0_8equal_toIfEEEE10hipError_tPvRmT2_T3_mT4_T5_T6_T7_T8_P12ihipStream_tbENKUlT_T0_E_clISt17integral_constantIbLb0EESY_IbLb1EEEEDaSU_SV_EUlSU_E_NS1_11comp_targetILNS1_3genE9ELNS1_11target_archE1100ELNS1_3gpuE3ELNS1_3repE0EEENS1_30default_config_static_selectorELNS0_4arch9wavefront6targetE0EEEvT1_, .Lfunc_end407-_ZN7rocprim17ROCPRIM_400000_NS6detail17trampoline_kernelINS0_14default_configENS1_33run_length_encode_config_selectorIfjNS0_4plusIjEEEEZZNS1_33reduce_by_key_impl_wrapped_configILNS1_25lookback_scan_determinismE0ES3_S7_PKfNS0_17constant_iteratorIjlEEPfPlSF_S6_NS0_8equal_toIfEEEE10hipError_tPvRmT2_T3_mT4_T5_T6_T7_T8_P12ihipStream_tbENKUlT_T0_E_clISt17integral_constantIbLb0EESY_IbLb1EEEEDaSU_SV_EUlSU_E_NS1_11comp_targetILNS1_3genE9ELNS1_11target_archE1100ELNS1_3gpuE3ELNS1_3repE0EEENS1_30default_config_static_selectorELNS0_4arch9wavefront6targetE0EEEvT1_
                                        ; -- End function
	.set _ZN7rocprim17ROCPRIM_400000_NS6detail17trampoline_kernelINS0_14default_configENS1_33run_length_encode_config_selectorIfjNS0_4plusIjEEEEZZNS1_33reduce_by_key_impl_wrapped_configILNS1_25lookback_scan_determinismE0ES3_S7_PKfNS0_17constant_iteratorIjlEEPfPlSF_S6_NS0_8equal_toIfEEEE10hipError_tPvRmT2_T3_mT4_T5_T6_T7_T8_P12ihipStream_tbENKUlT_T0_E_clISt17integral_constantIbLb0EESY_IbLb1EEEEDaSU_SV_EUlSU_E_NS1_11comp_targetILNS1_3genE9ELNS1_11target_archE1100ELNS1_3gpuE3ELNS1_3repE0EEENS1_30default_config_static_selectorELNS0_4arch9wavefront6targetE0EEEvT1_.num_vgpr, 0
	.set _ZN7rocprim17ROCPRIM_400000_NS6detail17trampoline_kernelINS0_14default_configENS1_33run_length_encode_config_selectorIfjNS0_4plusIjEEEEZZNS1_33reduce_by_key_impl_wrapped_configILNS1_25lookback_scan_determinismE0ES3_S7_PKfNS0_17constant_iteratorIjlEEPfPlSF_S6_NS0_8equal_toIfEEEE10hipError_tPvRmT2_T3_mT4_T5_T6_T7_T8_P12ihipStream_tbENKUlT_T0_E_clISt17integral_constantIbLb0EESY_IbLb1EEEEDaSU_SV_EUlSU_E_NS1_11comp_targetILNS1_3genE9ELNS1_11target_archE1100ELNS1_3gpuE3ELNS1_3repE0EEENS1_30default_config_static_selectorELNS0_4arch9wavefront6targetE0EEEvT1_.num_agpr, 0
	.set _ZN7rocprim17ROCPRIM_400000_NS6detail17trampoline_kernelINS0_14default_configENS1_33run_length_encode_config_selectorIfjNS0_4plusIjEEEEZZNS1_33reduce_by_key_impl_wrapped_configILNS1_25lookback_scan_determinismE0ES3_S7_PKfNS0_17constant_iteratorIjlEEPfPlSF_S6_NS0_8equal_toIfEEEE10hipError_tPvRmT2_T3_mT4_T5_T6_T7_T8_P12ihipStream_tbENKUlT_T0_E_clISt17integral_constantIbLb0EESY_IbLb1EEEEDaSU_SV_EUlSU_E_NS1_11comp_targetILNS1_3genE9ELNS1_11target_archE1100ELNS1_3gpuE3ELNS1_3repE0EEENS1_30default_config_static_selectorELNS0_4arch9wavefront6targetE0EEEvT1_.numbered_sgpr, 0
	.set _ZN7rocprim17ROCPRIM_400000_NS6detail17trampoline_kernelINS0_14default_configENS1_33run_length_encode_config_selectorIfjNS0_4plusIjEEEEZZNS1_33reduce_by_key_impl_wrapped_configILNS1_25lookback_scan_determinismE0ES3_S7_PKfNS0_17constant_iteratorIjlEEPfPlSF_S6_NS0_8equal_toIfEEEE10hipError_tPvRmT2_T3_mT4_T5_T6_T7_T8_P12ihipStream_tbENKUlT_T0_E_clISt17integral_constantIbLb0EESY_IbLb1EEEEDaSU_SV_EUlSU_E_NS1_11comp_targetILNS1_3genE9ELNS1_11target_archE1100ELNS1_3gpuE3ELNS1_3repE0EEENS1_30default_config_static_selectorELNS0_4arch9wavefront6targetE0EEEvT1_.num_named_barrier, 0
	.set _ZN7rocprim17ROCPRIM_400000_NS6detail17trampoline_kernelINS0_14default_configENS1_33run_length_encode_config_selectorIfjNS0_4plusIjEEEEZZNS1_33reduce_by_key_impl_wrapped_configILNS1_25lookback_scan_determinismE0ES3_S7_PKfNS0_17constant_iteratorIjlEEPfPlSF_S6_NS0_8equal_toIfEEEE10hipError_tPvRmT2_T3_mT4_T5_T6_T7_T8_P12ihipStream_tbENKUlT_T0_E_clISt17integral_constantIbLb0EESY_IbLb1EEEEDaSU_SV_EUlSU_E_NS1_11comp_targetILNS1_3genE9ELNS1_11target_archE1100ELNS1_3gpuE3ELNS1_3repE0EEENS1_30default_config_static_selectorELNS0_4arch9wavefront6targetE0EEEvT1_.private_seg_size, 0
	.set _ZN7rocprim17ROCPRIM_400000_NS6detail17trampoline_kernelINS0_14default_configENS1_33run_length_encode_config_selectorIfjNS0_4plusIjEEEEZZNS1_33reduce_by_key_impl_wrapped_configILNS1_25lookback_scan_determinismE0ES3_S7_PKfNS0_17constant_iteratorIjlEEPfPlSF_S6_NS0_8equal_toIfEEEE10hipError_tPvRmT2_T3_mT4_T5_T6_T7_T8_P12ihipStream_tbENKUlT_T0_E_clISt17integral_constantIbLb0EESY_IbLb1EEEEDaSU_SV_EUlSU_E_NS1_11comp_targetILNS1_3genE9ELNS1_11target_archE1100ELNS1_3gpuE3ELNS1_3repE0EEENS1_30default_config_static_selectorELNS0_4arch9wavefront6targetE0EEEvT1_.uses_vcc, 0
	.set _ZN7rocprim17ROCPRIM_400000_NS6detail17trampoline_kernelINS0_14default_configENS1_33run_length_encode_config_selectorIfjNS0_4plusIjEEEEZZNS1_33reduce_by_key_impl_wrapped_configILNS1_25lookback_scan_determinismE0ES3_S7_PKfNS0_17constant_iteratorIjlEEPfPlSF_S6_NS0_8equal_toIfEEEE10hipError_tPvRmT2_T3_mT4_T5_T6_T7_T8_P12ihipStream_tbENKUlT_T0_E_clISt17integral_constantIbLb0EESY_IbLb1EEEEDaSU_SV_EUlSU_E_NS1_11comp_targetILNS1_3genE9ELNS1_11target_archE1100ELNS1_3gpuE3ELNS1_3repE0EEENS1_30default_config_static_selectorELNS0_4arch9wavefront6targetE0EEEvT1_.uses_flat_scratch, 0
	.set _ZN7rocprim17ROCPRIM_400000_NS6detail17trampoline_kernelINS0_14default_configENS1_33run_length_encode_config_selectorIfjNS0_4plusIjEEEEZZNS1_33reduce_by_key_impl_wrapped_configILNS1_25lookback_scan_determinismE0ES3_S7_PKfNS0_17constant_iteratorIjlEEPfPlSF_S6_NS0_8equal_toIfEEEE10hipError_tPvRmT2_T3_mT4_T5_T6_T7_T8_P12ihipStream_tbENKUlT_T0_E_clISt17integral_constantIbLb0EESY_IbLb1EEEEDaSU_SV_EUlSU_E_NS1_11comp_targetILNS1_3genE9ELNS1_11target_archE1100ELNS1_3gpuE3ELNS1_3repE0EEENS1_30default_config_static_selectorELNS0_4arch9wavefront6targetE0EEEvT1_.has_dyn_sized_stack, 0
	.set _ZN7rocprim17ROCPRIM_400000_NS6detail17trampoline_kernelINS0_14default_configENS1_33run_length_encode_config_selectorIfjNS0_4plusIjEEEEZZNS1_33reduce_by_key_impl_wrapped_configILNS1_25lookback_scan_determinismE0ES3_S7_PKfNS0_17constant_iteratorIjlEEPfPlSF_S6_NS0_8equal_toIfEEEE10hipError_tPvRmT2_T3_mT4_T5_T6_T7_T8_P12ihipStream_tbENKUlT_T0_E_clISt17integral_constantIbLb0EESY_IbLb1EEEEDaSU_SV_EUlSU_E_NS1_11comp_targetILNS1_3genE9ELNS1_11target_archE1100ELNS1_3gpuE3ELNS1_3repE0EEENS1_30default_config_static_selectorELNS0_4arch9wavefront6targetE0EEEvT1_.has_recursion, 0
	.set _ZN7rocprim17ROCPRIM_400000_NS6detail17trampoline_kernelINS0_14default_configENS1_33run_length_encode_config_selectorIfjNS0_4plusIjEEEEZZNS1_33reduce_by_key_impl_wrapped_configILNS1_25lookback_scan_determinismE0ES3_S7_PKfNS0_17constant_iteratorIjlEEPfPlSF_S6_NS0_8equal_toIfEEEE10hipError_tPvRmT2_T3_mT4_T5_T6_T7_T8_P12ihipStream_tbENKUlT_T0_E_clISt17integral_constantIbLb0EESY_IbLb1EEEEDaSU_SV_EUlSU_E_NS1_11comp_targetILNS1_3genE9ELNS1_11target_archE1100ELNS1_3gpuE3ELNS1_3repE0EEENS1_30default_config_static_selectorELNS0_4arch9wavefront6targetE0EEEvT1_.has_indirect_call, 0
	.section	.AMDGPU.csdata,"",@progbits
; Kernel info:
; codeLenInByte = 0
; TotalNumSgprs: 0
; NumVgprs: 0
; ScratchSize: 0
; MemoryBound: 0
; FloatMode: 240
; IeeeMode: 1
; LDSByteSize: 0 bytes/workgroup (compile time only)
; SGPRBlocks: 0
; VGPRBlocks: 0
; NumSGPRsForWavesPerEU: 1
; NumVGPRsForWavesPerEU: 1
; NamedBarCnt: 0
; Occupancy: 16
; WaveLimiterHint : 0
; COMPUTE_PGM_RSRC2:SCRATCH_EN: 0
; COMPUTE_PGM_RSRC2:USER_SGPR: 2
; COMPUTE_PGM_RSRC2:TRAP_HANDLER: 0
; COMPUTE_PGM_RSRC2:TGID_X_EN: 1
; COMPUTE_PGM_RSRC2:TGID_Y_EN: 0
; COMPUTE_PGM_RSRC2:TGID_Z_EN: 0
; COMPUTE_PGM_RSRC2:TIDIG_COMP_CNT: 0
	.section	.text._ZN7rocprim17ROCPRIM_400000_NS6detail17trampoline_kernelINS0_14default_configENS1_33run_length_encode_config_selectorIfjNS0_4plusIjEEEEZZNS1_33reduce_by_key_impl_wrapped_configILNS1_25lookback_scan_determinismE0ES3_S7_PKfNS0_17constant_iteratorIjlEEPfPlSF_S6_NS0_8equal_toIfEEEE10hipError_tPvRmT2_T3_mT4_T5_T6_T7_T8_P12ihipStream_tbENKUlT_T0_E_clISt17integral_constantIbLb0EESY_IbLb1EEEEDaSU_SV_EUlSU_E_NS1_11comp_targetILNS1_3genE8ELNS1_11target_archE1030ELNS1_3gpuE2ELNS1_3repE0EEENS1_30default_config_static_selectorELNS0_4arch9wavefront6targetE0EEEvT1_,"axG",@progbits,_ZN7rocprim17ROCPRIM_400000_NS6detail17trampoline_kernelINS0_14default_configENS1_33run_length_encode_config_selectorIfjNS0_4plusIjEEEEZZNS1_33reduce_by_key_impl_wrapped_configILNS1_25lookback_scan_determinismE0ES3_S7_PKfNS0_17constant_iteratorIjlEEPfPlSF_S6_NS0_8equal_toIfEEEE10hipError_tPvRmT2_T3_mT4_T5_T6_T7_T8_P12ihipStream_tbENKUlT_T0_E_clISt17integral_constantIbLb0EESY_IbLb1EEEEDaSU_SV_EUlSU_E_NS1_11comp_targetILNS1_3genE8ELNS1_11target_archE1030ELNS1_3gpuE2ELNS1_3repE0EEENS1_30default_config_static_selectorELNS0_4arch9wavefront6targetE0EEEvT1_,comdat
	.protected	_ZN7rocprim17ROCPRIM_400000_NS6detail17trampoline_kernelINS0_14default_configENS1_33run_length_encode_config_selectorIfjNS0_4plusIjEEEEZZNS1_33reduce_by_key_impl_wrapped_configILNS1_25lookback_scan_determinismE0ES3_S7_PKfNS0_17constant_iteratorIjlEEPfPlSF_S6_NS0_8equal_toIfEEEE10hipError_tPvRmT2_T3_mT4_T5_T6_T7_T8_P12ihipStream_tbENKUlT_T0_E_clISt17integral_constantIbLb0EESY_IbLb1EEEEDaSU_SV_EUlSU_E_NS1_11comp_targetILNS1_3genE8ELNS1_11target_archE1030ELNS1_3gpuE2ELNS1_3repE0EEENS1_30default_config_static_selectorELNS0_4arch9wavefront6targetE0EEEvT1_ ; -- Begin function _ZN7rocprim17ROCPRIM_400000_NS6detail17trampoline_kernelINS0_14default_configENS1_33run_length_encode_config_selectorIfjNS0_4plusIjEEEEZZNS1_33reduce_by_key_impl_wrapped_configILNS1_25lookback_scan_determinismE0ES3_S7_PKfNS0_17constant_iteratorIjlEEPfPlSF_S6_NS0_8equal_toIfEEEE10hipError_tPvRmT2_T3_mT4_T5_T6_T7_T8_P12ihipStream_tbENKUlT_T0_E_clISt17integral_constantIbLb0EESY_IbLb1EEEEDaSU_SV_EUlSU_E_NS1_11comp_targetILNS1_3genE8ELNS1_11target_archE1030ELNS1_3gpuE2ELNS1_3repE0EEENS1_30default_config_static_selectorELNS0_4arch9wavefront6targetE0EEEvT1_
	.globl	_ZN7rocprim17ROCPRIM_400000_NS6detail17trampoline_kernelINS0_14default_configENS1_33run_length_encode_config_selectorIfjNS0_4plusIjEEEEZZNS1_33reduce_by_key_impl_wrapped_configILNS1_25lookback_scan_determinismE0ES3_S7_PKfNS0_17constant_iteratorIjlEEPfPlSF_S6_NS0_8equal_toIfEEEE10hipError_tPvRmT2_T3_mT4_T5_T6_T7_T8_P12ihipStream_tbENKUlT_T0_E_clISt17integral_constantIbLb0EESY_IbLb1EEEEDaSU_SV_EUlSU_E_NS1_11comp_targetILNS1_3genE8ELNS1_11target_archE1030ELNS1_3gpuE2ELNS1_3repE0EEENS1_30default_config_static_selectorELNS0_4arch9wavefront6targetE0EEEvT1_
	.p2align	8
	.type	_ZN7rocprim17ROCPRIM_400000_NS6detail17trampoline_kernelINS0_14default_configENS1_33run_length_encode_config_selectorIfjNS0_4plusIjEEEEZZNS1_33reduce_by_key_impl_wrapped_configILNS1_25lookback_scan_determinismE0ES3_S7_PKfNS0_17constant_iteratorIjlEEPfPlSF_S6_NS0_8equal_toIfEEEE10hipError_tPvRmT2_T3_mT4_T5_T6_T7_T8_P12ihipStream_tbENKUlT_T0_E_clISt17integral_constantIbLb0EESY_IbLb1EEEEDaSU_SV_EUlSU_E_NS1_11comp_targetILNS1_3genE8ELNS1_11target_archE1030ELNS1_3gpuE2ELNS1_3repE0EEENS1_30default_config_static_selectorELNS0_4arch9wavefront6targetE0EEEvT1_,@function
_ZN7rocprim17ROCPRIM_400000_NS6detail17trampoline_kernelINS0_14default_configENS1_33run_length_encode_config_selectorIfjNS0_4plusIjEEEEZZNS1_33reduce_by_key_impl_wrapped_configILNS1_25lookback_scan_determinismE0ES3_S7_PKfNS0_17constant_iteratorIjlEEPfPlSF_S6_NS0_8equal_toIfEEEE10hipError_tPvRmT2_T3_mT4_T5_T6_T7_T8_P12ihipStream_tbENKUlT_T0_E_clISt17integral_constantIbLb0EESY_IbLb1EEEEDaSU_SV_EUlSU_E_NS1_11comp_targetILNS1_3genE8ELNS1_11target_archE1030ELNS1_3gpuE2ELNS1_3repE0EEENS1_30default_config_static_selectorELNS0_4arch9wavefront6targetE0EEEvT1_: ; @_ZN7rocprim17ROCPRIM_400000_NS6detail17trampoline_kernelINS0_14default_configENS1_33run_length_encode_config_selectorIfjNS0_4plusIjEEEEZZNS1_33reduce_by_key_impl_wrapped_configILNS1_25lookback_scan_determinismE0ES3_S7_PKfNS0_17constant_iteratorIjlEEPfPlSF_S6_NS0_8equal_toIfEEEE10hipError_tPvRmT2_T3_mT4_T5_T6_T7_T8_P12ihipStream_tbENKUlT_T0_E_clISt17integral_constantIbLb0EESY_IbLb1EEEEDaSU_SV_EUlSU_E_NS1_11comp_targetILNS1_3genE8ELNS1_11target_archE1030ELNS1_3gpuE2ELNS1_3repE0EEENS1_30default_config_static_selectorELNS0_4arch9wavefront6targetE0EEEvT1_
; %bb.0:
	.section	.rodata,"a",@progbits
	.p2align	6, 0x0
	.amdhsa_kernel _ZN7rocprim17ROCPRIM_400000_NS6detail17trampoline_kernelINS0_14default_configENS1_33run_length_encode_config_selectorIfjNS0_4plusIjEEEEZZNS1_33reduce_by_key_impl_wrapped_configILNS1_25lookback_scan_determinismE0ES3_S7_PKfNS0_17constant_iteratorIjlEEPfPlSF_S6_NS0_8equal_toIfEEEE10hipError_tPvRmT2_T3_mT4_T5_T6_T7_T8_P12ihipStream_tbENKUlT_T0_E_clISt17integral_constantIbLb0EESY_IbLb1EEEEDaSU_SV_EUlSU_E_NS1_11comp_targetILNS1_3genE8ELNS1_11target_archE1030ELNS1_3gpuE2ELNS1_3repE0EEENS1_30default_config_static_selectorELNS0_4arch9wavefront6targetE0EEEvT1_
		.amdhsa_group_segment_fixed_size 0
		.amdhsa_private_segment_fixed_size 0
		.amdhsa_kernarg_size 128
		.amdhsa_user_sgpr_count 2
		.amdhsa_user_sgpr_dispatch_ptr 0
		.amdhsa_user_sgpr_queue_ptr 0
		.amdhsa_user_sgpr_kernarg_segment_ptr 1
		.amdhsa_user_sgpr_dispatch_id 0
		.amdhsa_user_sgpr_kernarg_preload_length 0
		.amdhsa_user_sgpr_kernarg_preload_offset 0
		.amdhsa_user_sgpr_private_segment_size 0
		.amdhsa_wavefront_size32 1
		.amdhsa_uses_dynamic_stack 0
		.amdhsa_enable_private_segment 0
		.amdhsa_system_sgpr_workgroup_id_x 1
		.amdhsa_system_sgpr_workgroup_id_y 0
		.amdhsa_system_sgpr_workgroup_id_z 0
		.amdhsa_system_sgpr_workgroup_info 0
		.amdhsa_system_vgpr_workitem_id 0
		.amdhsa_next_free_vgpr 1
		.amdhsa_next_free_sgpr 1
		.amdhsa_named_barrier_count 0
		.amdhsa_reserve_vcc 0
		.amdhsa_float_round_mode_32 0
		.amdhsa_float_round_mode_16_64 0
		.amdhsa_float_denorm_mode_32 3
		.amdhsa_float_denorm_mode_16_64 3
		.amdhsa_fp16_overflow 0
		.amdhsa_memory_ordered 1
		.amdhsa_forward_progress 1
		.amdhsa_inst_pref_size 0
		.amdhsa_round_robin_scheduling 0
		.amdhsa_exception_fp_ieee_invalid_op 0
		.amdhsa_exception_fp_denorm_src 0
		.amdhsa_exception_fp_ieee_div_zero 0
		.amdhsa_exception_fp_ieee_overflow 0
		.amdhsa_exception_fp_ieee_underflow 0
		.amdhsa_exception_fp_ieee_inexact 0
		.amdhsa_exception_int_div_zero 0
	.end_amdhsa_kernel
	.section	.text._ZN7rocprim17ROCPRIM_400000_NS6detail17trampoline_kernelINS0_14default_configENS1_33run_length_encode_config_selectorIfjNS0_4plusIjEEEEZZNS1_33reduce_by_key_impl_wrapped_configILNS1_25lookback_scan_determinismE0ES3_S7_PKfNS0_17constant_iteratorIjlEEPfPlSF_S6_NS0_8equal_toIfEEEE10hipError_tPvRmT2_T3_mT4_T5_T6_T7_T8_P12ihipStream_tbENKUlT_T0_E_clISt17integral_constantIbLb0EESY_IbLb1EEEEDaSU_SV_EUlSU_E_NS1_11comp_targetILNS1_3genE8ELNS1_11target_archE1030ELNS1_3gpuE2ELNS1_3repE0EEENS1_30default_config_static_selectorELNS0_4arch9wavefront6targetE0EEEvT1_,"axG",@progbits,_ZN7rocprim17ROCPRIM_400000_NS6detail17trampoline_kernelINS0_14default_configENS1_33run_length_encode_config_selectorIfjNS0_4plusIjEEEEZZNS1_33reduce_by_key_impl_wrapped_configILNS1_25lookback_scan_determinismE0ES3_S7_PKfNS0_17constant_iteratorIjlEEPfPlSF_S6_NS0_8equal_toIfEEEE10hipError_tPvRmT2_T3_mT4_T5_T6_T7_T8_P12ihipStream_tbENKUlT_T0_E_clISt17integral_constantIbLb0EESY_IbLb1EEEEDaSU_SV_EUlSU_E_NS1_11comp_targetILNS1_3genE8ELNS1_11target_archE1030ELNS1_3gpuE2ELNS1_3repE0EEENS1_30default_config_static_selectorELNS0_4arch9wavefront6targetE0EEEvT1_,comdat
.Lfunc_end408:
	.size	_ZN7rocprim17ROCPRIM_400000_NS6detail17trampoline_kernelINS0_14default_configENS1_33run_length_encode_config_selectorIfjNS0_4plusIjEEEEZZNS1_33reduce_by_key_impl_wrapped_configILNS1_25lookback_scan_determinismE0ES3_S7_PKfNS0_17constant_iteratorIjlEEPfPlSF_S6_NS0_8equal_toIfEEEE10hipError_tPvRmT2_T3_mT4_T5_T6_T7_T8_P12ihipStream_tbENKUlT_T0_E_clISt17integral_constantIbLb0EESY_IbLb1EEEEDaSU_SV_EUlSU_E_NS1_11comp_targetILNS1_3genE8ELNS1_11target_archE1030ELNS1_3gpuE2ELNS1_3repE0EEENS1_30default_config_static_selectorELNS0_4arch9wavefront6targetE0EEEvT1_, .Lfunc_end408-_ZN7rocprim17ROCPRIM_400000_NS6detail17trampoline_kernelINS0_14default_configENS1_33run_length_encode_config_selectorIfjNS0_4plusIjEEEEZZNS1_33reduce_by_key_impl_wrapped_configILNS1_25lookback_scan_determinismE0ES3_S7_PKfNS0_17constant_iteratorIjlEEPfPlSF_S6_NS0_8equal_toIfEEEE10hipError_tPvRmT2_T3_mT4_T5_T6_T7_T8_P12ihipStream_tbENKUlT_T0_E_clISt17integral_constantIbLb0EESY_IbLb1EEEEDaSU_SV_EUlSU_E_NS1_11comp_targetILNS1_3genE8ELNS1_11target_archE1030ELNS1_3gpuE2ELNS1_3repE0EEENS1_30default_config_static_selectorELNS0_4arch9wavefront6targetE0EEEvT1_
                                        ; -- End function
	.set _ZN7rocprim17ROCPRIM_400000_NS6detail17trampoline_kernelINS0_14default_configENS1_33run_length_encode_config_selectorIfjNS0_4plusIjEEEEZZNS1_33reduce_by_key_impl_wrapped_configILNS1_25lookback_scan_determinismE0ES3_S7_PKfNS0_17constant_iteratorIjlEEPfPlSF_S6_NS0_8equal_toIfEEEE10hipError_tPvRmT2_T3_mT4_T5_T6_T7_T8_P12ihipStream_tbENKUlT_T0_E_clISt17integral_constantIbLb0EESY_IbLb1EEEEDaSU_SV_EUlSU_E_NS1_11comp_targetILNS1_3genE8ELNS1_11target_archE1030ELNS1_3gpuE2ELNS1_3repE0EEENS1_30default_config_static_selectorELNS0_4arch9wavefront6targetE0EEEvT1_.num_vgpr, 0
	.set _ZN7rocprim17ROCPRIM_400000_NS6detail17trampoline_kernelINS0_14default_configENS1_33run_length_encode_config_selectorIfjNS0_4plusIjEEEEZZNS1_33reduce_by_key_impl_wrapped_configILNS1_25lookback_scan_determinismE0ES3_S7_PKfNS0_17constant_iteratorIjlEEPfPlSF_S6_NS0_8equal_toIfEEEE10hipError_tPvRmT2_T3_mT4_T5_T6_T7_T8_P12ihipStream_tbENKUlT_T0_E_clISt17integral_constantIbLb0EESY_IbLb1EEEEDaSU_SV_EUlSU_E_NS1_11comp_targetILNS1_3genE8ELNS1_11target_archE1030ELNS1_3gpuE2ELNS1_3repE0EEENS1_30default_config_static_selectorELNS0_4arch9wavefront6targetE0EEEvT1_.num_agpr, 0
	.set _ZN7rocprim17ROCPRIM_400000_NS6detail17trampoline_kernelINS0_14default_configENS1_33run_length_encode_config_selectorIfjNS0_4plusIjEEEEZZNS1_33reduce_by_key_impl_wrapped_configILNS1_25lookback_scan_determinismE0ES3_S7_PKfNS0_17constant_iteratorIjlEEPfPlSF_S6_NS0_8equal_toIfEEEE10hipError_tPvRmT2_T3_mT4_T5_T6_T7_T8_P12ihipStream_tbENKUlT_T0_E_clISt17integral_constantIbLb0EESY_IbLb1EEEEDaSU_SV_EUlSU_E_NS1_11comp_targetILNS1_3genE8ELNS1_11target_archE1030ELNS1_3gpuE2ELNS1_3repE0EEENS1_30default_config_static_selectorELNS0_4arch9wavefront6targetE0EEEvT1_.numbered_sgpr, 0
	.set _ZN7rocprim17ROCPRIM_400000_NS6detail17trampoline_kernelINS0_14default_configENS1_33run_length_encode_config_selectorIfjNS0_4plusIjEEEEZZNS1_33reduce_by_key_impl_wrapped_configILNS1_25lookback_scan_determinismE0ES3_S7_PKfNS0_17constant_iteratorIjlEEPfPlSF_S6_NS0_8equal_toIfEEEE10hipError_tPvRmT2_T3_mT4_T5_T6_T7_T8_P12ihipStream_tbENKUlT_T0_E_clISt17integral_constantIbLb0EESY_IbLb1EEEEDaSU_SV_EUlSU_E_NS1_11comp_targetILNS1_3genE8ELNS1_11target_archE1030ELNS1_3gpuE2ELNS1_3repE0EEENS1_30default_config_static_selectorELNS0_4arch9wavefront6targetE0EEEvT1_.num_named_barrier, 0
	.set _ZN7rocprim17ROCPRIM_400000_NS6detail17trampoline_kernelINS0_14default_configENS1_33run_length_encode_config_selectorIfjNS0_4plusIjEEEEZZNS1_33reduce_by_key_impl_wrapped_configILNS1_25lookback_scan_determinismE0ES3_S7_PKfNS0_17constant_iteratorIjlEEPfPlSF_S6_NS0_8equal_toIfEEEE10hipError_tPvRmT2_T3_mT4_T5_T6_T7_T8_P12ihipStream_tbENKUlT_T0_E_clISt17integral_constantIbLb0EESY_IbLb1EEEEDaSU_SV_EUlSU_E_NS1_11comp_targetILNS1_3genE8ELNS1_11target_archE1030ELNS1_3gpuE2ELNS1_3repE0EEENS1_30default_config_static_selectorELNS0_4arch9wavefront6targetE0EEEvT1_.private_seg_size, 0
	.set _ZN7rocprim17ROCPRIM_400000_NS6detail17trampoline_kernelINS0_14default_configENS1_33run_length_encode_config_selectorIfjNS0_4plusIjEEEEZZNS1_33reduce_by_key_impl_wrapped_configILNS1_25lookback_scan_determinismE0ES3_S7_PKfNS0_17constant_iteratorIjlEEPfPlSF_S6_NS0_8equal_toIfEEEE10hipError_tPvRmT2_T3_mT4_T5_T6_T7_T8_P12ihipStream_tbENKUlT_T0_E_clISt17integral_constantIbLb0EESY_IbLb1EEEEDaSU_SV_EUlSU_E_NS1_11comp_targetILNS1_3genE8ELNS1_11target_archE1030ELNS1_3gpuE2ELNS1_3repE0EEENS1_30default_config_static_selectorELNS0_4arch9wavefront6targetE0EEEvT1_.uses_vcc, 0
	.set _ZN7rocprim17ROCPRIM_400000_NS6detail17trampoline_kernelINS0_14default_configENS1_33run_length_encode_config_selectorIfjNS0_4plusIjEEEEZZNS1_33reduce_by_key_impl_wrapped_configILNS1_25lookback_scan_determinismE0ES3_S7_PKfNS0_17constant_iteratorIjlEEPfPlSF_S6_NS0_8equal_toIfEEEE10hipError_tPvRmT2_T3_mT4_T5_T6_T7_T8_P12ihipStream_tbENKUlT_T0_E_clISt17integral_constantIbLb0EESY_IbLb1EEEEDaSU_SV_EUlSU_E_NS1_11comp_targetILNS1_3genE8ELNS1_11target_archE1030ELNS1_3gpuE2ELNS1_3repE0EEENS1_30default_config_static_selectorELNS0_4arch9wavefront6targetE0EEEvT1_.uses_flat_scratch, 0
	.set _ZN7rocprim17ROCPRIM_400000_NS6detail17trampoline_kernelINS0_14default_configENS1_33run_length_encode_config_selectorIfjNS0_4plusIjEEEEZZNS1_33reduce_by_key_impl_wrapped_configILNS1_25lookback_scan_determinismE0ES3_S7_PKfNS0_17constant_iteratorIjlEEPfPlSF_S6_NS0_8equal_toIfEEEE10hipError_tPvRmT2_T3_mT4_T5_T6_T7_T8_P12ihipStream_tbENKUlT_T0_E_clISt17integral_constantIbLb0EESY_IbLb1EEEEDaSU_SV_EUlSU_E_NS1_11comp_targetILNS1_3genE8ELNS1_11target_archE1030ELNS1_3gpuE2ELNS1_3repE0EEENS1_30default_config_static_selectorELNS0_4arch9wavefront6targetE0EEEvT1_.has_dyn_sized_stack, 0
	.set _ZN7rocprim17ROCPRIM_400000_NS6detail17trampoline_kernelINS0_14default_configENS1_33run_length_encode_config_selectorIfjNS0_4plusIjEEEEZZNS1_33reduce_by_key_impl_wrapped_configILNS1_25lookback_scan_determinismE0ES3_S7_PKfNS0_17constant_iteratorIjlEEPfPlSF_S6_NS0_8equal_toIfEEEE10hipError_tPvRmT2_T3_mT4_T5_T6_T7_T8_P12ihipStream_tbENKUlT_T0_E_clISt17integral_constantIbLb0EESY_IbLb1EEEEDaSU_SV_EUlSU_E_NS1_11comp_targetILNS1_3genE8ELNS1_11target_archE1030ELNS1_3gpuE2ELNS1_3repE0EEENS1_30default_config_static_selectorELNS0_4arch9wavefront6targetE0EEEvT1_.has_recursion, 0
	.set _ZN7rocprim17ROCPRIM_400000_NS6detail17trampoline_kernelINS0_14default_configENS1_33run_length_encode_config_selectorIfjNS0_4plusIjEEEEZZNS1_33reduce_by_key_impl_wrapped_configILNS1_25lookback_scan_determinismE0ES3_S7_PKfNS0_17constant_iteratorIjlEEPfPlSF_S6_NS0_8equal_toIfEEEE10hipError_tPvRmT2_T3_mT4_T5_T6_T7_T8_P12ihipStream_tbENKUlT_T0_E_clISt17integral_constantIbLb0EESY_IbLb1EEEEDaSU_SV_EUlSU_E_NS1_11comp_targetILNS1_3genE8ELNS1_11target_archE1030ELNS1_3gpuE2ELNS1_3repE0EEENS1_30default_config_static_selectorELNS0_4arch9wavefront6targetE0EEEvT1_.has_indirect_call, 0
	.section	.AMDGPU.csdata,"",@progbits
; Kernel info:
; codeLenInByte = 0
; TotalNumSgprs: 0
; NumVgprs: 0
; ScratchSize: 0
; MemoryBound: 0
; FloatMode: 240
; IeeeMode: 1
; LDSByteSize: 0 bytes/workgroup (compile time only)
; SGPRBlocks: 0
; VGPRBlocks: 0
; NumSGPRsForWavesPerEU: 1
; NumVGPRsForWavesPerEU: 1
; NamedBarCnt: 0
; Occupancy: 16
; WaveLimiterHint : 0
; COMPUTE_PGM_RSRC2:SCRATCH_EN: 0
; COMPUTE_PGM_RSRC2:USER_SGPR: 2
; COMPUTE_PGM_RSRC2:TRAP_HANDLER: 0
; COMPUTE_PGM_RSRC2:TGID_X_EN: 1
; COMPUTE_PGM_RSRC2:TGID_Y_EN: 0
; COMPUTE_PGM_RSRC2:TGID_Z_EN: 0
; COMPUTE_PGM_RSRC2:TIDIG_COMP_CNT: 0
	.section	.text._ZN2at6native8internal12_GLOBAL__N_126adjacent_difference_kernelIPKiEEvlT_Pi,"axG",@progbits,_ZN2at6native8internal12_GLOBAL__N_126adjacent_difference_kernelIPKiEEvlT_Pi,comdat
	.globl	_ZN2at6native8internal12_GLOBAL__N_126adjacent_difference_kernelIPKiEEvlT_Pi ; -- Begin function _ZN2at6native8internal12_GLOBAL__N_126adjacent_difference_kernelIPKiEEvlT_Pi
	.p2align	8
	.type	_ZN2at6native8internal12_GLOBAL__N_126adjacent_difference_kernelIPKiEEvlT_Pi,@function
_ZN2at6native8internal12_GLOBAL__N_126adjacent_difference_kernelIPKiEEvlT_Pi: ; @_ZN2at6native8internal12_GLOBAL__N_126adjacent_difference_kernelIPKiEEvlT_Pi
; %bb.0:
	s_clause 0x1
	s_load_b32 s2, s[0:1], 0x24
	s_load_b128 s[4:7], s[0:1], 0x0
	s_bfe_u32 s9, ttmp6, 0x4000c
	s_and_b32 s8, ttmp6, 15
	s_add_co_i32 s9, s9, 1
	s_getreg_b32 s10, hwreg(HW_REG_IB_STS2, 6, 4)
	s_mul_i32 s9, ttmp9, s9
	s_mov_b32 s3, 0
	s_add_co_i32 s8, s8, s9
	s_cmp_eq_u32 s10, 0
	v_mov_b32_e32 v1, 0
	s_mov_b32 s15, s3
	s_cselect_b32 s14, ttmp9, s8
	s_mov_b32 s13, s3
	s_wait_kmcnt 0x0
	s_and_b32 s12, s2, 0xffff
	s_mov_b32 s2, exec_lo
	s_mul_u64 s[8:9], s[12:13], s[14:15]
	s_delay_alu instid0(SALU_CYCLE_1) | instskip(NEXT) | instid1(VALU_DEP_1)
	v_add_nc_u64_e32 v[4:5], s[8:9], v[0:1]
	v_cmpx_gt_i64_e64 s[4:5], v[4:5]
	s_cbranch_execz .LBB409_5
; %bb.1:
	s_add_nc_u64 s[16:17], s[0:1], 24
	v_dual_mov_b32 v2, v1 :: v_dual_mov_b32 v3, v4
	s_load_b32 s2, s[16:17], 0x0
	s_load_b64 s[10:11], s[0:1], 0x10
	v_mov_b64_e32 v[4:5], v[0:1]
	s_mul_i32 s13, s14, s12
	s_wait_xcnt 0x0
	s_mov_b32 s0, s3
	s_wait_kmcnt 0x0
	s_mul_i32 s2, s2, s12
	s_mov_b32 s12, s3
	s_mov_b32 s1, s2
	s_branch .LBB409_3
.LBB409_2:                              ;   in Loop: Header=BB409_3 Depth=1
	s_or_b32 exec_lo, exec_lo, s14
	v_add_nc_u64_e32 v[4:5], s[2:3], v[4:5]
	v_ashrrev_i64 v[8:9], 30, v[2:3]
	v_add_nc_u64_e32 v[2:3], s[0:1], v[2:3]
	s_delay_alu instid0(VALU_DEP_3) | instskip(NEXT) | instid1(VALU_DEP_1)
	v_add_nc_u64_e32 v[6:7], s[8:9], v[4:5]
	v_cmp_le_i64_e32 vcc_lo, s[4:5], v[6:7]
	s_delay_alu instid0(VALU_DEP_4)
	v_add_nc_u64_e32 v[6:7], s[10:11], v[8:9]
	s_or_b32 s12, vcc_lo, s12
	global_store_b32 v[6:7], v0, off
	s_wait_xcnt 0x0
	s_and_not1_b32 exec_lo, exec_lo, s12
	s_cbranch_execz .LBB409_5
.LBB409_3:                              ; =>This Inner Loop Header: Depth=1
	v_dual_add_nc_u32 v6, s13, v4 :: v_dual_mov_b32 v0, 0
	s_mov_b32 s14, exec_lo
	s_delay_alu instid0(VALU_DEP_1)
	v_cmpx_lt_i32_e32 0, v6
	s_cbranch_execz .LBB409_2
; %bb.4:                                ;   in Loop: Header=BB409_3 Depth=1
	v_add_nc_u32_e32 v8, s8, v4
	s_delay_alu instid0(VALU_DEP_1) | instskip(NEXT) | instid1(VALU_DEP_1)
	v_and_b32_e32 v0, 0x7fffffff, v8
	v_lshl_add_u64 v[6:7], v[0:1], 2, s[6:7]
	v_add_nc_u32_e32 v0, -1, v8
	s_clause 0x1
	global_load_b32 v8, v[6:7], off
	global_load_b32 v9, v0, s[6:7] scale_offset
	s_wait_loadcnt 0x0
	v_cmp_ne_u32_e32 vcc_lo, v8, v9
	s_wait_xcnt 0x0
	v_cndmask_b32_e64 v0, 0, 1, vcc_lo
	s_branch .LBB409_2
.LBB409_5:
	s_endpgm
	.section	.rodata,"a",@progbits
	.p2align	6, 0x0
	.amdhsa_kernel _ZN2at6native8internal12_GLOBAL__N_126adjacent_difference_kernelIPKiEEvlT_Pi
		.amdhsa_group_segment_fixed_size 0
		.amdhsa_private_segment_fixed_size 0
		.amdhsa_kernarg_size 280
		.amdhsa_user_sgpr_count 2
		.amdhsa_user_sgpr_dispatch_ptr 0
		.amdhsa_user_sgpr_queue_ptr 0
		.amdhsa_user_sgpr_kernarg_segment_ptr 1
		.amdhsa_user_sgpr_dispatch_id 0
		.amdhsa_user_sgpr_kernarg_preload_length 0
		.amdhsa_user_sgpr_kernarg_preload_offset 0
		.amdhsa_user_sgpr_private_segment_size 0
		.amdhsa_wavefront_size32 1
		.amdhsa_uses_dynamic_stack 0
		.amdhsa_enable_private_segment 0
		.amdhsa_system_sgpr_workgroup_id_x 1
		.amdhsa_system_sgpr_workgroup_id_y 0
		.amdhsa_system_sgpr_workgroup_id_z 0
		.amdhsa_system_sgpr_workgroup_info 0
		.amdhsa_system_vgpr_workitem_id 0
		.amdhsa_next_free_vgpr 10
		.amdhsa_next_free_sgpr 18
		.amdhsa_named_barrier_count 0
		.amdhsa_reserve_vcc 1
		.amdhsa_float_round_mode_32 0
		.amdhsa_float_round_mode_16_64 0
		.amdhsa_float_denorm_mode_32 3
		.amdhsa_float_denorm_mode_16_64 3
		.amdhsa_fp16_overflow 0
		.amdhsa_memory_ordered 1
		.amdhsa_forward_progress 1
		.amdhsa_inst_pref_size 3
		.amdhsa_round_robin_scheduling 0
		.amdhsa_exception_fp_ieee_invalid_op 0
		.amdhsa_exception_fp_denorm_src 0
		.amdhsa_exception_fp_ieee_div_zero 0
		.amdhsa_exception_fp_ieee_overflow 0
		.amdhsa_exception_fp_ieee_underflow 0
		.amdhsa_exception_fp_ieee_inexact 0
		.amdhsa_exception_int_div_zero 0
	.end_amdhsa_kernel
	.section	.text._ZN2at6native8internal12_GLOBAL__N_126adjacent_difference_kernelIPKiEEvlT_Pi,"axG",@progbits,_ZN2at6native8internal12_GLOBAL__N_126adjacent_difference_kernelIPKiEEvlT_Pi,comdat
.Lfunc_end409:
	.size	_ZN2at6native8internal12_GLOBAL__N_126adjacent_difference_kernelIPKiEEvlT_Pi, .Lfunc_end409-_ZN2at6native8internal12_GLOBAL__N_126adjacent_difference_kernelIPKiEEvlT_Pi
                                        ; -- End function
	.set _ZN2at6native8internal12_GLOBAL__N_126adjacent_difference_kernelIPKiEEvlT_Pi.num_vgpr, 10
	.set _ZN2at6native8internal12_GLOBAL__N_126adjacent_difference_kernelIPKiEEvlT_Pi.num_agpr, 0
	.set _ZN2at6native8internal12_GLOBAL__N_126adjacent_difference_kernelIPKiEEvlT_Pi.numbered_sgpr, 18
	.set _ZN2at6native8internal12_GLOBAL__N_126adjacent_difference_kernelIPKiEEvlT_Pi.num_named_barrier, 0
	.set _ZN2at6native8internal12_GLOBAL__N_126adjacent_difference_kernelIPKiEEvlT_Pi.private_seg_size, 0
	.set _ZN2at6native8internal12_GLOBAL__N_126adjacent_difference_kernelIPKiEEvlT_Pi.uses_vcc, 1
	.set _ZN2at6native8internal12_GLOBAL__N_126adjacent_difference_kernelIPKiEEvlT_Pi.uses_flat_scratch, 0
	.set _ZN2at6native8internal12_GLOBAL__N_126adjacent_difference_kernelIPKiEEvlT_Pi.has_dyn_sized_stack, 0
	.set _ZN2at6native8internal12_GLOBAL__N_126adjacent_difference_kernelIPKiEEvlT_Pi.has_recursion, 0
	.set _ZN2at6native8internal12_GLOBAL__N_126adjacent_difference_kernelIPKiEEvlT_Pi.has_indirect_call, 0
	.section	.AMDGPU.csdata,"",@progbits
; Kernel info:
; codeLenInByte = 356
; TotalNumSgprs: 20
; NumVgprs: 10
; ScratchSize: 0
; MemoryBound: 0
; FloatMode: 240
; IeeeMode: 1
; LDSByteSize: 0 bytes/workgroup (compile time only)
; SGPRBlocks: 0
; VGPRBlocks: 0
; NumSGPRsForWavesPerEU: 20
; NumVGPRsForWavesPerEU: 10
; NamedBarCnt: 0
; Occupancy: 16
; WaveLimiterHint : 0
; COMPUTE_PGM_RSRC2:SCRATCH_EN: 0
; COMPUTE_PGM_RSRC2:USER_SGPR: 2
; COMPUTE_PGM_RSRC2:TRAP_HANDLER: 0
; COMPUTE_PGM_RSRC2:TGID_X_EN: 1
; COMPUTE_PGM_RSRC2:TGID_Y_EN: 0
; COMPUTE_PGM_RSRC2:TGID_Z_EN: 0
; COMPUTE_PGM_RSRC2:TIDIG_COMP_CNT: 0
	.section	.text._ZN7rocprim17ROCPRIM_400000_NS6detail17trampoline_kernelINS0_14default_configENS1_25partition_config_selectorILNS1_17partition_subalgoE8EiNS0_10empty_typeEbEEZZNS1_14partition_implILS5_8ELb0ES3_jPKiPS6_PKS6_NS0_5tupleIJPiS6_EEENSE_IJSB_SB_EEENS0_18inequality_wrapperIN6hipcub16HIPCUB_304000_NS8EqualityEEEPlJS6_EEE10hipError_tPvRmT3_T4_T5_T6_T7_T9_mT8_P12ihipStream_tbDpT10_ENKUlT_T0_E_clISt17integral_constantIbLb0EES17_EEDaS12_S13_EUlS12_E_NS1_11comp_targetILNS1_3genE0ELNS1_11target_archE4294967295ELNS1_3gpuE0ELNS1_3repE0EEENS1_30default_config_static_selectorELNS0_4arch9wavefront6targetE0EEEvT1_,"axG",@progbits,_ZN7rocprim17ROCPRIM_400000_NS6detail17trampoline_kernelINS0_14default_configENS1_25partition_config_selectorILNS1_17partition_subalgoE8EiNS0_10empty_typeEbEEZZNS1_14partition_implILS5_8ELb0ES3_jPKiPS6_PKS6_NS0_5tupleIJPiS6_EEENSE_IJSB_SB_EEENS0_18inequality_wrapperIN6hipcub16HIPCUB_304000_NS8EqualityEEEPlJS6_EEE10hipError_tPvRmT3_T4_T5_T6_T7_T9_mT8_P12ihipStream_tbDpT10_ENKUlT_T0_E_clISt17integral_constantIbLb0EES17_EEDaS12_S13_EUlS12_E_NS1_11comp_targetILNS1_3genE0ELNS1_11target_archE4294967295ELNS1_3gpuE0ELNS1_3repE0EEENS1_30default_config_static_selectorELNS0_4arch9wavefront6targetE0EEEvT1_,comdat
	.protected	_ZN7rocprim17ROCPRIM_400000_NS6detail17trampoline_kernelINS0_14default_configENS1_25partition_config_selectorILNS1_17partition_subalgoE8EiNS0_10empty_typeEbEEZZNS1_14partition_implILS5_8ELb0ES3_jPKiPS6_PKS6_NS0_5tupleIJPiS6_EEENSE_IJSB_SB_EEENS0_18inequality_wrapperIN6hipcub16HIPCUB_304000_NS8EqualityEEEPlJS6_EEE10hipError_tPvRmT3_T4_T5_T6_T7_T9_mT8_P12ihipStream_tbDpT10_ENKUlT_T0_E_clISt17integral_constantIbLb0EES17_EEDaS12_S13_EUlS12_E_NS1_11comp_targetILNS1_3genE0ELNS1_11target_archE4294967295ELNS1_3gpuE0ELNS1_3repE0EEENS1_30default_config_static_selectorELNS0_4arch9wavefront6targetE0EEEvT1_ ; -- Begin function _ZN7rocprim17ROCPRIM_400000_NS6detail17trampoline_kernelINS0_14default_configENS1_25partition_config_selectorILNS1_17partition_subalgoE8EiNS0_10empty_typeEbEEZZNS1_14partition_implILS5_8ELb0ES3_jPKiPS6_PKS6_NS0_5tupleIJPiS6_EEENSE_IJSB_SB_EEENS0_18inequality_wrapperIN6hipcub16HIPCUB_304000_NS8EqualityEEEPlJS6_EEE10hipError_tPvRmT3_T4_T5_T6_T7_T9_mT8_P12ihipStream_tbDpT10_ENKUlT_T0_E_clISt17integral_constantIbLb0EES17_EEDaS12_S13_EUlS12_E_NS1_11comp_targetILNS1_3genE0ELNS1_11target_archE4294967295ELNS1_3gpuE0ELNS1_3repE0EEENS1_30default_config_static_selectorELNS0_4arch9wavefront6targetE0EEEvT1_
	.globl	_ZN7rocprim17ROCPRIM_400000_NS6detail17trampoline_kernelINS0_14default_configENS1_25partition_config_selectorILNS1_17partition_subalgoE8EiNS0_10empty_typeEbEEZZNS1_14partition_implILS5_8ELb0ES3_jPKiPS6_PKS6_NS0_5tupleIJPiS6_EEENSE_IJSB_SB_EEENS0_18inequality_wrapperIN6hipcub16HIPCUB_304000_NS8EqualityEEEPlJS6_EEE10hipError_tPvRmT3_T4_T5_T6_T7_T9_mT8_P12ihipStream_tbDpT10_ENKUlT_T0_E_clISt17integral_constantIbLb0EES17_EEDaS12_S13_EUlS12_E_NS1_11comp_targetILNS1_3genE0ELNS1_11target_archE4294967295ELNS1_3gpuE0ELNS1_3repE0EEENS1_30default_config_static_selectorELNS0_4arch9wavefront6targetE0EEEvT1_
	.p2align	8
	.type	_ZN7rocprim17ROCPRIM_400000_NS6detail17trampoline_kernelINS0_14default_configENS1_25partition_config_selectorILNS1_17partition_subalgoE8EiNS0_10empty_typeEbEEZZNS1_14partition_implILS5_8ELb0ES3_jPKiPS6_PKS6_NS0_5tupleIJPiS6_EEENSE_IJSB_SB_EEENS0_18inequality_wrapperIN6hipcub16HIPCUB_304000_NS8EqualityEEEPlJS6_EEE10hipError_tPvRmT3_T4_T5_T6_T7_T9_mT8_P12ihipStream_tbDpT10_ENKUlT_T0_E_clISt17integral_constantIbLb0EES17_EEDaS12_S13_EUlS12_E_NS1_11comp_targetILNS1_3genE0ELNS1_11target_archE4294967295ELNS1_3gpuE0ELNS1_3repE0EEENS1_30default_config_static_selectorELNS0_4arch9wavefront6targetE0EEEvT1_,@function
_ZN7rocprim17ROCPRIM_400000_NS6detail17trampoline_kernelINS0_14default_configENS1_25partition_config_selectorILNS1_17partition_subalgoE8EiNS0_10empty_typeEbEEZZNS1_14partition_implILS5_8ELb0ES3_jPKiPS6_PKS6_NS0_5tupleIJPiS6_EEENSE_IJSB_SB_EEENS0_18inequality_wrapperIN6hipcub16HIPCUB_304000_NS8EqualityEEEPlJS6_EEE10hipError_tPvRmT3_T4_T5_T6_T7_T9_mT8_P12ihipStream_tbDpT10_ENKUlT_T0_E_clISt17integral_constantIbLb0EES17_EEDaS12_S13_EUlS12_E_NS1_11comp_targetILNS1_3genE0ELNS1_11target_archE4294967295ELNS1_3gpuE0ELNS1_3repE0EEENS1_30default_config_static_selectorELNS0_4arch9wavefront6targetE0EEEvT1_: ; @_ZN7rocprim17ROCPRIM_400000_NS6detail17trampoline_kernelINS0_14default_configENS1_25partition_config_selectorILNS1_17partition_subalgoE8EiNS0_10empty_typeEbEEZZNS1_14partition_implILS5_8ELb0ES3_jPKiPS6_PKS6_NS0_5tupleIJPiS6_EEENSE_IJSB_SB_EEENS0_18inequality_wrapperIN6hipcub16HIPCUB_304000_NS8EqualityEEEPlJS6_EEE10hipError_tPvRmT3_T4_T5_T6_T7_T9_mT8_P12ihipStream_tbDpT10_ENKUlT_T0_E_clISt17integral_constantIbLb0EES17_EEDaS12_S13_EUlS12_E_NS1_11comp_targetILNS1_3genE0ELNS1_11target_archE4294967295ELNS1_3gpuE0ELNS1_3repE0EEENS1_30default_config_static_selectorELNS0_4arch9wavefront6targetE0EEEvT1_
; %bb.0:
	s_clause 0x3
	s_load_b128 s[4:7], s[0:1], 0x8
	s_load_b128 s[20:23], s[0:1], 0x40
	s_load_b32 s12, s[0:1], 0x68
	s_load_b64 s[2:3], s[0:1], 0x50
	s_bfe_u32 s10, ttmp6, 0x4000c
	s_and_b32 s8, ttmp6, 15
	s_add_co_i32 s10, s10, 1
	s_mov_b32 s9, 0
	s_mul_i32 s10, ttmp9, s10
	s_getreg_b32 s13, hwreg(HW_REG_IB_STS2, 6, 4)
	s_add_co_i32 s14, s8, s10
	v_mov_b32_e32 v14, v0
	s_wait_kmcnt 0x0
	s_lshl_b64 s[10:11], s[6:7], 2
	s_load_b64 s[22:23], s[22:23], 0x0
	s_mul_i32 s8, s12, 0x1600
	s_cmp_eq_u32 s13, 0
	s_add_nc_u64 s[10:11], s[4:5], s[10:11]
	s_add_nc_u64 s[4:5], s[6:7], s[8:9]
	s_cselect_b32 s26, ttmp9, s14
	s_add_co_i32 s8, s8, s6
	v_cmp_le_u64_e64 s3, s[2:3], s[4:5]
	s_add_co_i32 s12, s12, -1
	s_sub_co_i32 s27, s2, s8
	s_cmp_eq_u32 s26, s12
	s_mul_i32 s8, s26, 0x1600
	s_cselect_b32 s24, -1, 0
	s_mov_b32 s4, -1
	s_and_b32 s28, s24, s3
	s_lshl_b64 s[2:3], s[8:9], 2
	s_xor_b32 s25, s28, -1
	s_add_nc_u64 s[2:3], s[10:11], s[2:3]
	s_and_b32 vcc_lo, exec_lo, s25
	s_cbranch_vccz .LBB410_2
; %bb.1:
	s_clause 0xa
	global_load_b32 v1, v0, s[2:3] scale_offset
	global_load_b32 v2, v0, s[2:3] offset:2048 scale_offset
	global_load_b32 v3, v0, s[2:3] offset:4096 scale_offset
	;; [unrolled: 1-line block ×10, first 2 shown]
	v_lshlrev_b32_e32 v12, 2, v0
	s_mov_b32 s4, 0
	s_wait_loadcnt 0x9
	ds_store_2addr_stride64_b32 v12, v1, v2 offset1:8
	s_wait_loadcnt 0x7
	ds_store_2addr_stride64_b32 v12, v3, v4 offset0:16 offset1:24
	s_wait_loadcnt 0x5
	ds_store_2addr_stride64_b32 v12, v5, v6 offset0:32 offset1:40
	;; [unrolled: 2-line block ×4, first 2 shown]
	s_wait_loadcnt 0x0
	ds_store_b32 v12, v11 offset:20480
	s_wait_dscnt 0x0
	s_barrier_signal -1
	s_barrier_wait -1
.LBB410_2:
	s_and_not1_b32 vcc_lo, exec_lo, s4
	s_addk_co_i32 s27, 0x1600
	s_cbranch_vccnz .LBB410_26
; %bb.3:
	v_mov_b32_e32 v2, 0
	s_mov_b32 s4, exec_lo
	s_delay_alu instid0(VALU_DEP_1)
	v_dual_mov_b32 v3, v2 :: v_dual_mov_b32 v4, v2
	v_dual_mov_b32 v5, v2 :: v_dual_mov_b32 v6, v2
	;; [unrolled: 1-line block ×5, first 2 shown]
	v_cmpx_gt_u32_e64 s27, v0
	s_cbranch_execz .LBB410_5
; %bb.4:
	global_load_b32 v16, v0, s[2:3] scale_offset
	v_dual_mov_b32 v17, v2 :: v_dual_mov_b32 v18, v2
	v_dual_mov_b32 v19, v2 :: v_dual_mov_b32 v20, v2
	;; [unrolled: 1-line block ×5, first 2 shown]
	s_wait_loadcnt 0x0
	v_dual_mov_b32 v2, v16 :: v_dual_mov_b32 v3, v17
	v_dual_mov_b32 v4, v18 :: v_dual_mov_b32 v5, v19
	;; [unrolled: 1-line block ×5, first 2 shown]
	v_mov_b32_e32 v12, v26
.LBB410_5:
	s_or_b32 exec_lo, exec_lo, s4
	v_or_b32_e32 v1, 0x200, v0
	s_mov_b32 s4, exec_lo
	s_delay_alu instid0(VALU_DEP_1)
	v_cmpx_gt_u32_e64 s27, v1
	s_cbranch_execz .LBB410_7
; %bb.6:
	global_load_b32 v3, v0, s[2:3] offset:2048 scale_offset
.LBB410_7:
	s_wait_xcnt 0x0
	s_or_b32 exec_lo, exec_lo, s4
	v_or_b32_e32 v1, 0x400, v0
	s_mov_b32 s4, exec_lo
	s_delay_alu instid0(VALU_DEP_1)
	v_cmpx_gt_u32_e64 s27, v1
	s_cbranch_execz .LBB410_9
; %bb.8:
	global_load_b32 v4, v0, s[2:3] offset:4096 scale_offset
.LBB410_9:
	s_wait_xcnt 0x0
	;; [unrolled: 10-line block ×10, first 2 shown]
	s_or_b32 exec_lo, exec_lo, s4
	v_lshlrev_b32_e32 v1, 2, v0
	s_wait_loadcnt 0x0
	ds_store_2addr_stride64_b32 v1, v2, v3 offset1:8
	ds_store_2addr_stride64_b32 v1, v4, v5 offset0:16 offset1:24
	ds_store_2addr_stride64_b32 v1, v6, v7 offset0:32 offset1:40
	;; [unrolled: 1-line block ×4, first 2 shown]
	ds_store_b32 v1, v12 offset:20480
	s_wait_dscnt 0x0
	s_barrier_signal -1
	s_barrier_wait -1
.LBB410_26:
	v_mul_u32_u24_e32 v6, 11, v0
	s_cmp_lg_u32 s26, 0
	s_mov_b32 s18, 0
	s_cselect_b32 s29, -1, 0
	s_delay_alu instid0(VALU_DEP_1)
	v_lshlrev_b32_e32 v1, 2, v6
	s_cmp_lg_u64 s[6:7], 0
	ds_load_2addr_b32 v[22:23], v1 offset0:2 offset1:3
	ds_load_2addr_b32 v[24:25], v1 offset1:1
	ds_load_2addr_b32 v[12:13], v1 offset0:3 offset1:4
	ds_load_2addr_b32 v[2:3], v1 offset0:1 offset1:2
	;; [unrolled: 1-line block ×5, first 2 shown]
	s_cselect_b32 s4, -1, 0
	s_wait_dscnt 0x0
	s_or_b32 s4, s29, s4
	s_barrier_signal -1
	s_and_b32 vcc_lo, exec_lo, s4
	s_barrier_wait -1
	s_cbranch_vccz .LBB410_31
; %bb.27:
	s_add_nc_u64 s[2:3], s[2:3], -4
	v_lshlrev_b32_e32 v10, 2, v0
	s_load_b32 s3, s[2:3], 0x0
	s_and_b32 vcc_lo, exec_lo, s25
	ds_store_b32 v10, v17
	s_cbranch_vccz .LBB410_33
; %bb.28:
	s_wait_kmcnt 0x0
	v_mov_b32_e32 v4, s3
	s_mov_b32 s4, 0
	s_mov_b32 s2, exec_lo
	s_wait_dscnt 0x0
	s_barrier_signal -1
	s_barrier_wait -1
	v_cmpx_ne_u32_e32 0, v0
; %bb.29:
	v_add_nc_u32_e32 v4, -4, v10
	ds_load_b32 v4, v4
; %bb.30:
	s_or_b32 exec_lo, exec_lo, s2
	v_cmp_ne_u32_e32 vcc_lo, v23, v22
	s_wait_dscnt 0x0
	v_cmp_ne_u32_e64 s2, v4, v24
	v_cndmask_b32_e64 v5, 0, 1, vcc_lo
	v_cmp_ne_u32_e32 vcc_lo, v20, v13
	s_delay_alu instid0(VALU_DEP_2) | instskip(SKIP_2) | instid1(VALU_DEP_2)
	v_lshlrev_b16 v5, 8, v5
	v_cndmask_b32_e64 v7, 0, 1, vcc_lo
	v_cmp_ne_u32_e32 vcc_lo, v25, v24
	v_lshlrev_b16 v7, 8, v7
	v_cndmask_b32_e64 v8, 0, 1, vcc_lo
	v_cmp_ne_u32_e32 vcc_lo, v18, v21
	s_delay_alu instid0(VALU_DEP_3) | instskip(NEXT) | instid1(VALU_DEP_3)
	v_dual_lshrrev_b32 v5, 8, v5 :: v_dual_lshrrev_b32 v11, 8, v7
	v_lshlrev_b16 v8, 8, v8
	v_cndmask_b32_e64 v9, 0, 1, vcc_lo
	v_cmp_ne_u32_e32 vcc_lo, v16, v17
	s_delay_alu instid0(VALU_DEP_4) | instskip(SKIP_1) | instid1(VALU_DEP_4)
	v_lshlrev_b16 v5, 8, v5
	v_lshlrev_b16 v11, 8, v11
	;; [unrolled: 1-line block ×3, first 2 shown]
	v_cndmask_b32_e64 v7, 0, 1, vcc_lo
	v_cmp_ne_u32_e32 vcc_lo, v25, v22
	s_delay_alu instid0(VALU_DEP_2) | instskip(SKIP_2) | instid1(VALU_DEP_2)
	v_lshlrev_b16 v28, 8, v7
	v_cndmask_b32_e64 v15, 0, 1, vcc_lo
	v_cmp_ne_u32_e32 vcc_lo, v23, v13
	v_dual_lshrrev_b32 v8, 8, v8 :: v_dual_bitop2_b32 v5, v15, v5 bitop3:0x54
	v_cndmask_b32_e64 v26, 0, 1, vcc_lo
	v_cmp_ne_u32_e32 vcc_lo, v20, v21
	s_delay_alu instid0(VALU_DEP_3) | instskip(NEXT) | instid1(VALU_DEP_3)
	v_lshlrev_b16 v8, 8, v8
	v_dual_lshlrev_b32 v5, 16, v5 :: v_dual_bitop2_b32 v11, v26, v11 bitop3:0x54
	v_cndmask_b32_e64 v27, 0, 1, vcc_lo
	v_cmp_ne_u32_e32 vcc_lo, v16, v19
	s_delay_alu instid0(VALU_DEP_4) | instskip(NEXT) | instid1(VALU_DEP_4)
	v_and_b32_e32 v26, 0xffff, v8
	v_and_b32_e32 v11, 0xffff, v11
	s_delay_alu instid0(VALU_DEP_4) | instskip(SKIP_3) | instid1(VALU_DEP_3)
	v_or_b32_e32 v9, v27, v9
	v_cndmask_b32_e64 v15, 0, 1, vcc_lo
	v_cmp_ne_u32_e32 vcc_lo, v18, v19
	v_or_b32_e32 v4, v26, v5
	v_dual_lshlrev_b32 v27, 16, v9 :: v_dual_bitop2_b32 v9, v15, v28 bitop3:0x54
	v_cndmask_b32_e64 v8, 0, 1, vcc_lo
	s_delay_alu instid0(VALU_DEP_2)
	v_or_b32_e32 v5, v11, v27
	s_and_b32 vcc_lo, exec_lo, s4
	s_cbranch_vccnz .LBB410_34
	s_branch .LBB410_37
.LBB410_31:
                                        ; implicit-def: $sgpr2
                                        ; implicit-def: $vgpr7
                                        ; implicit-def: $vgpr9
                                        ; implicit-def: $vgpr8
                                        ; implicit-def: $vgpr5
	s_branch .LBB410_38
.LBB410_32:
                                        ; implicit-def: $vgpr26
                                        ; implicit-def: $vgpr37
                                        ; implicit-def: $vgpr35
                                        ; implicit-def: $vgpr28
                                        ; implicit-def: $vgpr36
                                        ; implicit-def: $vgpr34
                                        ; implicit-def: $vgpr33
                                        ; implicit-def: $vgpr15
                                        ; implicit-def: $vgpr29
                                        ; implicit-def: $vgpr1
	s_branch .LBB410_46
.LBB410_33:
                                        ; implicit-def: $sgpr2
                                        ; implicit-def: $vgpr7
                                        ; implicit-def: $vgpr9
                                        ; implicit-def: $vgpr8
                                        ; implicit-def: $vgpr5
	s_cbranch_execz .LBB410_37
.LBB410_34:
	s_wait_kmcnt 0x0
	v_mov_b32_e32 v4, s3
	s_mov_b32 s2, exec_lo
	s_wait_dscnt 0x0
	s_barrier_signal -1
	s_barrier_wait -1
	v_cmpx_ne_u32_e32 0, v0
; %bb.35:
	v_add_nc_u32_e32 v4, -4, v10
	ds_load_b32 v4, v4
; %bb.36:
	s_or_b32 exec_lo, exec_lo, s2
	v_dual_add_nc_u32 v5, 10, v6 :: v_dual_add_nc_u32 v7, 9, v6
	v_add_nc_u32_e32 v8, 8, v6
	v_cmp_ne_u32_e64 s17, v23, v22
	v_cmp_ne_u32_e64 s11, v20, v13
	s_delay_alu instid0(VALU_DEP_4)
	v_cmp_gt_u32_e64 s2, s27, v5
	v_add_nc_u32_e32 v5, 7, v6
	v_cmp_gt_u32_e64 s3, s27, v7
	v_add_nc_u32_e32 v7, 5, v6
	;; [unrolled: 2-line block ×6, first 2 shown]
	v_cmp_gt_u32_e64 s13, s27, v5
	v_cmp_ne_u32_e64 s15, v25, v24
	v_cmp_gt_u32_e64 s14, s27, v7
	s_and_b32 s9, s9, s11
	v_add_nc_u32_e32 v5, 2, v6
	s_and_b32 s13, s13, s17
	v_cmp_gt_u32_e64 s16, s27, v8
	v_cndmask_b32_e64 v7, 0, 1, s13
	v_cndmask_b32_e64 v8, 0, 1, s9
	v_cmp_ne_u32_e32 vcc_lo, v16, v17
	v_cmp_ne_u32_e64 s8, v18, v21
	s_and_b32 s14, s14, s15
	v_cmp_gt_u32_e64 s19, s27, v5
	v_cmp_ne_u32_e64 s13, v25, v22
	v_lshlrev_b16 v7, 8, v7
	v_cndmask_b32_e64 v5, 0, 1, s14
	v_lshlrev_b16 v10, 8, v8
	v_cmp_ne_u32_e64 s18, v23, v13
	s_and_b32 s2, s2, vcc_lo
	v_cmp_ne_u32_e64 s12, v20, v21
	s_and_b32 s6, s6, s8
	v_dual_lshrrev_b32 v11, 8, v7 :: v_dual_lshrrev_b32 v10, 8, v10
	v_cndmask_b32_e64 v7, 0, 1, s2
	s_and_b32 s2, s19, s13
	v_lshlrev_b16 v5, 8, v5
	v_cndmask_b32_e64 v9, 0, 1, s6
	v_cndmask_b32_e64 v15, 0, 1, s2
	s_and_b32 s2, s16, s18
	v_lshlrev_b16 v11, 8, v11
	v_cndmask_b32_e64 v26, 0, 1, s2
	s_and_b32 s2, s10, s12
	v_lshlrev_b16 v9, 8, v9
	s_delay_alu instid0(VALU_DEP_3) | instskip(SKIP_3) | instid1(VALU_DEP_4)
	v_dual_lshrrev_b32 v5, 8, v5 :: v_dual_bitop2_b32 v11, v15, v11 bitop3:0x54
	v_lshlrev_b16 v10, 8, v10
	v_cndmask_b32_e64 v27, 0, 1, s2
	v_cmp_ne_u32_e64 s4, v16, v19
	v_lshlrev_b16 v5, 8, v5
	v_cmp_ne_u32_e64 s7, v18, v19
	v_dual_lshlrev_b32 v11, 16, v11 :: v_dual_bitop2_b32 v10, v26, v10 bitop3:0x54
	v_or_b32_e32 v9, v27, v9
	s_and_b32 s2, s3, s4
	v_lshlrev_b16 v28, 8, v7
	v_cndmask_b32_e64 v15, 0, 1, s2
	v_and_b32_e32 v5, 0xffff, v5
	v_and_b32_e32 v10, 0xffff, v10
	v_lshlrev_b32_e32 v26, 16, v9
	s_and_b32 s5, s5, s7
	v_cmp_gt_u32_e32 vcc_lo, s27, v6
	s_wait_dscnt 0x0
	v_cmp_ne_u32_e64 s2, v4, v24
	v_cndmask_b32_e64 v8, 0, 1, s5
	v_or_b32_e32 v9, v15, v28
	v_or_b32_e32 v4, v5, v11
	;; [unrolled: 1-line block ×3, first 2 shown]
	s_and_b32 s2, vcc_lo, s2
.LBB410_37:
	s_wait_kmcnt 0x0
	s_mov_b32 s18, -1
	s_cbranch_execnz .LBB410_32
.LBB410_38:
	v_mad_i32_i24 v10, 0xffffffd8, v0, v1
	v_cmp_ne_u32_e64 s2, v16, v17
	v_cmp_ne_u32_e64 s3, v18, v19
	;; [unrolled: 1-line block ×4, first 2 shown]
	s_and_b32 vcc_lo, exec_lo, s25
	ds_store_b32 v10, v17
	s_cbranch_vccz .LBB410_42
; %bb.39:
	v_cmp_ne_u32_e32 vcc_lo, v25, v22
	v_cndmask_b32_e64 v27, 0, 1, s5
	v_cndmask_b32_e64 v34, 0, 1, s4
	;; [unrolled: 1-line block ×4, first 2 shown]
	v_cndmask_b32_e64 v35, 0, 1, vcc_lo
	v_cmp_ne_u32_e32 vcc_lo, v25, v24
	v_lshlrev_b16 v29, 8, v27
	v_lshlrev_b16 v31, 8, v34
	;; [unrolled: 1-line block ×4, first 2 shown]
	v_cndmask_b32_e64 v28, 0, 1, vcc_lo
	v_cmp_ne_u32_e32 vcc_lo, v23, v22
	v_lshlrev_b16 v39, 8, v1
	v_mov_b32_e32 v26, 1
	s_mov_b32 s3, 0
	s_mov_b32 s4, exec_lo
	v_cndmask_b32_e64 v30, 0, 1, vcc_lo
	v_cmp_ne_u32_e32 vcc_lo, v20, v13
	s_wait_dscnt 0x0
	s_barrier_signal -1
	s_barrier_wait -1
	v_cndmask_b32_e64 v32, 0, 1, vcc_lo
	v_cmp_ne_u32_e32 vcc_lo, v18, v21
                                        ; implicit-def: $sgpr2
                                        ; implicit-def: $vgpr7
                                        ; implicit-def: $vgpr9
                                        ; implicit-def: $vgpr8
                                        ; implicit-def: $vgpr5
	v_cndmask_b32_e64 v38, 0, 1, vcc_lo
	v_cmp_ne_u32_e32 vcc_lo, v16, v19
	v_cndmask_b32_e64 v40, 0, 1, vcc_lo
	v_cmpx_ne_u32_e32 0, v0
	s_xor_b32 s4, exec_lo, s4
	s_cbranch_execz .LBB410_41
; %bb.40:
	s_delay_alu instid0(VALU_DEP_2) | instskip(SKIP_3) | instid1(VALU_DEP_4)
	v_lshlrev_b16 v5, 8, v40
	v_lshlrev_b16 v4, 8, v32
	;; [unrolled: 1-line block ×4, first 2 shown]
	v_dual_add_nc_u32 v9, -4, v10 :: v_dual_lshrrev_b32 v5, 8, v5
	s_delay_alu instid0(VALU_DEP_3)
	v_dual_lshrrev_b32 v4, 8, v4 :: v_dual_lshrrev_b32 v7, 8, v7
	v_lshlrev_b16 v36, 8, v38
	ds_load_b32 v9, v9
	v_lshlrev_b16 v5, 8, v5
	v_lshrrev_b32_e32 v8, 8, v8
	v_lshlrev_b16 v4, 8, v4
	v_lshlrev_b16 v7, 8, v7
	v_or_b32_e32 v36, v34, v36
	v_or_b32_e32 v5, v15, v5
	v_lshlrev_b16 v8, 8, v8
	s_or_b32 s18, s18, exec_lo
	s_delay_alu instid0(VALU_DEP_3) | instskip(SKIP_1) | instid1(VALU_DEP_3)
	v_dual_lshlrev_b32 v36, 16, v36 :: v_dual_bitop2_b32 v7, v35, v7 bitop3:0x54
	v_or_b32_e32 v4, v27, v4
	v_or_b32_e32 v8, 1, v8
	v_and_b32_e32 v5, 0xffff, v5
	s_delay_alu instid0(VALU_DEP_4) | instskip(NEXT) | instid1(VALU_DEP_4)
	v_lshlrev_b32_e32 v7, 16, v7
	v_and_b32_e32 v4, 0xffff, v4
	s_delay_alu instid0(VALU_DEP_4) | instskip(NEXT) | instid1(VALU_DEP_4)
	v_and_b32_e32 v37, 0xffff, v8
	v_lshl_or_b32 v8, v1, 16, v5
	s_wait_dscnt 0x0
	v_cmp_ne_u32_e64 s2, v9, v24
	v_or_b32_e32 v5, v4, v36
	s_delay_alu instid0(VALU_DEP_3)
	v_dual_lshrrev_b32 v9, 8, v8 :: v_dual_bitop2_b32 v4, v37, v7 bitop3:0x54
	v_lshrrev_b32_e32 v7, 16, v8
.LBB410_41:
	s_or_b32 exec_lo, exec_lo, s4
	v_or_b32_e32 v37, v28, v11
	v_or_b32_e32 v28, v30, v29
	;; [unrolled: 1-line block ×5, first 2 shown]
	s_and_b32 vcc_lo, exec_lo, s3
	s_cbranch_vccnz .LBB410_43
	s_branch .LBB410_46
.LBB410_42:
                                        ; implicit-def: $sgpr2
                                        ; implicit-def: $vgpr7
                                        ; implicit-def: $vgpr9
                                        ; implicit-def: $vgpr8
                                        ; implicit-def: $vgpr5
                                        ; implicit-def: $vgpr26
                                        ; implicit-def: $vgpr37
                                        ; implicit-def: $vgpr35
                                        ; implicit-def: $vgpr28
                                        ; implicit-def: $vgpr36
                                        ; implicit-def: $vgpr34
                                        ; implicit-def: $vgpr33
                                        ; implicit-def: $vgpr15
                                        ; implicit-def: $vgpr29
                                        ; implicit-def: $vgpr1
	s_cbranch_execz .LBB410_46
.LBB410_43:
	v_dual_add_nc_u32 v1, 10, v6 :: v_dual_add_nc_u32 v4, 9, v6
	v_add_nc_u32_e32 v5, 6, v6
	v_cmp_ne_u32_e64 s13, v23, v13
	v_cmp_ne_u32_e64 s11, v18, v19
	s_delay_alu instid0(VALU_DEP_4) | instskip(SKIP_4) | instid1(VALU_DEP_4)
	v_cmp_gt_u32_e64 s2, s27, v1
	v_add_nc_u32_e32 v1, 5, v6
	v_cmp_gt_u32_e64 s3, s27, v4
	v_dual_add_nc_u32 v4, 8, v6 :: v_dual_add_nc_u32 v7, 7, v6
	v_cmp_gt_u32_e64 s5, s27, v5
	v_cmp_gt_u32_e64 s6, s27, v1
	v_dual_add_nc_u32 v1, 4, v6 :: v_dual_add_nc_u32 v5, 3, v6
	s_delay_alu instid0(VALU_DEP_4) | instskip(SKIP_2) | instid1(VALU_DEP_4)
	v_cmp_gt_u32_e64 s7, s27, v4
	v_add_nc_u32_e32 v4, 2, v6
	v_cmp_ne_u32_e64 s9, v20, v21
	v_cmp_gt_u32_e64 s14, s27, v1
	v_cmp_gt_u32_e64 s8, s27, v7
	v_cmp_ne_u32_e64 s12, v21, v18
	v_add_nc_u32_e32 v1, 1, v6
	v_cmp_ne_u32_e64 s15, v25, v3
	s_and_b32 s13, s14, s13
	v_cmp_gt_u32_e64 s17, s27, v4
	v_cndmask_b32_e64 v4, 0, 1, s13
	v_cmp_ne_u32_e64 s13, v22, v12
	v_cmp_gt_u32_e64 s14, s27, v5
	s_and_b32 s7, s7, s11
	s_and_b32 s5, s5, s9
	v_cndmask_b32_e64 v35, 0, 1, s7
	s_and_b32 s15, s17, s15
	s_and_b32 s7, s14, s13
	v_cndmask_b32_e64 v36, 0, 1, s5
	s_and_b32 s5, s8, s12
	v_cndmask_b32_e64 v32, 0, 1, s15
	v_lshlrev_b16 v3, 8, v4
	v_cndmask_b32_e64 v38, 0, 1, s7
	v_lshlrev_b16 v5, 8, v35
	v_cndmask_b32_e64 v37, 0, 1, s5
	v_cmp_ne_u32_e32 vcc_lo, v16, v17
	v_cmp_ne_u32_e64 s16, v24, v2
	v_lshlrev_b16 v2, 8, v32
	v_cmp_ne_u32_e64 s10, v13, v20
	v_or_b32_e32 v33, v37, v5
	v_or_b32_e32 v28, v38, v3
	v_lshlrev_b16 v3, 8, v36
	v_cmp_ne_u32_e64 s4, v19, v16
	v_cmp_gt_u32_e64 s5, s27, v1
	s_and_b32 s2, s2, vcc_lo
	v_and_b32_e32 v5, 0xffff, v2
	v_dual_lshlrev_b32 v15, 16, v33 :: v_dual_lshlrev_b32 v11, 16, v28
	v_and_b32_e32 v7, 0xffff, v3
	v_cndmask_b32_e64 v1, 0, 1, s2
	s_and_b32 s2, s6, s10
	s_and_b32 s5, s5, s16
	v_cndmask_b32_e64 v27, 0, 1, s2
	s_and_b32 s2, s3, s4
	v_cndmask_b32_e64 v12, 0, 1, s5
	v_dual_mov_b32 v26, 1 :: v_dual_bitop2_b32 v30, v5, v11 bitop3:0x54
	v_or_b32_e32 v31, v7, v15
	v_lshlrev_b16 v29, 8, v1
	v_cndmask_b32_e64 v34, 0, 1, s2
	s_mov_b32 s3, exec_lo
	s_wait_dscnt 0x0
	s_barrier_signal -1
	s_barrier_wait -1
                                        ; implicit-def: $sgpr2
                                        ; implicit-def: $vgpr7
                                        ; implicit-def: $vgpr9
                                        ; implicit-def: $vgpr8
                                        ; implicit-def: $vgpr5
	v_cmpx_ne_u32_e32 0, v0
	s_cbranch_execz .LBB410_45
; %bb.44:
	v_lshlrev_b16 v5, 8, v34
	v_lshlrev_b16 v7, 8, v27
	;; [unrolled: 1-line block ×3, first 2 shown]
	v_add_nc_u32_e32 v9, -4, v10
	v_lshlrev_b16 v10, 8, v12
	s_delay_alu instid0(VALU_DEP_4) | instskip(NEXT) | instid1(VALU_DEP_4)
	v_dual_lshrrev_b32 v5, 8, v5 :: v_dual_lshrrev_b32 v7, 8, v7
	v_lshrrev_b32_e32 v8, 8, v8
	ds_load_b32 v9, v9
	v_lshlrev_b16 v37, 8, v37
	v_lshlrev_b16 v5, 8, v5
	v_lshrrev_b32_e32 v10, 8, v10
	v_lshlrev_b16 v7, 8, v7
	v_lshlrev_b16 v8, 8, v8
	v_cmp_gt_u32_e32 vcc_lo, s27, v6
	v_or_b32_e32 v5, v35, v5
	v_lshlrev_b16 v10, 8, v10
	v_or_b32_e32 v4, v4, v7
	v_or_b32_e32 v7, v32, v8
	;; [unrolled: 1-line block ×3, first 2 shown]
	v_and_b32_e32 v5, 0xffff, v5
	v_or_b32_e32 v8, 1, v10
	s_or_b32 s18, s18, exec_lo
	v_lshlrev_b32_e32 v7, 16, v7
	v_lshlrev_b32_e32 v10, 16, v35
	s_delay_alu instid0(VALU_DEP_3) | instskip(SKIP_3) | instid1(VALU_DEP_2)
	v_and_b32_e32 v32, 0xffff, v8
	v_lshl_or_b32 v8, v1, 16, v5
	s_wait_dscnt 0x0
	v_cmp_ne_u32_e64 s2, v9, v24
	v_lshrrev_b32_e32 v9, 8, v8
	v_and_b32_e32 v4, 0xffff, v4
	s_and_b32 s2, vcc_lo, s2
	s_delay_alu instid0(VALU_DEP_1)
	v_or_b32_e32 v5, v4, v10
	v_dual_lshrrev_b32 v7, 16, v8 :: v_dual_bitop2_b32 v4, v32, v7 bitop3:0x54
.LBB410_45:
	s_or_b32 exec_lo, exec_lo, s3
	v_dual_lshrrev_b32 v15, 24, v15 :: v_dual_bitop2_b32 v37, v12, v2 bitop3:0x54
	v_dual_lshrrev_b32 v35, 8, v30 :: v_dual_bitop2_b32 v36, v27, v3 bitop3:0x54
	;; [unrolled: 1-line block ×3, first 2 shown]
	v_lshrrev_b32_e32 v34, 8, v31
.LBB410_46:
	s_and_saveexec_b32 s3, s18
	s_cbranch_execz .LBB410_48
; %bb.47:
	v_lshrrev_b64 v[28:29], 24, v[4:5]
	v_dual_lshrrev_b32 v36, 8, v5 :: v_dual_lshrrev_b32 v34, 16, v5
	v_dual_lshrrev_b32 v33, 24, v5 :: v_dual_lshrrev_b32 v35, 16, v4
	v_dual_lshrrev_b32 v37, 8, v4 :: v_dual_mov_b32 v27, v5
	v_cndmask_b32_e64 v26, 0, 1, s2
	v_dual_mov_b32 v15, v8 :: v_dual_mov_b32 v29, v9
	v_mov_b32_e32 v1, v7
.LBB410_48:
	s_or_b32 exec_lo, exec_lo, s3
	s_load_b64 s[10:11], s[0:1], 0x60
	s_and_not1_b32 vcc_lo, exec_lo, s28
	s_cbranch_vccnz .LBB410_52
; %bb.49:
	v_perm_b32 v2, v26, v37, 0xc0c0004
	v_perm_b32 v3, v35, v28, 0xc0c0004
	v_cmp_gt_u32_e32 vcc_lo, s27, v6
	v_dual_add_nc_u32 v4, 1, v6 :: v_dual_add_nc_u32 v5, 2, v6
	v_perm_b32 v7, v27, v36, 0xc0c0004
	s_delay_alu instid0(VALU_DEP_4) | instskip(SKIP_2) | instid1(VALU_DEP_3)
	v_lshl_or_b32 v2, v3, 16, v2
	v_and_b32_e32 v1, 0xff, v1
	v_perm_b32 v9, v15, v29, 0xc0c0004
	v_cndmask_b32_e32 v3, 0, v2, vcc_lo
	v_cmp_gt_u32_e32 vcc_lo, s27, v4
	v_perm_b32 v4, v34, v33, 0xc0c0004
	s_delay_alu instid0(VALU_DEP_1) | instskip(NEXT) | instid1(VALU_DEP_4)
	v_dual_lshlrev_b32 v1, 16, v1 :: v_dual_lshlrev_b32 v4, 16, v4
	v_and_b32_e32 v3, 0xff, v3
	s_delay_alu instid0(VALU_DEP_2) | instskip(NEXT) | instid1(VALU_DEP_3)
	v_or_b32_e32 v9, v9, v1
	v_or_b32_e32 v8, v7, v4
	v_bitop3_b32 v4, v7, 0xffffff00, v4 bitop3:0xc8
	s_delay_alu instid0(VALU_DEP_4) | instskip(SKIP_2) | instid1(VALU_DEP_3)
	v_cndmask_b32_e32 v3, v3, v2, vcc_lo
	v_cmp_gt_u32_e32 vcc_lo, s27, v5
	v_dual_add_nc_u32 v5, 4, v6 :: v_dual_add_nc_u32 v7, 3, v6
	v_and_b32_e32 v3, 0xffff, v3
	s_delay_alu instid0(VALU_DEP_2) | instskip(SKIP_1) | instid1(VALU_DEP_3)
	v_cmp_gt_u32_e64 s2, s27, v7
	v_lshlrev_b16 v7, 8, v29
	v_cndmask_b32_e32 v3, v3, v2, vcc_lo
	v_cmp_gt_u32_e32 vcc_lo, s27, v5
	v_add_nc_u32_e32 v5, 5, v6
	s_delay_alu instid0(VALU_DEP_3) | instskip(SKIP_1) | instid1(VALU_DEP_1)
	v_and_b32_e32 v3, 0xffffff, v3
	v_cndmask_b32_e32 v4, v4, v8, vcc_lo
	v_and_b32_e32 v4, 0xffff00ff, v4
	s_delay_alu instid0(VALU_DEP_3) | instskip(NEXT) | instid1(VALU_DEP_1)
	v_cndmask_b32_e64 v3, v3, v2, s2
	v_cndmask_b32_e32 v3, v3, v2, vcc_lo
	v_cmp_gt_u32_e32 vcc_lo, s27, v5
	v_and_b32_e32 v5, 0xffff, v7
	v_dual_cndmask_b32 v4, v4, v8 :: v_dual_add_nc_u32 v7, 8, v6
	s_delay_alu instid0(VALU_DEP_2) | instskip(SKIP_1) | instid1(VALU_DEP_3)
	v_dual_add_nc_u32 v5, 6, v6 :: v_dual_bitop2_b32 v1, v5, v1 bitop3:0x54
	v_cndmask_b32_e32 v3, v3, v2, vcc_lo
	v_cmp_gt_u32_e32 vcc_lo, s27, v7
	s_delay_alu instid0(VALU_DEP_4) | instskip(SKIP_3) | instid1(VALU_DEP_3)
	v_and_b32_e32 v4, 0xff00ffff, v4
	v_add_nc_u32_e32 v7, 9, v6
	v_cmp_gt_u32_e64 s2, s27, v5
	v_dual_cndmask_b32 v1, v1, v9 :: v_dual_add_nc_u32 v10, 7, v6
	v_cmp_gt_u32_e64 s3, s27, v7
	s_delay_alu instid0(VALU_DEP_3) | instskip(NEXT) | instid1(VALU_DEP_3)
	v_cndmask_b32_e64 v4, v4, v8, s2
	v_cmp_gt_u32_e64 s4, s27, v10
	s_delay_alu instid0(VALU_DEP_4) | instskip(NEXT) | instid1(VALU_DEP_3)
	v_and_b32_e32 v1, 0xffff00ff, v1
	v_and_b32_e32 v4, 0xffffff, v4
	s_delay_alu instid0(VALU_DEP_2) | instskip(SKIP_1) | instid1(SALU_CYCLE_1)
	v_cndmask_b32_e64 v15, v1, v9, s3
	s_or_b32 s3, s3, vcc_lo
	s_or_b32 vcc_lo, s3, s4
	s_delay_alu instid0(VALU_DEP_2) | instskip(SKIP_2) | instid1(VALU_DEP_2)
	v_cndmask_b32_e32 v27, v4, v8, vcc_lo
	s_or_b32 vcc_lo, vcc_lo, s2
	v_dual_cndmask_b32 v26, v3, v2 :: v_dual_lshrrev_b32 v1, 16, v15
	v_dual_add_nc_u32 v2, 10, v6 :: v_dual_lshrrev_b32 v34, 16, v27
	v_dual_lshrrev_b32 v33, 24, v27 :: v_dual_lshrrev_b32 v36, 8, v27
	s_delay_alu instid0(VALU_DEP_3)
	v_lshrrev_b64 v[28:29], 24, v[26:27]
	v_dual_lshrrev_b32 v35, 16, v26 :: v_dual_lshrrev_b32 v37, 8, v26
	v_lshrrev_b32_e32 v29, 8, v15
	s_mov_b32 s2, exec_lo
	v_cmpx_le_u32_e64 s27, v2
; %bb.50:
	v_mov_b32_e32 v1, 0
; %bb.51:
	s_or_b32 exec_lo, exec_lo, s2
.LBB410_52:
	v_and_b32_e32 v38, 0xff, v26
	v_and_b32_e32 v39, 0xff, v37
	;; [unrolled: 1-line block ×7, first 2 shown]
	v_add3_u32 v2, v39, v38, v40
	v_and_b32_e32 v45, 0xff, v33
	v_mbcnt_lo_u32_b32 v48, -1, 0
	v_and_b32_e32 v46, 0xff, v15
	v_and_b32_e32 v47, 0xff, v29
	v_add3_u32 v2, v2, v41, v42
	v_and_b32_e32 v4, 0xff, v1
	v_and_b32_e32 v3, 15, v48
	v_dual_lshrrev_b32 v49, 5, v0 :: v_dual_bitop2_b32 v5, 31, v0 bitop3:0x54
	s_delay_alu instid0(VALU_DEP_4) | instskip(SKIP_1) | instid1(VALU_DEP_4)
	v_add3_u32 v2, v2, v43, v44
	v_and_b32_e32 v6, 16, v48
	v_cmp_eq_u32_e64 s5, 0, v3
	v_cmp_lt_u32_e64 s4, 1, v3
	v_cmp_lt_u32_e64 s3, 3, v3
	v_add3_u32 v2, v2, v45, v46
	v_cmp_lt_u32_e64 s2, 7, v3
	v_cmp_eq_u32_e64 s7, 0, v6
	v_cmp_eq_u32_e64 s6, v0, v5
	s_and_b32 vcc_lo, exec_lo, s29
	v_add3_u32 v50, v2, v47, v4
	s_mov_b32 s8, -1
	s_wait_dscnt 0x0
	s_barrier_signal -1
	s_barrier_wait -1
	s_cbranch_vccz .LBB410_74
; %bb.53:
	v_mov_b32_dpp v2, v50 row_shr:1 row_mask:0xf bank_mask:0xf
	s_delay_alu instid0(VALU_DEP_1) | instskip(NEXT) | instid1(VALU_DEP_1)
	v_cndmask_b32_e64 v2, v2, 0, s5
	v_add_nc_u32_e32 v2, v2, v50
	s_delay_alu instid0(VALU_DEP_1) | instskip(NEXT) | instid1(VALU_DEP_1)
	v_mov_b32_dpp v3, v2 row_shr:2 row_mask:0xf bank_mask:0xf
	v_cndmask_b32_e64 v3, 0, v3, s4
	s_delay_alu instid0(VALU_DEP_1) | instskip(NEXT) | instid1(VALU_DEP_1)
	v_add_nc_u32_e32 v2, v2, v3
	v_mov_b32_dpp v3, v2 row_shr:4 row_mask:0xf bank_mask:0xf
	s_delay_alu instid0(VALU_DEP_1) | instskip(NEXT) | instid1(VALU_DEP_1)
	v_cndmask_b32_e64 v3, 0, v3, s3
	v_add_nc_u32_e32 v2, v2, v3
	s_delay_alu instid0(VALU_DEP_1) | instskip(NEXT) | instid1(VALU_DEP_1)
	v_mov_b32_dpp v3, v2 row_shr:8 row_mask:0xf bank_mask:0xf
	v_cndmask_b32_e64 v3, 0, v3, s2
	s_delay_alu instid0(VALU_DEP_1) | instskip(SKIP_3) | instid1(VALU_DEP_1)
	v_add_nc_u32_e32 v2, v2, v3
	ds_swizzle_b32 v3, v2 offset:swizzle(BROADCAST,32,15)
	s_wait_dscnt 0x0
	v_cndmask_b32_e64 v3, v3, 0, s7
	v_add_nc_u32_e32 v2, v2, v3
	s_and_saveexec_b32 s8, s6
; %bb.54:
	v_lshlrev_b32_e32 v3, 2, v49
	ds_store_b32 v3, v2
; %bb.55:
	s_or_b32 exec_lo, exec_lo, s8
	s_delay_alu instid0(SALU_CYCLE_1)
	s_mov_b32 s8, exec_lo
	s_wait_dscnt 0x0
	s_barrier_signal -1
	s_barrier_wait -1
	v_cmpx_gt_u32_e32 16, v0
	s_cbranch_execz .LBB410_57
; %bb.56:
	v_lshlrev_b32_e32 v3, 2, v0
	ds_load_b32 v4, v3
	s_wait_dscnt 0x0
	v_mov_b32_dpp v5, v4 row_shr:1 row_mask:0xf bank_mask:0xf
	s_delay_alu instid0(VALU_DEP_1) | instskip(NEXT) | instid1(VALU_DEP_1)
	v_cndmask_b32_e64 v5, v5, 0, s5
	v_add_nc_u32_e32 v4, v5, v4
	s_delay_alu instid0(VALU_DEP_1) | instskip(NEXT) | instid1(VALU_DEP_1)
	v_mov_b32_dpp v5, v4 row_shr:2 row_mask:0xf bank_mask:0xf
	v_cndmask_b32_e64 v5, 0, v5, s4
	s_delay_alu instid0(VALU_DEP_1) | instskip(NEXT) | instid1(VALU_DEP_1)
	v_add_nc_u32_e32 v4, v4, v5
	v_mov_b32_dpp v5, v4 row_shr:4 row_mask:0xf bank_mask:0xf
	s_delay_alu instid0(VALU_DEP_1) | instskip(NEXT) | instid1(VALU_DEP_1)
	v_cndmask_b32_e64 v5, 0, v5, s3
	v_add_nc_u32_e32 v4, v4, v5
	s_delay_alu instid0(VALU_DEP_1) | instskip(NEXT) | instid1(VALU_DEP_1)
	v_mov_b32_dpp v5, v4 row_shr:8 row_mask:0xf bank_mask:0xf
	v_cndmask_b32_e64 v5, 0, v5, s2
	s_delay_alu instid0(VALU_DEP_1)
	v_add_nc_u32_e32 v4, v4, v5
	ds_store_b32 v3, v4
.LBB410_57:
	s_or_b32 exec_lo, exec_lo, s8
	s_delay_alu instid0(SALU_CYCLE_1)
	s_mov_b32 s9, exec_lo
	v_cmp_gt_u32_e32 vcc_lo, 32, v0
	s_wait_dscnt 0x0
	s_barrier_signal -1
	s_barrier_wait -1
                                        ; implicit-def: $vgpr10
	v_cmpx_lt_u32_e32 31, v0
	s_cbranch_execz .LBB410_59
; %bb.58:
	v_lshl_add_u32 v3, v49, 2, -4
	ds_load_b32 v10, v3
	s_wait_dscnt 0x0
	v_add_nc_u32_e32 v2, v10, v2
.LBB410_59:
	s_or_b32 exec_lo, exec_lo, s9
	v_sub_co_u32 v3, s8, v48, 1
	s_delay_alu instid0(VALU_DEP_1) | instskip(NEXT) | instid1(VALU_DEP_1)
	v_cmp_gt_i32_e64 s9, 0, v3
	v_cndmask_b32_e64 v3, v3, v48, s9
	s_delay_alu instid0(VALU_DEP_1)
	v_lshlrev_b32_e32 v3, 2, v3
	ds_bpermute_b32 v11, v3, v2
	s_and_saveexec_b32 s9, vcc_lo
	s_cbranch_execz .LBB410_79
; %bb.60:
	v_mov_b32_e32 v9, 0
	ds_load_b32 v2, v9 offset:60
	s_and_saveexec_b32 s12, s8
	s_cbranch_execz .LBB410_62
; %bb.61:
	s_add_co_i32 s13, s26, 32
	s_delay_alu instid0(SALU_CYCLE_1)
	v_dual_mov_b32 v3, 1 :: v_dual_mov_b32 v4, s13
	s_wait_xcnt 0x0
	s_wait_dscnt 0x0
	s_wait_kmcnt 0x0
	global_store_b64 v4, v[2:3], s[10:11] scale_offset scope:SCOPE_DEV
.LBB410_62:
	s_wait_xcnt 0x0
	s_or_b32 exec_lo, exec_lo, s12
	v_xad_u32 v4, v48, -1, s26
	s_mov_b32 s13, 0
	s_mov_b32 s12, exec_lo
	s_delay_alu instid0(VALU_DEP_1)
	v_add_nc_u32_e32 v8, 32, v4
	s_wait_kmcnt 0x0
	global_load_b64 v[6:7], v8, s[10:11] scale_offset scope:SCOPE_DEV
	s_wait_loadcnt 0x0
	v_and_b32_e32 v3, 0xff, v7
	s_wait_xcnt 0x0
	s_delay_alu instid0(VALU_DEP_1)
	v_cmpx_eq_u16_e32 0, v3
	s_cbranch_execz .LBB410_66
; %bb.63:
	v_lshl_add_u64 v[8:9], v[8:9], 3, s[10:11]
.LBB410_64:                             ; =>This Inner Loop Header: Depth=1
	global_load_b64 v[6:7], v[8:9], off scope:SCOPE_DEV
	s_wait_loadcnt 0x0
	v_and_b32_e32 v3, 0xff, v7
	s_delay_alu instid0(VALU_DEP_1)
	v_cmp_ne_u16_e32 vcc_lo, 0, v3
	s_or_b32 s13, vcc_lo, s13
	s_wait_xcnt 0x0
	s_and_not1_b32 exec_lo, exec_lo, s13
	s_cbranch_execnz .LBB410_64
; %bb.65:
	s_or_b32 exec_lo, exec_lo, s13
.LBB410_66:
	s_delay_alu instid0(SALU_CYCLE_1)
	s_or_b32 exec_lo, exec_lo, s12
	v_cmp_ne_u32_e32 vcc_lo, 31, v48
	v_lshlrev_b32_e64 v30, v48, -1
	v_lshl_or_b32 v55, v48, 2, 64
	v_dual_add_nc_u32 v32, 2, v48 :: v_dual_add_nc_u32 v52, 4, v48
	v_add_co_ci_u32_e64 v3, null, 0, v48, vcc_lo
	v_dual_add_nc_u32 v54, 8, v48 :: v_dual_add_nc_u32 v56, 16, v48
	s_delay_alu instid0(VALU_DEP_2)
	v_lshlrev_b32_e32 v12, 2, v3
	v_and_b32_e32 v3, 0xff, v7
	ds_bpermute_b32 v5, v12, v6
	v_cmp_eq_u16_e32 vcc_lo, 2, v3
	v_and_or_b32 v3, vcc_lo, v30, 0x80000000
	v_cmp_gt_u32_e32 vcc_lo, 30, v48
	s_delay_alu instid0(VALU_DEP_2) | instskip(SKIP_1) | instid1(VALU_DEP_2)
	v_ctz_i32_b32_e32 v3, v3
	v_cndmask_b32_e64 v8, 0, 2, vcc_lo
	v_cmp_lt_u32_e32 vcc_lo, v48, v3
	s_delay_alu instid0(VALU_DEP_2) | instskip(SKIP_3) | instid1(VALU_DEP_2)
	v_add_lshl_u32 v31, v8, v48, 2
	s_wait_dscnt 0x0
	v_cndmask_b32_e32 v5, 0, v5, vcc_lo
	v_cmp_gt_u32_e32 vcc_lo, 28, v48
	v_add_nc_u32_e32 v5, v5, v6
	v_cndmask_b32_e64 v8, 0, 4, vcc_lo
	v_cmp_le_u32_e32 vcc_lo, v32, v3
	ds_bpermute_b32 v6, v31, v5
	v_add_lshl_u32 v51, v8, v48, 2
	s_wait_dscnt 0x0
	v_cndmask_b32_e32 v6, 0, v6, vcc_lo
	v_cmp_gt_u32_e32 vcc_lo, 24, v48
	v_cndmask_b32_e64 v8, 0, 8, vcc_lo
	v_cmp_le_u32_e32 vcc_lo, v52, v3
	s_delay_alu instid0(VALU_DEP_4) | instskip(NEXT) | instid1(VALU_DEP_3)
	v_add_nc_u32_e32 v5, v5, v6
	v_add_lshl_u32 v53, v8, v48, 2
	ds_bpermute_b32 v6, v51, v5
	s_wait_dscnt 0x0
	v_cndmask_b32_e32 v6, 0, v6, vcc_lo
	v_cmp_le_u32_e32 vcc_lo, v54, v3
	s_delay_alu instid0(VALU_DEP_2) | instskip(SKIP_4) | instid1(VALU_DEP_2)
	v_add_nc_u32_e32 v5, v5, v6
	ds_bpermute_b32 v6, v53, v5
	s_wait_dscnt 0x0
	v_cndmask_b32_e32 v6, 0, v6, vcc_lo
	v_cmp_le_u32_e32 vcc_lo, v56, v3
	v_add_nc_u32_e32 v5, v5, v6
	ds_bpermute_b32 v6, v55, v5
	s_wait_dscnt 0x0
	v_cndmask_b32_e32 v3, 0, v6, vcc_lo
	s_delay_alu instid0(VALU_DEP_1)
	v_dual_mov_b32 v5, 0 :: v_dual_add_nc_u32 v6, v5, v3
	s_branch .LBB410_69
.LBB410_67:                             ;   in Loop: Header=BB410_69 Depth=1
	s_or_b32 exec_lo, exec_lo, s12
	v_and_b32_e32 v8, 0xff, v7
	ds_bpermute_b32 v9, v12, v6
	v_subrev_nc_u32_e32 v4, 32, v4
	s_mov_b32 s12, 0
	v_cmp_eq_u16_e32 vcc_lo, 2, v8
	v_and_or_b32 v8, vcc_lo, v30, 0x80000000
	s_delay_alu instid0(VALU_DEP_1) | instskip(NEXT) | instid1(VALU_DEP_1)
	v_ctz_i32_b32_e32 v8, v8
	v_cmp_lt_u32_e32 vcc_lo, v48, v8
	s_wait_dscnt 0x0
	v_cndmask_b32_e32 v9, 0, v9, vcc_lo
	v_cmp_le_u32_e32 vcc_lo, v32, v8
	s_delay_alu instid0(VALU_DEP_2) | instskip(SKIP_4) | instid1(VALU_DEP_2)
	v_add_nc_u32_e32 v6, v9, v6
	ds_bpermute_b32 v9, v31, v6
	s_wait_dscnt 0x0
	v_cndmask_b32_e32 v9, 0, v9, vcc_lo
	v_cmp_le_u32_e32 vcc_lo, v52, v8
	v_add_nc_u32_e32 v6, v6, v9
	ds_bpermute_b32 v9, v51, v6
	s_wait_dscnt 0x0
	v_cndmask_b32_e32 v9, 0, v9, vcc_lo
	v_cmp_le_u32_e32 vcc_lo, v54, v8
	s_delay_alu instid0(VALU_DEP_2) | instskip(SKIP_4) | instid1(VALU_DEP_2)
	v_add_nc_u32_e32 v6, v6, v9
	ds_bpermute_b32 v9, v53, v6
	s_wait_dscnt 0x0
	v_cndmask_b32_e32 v9, 0, v9, vcc_lo
	v_cmp_le_u32_e32 vcc_lo, v56, v8
	v_add_nc_u32_e32 v6, v6, v9
	ds_bpermute_b32 v9, v55, v6
	s_wait_dscnt 0x0
	v_cndmask_b32_e32 v8, 0, v9, vcc_lo
	s_delay_alu instid0(VALU_DEP_1)
	v_add3_u32 v6, v8, v3, v6
.LBB410_68:                             ;   in Loop: Header=BB410_69 Depth=1
	s_and_b32 vcc_lo, exec_lo, s12
	s_cbranch_vccnz .LBB410_75
.LBB410_69:                             ; =>This Loop Header: Depth=1
                                        ;     Child Loop BB410_72 Depth 2
	v_and_b32_e32 v3, 0xff, v7
	s_mov_b32 s12, -1
                                        ; implicit-def: $vgpr7
	s_delay_alu instid0(VALU_DEP_1)
	v_cmp_ne_u16_e32 vcc_lo, 2, v3
	v_mov_b32_e32 v3, v6
                                        ; implicit-def: $vgpr6
	s_cmp_lg_u32 vcc_lo, exec_lo
	s_cbranch_scc1 .LBB410_68
; %bb.70:                               ;   in Loop: Header=BB410_69 Depth=1
	global_load_b64 v[6:7], v4, s[10:11] scale_offset scope:SCOPE_DEV
	s_mov_b32 s12, exec_lo
	s_wait_loadcnt 0x0
	v_and_b32_e32 v8, 0xff, v7
	s_wait_xcnt 0x0
	s_delay_alu instid0(VALU_DEP_1)
	v_cmpx_eq_u16_e32 0, v8
	s_cbranch_execz .LBB410_67
; %bb.71:                               ;   in Loop: Header=BB410_69 Depth=1
	v_lshl_add_u64 v[8:9], v[4:5], 3, s[10:11]
	s_mov_b32 s13, 0
.LBB410_72:                             ;   Parent Loop BB410_69 Depth=1
                                        ; =>  This Inner Loop Header: Depth=2
	global_load_b64 v[6:7], v[8:9], off scope:SCOPE_DEV
	s_wait_loadcnt 0x0
	v_and_b32_e32 v57, 0xff, v7
	s_delay_alu instid0(VALU_DEP_1)
	v_cmp_ne_u16_e32 vcc_lo, 0, v57
	s_or_b32 s13, vcc_lo, s13
	s_wait_xcnt 0x0
	s_and_not1_b32 exec_lo, exec_lo, s13
	s_cbranch_execnz .LBB410_72
; %bb.73:                               ;   in Loop: Header=BB410_69 Depth=1
	s_or_b32 exec_lo, exec_lo, s13
	s_branch .LBB410_67
.LBB410_74:
                                        ; implicit-def: $vgpr32
                                        ; implicit-def: $vgpr30
                                        ; implicit-def: $vgpr2_vgpr3_vgpr4_vgpr5_vgpr6_vgpr7_vgpr8_vgpr9_vgpr10_vgpr11_vgpr12
	s_and_b32 vcc_lo, exec_lo, s8
	s_cbranch_vccnz .LBB410_80
	s_branch .LBB410_89
.LBB410_75:
	s_and_saveexec_b32 s12, s8
	s_cbranch_execz .LBB410_77
; %bb.76:
	s_add_co_i32 s13, s26, 32
	v_dual_mov_b32 v5, 2 :: v_dual_add_nc_u32 v4, v3, v2
	v_dual_mov_b32 v6, s13 :: v_dual_mov_b32 v7, 0
	global_store_b64 v6, v[4:5], s[10:11] scale_offset scope:SCOPE_DEV
	ds_store_b64 v7, v[2:3] offset:22528
.LBB410_77:
	s_wait_xcnt 0x0
	s_or_b32 exec_lo, exec_lo, s12
	v_cmp_eq_u32_e32 vcc_lo, 0, v0
	s_and_b32 exec_lo, exec_lo, vcc_lo
; %bb.78:
	v_mov_b32_e32 v2, 0
	ds_store_b32 v2, v3 offset:60
.LBB410_79:
	s_or_b32 exec_lo, exec_lo, s9
	s_wait_dscnt 0x0
	v_dual_mov_b32 v9, 0 :: v_dual_cndmask_b32 v3, v11, v10, s8
	s_wait_storecnt 0x0
	s_barrier_signal -1
	s_barrier_wait -1
	ds_load_b32 v2, v9 offset:60
	v_cmp_ne_u32_e32 vcc_lo, 0, v0
	s_wait_dscnt 0x0
	s_barrier_signal -1
	s_barrier_wait -1
	v_cndmask_b32_e32 v3, 0, v3, vcc_lo
	ds_load_b64 v[30:31], v9 offset:22528
	v_add_nc_u32_e32 v2, v2, v3
	s_wait_dscnt 0x0
	s_delay_alu instid0(VALU_DEP_1) | instskip(NEXT) | instid1(VALU_DEP_1)
	v_dual_mov_b32 v32, v31 :: v_dual_add_nc_u32 v3, v2, v38
	v_add_nc_u32_e32 v4, v3, v39
	s_delay_alu instid0(VALU_DEP_1) | instskip(NEXT) | instid1(VALU_DEP_1)
	v_add_nc_u32_e32 v5, v4, v40
	v_add_nc_u32_e32 v6, v5, v41
	s_delay_alu instid0(VALU_DEP_1) | instskip(NEXT) | instid1(VALU_DEP_1)
	v_add_nc_u32_e32 v7, v6, v42
	;; [unrolled: 3-line block ×4, first 2 shown]
	v_add_nc_u32_e32 v12, v11, v47
	s_branch .LBB410_89
.LBB410_80:
	v_mov_b32_dpp v2, v50 row_shr:1 row_mask:0xf bank_mask:0xf
	s_delay_alu instid0(VALU_DEP_1) | instskip(NEXT) | instid1(VALU_DEP_1)
	v_cndmask_b32_e64 v2, v2, 0, s5
	v_add_nc_u32_e32 v2, v2, v50
	s_delay_alu instid0(VALU_DEP_1) | instskip(NEXT) | instid1(VALU_DEP_1)
	v_mov_b32_dpp v3, v2 row_shr:2 row_mask:0xf bank_mask:0xf
	v_cndmask_b32_e64 v3, 0, v3, s4
	s_delay_alu instid0(VALU_DEP_1) | instskip(NEXT) | instid1(VALU_DEP_1)
	v_add_nc_u32_e32 v2, v2, v3
	v_mov_b32_dpp v3, v2 row_shr:4 row_mask:0xf bank_mask:0xf
	s_delay_alu instid0(VALU_DEP_1) | instskip(NEXT) | instid1(VALU_DEP_1)
	v_cndmask_b32_e64 v3, 0, v3, s3
	v_add_nc_u32_e32 v2, v2, v3
	s_delay_alu instid0(VALU_DEP_1) | instskip(NEXT) | instid1(VALU_DEP_1)
	v_mov_b32_dpp v3, v2 row_shr:8 row_mask:0xf bank_mask:0xf
	v_cndmask_b32_e64 v3, 0, v3, s2
	s_delay_alu instid0(VALU_DEP_1) | instskip(SKIP_3) | instid1(VALU_DEP_1)
	v_add_nc_u32_e32 v2, v2, v3
	ds_swizzle_b32 v3, v2 offset:swizzle(BROADCAST,32,15)
	s_wait_dscnt 0x0
	v_cndmask_b32_e64 v3, v3, 0, s7
	v_add_nc_u32_e32 v2, v2, v3
	s_and_saveexec_b32 s7, s6
; %bb.81:
	v_lshlrev_b32_e32 v3, 2, v49
	ds_store_b32 v3, v2
; %bb.82:
	s_or_b32 exec_lo, exec_lo, s7
	s_delay_alu instid0(SALU_CYCLE_1)
	s_mov_b32 s6, exec_lo
	s_wait_dscnt 0x0
	s_barrier_signal -1
	s_barrier_wait -1
	v_cmpx_gt_u32_e32 16, v0
	s_cbranch_execz .LBB410_84
; %bb.83:
	v_lshlrev_b32_e32 v3, 2, v0
	ds_load_b32 v4, v3
	s_wait_dscnt 0x0
	v_mov_b32_dpp v5, v4 row_shr:1 row_mask:0xf bank_mask:0xf
	s_delay_alu instid0(VALU_DEP_1) | instskip(NEXT) | instid1(VALU_DEP_1)
	v_cndmask_b32_e64 v5, v5, 0, s5
	v_add_nc_u32_e32 v4, v5, v4
	s_delay_alu instid0(VALU_DEP_1) | instskip(NEXT) | instid1(VALU_DEP_1)
	v_mov_b32_dpp v5, v4 row_shr:2 row_mask:0xf bank_mask:0xf
	v_cndmask_b32_e64 v5, 0, v5, s4
	s_delay_alu instid0(VALU_DEP_1) | instskip(NEXT) | instid1(VALU_DEP_1)
	v_add_nc_u32_e32 v4, v4, v5
	v_mov_b32_dpp v5, v4 row_shr:4 row_mask:0xf bank_mask:0xf
	s_delay_alu instid0(VALU_DEP_1) | instskip(NEXT) | instid1(VALU_DEP_1)
	v_cndmask_b32_e64 v5, 0, v5, s3
	v_add_nc_u32_e32 v4, v4, v5
	s_delay_alu instid0(VALU_DEP_1) | instskip(NEXT) | instid1(VALU_DEP_1)
	v_mov_b32_dpp v5, v4 row_shr:8 row_mask:0xf bank_mask:0xf
	v_cndmask_b32_e64 v5, 0, v5, s2
	s_delay_alu instid0(VALU_DEP_1)
	v_add_nc_u32_e32 v4, v4, v5
	ds_store_b32 v3, v4
.LBB410_84:
	s_or_b32 exec_lo, exec_lo, s6
	v_dual_mov_b32 v4, 0 :: v_dual_mov_b32 v3, 0
	s_mov_b32 s2, exec_lo
	s_wait_dscnt 0x0
	s_barrier_signal -1
	s_barrier_wait -1
	v_cmpx_lt_u32_e32 31, v0
; %bb.85:
	v_lshl_add_u32 v3, v49, 2, -4
	ds_load_b32 v3, v3
; %bb.86:
	s_or_b32 exec_lo, exec_lo, s2
	v_sub_co_u32 v5, vcc_lo, v48, 1
	ds_load_b32 v30, v4 offset:60
	s_wait_dscnt 0x1
	v_add_nc_u32_e32 v2, v3, v2
	v_cmp_gt_i32_e64 s2, 0, v5
	s_delay_alu instid0(VALU_DEP_1) | instskip(SKIP_1) | instid1(VALU_DEP_2)
	v_cndmask_b32_e64 v5, v5, v48, s2
	v_cmp_eq_u32_e64 s2, 0, v0
	v_lshlrev_b32_e32 v5, 2, v5
	ds_bpermute_b32 v2, v5, v2
	s_and_saveexec_b32 s3, s2
	s_cbranch_execz .LBB410_88
; %bb.87:
	v_dual_mov_b32 v4, 0 :: v_dual_mov_b32 v31, 2
	s_wait_xcnt 0x0
	s_wait_dscnt 0x1
	s_wait_kmcnt 0x0
	global_store_b64 v4, v[30:31], s[10:11] offset:256 scope:SCOPE_DEV
.LBB410_88:
	s_wait_xcnt 0x0
	s_or_b32 exec_lo, exec_lo, s3
	s_wait_dscnt 0x0
	v_cndmask_b32_e32 v2, v2, v3, vcc_lo
	s_wait_storecnt 0x0
	s_barrier_signal -1
	s_barrier_wait -1
	s_delay_alu instid0(VALU_DEP_1) | instskip(NEXT) | instid1(VALU_DEP_1)
	v_cndmask_b32_e64 v2, v2, 0, s2
	v_dual_mov_b32 v32, 0 :: v_dual_add_nc_u32 v3, v2, v38
	s_delay_alu instid0(VALU_DEP_1) | instskip(NEXT) | instid1(VALU_DEP_1)
	v_add_nc_u32_e32 v4, v3, v39
	v_add_nc_u32_e32 v5, v4, v40
	s_delay_alu instid0(VALU_DEP_1) | instskip(NEXT) | instid1(VALU_DEP_1)
	v_add_nc_u32_e32 v6, v5, v41
	v_add_nc_u32_e32 v7, v6, v42
	s_delay_alu instid0(VALU_DEP_1) | instskip(NEXT) | instid1(VALU_DEP_1)
	v_add_nc_u32_e32 v8, v7, v43
	v_add_nc_u32_e32 v9, v8, v44
	s_delay_alu instid0(VALU_DEP_1) | instskip(NEXT) | instid1(VALU_DEP_1)
	v_add_nc_u32_e32 v10, v9, v45
	v_add_nc_u32_e32 v11, v10, v46
	s_delay_alu instid0(VALU_DEP_1)
	v_add_nc_u32_e32 v12, v11, v47
.LBB410_89:
	s_load_b64 s[2:3], s[0:1], 0x28
	v_and_b32_e32 v26, 1, v26
	v_cmp_gt_u32_e32 vcc_lo, 0x201, v30
	s_wait_xcnt 0x0
	s_mov_b32 s1, -1
	s_delay_alu instid0(VALU_DEP_2)
	v_cmp_eq_u32_e64 s0, 1, v26
	s_cbranch_vccnz .LBB410_93
; %bb.90:
	s_and_b32 vcc_lo, exec_lo, s1
	s_cbranch_vccnz .LBB410_116
.LBB410_91:
	v_cmp_eq_u32_e32 vcc_lo, 0, v0
	s_and_b32 s0, vcc_lo, s24
	s_delay_alu instid0(SALU_CYCLE_1)
	s_and_saveexec_b32 s1, s0
	s_cbranch_execnz .LBB410_151
.LBB410_92:
	s_endpgm
.LBB410_93:
	v_add_nc_u32_e32 v31, v32, v30
	s_wait_kmcnt 0x0
	s_lshl_b64 s[4:5], s[22:23], 2
	s_delay_alu instid0(SALU_CYCLE_1) | instskip(NEXT) | instid1(VALU_DEP_1)
	s_add_nc_u64 s[4:5], s[2:3], s[4:5]
	v_cmp_lt_u32_e32 vcc_lo, v2, v31
	s_or_b32 s1, s25, vcc_lo
	s_delay_alu instid0(SALU_CYCLE_1) | instskip(NEXT) | instid1(SALU_CYCLE_1)
	s_and_b32 s1, s1, s0
	s_and_saveexec_b32 s0, s1
	s_cbranch_execz .LBB410_95
; %bb.94:
	global_store_b32 v2, v24, s[4:5] scale_offset
.LBB410_95:
	s_wait_xcnt 0x0
	s_or_b32 exec_lo, exec_lo, s0
	v_and_b32_e32 v38, 1, v37
	v_cmp_lt_u32_e32 vcc_lo, v3, v31
	s_delay_alu instid0(VALU_DEP_2) | instskip(SKIP_1) | instid1(SALU_CYCLE_1)
	v_cmp_eq_u32_e64 s0, 1, v38
	s_or_b32 s1, s25, vcc_lo
	s_and_b32 s1, s1, s0
	s_delay_alu instid0(SALU_CYCLE_1)
	s_and_saveexec_b32 s0, s1
	s_cbranch_execz .LBB410_97
; %bb.96:
	global_store_b32 v3, v25, s[4:5] scale_offset
.LBB410_97:
	s_wait_xcnt 0x0
	s_or_b32 exec_lo, exec_lo, s0
	v_and_b32_e32 v38, 1, v35
	v_cmp_lt_u32_e32 vcc_lo, v4, v31
	s_delay_alu instid0(VALU_DEP_2) | instskip(SKIP_1) | instid1(SALU_CYCLE_1)
	v_cmp_eq_u32_e64 s0, 1, v38
	s_or_b32 s1, s25, vcc_lo
	s_and_b32 s1, s1, s0
	s_delay_alu instid0(SALU_CYCLE_1)
	;; [unrolled: 14-line block ×10, first 2 shown]
	s_and_saveexec_b32 s0, s1
	s_cbranch_execz .LBB410_115
; %bb.114:
	global_store_b32 v12, v17, s[4:5] scale_offset
.LBB410_115:
	s_wait_xcnt 0x0
	s_or_b32 exec_lo, exec_lo, s0
	s_branch .LBB410_91
.LBB410_116:
	s_mov_b32 s0, exec_lo
	v_cmpx_eq_u32_e32 1, v26
; %bb.117:
	v_sub_nc_u32_e32 v2, v2, v32
	s_delay_alu instid0(VALU_DEP_1)
	v_lshlrev_b32_e32 v2, 2, v2
	ds_store_b32 v2, v24
; %bb.118:
	s_or_b32 exec_lo, exec_lo, s0
	v_and_b32_e32 v2, 1, v37
	s_mov_b32 s0, exec_lo
	s_delay_alu instid0(VALU_DEP_1)
	v_cmpx_eq_u32_e32 1, v2
; %bb.119:
	v_sub_nc_u32_e32 v2, v3, v32
	s_delay_alu instid0(VALU_DEP_1)
	v_lshlrev_b32_e32 v2, 2, v2
	ds_store_b32 v2, v25
; %bb.120:
	s_or_b32 exec_lo, exec_lo, s0
	v_and_b32_e32 v2, 1, v35
	s_mov_b32 s0, exec_lo
	s_delay_alu instid0(VALU_DEP_1)
	;; [unrolled: 11-line block ×10, first 2 shown]
	v_cmpx_eq_u32_e32 1, v1
; %bb.137:
	v_sub_nc_u32_e32 v1, v12, v32
	s_delay_alu instid0(VALU_DEP_1)
	v_lshlrev_b32_e32 v1, 2, v1
	ds_store_b32 v1, v17
; %bb.138:
	s_or_b32 exec_lo, exec_lo, s0
	v_or_b32_e32 v1, 0x200, v0
	v_mov_b32_e32 v33, 0
	s_mov_b32 s1, -1
	s_mov_b32 s0, exec_lo
	s_wait_storecnt_dscnt 0x0
	v_max_u32_e32 v2, v30, v1
	s_barrier_signal -1
	s_barrier_wait -1
	s_delay_alu instid0(VALU_DEP_1) | instskip(SKIP_1) | instid1(VALU_DEP_2)
	v_xad_u32 v4, v0, -1, v2
	v_lshlrev_b64_e32 v[2:3], 2, v[32:33]
	v_cmpx_lt_u32_e32 0x1ff, v4
	s_cbranch_execz .LBB410_147
; %bb.139:
	v_lshrrev_b32_e32 v10, 9, v4
	s_wait_kmcnt 0x0
	s_lshl_b64 s[4:5], s[22:23], 2
	v_lshlrev_b32_e32 v11, 2, v0
	s_add_nc_u64 s[4:5], s[2:3], s[4:5]
	v_add_nc_u32_e32 v6, -1, v10
	v_add_nc_u64_e32 v[4:5], s[4:5], v[2:3]
	s_delay_alu instid0(VALU_DEP_2) | instskip(SKIP_1) | instid1(VALU_DEP_2)
	v_lshrrev_b32_e32 v7, 1, v6
	v_cmp_lt_u32_e32 vcc_lo, 13, v6
	v_add_nc_u32_e32 v12, 1, v7
	v_mov_b64_e32 v[6:7], v[0:1]
	s_and_saveexec_b32 s1, vcc_lo
	s_cbranch_execz .LBB410_143
; %bb.140:
	v_mov_b64_e32 v[6:7], v[0:1]
	v_dual_mov_b32 v9, 0 :: v_dual_bitop2_b32 v13, -8, v12 bitop3:0x40
	v_mov_b32_e32 v14, v11
	s_mov_b32 s4, 0
	s_mov_b32 s5, 0
.LBB410_141:                            ; =>This Inner Loop Header: Depth=1
	s_delay_alu instid0(VALU_DEP_2)
	v_dual_mov_b32 v8, v6 :: v_dual_mov_b32 v19, v9
	ds_load_2addr_stride64_b32 v[16:17], v14 offset1:8
	v_add_nc_u32_e32 v13, -8, v13
	ds_load_2addr_stride64_b32 v[20:21], v14 offset0:16 offset1:24
	v_lshl_add_u64 v[50:51], v[8:9], 2, v[4:5]
	v_mov_b32_e32 v8, v7
	ds_load_2addr_stride64_b32 v[24:25], v14 offset0:32 offset1:40
	ds_load_2addr_stride64_b32 v[28:29], v14 offset0:48 offset1:56
	v_dual_mov_b32 v23, v9 :: v_dual_add_nc_u32 v18, 0x400, v7
	v_lshl_add_u64 v[52:53], v[8:9], 2, v[4:5]
	v_add_nc_u32_e32 v8, 0x400, v6
	ds_load_2addr_stride64_b32 v[36:37], v14 offset0:64 offset1:72
	v_lshl_add_u64 v[18:19], v[18:19], 2, v[4:5]
	ds_load_2addr_stride64_b32 v[40:41], v14 offset0:80 offset1:88
	ds_load_2addr_stride64_b32 v[44:45], v14 offset0:96 offset1:104
	v_lshl_add_u64 v[54:55], v[8:9], 2, v[4:5]
	v_add_nc_u32_e32 v8, 0x800, v6
	ds_load_2addr_stride64_b32 v[48:49], v14 offset0:112 offset1:120
	s_wait_dscnt 0x7
	s_clause 0x1
	global_store_b32 v[50:51], v16, off
	global_store_b32 v[52:53], v17, off
	s_wait_dscnt 0x6
	s_clause 0x1
	global_store_b32 v[54:55], v20, off
	global_store_b32 v[18:19], v21, off
	v_lshl_add_u64 v[56:57], v[8:9], 2, v[4:5]
	v_add_nc_u32_e32 v8, 0xc00, v6
	v_dual_mov_b32 v27, v9 :: v_dual_add_nc_u32 v22, 0x800, v7
	v_dual_mov_b32 v35, v9 :: v_dual_add_nc_u32 v26, 0xc00, v7
	s_wait_xcnt 0x2
	s_delay_alu instid0(VALU_DEP_3)
	v_lshl_add_u64 v[16:17], v[8:9], 2, v[4:5]
	v_add_nc_u32_e32 v8, 0x1000, v6
	v_lshl_add_u64 v[22:23], v[22:23], 2, v[4:5]
	v_dual_mov_b32 v39, v9 :: v_dual_add_nc_u32 v34, 0x1000, v7
	v_lshl_add_u64 v[26:27], v[26:27], 2, v[4:5]
	s_wait_xcnt 0x0
	v_lshl_add_u64 v[18:19], v[8:9], 2, v[4:5]
	v_add_nc_u32_e32 v8, 0x1400, v6
	s_wait_dscnt 0x5
	s_clause 0x1
	global_store_b32 v[56:57], v24, off
	global_store_b32 v[22:23], v25, off
	s_wait_dscnt 0x4
	global_store_b32 v[16:17], v28, off
	v_dual_mov_b32 v43, v9 :: v_dual_add_nc_u32 v38, 0x1400, v7
	s_wait_xcnt 0x0
	v_lshl_add_u64 v[16:17], v[8:9], 2, v[4:5]
	v_add_nc_u32_e32 v8, 0x1800, v6
	v_dual_mov_b32 v47, v9 :: v_dual_add_nc_u32 v42, 0x1800, v7
	v_lshl_add_u64 v[34:35], v[34:35], 2, v[4:5]
	global_store_b32 v[26:27], v29, off
	s_wait_dscnt 0x3
	global_store_b32 v[18:19], v36, off
	s_wait_xcnt 0x0
	v_lshl_add_u64 v[18:19], v[8:9], 2, v[4:5]
	v_add_nc_u32_e32 v8, 0x1c00, v6
	s_add_co_i32 s5, s5, 16
	s_delay_alu instid0(SALU_CYCLE_1)
	v_dual_mov_b32 v33, s5 :: v_dual_add_nc_u32 v46, 0x1c00, v7
	v_cmp_eq_u32_e32 vcc_lo, 0, v13
	v_lshl_add_u64 v[38:39], v[38:39], 2, v[4:5]
	v_add_nc_u32_e32 v14, 0x8000, v14
	v_add_nc_u32_e32 v7, 0x2000, v7
	;; [unrolled: 1-line block ×3, first 2 shown]
	v_lshl_add_u64 v[42:43], v[42:43], 2, v[4:5]
	global_store_b32 v[34:35], v37, off
	s_wait_dscnt 0x2
	s_clause 0x1
	global_store_b32 v[16:17], v40, off
	global_store_b32 v[38:39], v41, off
	s_wait_xcnt 0x1
	v_lshl_add_u64 v[16:17], v[8:9], 2, v[4:5]
	v_lshl_add_u64 v[46:47], v[46:47], 2, v[4:5]
	s_or_b32 s4, vcc_lo, s4
	s_wait_dscnt 0x1
	s_clause 0x1
	global_store_b32 v[18:19], v44, off
	global_store_b32 v[42:43], v45, off
	s_wait_dscnt 0x0
	s_clause 0x1
	global_store_b32 v[16:17], v48, off
	global_store_b32 v[46:47], v49, off
	s_wait_xcnt 0x0
	s_and_not1_b32 exec_lo, exec_lo, s4
	s_cbranch_execnz .LBB410_141
; %bb.142:
	s_or_b32 exec_lo, exec_lo, s4
.LBB410_143:
	s_delay_alu instid0(SALU_CYCLE_1) | instskip(SKIP_3) | instid1(VALU_DEP_1)
	s_or_b32 exec_lo, exec_lo, s1
	v_and_b32_e32 v1, 7, v12
	s_mov_b32 s4, 0
	s_mov_b32 s1, exec_lo
	v_cmpx_ne_u32_e32 0, v1
	s_cbranch_execz .LBB410_146
; %bb.144:
	v_lshl_or_b32 v11, v33, 11, v11
	v_mov_b32_e32 v9, 0
.LBB410_145:                            ; =>This Inner Loop Header: Depth=1
	ds_load_2addr_stride64_b32 v[12:13], v11 offset1:8
	v_dual_mov_b32 v8, v6 :: v_dual_add_nc_u32 v1, -1, v1
	v_add_nc_u32_e32 v6, 0x400, v6
	v_add_nc_u32_e32 v11, 0x1000, v11
	s_delay_alu instid0(VALU_DEP_3) | instskip(SKIP_3) | instid1(VALU_DEP_3)
	v_lshl_add_u64 v[14:15], v[8:9], 2, v[4:5]
	v_mov_b32_e32 v8, v7
	v_cmp_eq_u32_e32 vcc_lo, 0, v1
	v_add_nc_u32_e32 v7, 0x400, v7
	v_lshl_add_u64 v[16:17], v[8:9], 2, v[4:5]
	s_or_b32 s4, vcc_lo, s4
	s_wait_dscnt 0x0
	s_clause 0x1
	global_store_b32 v[14:15], v12, off
	global_store_b32 v[16:17], v13, off
	s_wait_xcnt 0x0
	s_and_not1_b32 exec_lo, exec_lo, s4
	s_cbranch_execnz .LBB410_145
.LBB410_146:
	s_or_b32 exec_lo, exec_lo, s1
	v_add_nc_u32_e32 v1, 1, v10
	s_delay_alu instid0(VALU_DEP_1) | instskip(NEXT) | instid1(VALU_DEP_1)
	v_and_b32_e32 v4, 0xfffffe, v1
	v_cmp_ne_u32_e32 vcc_lo, v1, v4
	v_lshl_or_b32 v14, v4, 9, v0
	s_or_not1_b32 s1, vcc_lo, exec_lo
.LBB410_147:
	s_or_b32 exec_lo, exec_lo, s0
	s_and_saveexec_b32 s0, s1
	s_cbranch_execz .LBB410_150
; %bb.148:
	s_wait_kmcnt 0x0
	s_lshl_b64 s[4:5], s[22:23], 2
	v_dual_mov_b32 v15, 0 :: v_dual_lshlrev_b32 v1, 2, v14
	v_add_nc_u64_e32 v[2:3], s[4:5], v[2:3]
	s_mov_b32 s1, 0
	s_delay_alu instid0(VALU_DEP_1) | instskip(NEXT) | instid1(VALU_DEP_1)
	v_add_nc_u64_e32 v[2:3], s[2:3], v[2:3]
	v_lshl_add_u64 v[2:3], v[14:15], 2, v[2:3]
.LBB410_149:                            ; =>This Inner Loop Header: Depth=1
	ds_load_b32 v4, v1
	v_add_nc_u32_e32 v14, 0x200, v14
	v_add_nc_u32_e32 v1, 0x800, v1
	s_delay_alu instid0(VALU_DEP_2)
	v_cmp_ge_u32_e32 vcc_lo, v14, v30
	s_or_b32 s1, vcc_lo, s1
	s_wait_dscnt 0x0
	global_store_b32 v[2:3], v4, off
	s_wait_xcnt 0x0
	v_add_nc_u64_e32 v[2:3], 0x800, v[2:3]
	s_and_not1_b32 exec_lo, exec_lo, s1
	s_cbranch_execnz .LBB410_149
.LBB410_150:
	s_or_b32 exec_lo, exec_lo, s0
	v_cmp_eq_u32_e32 vcc_lo, 0, v0
	s_and_b32 s0, vcc_lo, s24
	s_delay_alu instid0(SALU_CYCLE_1)
	s_and_saveexec_b32 s1, s0
	s_cbranch_execz .LBB410_92
.LBB410_151:
	v_mov_b32_e32 v31, 0
	s_wait_kmcnt 0x0
	s_delay_alu instid0(VALU_DEP_1) | instskip(SKIP_1) | instid1(VALU_DEP_1)
	v_add_nc_u64_e32 v[0:1], s[22:23], v[30:31]
	v_mov_b32_e32 v33, v31
	v_add_nc_u64_e32 v[0:1], v[0:1], v[32:33]
	global_store_b64 v31, v[0:1], s[20:21]
	s_endpgm
	.section	.rodata,"a",@progbits
	.p2align	6, 0x0
	.amdhsa_kernel _ZN7rocprim17ROCPRIM_400000_NS6detail17trampoline_kernelINS0_14default_configENS1_25partition_config_selectorILNS1_17partition_subalgoE8EiNS0_10empty_typeEbEEZZNS1_14partition_implILS5_8ELb0ES3_jPKiPS6_PKS6_NS0_5tupleIJPiS6_EEENSE_IJSB_SB_EEENS0_18inequality_wrapperIN6hipcub16HIPCUB_304000_NS8EqualityEEEPlJS6_EEE10hipError_tPvRmT3_T4_T5_T6_T7_T9_mT8_P12ihipStream_tbDpT10_ENKUlT_T0_E_clISt17integral_constantIbLb0EES17_EEDaS12_S13_EUlS12_E_NS1_11comp_targetILNS1_3genE0ELNS1_11target_archE4294967295ELNS1_3gpuE0ELNS1_3repE0EEENS1_30default_config_static_selectorELNS0_4arch9wavefront6targetE0EEEvT1_
		.amdhsa_group_segment_fixed_size 22536
		.amdhsa_private_segment_fixed_size 0
		.amdhsa_kernarg_size 112
		.amdhsa_user_sgpr_count 2
		.amdhsa_user_sgpr_dispatch_ptr 0
		.amdhsa_user_sgpr_queue_ptr 0
		.amdhsa_user_sgpr_kernarg_segment_ptr 1
		.amdhsa_user_sgpr_dispatch_id 0
		.amdhsa_user_sgpr_kernarg_preload_length 0
		.amdhsa_user_sgpr_kernarg_preload_offset 0
		.amdhsa_user_sgpr_private_segment_size 0
		.amdhsa_wavefront_size32 1
		.amdhsa_uses_dynamic_stack 0
		.amdhsa_enable_private_segment 0
		.amdhsa_system_sgpr_workgroup_id_x 1
		.amdhsa_system_sgpr_workgroup_id_y 0
		.amdhsa_system_sgpr_workgroup_id_z 0
		.amdhsa_system_sgpr_workgroup_info 0
		.amdhsa_system_vgpr_workitem_id 0
		.amdhsa_next_free_vgpr 58
		.amdhsa_next_free_sgpr 30
		.amdhsa_named_barrier_count 0
		.amdhsa_reserve_vcc 1
		.amdhsa_float_round_mode_32 0
		.amdhsa_float_round_mode_16_64 0
		.amdhsa_float_denorm_mode_32 3
		.amdhsa_float_denorm_mode_16_64 3
		.amdhsa_fp16_overflow 0
		.amdhsa_memory_ordered 1
		.amdhsa_forward_progress 1
		.amdhsa_inst_pref_size 68
		.amdhsa_round_robin_scheduling 0
		.amdhsa_exception_fp_ieee_invalid_op 0
		.amdhsa_exception_fp_denorm_src 0
		.amdhsa_exception_fp_ieee_div_zero 0
		.amdhsa_exception_fp_ieee_overflow 0
		.amdhsa_exception_fp_ieee_underflow 0
		.amdhsa_exception_fp_ieee_inexact 0
		.amdhsa_exception_int_div_zero 0
	.end_amdhsa_kernel
	.section	.text._ZN7rocprim17ROCPRIM_400000_NS6detail17trampoline_kernelINS0_14default_configENS1_25partition_config_selectorILNS1_17partition_subalgoE8EiNS0_10empty_typeEbEEZZNS1_14partition_implILS5_8ELb0ES3_jPKiPS6_PKS6_NS0_5tupleIJPiS6_EEENSE_IJSB_SB_EEENS0_18inequality_wrapperIN6hipcub16HIPCUB_304000_NS8EqualityEEEPlJS6_EEE10hipError_tPvRmT3_T4_T5_T6_T7_T9_mT8_P12ihipStream_tbDpT10_ENKUlT_T0_E_clISt17integral_constantIbLb0EES17_EEDaS12_S13_EUlS12_E_NS1_11comp_targetILNS1_3genE0ELNS1_11target_archE4294967295ELNS1_3gpuE0ELNS1_3repE0EEENS1_30default_config_static_selectorELNS0_4arch9wavefront6targetE0EEEvT1_,"axG",@progbits,_ZN7rocprim17ROCPRIM_400000_NS6detail17trampoline_kernelINS0_14default_configENS1_25partition_config_selectorILNS1_17partition_subalgoE8EiNS0_10empty_typeEbEEZZNS1_14partition_implILS5_8ELb0ES3_jPKiPS6_PKS6_NS0_5tupleIJPiS6_EEENSE_IJSB_SB_EEENS0_18inequality_wrapperIN6hipcub16HIPCUB_304000_NS8EqualityEEEPlJS6_EEE10hipError_tPvRmT3_T4_T5_T6_T7_T9_mT8_P12ihipStream_tbDpT10_ENKUlT_T0_E_clISt17integral_constantIbLb0EES17_EEDaS12_S13_EUlS12_E_NS1_11comp_targetILNS1_3genE0ELNS1_11target_archE4294967295ELNS1_3gpuE0ELNS1_3repE0EEENS1_30default_config_static_selectorELNS0_4arch9wavefront6targetE0EEEvT1_,comdat
.Lfunc_end410:
	.size	_ZN7rocprim17ROCPRIM_400000_NS6detail17trampoline_kernelINS0_14default_configENS1_25partition_config_selectorILNS1_17partition_subalgoE8EiNS0_10empty_typeEbEEZZNS1_14partition_implILS5_8ELb0ES3_jPKiPS6_PKS6_NS0_5tupleIJPiS6_EEENSE_IJSB_SB_EEENS0_18inequality_wrapperIN6hipcub16HIPCUB_304000_NS8EqualityEEEPlJS6_EEE10hipError_tPvRmT3_T4_T5_T6_T7_T9_mT8_P12ihipStream_tbDpT10_ENKUlT_T0_E_clISt17integral_constantIbLb0EES17_EEDaS12_S13_EUlS12_E_NS1_11comp_targetILNS1_3genE0ELNS1_11target_archE4294967295ELNS1_3gpuE0ELNS1_3repE0EEENS1_30default_config_static_selectorELNS0_4arch9wavefront6targetE0EEEvT1_, .Lfunc_end410-_ZN7rocprim17ROCPRIM_400000_NS6detail17trampoline_kernelINS0_14default_configENS1_25partition_config_selectorILNS1_17partition_subalgoE8EiNS0_10empty_typeEbEEZZNS1_14partition_implILS5_8ELb0ES3_jPKiPS6_PKS6_NS0_5tupleIJPiS6_EEENSE_IJSB_SB_EEENS0_18inequality_wrapperIN6hipcub16HIPCUB_304000_NS8EqualityEEEPlJS6_EEE10hipError_tPvRmT3_T4_T5_T6_T7_T9_mT8_P12ihipStream_tbDpT10_ENKUlT_T0_E_clISt17integral_constantIbLb0EES17_EEDaS12_S13_EUlS12_E_NS1_11comp_targetILNS1_3genE0ELNS1_11target_archE4294967295ELNS1_3gpuE0ELNS1_3repE0EEENS1_30default_config_static_selectorELNS0_4arch9wavefront6targetE0EEEvT1_
                                        ; -- End function
	.set _ZN7rocprim17ROCPRIM_400000_NS6detail17trampoline_kernelINS0_14default_configENS1_25partition_config_selectorILNS1_17partition_subalgoE8EiNS0_10empty_typeEbEEZZNS1_14partition_implILS5_8ELb0ES3_jPKiPS6_PKS6_NS0_5tupleIJPiS6_EEENSE_IJSB_SB_EEENS0_18inequality_wrapperIN6hipcub16HIPCUB_304000_NS8EqualityEEEPlJS6_EEE10hipError_tPvRmT3_T4_T5_T6_T7_T9_mT8_P12ihipStream_tbDpT10_ENKUlT_T0_E_clISt17integral_constantIbLb0EES17_EEDaS12_S13_EUlS12_E_NS1_11comp_targetILNS1_3genE0ELNS1_11target_archE4294967295ELNS1_3gpuE0ELNS1_3repE0EEENS1_30default_config_static_selectorELNS0_4arch9wavefront6targetE0EEEvT1_.num_vgpr, 58
	.set _ZN7rocprim17ROCPRIM_400000_NS6detail17trampoline_kernelINS0_14default_configENS1_25partition_config_selectorILNS1_17partition_subalgoE8EiNS0_10empty_typeEbEEZZNS1_14partition_implILS5_8ELb0ES3_jPKiPS6_PKS6_NS0_5tupleIJPiS6_EEENSE_IJSB_SB_EEENS0_18inequality_wrapperIN6hipcub16HIPCUB_304000_NS8EqualityEEEPlJS6_EEE10hipError_tPvRmT3_T4_T5_T6_T7_T9_mT8_P12ihipStream_tbDpT10_ENKUlT_T0_E_clISt17integral_constantIbLb0EES17_EEDaS12_S13_EUlS12_E_NS1_11comp_targetILNS1_3genE0ELNS1_11target_archE4294967295ELNS1_3gpuE0ELNS1_3repE0EEENS1_30default_config_static_selectorELNS0_4arch9wavefront6targetE0EEEvT1_.num_agpr, 0
	.set _ZN7rocprim17ROCPRIM_400000_NS6detail17trampoline_kernelINS0_14default_configENS1_25partition_config_selectorILNS1_17partition_subalgoE8EiNS0_10empty_typeEbEEZZNS1_14partition_implILS5_8ELb0ES3_jPKiPS6_PKS6_NS0_5tupleIJPiS6_EEENSE_IJSB_SB_EEENS0_18inequality_wrapperIN6hipcub16HIPCUB_304000_NS8EqualityEEEPlJS6_EEE10hipError_tPvRmT3_T4_T5_T6_T7_T9_mT8_P12ihipStream_tbDpT10_ENKUlT_T0_E_clISt17integral_constantIbLb0EES17_EEDaS12_S13_EUlS12_E_NS1_11comp_targetILNS1_3genE0ELNS1_11target_archE4294967295ELNS1_3gpuE0ELNS1_3repE0EEENS1_30default_config_static_selectorELNS0_4arch9wavefront6targetE0EEEvT1_.numbered_sgpr, 30
	.set _ZN7rocprim17ROCPRIM_400000_NS6detail17trampoline_kernelINS0_14default_configENS1_25partition_config_selectorILNS1_17partition_subalgoE8EiNS0_10empty_typeEbEEZZNS1_14partition_implILS5_8ELb0ES3_jPKiPS6_PKS6_NS0_5tupleIJPiS6_EEENSE_IJSB_SB_EEENS0_18inequality_wrapperIN6hipcub16HIPCUB_304000_NS8EqualityEEEPlJS6_EEE10hipError_tPvRmT3_T4_T5_T6_T7_T9_mT8_P12ihipStream_tbDpT10_ENKUlT_T0_E_clISt17integral_constantIbLb0EES17_EEDaS12_S13_EUlS12_E_NS1_11comp_targetILNS1_3genE0ELNS1_11target_archE4294967295ELNS1_3gpuE0ELNS1_3repE0EEENS1_30default_config_static_selectorELNS0_4arch9wavefront6targetE0EEEvT1_.num_named_barrier, 0
	.set _ZN7rocprim17ROCPRIM_400000_NS6detail17trampoline_kernelINS0_14default_configENS1_25partition_config_selectorILNS1_17partition_subalgoE8EiNS0_10empty_typeEbEEZZNS1_14partition_implILS5_8ELb0ES3_jPKiPS6_PKS6_NS0_5tupleIJPiS6_EEENSE_IJSB_SB_EEENS0_18inequality_wrapperIN6hipcub16HIPCUB_304000_NS8EqualityEEEPlJS6_EEE10hipError_tPvRmT3_T4_T5_T6_T7_T9_mT8_P12ihipStream_tbDpT10_ENKUlT_T0_E_clISt17integral_constantIbLb0EES17_EEDaS12_S13_EUlS12_E_NS1_11comp_targetILNS1_3genE0ELNS1_11target_archE4294967295ELNS1_3gpuE0ELNS1_3repE0EEENS1_30default_config_static_selectorELNS0_4arch9wavefront6targetE0EEEvT1_.private_seg_size, 0
	.set _ZN7rocprim17ROCPRIM_400000_NS6detail17trampoline_kernelINS0_14default_configENS1_25partition_config_selectorILNS1_17partition_subalgoE8EiNS0_10empty_typeEbEEZZNS1_14partition_implILS5_8ELb0ES3_jPKiPS6_PKS6_NS0_5tupleIJPiS6_EEENSE_IJSB_SB_EEENS0_18inequality_wrapperIN6hipcub16HIPCUB_304000_NS8EqualityEEEPlJS6_EEE10hipError_tPvRmT3_T4_T5_T6_T7_T9_mT8_P12ihipStream_tbDpT10_ENKUlT_T0_E_clISt17integral_constantIbLb0EES17_EEDaS12_S13_EUlS12_E_NS1_11comp_targetILNS1_3genE0ELNS1_11target_archE4294967295ELNS1_3gpuE0ELNS1_3repE0EEENS1_30default_config_static_selectorELNS0_4arch9wavefront6targetE0EEEvT1_.uses_vcc, 1
	.set _ZN7rocprim17ROCPRIM_400000_NS6detail17trampoline_kernelINS0_14default_configENS1_25partition_config_selectorILNS1_17partition_subalgoE8EiNS0_10empty_typeEbEEZZNS1_14partition_implILS5_8ELb0ES3_jPKiPS6_PKS6_NS0_5tupleIJPiS6_EEENSE_IJSB_SB_EEENS0_18inequality_wrapperIN6hipcub16HIPCUB_304000_NS8EqualityEEEPlJS6_EEE10hipError_tPvRmT3_T4_T5_T6_T7_T9_mT8_P12ihipStream_tbDpT10_ENKUlT_T0_E_clISt17integral_constantIbLb0EES17_EEDaS12_S13_EUlS12_E_NS1_11comp_targetILNS1_3genE0ELNS1_11target_archE4294967295ELNS1_3gpuE0ELNS1_3repE0EEENS1_30default_config_static_selectorELNS0_4arch9wavefront6targetE0EEEvT1_.uses_flat_scratch, 0
	.set _ZN7rocprim17ROCPRIM_400000_NS6detail17trampoline_kernelINS0_14default_configENS1_25partition_config_selectorILNS1_17partition_subalgoE8EiNS0_10empty_typeEbEEZZNS1_14partition_implILS5_8ELb0ES3_jPKiPS6_PKS6_NS0_5tupleIJPiS6_EEENSE_IJSB_SB_EEENS0_18inequality_wrapperIN6hipcub16HIPCUB_304000_NS8EqualityEEEPlJS6_EEE10hipError_tPvRmT3_T4_T5_T6_T7_T9_mT8_P12ihipStream_tbDpT10_ENKUlT_T0_E_clISt17integral_constantIbLb0EES17_EEDaS12_S13_EUlS12_E_NS1_11comp_targetILNS1_3genE0ELNS1_11target_archE4294967295ELNS1_3gpuE0ELNS1_3repE0EEENS1_30default_config_static_selectorELNS0_4arch9wavefront6targetE0EEEvT1_.has_dyn_sized_stack, 0
	.set _ZN7rocprim17ROCPRIM_400000_NS6detail17trampoline_kernelINS0_14default_configENS1_25partition_config_selectorILNS1_17partition_subalgoE8EiNS0_10empty_typeEbEEZZNS1_14partition_implILS5_8ELb0ES3_jPKiPS6_PKS6_NS0_5tupleIJPiS6_EEENSE_IJSB_SB_EEENS0_18inequality_wrapperIN6hipcub16HIPCUB_304000_NS8EqualityEEEPlJS6_EEE10hipError_tPvRmT3_T4_T5_T6_T7_T9_mT8_P12ihipStream_tbDpT10_ENKUlT_T0_E_clISt17integral_constantIbLb0EES17_EEDaS12_S13_EUlS12_E_NS1_11comp_targetILNS1_3genE0ELNS1_11target_archE4294967295ELNS1_3gpuE0ELNS1_3repE0EEENS1_30default_config_static_selectorELNS0_4arch9wavefront6targetE0EEEvT1_.has_recursion, 0
	.set _ZN7rocprim17ROCPRIM_400000_NS6detail17trampoline_kernelINS0_14default_configENS1_25partition_config_selectorILNS1_17partition_subalgoE8EiNS0_10empty_typeEbEEZZNS1_14partition_implILS5_8ELb0ES3_jPKiPS6_PKS6_NS0_5tupleIJPiS6_EEENSE_IJSB_SB_EEENS0_18inequality_wrapperIN6hipcub16HIPCUB_304000_NS8EqualityEEEPlJS6_EEE10hipError_tPvRmT3_T4_T5_T6_T7_T9_mT8_P12ihipStream_tbDpT10_ENKUlT_T0_E_clISt17integral_constantIbLb0EES17_EEDaS12_S13_EUlS12_E_NS1_11comp_targetILNS1_3genE0ELNS1_11target_archE4294967295ELNS1_3gpuE0ELNS1_3repE0EEENS1_30default_config_static_selectorELNS0_4arch9wavefront6targetE0EEEvT1_.has_indirect_call, 0
	.section	.AMDGPU.csdata,"",@progbits
; Kernel info:
; codeLenInByte = 8676
; TotalNumSgprs: 32
; NumVgprs: 58
; ScratchSize: 0
; MemoryBound: 0
; FloatMode: 240
; IeeeMode: 1
; LDSByteSize: 22536 bytes/workgroup (compile time only)
; SGPRBlocks: 0
; VGPRBlocks: 3
; NumSGPRsForWavesPerEU: 32
; NumVGPRsForWavesPerEU: 58
; NamedBarCnt: 0
; Occupancy: 16
; WaveLimiterHint : 1
; COMPUTE_PGM_RSRC2:SCRATCH_EN: 0
; COMPUTE_PGM_RSRC2:USER_SGPR: 2
; COMPUTE_PGM_RSRC2:TRAP_HANDLER: 0
; COMPUTE_PGM_RSRC2:TGID_X_EN: 1
; COMPUTE_PGM_RSRC2:TGID_Y_EN: 0
; COMPUTE_PGM_RSRC2:TGID_Z_EN: 0
; COMPUTE_PGM_RSRC2:TIDIG_COMP_CNT: 0
	.section	.text._ZN7rocprim17ROCPRIM_400000_NS6detail17trampoline_kernelINS0_14default_configENS1_25partition_config_selectorILNS1_17partition_subalgoE8EiNS0_10empty_typeEbEEZZNS1_14partition_implILS5_8ELb0ES3_jPKiPS6_PKS6_NS0_5tupleIJPiS6_EEENSE_IJSB_SB_EEENS0_18inequality_wrapperIN6hipcub16HIPCUB_304000_NS8EqualityEEEPlJS6_EEE10hipError_tPvRmT3_T4_T5_T6_T7_T9_mT8_P12ihipStream_tbDpT10_ENKUlT_T0_E_clISt17integral_constantIbLb0EES17_EEDaS12_S13_EUlS12_E_NS1_11comp_targetILNS1_3genE5ELNS1_11target_archE942ELNS1_3gpuE9ELNS1_3repE0EEENS1_30default_config_static_selectorELNS0_4arch9wavefront6targetE0EEEvT1_,"axG",@progbits,_ZN7rocprim17ROCPRIM_400000_NS6detail17trampoline_kernelINS0_14default_configENS1_25partition_config_selectorILNS1_17partition_subalgoE8EiNS0_10empty_typeEbEEZZNS1_14partition_implILS5_8ELb0ES3_jPKiPS6_PKS6_NS0_5tupleIJPiS6_EEENSE_IJSB_SB_EEENS0_18inequality_wrapperIN6hipcub16HIPCUB_304000_NS8EqualityEEEPlJS6_EEE10hipError_tPvRmT3_T4_T5_T6_T7_T9_mT8_P12ihipStream_tbDpT10_ENKUlT_T0_E_clISt17integral_constantIbLb0EES17_EEDaS12_S13_EUlS12_E_NS1_11comp_targetILNS1_3genE5ELNS1_11target_archE942ELNS1_3gpuE9ELNS1_3repE0EEENS1_30default_config_static_selectorELNS0_4arch9wavefront6targetE0EEEvT1_,comdat
	.protected	_ZN7rocprim17ROCPRIM_400000_NS6detail17trampoline_kernelINS0_14default_configENS1_25partition_config_selectorILNS1_17partition_subalgoE8EiNS0_10empty_typeEbEEZZNS1_14partition_implILS5_8ELb0ES3_jPKiPS6_PKS6_NS0_5tupleIJPiS6_EEENSE_IJSB_SB_EEENS0_18inequality_wrapperIN6hipcub16HIPCUB_304000_NS8EqualityEEEPlJS6_EEE10hipError_tPvRmT3_T4_T5_T6_T7_T9_mT8_P12ihipStream_tbDpT10_ENKUlT_T0_E_clISt17integral_constantIbLb0EES17_EEDaS12_S13_EUlS12_E_NS1_11comp_targetILNS1_3genE5ELNS1_11target_archE942ELNS1_3gpuE9ELNS1_3repE0EEENS1_30default_config_static_selectorELNS0_4arch9wavefront6targetE0EEEvT1_ ; -- Begin function _ZN7rocprim17ROCPRIM_400000_NS6detail17trampoline_kernelINS0_14default_configENS1_25partition_config_selectorILNS1_17partition_subalgoE8EiNS0_10empty_typeEbEEZZNS1_14partition_implILS5_8ELb0ES3_jPKiPS6_PKS6_NS0_5tupleIJPiS6_EEENSE_IJSB_SB_EEENS0_18inequality_wrapperIN6hipcub16HIPCUB_304000_NS8EqualityEEEPlJS6_EEE10hipError_tPvRmT3_T4_T5_T6_T7_T9_mT8_P12ihipStream_tbDpT10_ENKUlT_T0_E_clISt17integral_constantIbLb0EES17_EEDaS12_S13_EUlS12_E_NS1_11comp_targetILNS1_3genE5ELNS1_11target_archE942ELNS1_3gpuE9ELNS1_3repE0EEENS1_30default_config_static_selectorELNS0_4arch9wavefront6targetE0EEEvT1_
	.globl	_ZN7rocprim17ROCPRIM_400000_NS6detail17trampoline_kernelINS0_14default_configENS1_25partition_config_selectorILNS1_17partition_subalgoE8EiNS0_10empty_typeEbEEZZNS1_14partition_implILS5_8ELb0ES3_jPKiPS6_PKS6_NS0_5tupleIJPiS6_EEENSE_IJSB_SB_EEENS0_18inequality_wrapperIN6hipcub16HIPCUB_304000_NS8EqualityEEEPlJS6_EEE10hipError_tPvRmT3_T4_T5_T6_T7_T9_mT8_P12ihipStream_tbDpT10_ENKUlT_T0_E_clISt17integral_constantIbLb0EES17_EEDaS12_S13_EUlS12_E_NS1_11comp_targetILNS1_3genE5ELNS1_11target_archE942ELNS1_3gpuE9ELNS1_3repE0EEENS1_30default_config_static_selectorELNS0_4arch9wavefront6targetE0EEEvT1_
	.p2align	8
	.type	_ZN7rocprim17ROCPRIM_400000_NS6detail17trampoline_kernelINS0_14default_configENS1_25partition_config_selectorILNS1_17partition_subalgoE8EiNS0_10empty_typeEbEEZZNS1_14partition_implILS5_8ELb0ES3_jPKiPS6_PKS6_NS0_5tupleIJPiS6_EEENSE_IJSB_SB_EEENS0_18inequality_wrapperIN6hipcub16HIPCUB_304000_NS8EqualityEEEPlJS6_EEE10hipError_tPvRmT3_T4_T5_T6_T7_T9_mT8_P12ihipStream_tbDpT10_ENKUlT_T0_E_clISt17integral_constantIbLb0EES17_EEDaS12_S13_EUlS12_E_NS1_11comp_targetILNS1_3genE5ELNS1_11target_archE942ELNS1_3gpuE9ELNS1_3repE0EEENS1_30default_config_static_selectorELNS0_4arch9wavefront6targetE0EEEvT1_,@function
_ZN7rocprim17ROCPRIM_400000_NS6detail17trampoline_kernelINS0_14default_configENS1_25partition_config_selectorILNS1_17partition_subalgoE8EiNS0_10empty_typeEbEEZZNS1_14partition_implILS5_8ELb0ES3_jPKiPS6_PKS6_NS0_5tupleIJPiS6_EEENSE_IJSB_SB_EEENS0_18inequality_wrapperIN6hipcub16HIPCUB_304000_NS8EqualityEEEPlJS6_EEE10hipError_tPvRmT3_T4_T5_T6_T7_T9_mT8_P12ihipStream_tbDpT10_ENKUlT_T0_E_clISt17integral_constantIbLb0EES17_EEDaS12_S13_EUlS12_E_NS1_11comp_targetILNS1_3genE5ELNS1_11target_archE942ELNS1_3gpuE9ELNS1_3repE0EEENS1_30default_config_static_selectorELNS0_4arch9wavefront6targetE0EEEvT1_: ; @_ZN7rocprim17ROCPRIM_400000_NS6detail17trampoline_kernelINS0_14default_configENS1_25partition_config_selectorILNS1_17partition_subalgoE8EiNS0_10empty_typeEbEEZZNS1_14partition_implILS5_8ELb0ES3_jPKiPS6_PKS6_NS0_5tupleIJPiS6_EEENSE_IJSB_SB_EEENS0_18inequality_wrapperIN6hipcub16HIPCUB_304000_NS8EqualityEEEPlJS6_EEE10hipError_tPvRmT3_T4_T5_T6_T7_T9_mT8_P12ihipStream_tbDpT10_ENKUlT_T0_E_clISt17integral_constantIbLb0EES17_EEDaS12_S13_EUlS12_E_NS1_11comp_targetILNS1_3genE5ELNS1_11target_archE942ELNS1_3gpuE9ELNS1_3repE0EEENS1_30default_config_static_selectorELNS0_4arch9wavefront6targetE0EEEvT1_
; %bb.0:
	.section	.rodata,"a",@progbits
	.p2align	6, 0x0
	.amdhsa_kernel _ZN7rocprim17ROCPRIM_400000_NS6detail17trampoline_kernelINS0_14default_configENS1_25partition_config_selectorILNS1_17partition_subalgoE8EiNS0_10empty_typeEbEEZZNS1_14partition_implILS5_8ELb0ES3_jPKiPS6_PKS6_NS0_5tupleIJPiS6_EEENSE_IJSB_SB_EEENS0_18inequality_wrapperIN6hipcub16HIPCUB_304000_NS8EqualityEEEPlJS6_EEE10hipError_tPvRmT3_T4_T5_T6_T7_T9_mT8_P12ihipStream_tbDpT10_ENKUlT_T0_E_clISt17integral_constantIbLb0EES17_EEDaS12_S13_EUlS12_E_NS1_11comp_targetILNS1_3genE5ELNS1_11target_archE942ELNS1_3gpuE9ELNS1_3repE0EEENS1_30default_config_static_selectorELNS0_4arch9wavefront6targetE0EEEvT1_
		.amdhsa_group_segment_fixed_size 0
		.amdhsa_private_segment_fixed_size 0
		.amdhsa_kernarg_size 112
		.amdhsa_user_sgpr_count 2
		.amdhsa_user_sgpr_dispatch_ptr 0
		.amdhsa_user_sgpr_queue_ptr 0
		.amdhsa_user_sgpr_kernarg_segment_ptr 1
		.amdhsa_user_sgpr_dispatch_id 0
		.amdhsa_user_sgpr_kernarg_preload_length 0
		.amdhsa_user_sgpr_kernarg_preload_offset 0
		.amdhsa_user_sgpr_private_segment_size 0
		.amdhsa_wavefront_size32 1
		.amdhsa_uses_dynamic_stack 0
		.amdhsa_enable_private_segment 0
		.amdhsa_system_sgpr_workgroup_id_x 1
		.amdhsa_system_sgpr_workgroup_id_y 0
		.amdhsa_system_sgpr_workgroup_id_z 0
		.amdhsa_system_sgpr_workgroup_info 0
		.amdhsa_system_vgpr_workitem_id 0
		.amdhsa_next_free_vgpr 1
		.amdhsa_next_free_sgpr 1
		.amdhsa_named_barrier_count 0
		.amdhsa_reserve_vcc 0
		.amdhsa_float_round_mode_32 0
		.amdhsa_float_round_mode_16_64 0
		.amdhsa_float_denorm_mode_32 3
		.amdhsa_float_denorm_mode_16_64 3
		.amdhsa_fp16_overflow 0
		.amdhsa_memory_ordered 1
		.amdhsa_forward_progress 1
		.amdhsa_inst_pref_size 0
		.amdhsa_round_robin_scheduling 0
		.amdhsa_exception_fp_ieee_invalid_op 0
		.amdhsa_exception_fp_denorm_src 0
		.amdhsa_exception_fp_ieee_div_zero 0
		.amdhsa_exception_fp_ieee_overflow 0
		.amdhsa_exception_fp_ieee_underflow 0
		.amdhsa_exception_fp_ieee_inexact 0
		.amdhsa_exception_int_div_zero 0
	.end_amdhsa_kernel
	.section	.text._ZN7rocprim17ROCPRIM_400000_NS6detail17trampoline_kernelINS0_14default_configENS1_25partition_config_selectorILNS1_17partition_subalgoE8EiNS0_10empty_typeEbEEZZNS1_14partition_implILS5_8ELb0ES3_jPKiPS6_PKS6_NS0_5tupleIJPiS6_EEENSE_IJSB_SB_EEENS0_18inequality_wrapperIN6hipcub16HIPCUB_304000_NS8EqualityEEEPlJS6_EEE10hipError_tPvRmT3_T4_T5_T6_T7_T9_mT8_P12ihipStream_tbDpT10_ENKUlT_T0_E_clISt17integral_constantIbLb0EES17_EEDaS12_S13_EUlS12_E_NS1_11comp_targetILNS1_3genE5ELNS1_11target_archE942ELNS1_3gpuE9ELNS1_3repE0EEENS1_30default_config_static_selectorELNS0_4arch9wavefront6targetE0EEEvT1_,"axG",@progbits,_ZN7rocprim17ROCPRIM_400000_NS6detail17trampoline_kernelINS0_14default_configENS1_25partition_config_selectorILNS1_17partition_subalgoE8EiNS0_10empty_typeEbEEZZNS1_14partition_implILS5_8ELb0ES3_jPKiPS6_PKS6_NS0_5tupleIJPiS6_EEENSE_IJSB_SB_EEENS0_18inequality_wrapperIN6hipcub16HIPCUB_304000_NS8EqualityEEEPlJS6_EEE10hipError_tPvRmT3_T4_T5_T6_T7_T9_mT8_P12ihipStream_tbDpT10_ENKUlT_T0_E_clISt17integral_constantIbLb0EES17_EEDaS12_S13_EUlS12_E_NS1_11comp_targetILNS1_3genE5ELNS1_11target_archE942ELNS1_3gpuE9ELNS1_3repE0EEENS1_30default_config_static_selectorELNS0_4arch9wavefront6targetE0EEEvT1_,comdat
.Lfunc_end411:
	.size	_ZN7rocprim17ROCPRIM_400000_NS6detail17trampoline_kernelINS0_14default_configENS1_25partition_config_selectorILNS1_17partition_subalgoE8EiNS0_10empty_typeEbEEZZNS1_14partition_implILS5_8ELb0ES3_jPKiPS6_PKS6_NS0_5tupleIJPiS6_EEENSE_IJSB_SB_EEENS0_18inequality_wrapperIN6hipcub16HIPCUB_304000_NS8EqualityEEEPlJS6_EEE10hipError_tPvRmT3_T4_T5_T6_T7_T9_mT8_P12ihipStream_tbDpT10_ENKUlT_T0_E_clISt17integral_constantIbLb0EES17_EEDaS12_S13_EUlS12_E_NS1_11comp_targetILNS1_3genE5ELNS1_11target_archE942ELNS1_3gpuE9ELNS1_3repE0EEENS1_30default_config_static_selectorELNS0_4arch9wavefront6targetE0EEEvT1_, .Lfunc_end411-_ZN7rocprim17ROCPRIM_400000_NS6detail17trampoline_kernelINS0_14default_configENS1_25partition_config_selectorILNS1_17partition_subalgoE8EiNS0_10empty_typeEbEEZZNS1_14partition_implILS5_8ELb0ES3_jPKiPS6_PKS6_NS0_5tupleIJPiS6_EEENSE_IJSB_SB_EEENS0_18inequality_wrapperIN6hipcub16HIPCUB_304000_NS8EqualityEEEPlJS6_EEE10hipError_tPvRmT3_T4_T5_T6_T7_T9_mT8_P12ihipStream_tbDpT10_ENKUlT_T0_E_clISt17integral_constantIbLb0EES17_EEDaS12_S13_EUlS12_E_NS1_11comp_targetILNS1_3genE5ELNS1_11target_archE942ELNS1_3gpuE9ELNS1_3repE0EEENS1_30default_config_static_selectorELNS0_4arch9wavefront6targetE0EEEvT1_
                                        ; -- End function
	.set _ZN7rocprim17ROCPRIM_400000_NS6detail17trampoline_kernelINS0_14default_configENS1_25partition_config_selectorILNS1_17partition_subalgoE8EiNS0_10empty_typeEbEEZZNS1_14partition_implILS5_8ELb0ES3_jPKiPS6_PKS6_NS0_5tupleIJPiS6_EEENSE_IJSB_SB_EEENS0_18inequality_wrapperIN6hipcub16HIPCUB_304000_NS8EqualityEEEPlJS6_EEE10hipError_tPvRmT3_T4_T5_T6_T7_T9_mT8_P12ihipStream_tbDpT10_ENKUlT_T0_E_clISt17integral_constantIbLb0EES17_EEDaS12_S13_EUlS12_E_NS1_11comp_targetILNS1_3genE5ELNS1_11target_archE942ELNS1_3gpuE9ELNS1_3repE0EEENS1_30default_config_static_selectorELNS0_4arch9wavefront6targetE0EEEvT1_.num_vgpr, 0
	.set _ZN7rocprim17ROCPRIM_400000_NS6detail17trampoline_kernelINS0_14default_configENS1_25partition_config_selectorILNS1_17partition_subalgoE8EiNS0_10empty_typeEbEEZZNS1_14partition_implILS5_8ELb0ES3_jPKiPS6_PKS6_NS0_5tupleIJPiS6_EEENSE_IJSB_SB_EEENS0_18inequality_wrapperIN6hipcub16HIPCUB_304000_NS8EqualityEEEPlJS6_EEE10hipError_tPvRmT3_T4_T5_T6_T7_T9_mT8_P12ihipStream_tbDpT10_ENKUlT_T0_E_clISt17integral_constantIbLb0EES17_EEDaS12_S13_EUlS12_E_NS1_11comp_targetILNS1_3genE5ELNS1_11target_archE942ELNS1_3gpuE9ELNS1_3repE0EEENS1_30default_config_static_selectorELNS0_4arch9wavefront6targetE0EEEvT1_.num_agpr, 0
	.set _ZN7rocprim17ROCPRIM_400000_NS6detail17trampoline_kernelINS0_14default_configENS1_25partition_config_selectorILNS1_17partition_subalgoE8EiNS0_10empty_typeEbEEZZNS1_14partition_implILS5_8ELb0ES3_jPKiPS6_PKS6_NS0_5tupleIJPiS6_EEENSE_IJSB_SB_EEENS0_18inequality_wrapperIN6hipcub16HIPCUB_304000_NS8EqualityEEEPlJS6_EEE10hipError_tPvRmT3_T4_T5_T6_T7_T9_mT8_P12ihipStream_tbDpT10_ENKUlT_T0_E_clISt17integral_constantIbLb0EES17_EEDaS12_S13_EUlS12_E_NS1_11comp_targetILNS1_3genE5ELNS1_11target_archE942ELNS1_3gpuE9ELNS1_3repE0EEENS1_30default_config_static_selectorELNS0_4arch9wavefront6targetE0EEEvT1_.numbered_sgpr, 0
	.set _ZN7rocprim17ROCPRIM_400000_NS6detail17trampoline_kernelINS0_14default_configENS1_25partition_config_selectorILNS1_17partition_subalgoE8EiNS0_10empty_typeEbEEZZNS1_14partition_implILS5_8ELb0ES3_jPKiPS6_PKS6_NS0_5tupleIJPiS6_EEENSE_IJSB_SB_EEENS0_18inequality_wrapperIN6hipcub16HIPCUB_304000_NS8EqualityEEEPlJS6_EEE10hipError_tPvRmT3_T4_T5_T6_T7_T9_mT8_P12ihipStream_tbDpT10_ENKUlT_T0_E_clISt17integral_constantIbLb0EES17_EEDaS12_S13_EUlS12_E_NS1_11comp_targetILNS1_3genE5ELNS1_11target_archE942ELNS1_3gpuE9ELNS1_3repE0EEENS1_30default_config_static_selectorELNS0_4arch9wavefront6targetE0EEEvT1_.num_named_barrier, 0
	.set _ZN7rocprim17ROCPRIM_400000_NS6detail17trampoline_kernelINS0_14default_configENS1_25partition_config_selectorILNS1_17partition_subalgoE8EiNS0_10empty_typeEbEEZZNS1_14partition_implILS5_8ELb0ES3_jPKiPS6_PKS6_NS0_5tupleIJPiS6_EEENSE_IJSB_SB_EEENS0_18inequality_wrapperIN6hipcub16HIPCUB_304000_NS8EqualityEEEPlJS6_EEE10hipError_tPvRmT3_T4_T5_T6_T7_T9_mT8_P12ihipStream_tbDpT10_ENKUlT_T0_E_clISt17integral_constantIbLb0EES17_EEDaS12_S13_EUlS12_E_NS1_11comp_targetILNS1_3genE5ELNS1_11target_archE942ELNS1_3gpuE9ELNS1_3repE0EEENS1_30default_config_static_selectorELNS0_4arch9wavefront6targetE0EEEvT1_.private_seg_size, 0
	.set _ZN7rocprim17ROCPRIM_400000_NS6detail17trampoline_kernelINS0_14default_configENS1_25partition_config_selectorILNS1_17partition_subalgoE8EiNS0_10empty_typeEbEEZZNS1_14partition_implILS5_8ELb0ES3_jPKiPS6_PKS6_NS0_5tupleIJPiS6_EEENSE_IJSB_SB_EEENS0_18inequality_wrapperIN6hipcub16HIPCUB_304000_NS8EqualityEEEPlJS6_EEE10hipError_tPvRmT3_T4_T5_T6_T7_T9_mT8_P12ihipStream_tbDpT10_ENKUlT_T0_E_clISt17integral_constantIbLb0EES17_EEDaS12_S13_EUlS12_E_NS1_11comp_targetILNS1_3genE5ELNS1_11target_archE942ELNS1_3gpuE9ELNS1_3repE0EEENS1_30default_config_static_selectorELNS0_4arch9wavefront6targetE0EEEvT1_.uses_vcc, 0
	.set _ZN7rocprim17ROCPRIM_400000_NS6detail17trampoline_kernelINS0_14default_configENS1_25partition_config_selectorILNS1_17partition_subalgoE8EiNS0_10empty_typeEbEEZZNS1_14partition_implILS5_8ELb0ES3_jPKiPS6_PKS6_NS0_5tupleIJPiS6_EEENSE_IJSB_SB_EEENS0_18inequality_wrapperIN6hipcub16HIPCUB_304000_NS8EqualityEEEPlJS6_EEE10hipError_tPvRmT3_T4_T5_T6_T7_T9_mT8_P12ihipStream_tbDpT10_ENKUlT_T0_E_clISt17integral_constantIbLb0EES17_EEDaS12_S13_EUlS12_E_NS1_11comp_targetILNS1_3genE5ELNS1_11target_archE942ELNS1_3gpuE9ELNS1_3repE0EEENS1_30default_config_static_selectorELNS0_4arch9wavefront6targetE0EEEvT1_.uses_flat_scratch, 0
	.set _ZN7rocprim17ROCPRIM_400000_NS6detail17trampoline_kernelINS0_14default_configENS1_25partition_config_selectorILNS1_17partition_subalgoE8EiNS0_10empty_typeEbEEZZNS1_14partition_implILS5_8ELb0ES3_jPKiPS6_PKS6_NS0_5tupleIJPiS6_EEENSE_IJSB_SB_EEENS0_18inequality_wrapperIN6hipcub16HIPCUB_304000_NS8EqualityEEEPlJS6_EEE10hipError_tPvRmT3_T4_T5_T6_T7_T9_mT8_P12ihipStream_tbDpT10_ENKUlT_T0_E_clISt17integral_constantIbLb0EES17_EEDaS12_S13_EUlS12_E_NS1_11comp_targetILNS1_3genE5ELNS1_11target_archE942ELNS1_3gpuE9ELNS1_3repE0EEENS1_30default_config_static_selectorELNS0_4arch9wavefront6targetE0EEEvT1_.has_dyn_sized_stack, 0
	.set _ZN7rocprim17ROCPRIM_400000_NS6detail17trampoline_kernelINS0_14default_configENS1_25partition_config_selectorILNS1_17partition_subalgoE8EiNS0_10empty_typeEbEEZZNS1_14partition_implILS5_8ELb0ES3_jPKiPS6_PKS6_NS0_5tupleIJPiS6_EEENSE_IJSB_SB_EEENS0_18inequality_wrapperIN6hipcub16HIPCUB_304000_NS8EqualityEEEPlJS6_EEE10hipError_tPvRmT3_T4_T5_T6_T7_T9_mT8_P12ihipStream_tbDpT10_ENKUlT_T0_E_clISt17integral_constantIbLb0EES17_EEDaS12_S13_EUlS12_E_NS1_11comp_targetILNS1_3genE5ELNS1_11target_archE942ELNS1_3gpuE9ELNS1_3repE0EEENS1_30default_config_static_selectorELNS0_4arch9wavefront6targetE0EEEvT1_.has_recursion, 0
	.set _ZN7rocprim17ROCPRIM_400000_NS6detail17trampoline_kernelINS0_14default_configENS1_25partition_config_selectorILNS1_17partition_subalgoE8EiNS0_10empty_typeEbEEZZNS1_14partition_implILS5_8ELb0ES3_jPKiPS6_PKS6_NS0_5tupleIJPiS6_EEENSE_IJSB_SB_EEENS0_18inequality_wrapperIN6hipcub16HIPCUB_304000_NS8EqualityEEEPlJS6_EEE10hipError_tPvRmT3_T4_T5_T6_T7_T9_mT8_P12ihipStream_tbDpT10_ENKUlT_T0_E_clISt17integral_constantIbLb0EES17_EEDaS12_S13_EUlS12_E_NS1_11comp_targetILNS1_3genE5ELNS1_11target_archE942ELNS1_3gpuE9ELNS1_3repE0EEENS1_30default_config_static_selectorELNS0_4arch9wavefront6targetE0EEEvT1_.has_indirect_call, 0
	.section	.AMDGPU.csdata,"",@progbits
; Kernel info:
; codeLenInByte = 0
; TotalNumSgprs: 0
; NumVgprs: 0
; ScratchSize: 0
; MemoryBound: 0
; FloatMode: 240
; IeeeMode: 1
; LDSByteSize: 0 bytes/workgroup (compile time only)
; SGPRBlocks: 0
; VGPRBlocks: 0
; NumSGPRsForWavesPerEU: 1
; NumVGPRsForWavesPerEU: 1
; NamedBarCnt: 0
; Occupancy: 16
; WaveLimiterHint : 0
; COMPUTE_PGM_RSRC2:SCRATCH_EN: 0
; COMPUTE_PGM_RSRC2:USER_SGPR: 2
; COMPUTE_PGM_RSRC2:TRAP_HANDLER: 0
; COMPUTE_PGM_RSRC2:TGID_X_EN: 1
; COMPUTE_PGM_RSRC2:TGID_Y_EN: 0
; COMPUTE_PGM_RSRC2:TGID_Z_EN: 0
; COMPUTE_PGM_RSRC2:TIDIG_COMP_CNT: 0
	.section	.text._ZN7rocprim17ROCPRIM_400000_NS6detail17trampoline_kernelINS0_14default_configENS1_25partition_config_selectorILNS1_17partition_subalgoE8EiNS0_10empty_typeEbEEZZNS1_14partition_implILS5_8ELb0ES3_jPKiPS6_PKS6_NS0_5tupleIJPiS6_EEENSE_IJSB_SB_EEENS0_18inequality_wrapperIN6hipcub16HIPCUB_304000_NS8EqualityEEEPlJS6_EEE10hipError_tPvRmT3_T4_T5_T6_T7_T9_mT8_P12ihipStream_tbDpT10_ENKUlT_T0_E_clISt17integral_constantIbLb0EES17_EEDaS12_S13_EUlS12_E_NS1_11comp_targetILNS1_3genE4ELNS1_11target_archE910ELNS1_3gpuE8ELNS1_3repE0EEENS1_30default_config_static_selectorELNS0_4arch9wavefront6targetE0EEEvT1_,"axG",@progbits,_ZN7rocprim17ROCPRIM_400000_NS6detail17trampoline_kernelINS0_14default_configENS1_25partition_config_selectorILNS1_17partition_subalgoE8EiNS0_10empty_typeEbEEZZNS1_14partition_implILS5_8ELb0ES3_jPKiPS6_PKS6_NS0_5tupleIJPiS6_EEENSE_IJSB_SB_EEENS0_18inequality_wrapperIN6hipcub16HIPCUB_304000_NS8EqualityEEEPlJS6_EEE10hipError_tPvRmT3_T4_T5_T6_T7_T9_mT8_P12ihipStream_tbDpT10_ENKUlT_T0_E_clISt17integral_constantIbLb0EES17_EEDaS12_S13_EUlS12_E_NS1_11comp_targetILNS1_3genE4ELNS1_11target_archE910ELNS1_3gpuE8ELNS1_3repE0EEENS1_30default_config_static_selectorELNS0_4arch9wavefront6targetE0EEEvT1_,comdat
	.protected	_ZN7rocprim17ROCPRIM_400000_NS6detail17trampoline_kernelINS0_14default_configENS1_25partition_config_selectorILNS1_17partition_subalgoE8EiNS0_10empty_typeEbEEZZNS1_14partition_implILS5_8ELb0ES3_jPKiPS6_PKS6_NS0_5tupleIJPiS6_EEENSE_IJSB_SB_EEENS0_18inequality_wrapperIN6hipcub16HIPCUB_304000_NS8EqualityEEEPlJS6_EEE10hipError_tPvRmT3_T4_T5_T6_T7_T9_mT8_P12ihipStream_tbDpT10_ENKUlT_T0_E_clISt17integral_constantIbLb0EES17_EEDaS12_S13_EUlS12_E_NS1_11comp_targetILNS1_3genE4ELNS1_11target_archE910ELNS1_3gpuE8ELNS1_3repE0EEENS1_30default_config_static_selectorELNS0_4arch9wavefront6targetE0EEEvT1_ ; -- Begin function _ZN7rocprim17ROCPRIM_400000_NS6detail17trampoline_kernelINS0_14default_configENS1_25partition_config_selectorILNS1_17partition_subalgoE8EiNS0_10empty_typeEbEEZZNS1_14partition_implILS5_8ELb0ES3_jPKiPS6_PKS6_NS0_5tupleIJPiS6_EEENSE_IJSB_SB_EEENS0_18inequality_wrapperIN6hipcub16HIPCUB_304000_NS8EqualityEEEPlJS6_EEE10hipError_tPvRmT3_T4_T5_T6_T7_T9_mT8_P12ihipStream_tbDpT10_ENKUlT_T0_E_clISt17integral_constantIbLb0EES17_EEDaS12_S13_EUlS12_E_NS1_11comp_targetILNS1_3genE4ELNS1_11target_archE910ELNS1_3gpuE8ELNS1_3repE0EEENS1_30default_config_static_selectorELNS0_4arch9wavefront6targetE0EEEvT1_
	.globl	_ZN7rocprim17ROCPRIM_400000_NS6detail17trampoline_kernelINS0_14default_configENS1_25partition_config_selectorILNS1_17partition_subalgoE8EiNS0_10empty_typeEbEEZZNS1_14partition_implILS5_8ELb0ES3_jPKiPS6_PKS6_NS0_5tupleIJPiS6_EEENSE_IJSB_SB_EEENS0_18inequality_wrapperIN6hipcub16HIPCUB_304000_NS8EqualityEEEPlJS6_EEE10hipError_tPvRmT3_T4_T5_T6_T7_T9_mT8_P12ihipStream_tbDpT10_ENKUlT_T0_E_clISt17integral_constantIbLb0EES17_EEDaS12_S13_EUlS12_E_NS1_11comp_targetILNS1_3genE4ELNS1_11target_archE910ELNS1_3gpuE8ELNS1_3repE0EEENS1_30default_config_static_selectorELNS0_4arch9wavefront6targetE0EEEvT1_
	.p2align	8
	.type	_ZN7rocprim17ROCPRIM_400000_NS6detail17trampoline_kernelINS0_14default_configENS1_25partition_config_selectorILNS1_17partition_subalgoE8EiNS0_10empty_typeEbEEZZNS1_14partition_implILS5_8ELb0ES3_jPKiPS6_PKS6_NS0_5tupleIJPiS6_EEENSE_IJSB_SB_EEENS0_18inequality_wrapperIN6hipcub16HIPCUB_304000_NS8EqualityEEEPlJS6_EEE10hipError_tPvRmT3_T4_T5_T6_T7_T9_mT8_P12ihipStream_tbDpT10_ENKUlT_T0_E_clISt17integral_constantIbLb0EES17_EEDaS12_S13_EUlS12_E_NS1_11comp_targetILNS1_3genE4ELNS1_11target_archE910ELNS1_3gpuE8ELNS1_3repE0EEENS1_30default_config_static_selectorELNS0_4arch9wavefront6targetE0EEEvT1_,@function
_ZN7rocprim17ROCPRIM_400000_NS6detail17trampoline_kernelINS0_14default_configENS1_25partition_config_selectorILNS1_17partition_subalgoE8EiNS0_10empty_typeEbEEZZNS1_14partition_implILS5_8ELb0ES3_jPKiPS6_PKS6_NS0_5tupleIJPiS6_EEENSE_IJSB_SB_EEENS0_18inequality_wrapperIN6hipcub16HIPCUB_304000_NS8EqualityEEEPlJS6_EEE10hipError_tPvRmT3_T4_T5_T6_T7_T9_mT8_P12ihipStream_tbDpT10_ENKUlT_T0_E_clISt17integral_constantIbLb0EES17_EEDaS12_S13_EUlS12_E_NS1_11comp_targetILNS1_3genE4ELNS1_11target_archE910ELNS1_3gpuE8ELNS1_3repE0EEENS1_30default_config_static_selectorELNS0_4arch9wavefront6targetE0EEEvT1_: ; @_ZN7rocprim17ROCPRIM_400000_NS6detail17trampoline_kernelINS0_14default_configENS1_25partition_config_selectorILNS1_17partition_subalgoE8EiNS0_10empty_typeEbEEZZNS1_14partition_implILS5_8ELb0ES3_jPKiPS6_PKS6_NS0_5tupleIJPiS6_EEENSE_IJSB_SB_EEENS0_18inequality_wrapperIN6hipcub16HIPCUB_304000_NS8EqualityEEEPlJS6_EEE10hipError_tPvRmT3_T4_T5_T6_T7_T9_mT8_P12ihipStream_tbDpT10_ENKUlT_T0_E_clISt17integral_constantIbLb0EES17_EEDaS12_S13_EUlS12_E_NS1_11comp_targetILNS1_3genE4ELNS1_11target_archE910ELNS1_3gpuE8ELNS1_3repE0EEENS1_30default_config_static_selectorELNS0_4arch9wavefront6targetE0EEEvT1_
; %bb.0:
	.section	.rodata,"a",@progbits
	.p2align	6, 0x0
	.amdhsa_kernel _ZN7rocprim17ROCPRIM_400000_NS6detail17trampoline_kernelINS0_14default_configENS1_25partition_config_selectorILNS1_17partition_subalgoE8EiNS0_10empty_typeEbEEZZNS1_14partition_implILS5_8ELb0ES3_jPKiPS6_PKS6_NS0_5tupleIJPiS6_EEENSE_IJSB_SB_EEENS0_18inequality_wrapperIN6hipcub16HIPCUB_304000_NS8EqualityEEEPlJS6_EEE10hipError_tPvRmT3_T4_T5_T6_T7_T9_mT8_P12ihipStream_tbDpT10_ENKUlT_T0_E_clISt17integral_constantIbLb0EES17_EEDaS12_S13_EUlS12_E_NS1_11comp_targetILNS1_3genE4ELNS1_11target_archE910ELNS1_3gpuE8ELNS1_3repE0EEENS1_30default_config_static_selectorELNS0_4arch9wavefront6targetE0EEEvT1_
		.amdhsa_group_segment_fixed_size 0
		.amdhsa_private_segment_fixed_size 0
		.amdhsa_kernarg_size 112
		.amdhsa_user_sgpr_count 2
		.amdhsa_user_sgpr_dispatch_ptr 0
		.amdhsa_user_sgpr_queue_ptr 0
		.amdhsa_user_sgpr_kernarg_segment_ptr 1
		.amdhsa_user_sgpr_dispatch_id 0
		.amdhsa_user_sgpr_kernarg_preload_length 0
		.amdhsa_user_sgpr_kernarg_preload_offset 0
		.amdhsa_user_sgpr_private_segment_size 0
		.amdhsa_wavefront_size32 1
		.amdhsa_uses_dynamic_stack 0
		.amdhsa_enable_private_segment 0
		.amdhsa_system_sgpr_workgroup_id_x 1
		.amdhsa_system_sgpr_workgroup_id_y 0
		.amdhsa_system_sgpr_workgroup_id_z 0
		.amdhsa_system_sgpr_workgroup_info 0
		.amdhsa_system_vgpr_workitem_id 0
		.amdhsa_next_free_vgpr 1
		.amdhsa_next_free_sgpr 1
		.amdhsa_named_barrier_count 0
		.amdhsa_reserve_vcc 0
		.amdhsa_float_round_mode_32 0
		.amdhsa_float_round_mode_16_64 0
		.amdhsa_float_denorm_mode_32 3
		.amdhsa_float_denorm_mode_16_64 3
		.amdhsa_fp16_overflow 0
		.amdhsa_memory_ordered 1
		.amdhsa_forward_progress 1
		.amdhsa_inst_pref_size 0
		.amdhsa_round_robin_scheduling 0
		.amdhsa_exception_fp_ieee_invalid_op 0
		.amdhsa_exception_fp_denorm_src 0
		.amdhsa_exception_fp_ieee_div_zero 0
		.amdhsa_exception_fp_ieee_overflow 0
		.amdhsa_exception_fp_ieee_underflow 0
		.amdhsa_exception_fp_ieee_inexact 0
		.amdhsa_exception_int_div_zero 0
	.end_amdhsa_kernel
	.section	.text._ZN7rocprim17ROCPRIM_400000_NS6detail17trampoline_kernelINS0_14default_configENS1_25partition_config_selectorILNS1_17partition_subalgoE8EiNS0_10empty_typeEbEEZZNS1_14partition_implILS5_8ELb0ES3_jPKiPS6_PKS6_NS0_5tupleIJPiS6_EEENSE_IJSB_SB_EEENS0_18inequality_wrapperIN6hipcub16HIPCUB_304000_NS8EqualityEEEPlJS6_EEE10hipError_tPvRmT3_T4_T5_T6_T7_T9_mT8_P12ihipStream_tbDpT10_ENKUlT_T0_E_clISt17integral_constantIbLb0EES17_EEDaS12_S13_EUlS12_E_NS1_11comp_targetILNS1_3genE4ELNS1_11target_archE910ELNS1_3gpuE8ELNS1_3repE0EEENS1_30default_config_static_selectorELNS0_4arch9wavefront6targetE0EEEvT1_,"axG",@progbits,_ZN7rocprim17ROCPRIM_400000_NS6detail17trampoline_kernelINS0_14default_configENS1_25partition_config_selectorILNS1_17partition_subalgoE8EiNS0_10empty_typeEbEEZZNS1_14partition_implILS5_8ELb0ES3_jPKiPS6_PKS6_NS0_5tupleIJPiS6_EEENSE_IJSB_SB_EEENS0_18inequality_wrapperIN6hipcub16HIPCUB_304000_NS8EqualityEEEPlJS6_EEE10hipError_tPvRmT3_T4_T5_T6_T7_T9_mT8_P12ihipStream_tbDpT10_ENKUlT_T0_E_clISt17integral_constantIbLb0EES17_EEDaS12_S13_EUlS12_E_NS1_11comp_targetILNS1_3genE4ELNS1_11target_archE910ELNS1_3gpuE8ELNS1_3repE0EEENS1_30default_config_static_selectorELNS0_4arch9wavefront6targetE0EEEvT1_,comdat
.Lfunc_end412:
	.size	_ZN7rocprim17ROCPRIM_400000_NS6detail17trampoline_kernelINS0_14default_configENS1_25partition_config_selectorILNS1_17partition_subalgoE8EiNS0_10empty_typeEbEEZZNS1_14partition_implILS5_8ELb0ES3_jPKiPS6_PKS6_NS0_5tupleIJPiS6_EEENSE_IJSB_SB_EEENS0_18inequality_wrapperIN6hipcub16HIPCUB_304000_NS8EqualityEEEPlJS6_EEE10hipError_tPvRmT3_T4_T5_T6_T7_T9_mT8_P12ihipStream_tbDpT10_ENKUlT_T0_E_clISt17integral_constantIbLb0EES17_EEDaS12_S13_EUlS12_E_NS1_11comp_targetILNS1_3genE4ELNS1_11target_archE910ELNS1_3gpuE8ELNS1_3repE0EEENS1_30default_config_static_selectorELNS0_4arch9wavefront6targetE0EEEvT1_, .Lfunc_end412-_ZN7rocprim17ROCPRIM_400000_NS6detail17trampoline_kernelINS0_14default_configENS1_25partition_config_selectorILNS1_17partition_subalgoE8EiNS0_10empty_typeEbEEZZNS1_14partition_implILS5_8ELb0ES3_jPKiPS6_PKS6_NS0_5tupleIJPiS6_EEENSE_IJSB_SB_EEENS0_18inequality_wrapperIN6hipcub16HIPCUB_304000_NS8EqualityEEEPlJS6_EEE10hipError_tPvRmT3_T4_T5_T6_T7_T9_mT8_P12ihipStream_tbDpT10_ENKUlT_T0_E_clISt17integral_constantIbLb0EES17_EEDaS12_S13_EUlS12_E_NS1_11comp_targetILNS1_3genE4ELNS1_11target_archE910ELNS1_3gpuE8ELNS1_3repE0EEENS1_30default_config_static_selectorELNS0_4arch9wavefront6targetE0EEEvT1_
                                        ; -- End function
	.set _ZN7rocprim17ROCPRIM_400000_NS6detail17trampoline_kernelINS0_14default_configENS1_25partition_config_selectorILNS1_17partition_subalgoE8EiNS0_10empty_typeEbEEZZNS1_14partition_implILS5_8ELb0ES3_jPKiPS6_PKS6_NS0_5tupleIJPiS6_EEENSE_IJSB_SB_EEENS0_18inequality_wrapperIN6hipcub16HIPCUB_304000_NS8EqualityEEEPlJS6_EEE10hipError_tPvRmT3_T4_T5_T6_T7_T9_mT8_P12ihipStream_tbDpT10_ENKUlT_T0_E_clISt17integral_constantIbLb0EES17_EEDaS12_S13_EUlS12_E_NS1_11comp_targetILNS1_3genE4ELNS1_11target_archE910ELNS1_3gpuE8ELNS1_3repE0EEENS1_30default_config_static_selectorELNS0_4arch9wavefront6targetE0EEEvT1_.num_vgpr, 0
	.set _ZN7rocprim17ROCPRIM_400000_NS6detail17trampoline_kernelINS0_14default_configENS1_25partition_config_selectorILNS1_17partition_subalgoE8EiNS0_10empty_typeEbEEZZNS1_14partition_implILS5_8ELb0ES3_jPKiPS6_PKS6_NS0_5tupleIJPiS6_EEENSE_IJSB_SB_EEENS0_18inequality_wrapperIN6hipcub16HIPCUB_304000_NS8EqualityEEEPlJS6_EEE10hipError_tPvRmT3_T4_T5_T6_T7_T9_mT8_P12ihipStream_tbDpT10_ENKUlT_T0_E_clISt17integral_constantIbLb0EES17_EEDaS12_S13_EUlS12_E_NS1_11comp_targetILNS1_3genE4ELNS1_11target_archE910ELNS1_3gpuE8ELNS1_3repE0EEENS1_30default_config_static_selectorELNS0_4arch9wavefront6targetE0EEEvT1_.num_agpr, 0
	.set _ZN7rocprim17ROCPRIM_400000_NS6detail17trampoline_kernelINS0_14default_configENS1_25partition_config_selectorILNS1_17partition_subalgoE8EiNS0_10empty_typeEbEEZZNS1_14partition_implILS5_8ELb0ES3_jPKiPS6_PKS6_NS0_5tupleIJPiS6_EEENSE_IJSB_SB_EEENS0_18inequality_wrapperIN6hipcub16HIPCUB_304000_NS8EqualityEEEPlJS6_EEE10hipError_tPvRmT3_T4_T5_T6_T7_T9_mT8_P12ihipStream_tbDpT10_ENKUlT_T0_E_clISt17integral_constantIbLb0EES17_EEDaS12_S13_EUlS12_E_NS1_11comp_targetILNS1_3genE4ELNS1_11target_archE910ELNS1_3gpuE8ELNS1_3repE0EEENS1_30default_config_static_selectorELNS0_4arch9wavefront6targetE0EEEvT1_.numbered_sgpr, 0
	.set _ZN7rocprim17ROCPRIM_400000_NS6detail17trampoline_kernelINS0_14default_configENS1_25partition_config_selectorILNS1_17partition_subalgoE8EiNS0_10empty_typeEbEEZZNS1_14partition_implILS5_8ELb0ES3_jPKiPS6_PKS6_NS0_5tupleIJPiS6_EEENSE_IJSB_SB_EEENS0_18inequality_wrapperIN6hipcub16HIPCUB_304000_NS8EqualityEEEPlJS6_EEE10hipError_tPvRmT3_T4_T5_T6_T7_T9_mT8_P12ihipStream_tbDpT10_ENKUlT_T0_E_clISt17integral_constantIbLb0EES17_EEDaS12_S13_EUlS12_E_NS1_11comp_targetILNS1_3genE4ELNS1_11target_archE910ELNS1_3gpuE8ELNS1_3repE0EEENS1_30default_config_static_selectorELNS0_4arch9wavefront6targetE0EEEvT1_.num_named_barrier, 0
	.set _ZN7rocprim17ROCPRIM_400000_NS6detail17trampoline_kernelINS0_14default_configENS1_25partition_config_selectorILNS1_17partition_subalgoE8EiNS0_10empty_typeEbEEZZNS1_14partition_implILS5_8ELb0ES3_jPKiPS6_PKS6_NS0_5tupleIJPiS6_EEENSE_IJSB_SB_EEENS0_18inequality_wrapperIN6hipcub16HIPCUB_304000_NS8EqualityEEEPlJS6_EEE10hipError_tPvRmT3_T4_T5_T6_T7_T9_mT8_P12ihipStream_tbDpT10_ENKUlT_T0_E_clISt17integral_constantIbLb0EES17_EEDaS12_S13_EUlS12_E_NS1_11comp_targetILNS1_3genE4ELNS1_11target_archE910ELNS1_3gpuE8ELNS1_3repE0EEENS1_30default_config_static_selectorELNS0_4arch9wavefront6targetE0EEEvT1_.private_seg_size, 0
	.set _ZN7rocprim17ROCPRIM_400000_NS6detail17trampoline_kernelINS0_14default_configENS1_25partition_config_selectorILNS1_17partition_subalgoE8EiNS0_10empty_typeEbEEZZNS1_14partition_implILS5_8ELb0ES3_jPKiPS6_PKS6_NS0_5tupleIJPiS6_EEENSE_IJSB_SB_EEENS0_18inequality_wrapperIN6hipcub16HIPCUB_304000_NS8EqualityEEEPlJS6_EEE10hipError_tPvRmT3_T4_T5_T6_T7_T9_mT8_P12ihipStream_tbDpT10_ENKUlT_T0_E_clISt17integral_constantIbLb0EES17_EEDaS12_S13_EUlS12_E_NS1_11comp_targetILNS1_3genE4ELNS1_11target_archE910ELNS1_3gpuE8ELNS1_3repE0EEENS1_30default_config_static_selectorELNS0_4arch9wavefront6targetE0EEEvT1_.uses_vcc, 0
	.set _ZN7rocprim17ROCPRIM_400000_NS6detail17trampoline_kernelINS0_14default_configENS1_25partition_config_selectorILNS1_17partition_subalgoE8EiNS0_10empty_typeEbEEZZNS1_14partition_implILS5_8ELb0ES3_jPKiPS6_PKS6_NS0_5tupleIJPiS6_EEENSE_IJSB_SB_EEENS0_18inequality_wrapperIN6hipcub16HIPCUB_304000_NS8EqualityEEEPlJS6_EEE10hipError_tPvRmT3_T4_T5_T6_T7_T9_mT8_P12ihipStream_tbDpT10_ENKUlT_T0_E_clISt17integral_constantIbLb0EES17_EEDaS12_S13_EUlS12_E_NS1_11comp_targetILNS1_3genE4ELNS1_11target_archE910ELNS1_3gpuE8ELNS1_3repE0EEENS1_30default_config_static_selectorELNS0_4arch9wavefront6targetE0EEEvT1_.uses_flat_scratch, 0
	.set _ZN7rocprim17ROCPRIM_400000_NS6detail17trampoline_kernelINS0_14default_configENS1_25partition_config_selectorILNS1_17partition_subalgoE8EiNS0_10empty_typeEbEEZZNS1_14partition_implILS5_8ELb0ES3_jPKiPS6_PKS6_NS0_5tupleIJPiS6_EEENSE_IJSB_SB_EEENS0_18inequality_wrapperIN6hipcub16HIPCUB_304000_NS8EqualityEEEPlJS6_EEE10hipError_tPvRmT3_T4_T5_T6_T7_T9_mT8_P12ihipStream_tbDpT10_ENKUlT_T0_E_clISt17integral_constantIbLb0EES17_EEDaS12_S13_EUlS12_E_NS1_11comp_targetILNS1_3genE4ELNS1_11target_archE910ELNS1_3gpuE8ELNS1_3repE0EEENS1_30default_config_static_selectorELNS0_4arch9wavefront6targetE0EEEvT1_.has_dyn_sized_stack, 0
	.set _ZN7rocprim17ROCPRIM_400000_NS6detail17trampoline_kernelINS0_14default_configENS1_25partition_config_selectorILNS1_17partition_subalgoE8EiNS0_10empty_typeEbEEZZNS1_14partition_implILS5_8ELb0ES3_jPKiPS6_PKS6_NS0_5tupleIJPiS6_EEENSE_IJSB_SB_EEENS0_18inequality_wrapperIN6hipcub16HIPCUB_304000_NS8EqualityEEEPlJS6_EEE10hipError_tPvRmT3_T4_T5_T6_T7_T9_mT8_P12ihipStream_tbDpT10_ENKUlT_T0_E_clISt17integral_constantIbLb0EES17_EEDaS12_S13_EUlS12_E_NS1_11comp_targetILNS1_3genE4ELNS1_11target_archE910ELNS1_3gpuE8ELNS1_3repE0EEENS1_30default_config_static_selectorELNS0_4arch9wavefront6targetE0EEEvT1_.has_recursion, 0
	.set _ZN7rocprim17ROCPRIM_400000_NS6detail17trampoline_kernelINS0_14default_configENS1_25partition_config_selectorILNS1_17partition_subalgoE8EiNS0_10empty_typeEbEEZZNS1_14partition_implILS5_8ELb0ES3_jPKiPS6_PKS6_NS0_5tupleIJPiS6_EEENSE_IJSB_SB_EEENS0_18inequality_wrapperIN6hipcub16HIPCUB_304000_NS8EqualityEEEPlJS6_EEE10hipError_tPvRmT3_T4_T5_T6_T7_T9_mT8_P12ihipStream_tbDpT10_ENKUlT_T0_E_clISt17integral_constantIbLb0EES17_EEDaS12_S13_EUlS12_E_NS1_11comp_targetILNS1_3genE4ELNS1_11target_archE910ELNS1_3gpuE8ELNS1_3repE0EEENS1_30default_config_static_selectorELNS0_4arch9wavefront6targetE0EEEvT1_.has_indirect_call, 0
	.section	.AMDGPU.csdata,"",@progbits
; Kernel info:
; codeLenInByte = 0
; TotalNumSgprs: 0
; NumVgprs: 0
; ScratchSize: 0
; MemoryBound: 0
; FloatMode: 240
; IeeeMode: 1
; LDSByteSize: 0 bytes/workgroup (compile time only)
; SGPRBlocks: 0
; VGPRBlocks: 0
; NumSGPRsForWavesPerEU: 1
; NumVGPRsForWavesPerEU: 1
; NamedBarCnt: 0
; Occupancy: 16
; WaveLimiterHint : 0
; COMPUTE_PGM_RSRC2:SCRATCH_EN: 0
; COMPUTE_PGM_RSRC2:USER_SGPR: 2
; COMPUTE_PGM_RSRC2:TRAP_HANDLER: 0
; COMPUTE_PGM_RSRC2:TGID_X_EN: 1
; COMPUTE_PGM_RSRC2:TGID_Y_EN: 0
; COMPUTE_PGM_RSRC2:TGID_Z_EN: 0
; COMPUTE_PGM_RSRC2:TIDIG_COMP_CNT: 0
	.section	.text._ZN7rocprim17ROCPRIM_400000_NS6detail17trampoline_kernelINS0_14default_configENS1_25partition_config_selectorILNS1_17partition_subalgoE8EiNS0_10empty_typeEbEEZZNS1_14partition_implILS5_8ELb0ES3_jPKiPS6_PKS6_NS0_5tupleIJPiS6_EEENSE_IJSB_SB_EEENS0_18inequality_wrapperIN6hipcub16HIPCUB_304000_NS8EqualityEEEPlJS6_EEE10hipError_tPvRmT3_T4_T5_T6_T7_T9_mT8_P12ihipStream_tbDpT10_ENKUlT_T0_E_clISt17integral_constantIbLb0EES17_EEDaS12_S13_EUlS12_E_NS1_11comp_targetILNS1_3genE3ELNS1_11target_archE908ELNS1_3gpuE7ELNS1_3repE0EEENS1_30default_config_static_selectorELNS0_4arch9wavefront6targetE0EEEvT1_,"axG",@progbits,_ZN7rocprim17ROCPRIM_400000_NS6detail17trampoline_kernelINS0_14default_configENS1_25partition_config_selectorILNS1_17partition_subalgoE8EiNS0_10empty_typeEbEEZZNS1_14partition_implILS5_8ELb0ES3_jPKiPS6_PKS6_NS0_5tupleIJPiS6_EEENSE_IJSB_SB_EEENS0_18inequality_wrapperIN6hipcub16HIPCUB_304000_NS8EqualityEEEPlJS6_EEE10hipError_tPvRmT3_T4_T5_T6_T7_T9_mT8_P12ihipStream_tbDpT10_ENKUlT_T0_E_clISt17integral_constantIbLb0EES17_EEDaS12_S13_EUlS12_E_NS1_11comp_targetILNS1_3genE3ELNS1_11target_archE908ELNS1_3gpuE7ELNS1_3repE0EEENS1_30default_config_static_selectorELNS0_4arch9wavefront6targetE0EEEvT1_,comdat
	.protected	_ZN7rocprim17ROCPRIM_400000_NS6detail17trampoline_kernelINS0_14default_configENS1_25partition_config_selectorILNS1_17partition_subalgoE8EiNS0_10empty_typeEbEEZZNS1_14partition_implILS5_8ELb0ES3_jPKiPS6_PKS6_NS0_5tupleIJPiS6_EEENSE_IJSB_SB_EEENS0_18inequality_wrapperIN6hipcub16HIPCUB_304000_NS8EqualityEEEPlJS6_EEE10hipError_tPvRmT3_T4_T5_T6_T7_T9_mT8_P12ihipStream_tbDpT10_ENKUlT_T0_E_clISt17integral_constantIbLb0EES17_EEDaS12_S13_EUlS12_E_NS1_11comp_targetILNS1_3genE3ELNS1_11target_archE908ELNS1_3gpuE7ELNS1_3repE0EEENS1_30default_config_static_selectorELNS0_4arch9wavefront6targetE0EEEvT1_ ; -- Begin function _ZN7rocprim17ROCPRIM_400000_NS6detail17trampoline_kernelINS0_14default_configENS1_25partition_config_selectorILNS1_17partition_subalgoE8EiNS0_10empty_typeEbEEZZNS1_14partition_implILS5_8ELb0ES3_jPKiPS6_PKS6_NS0_5tupleIJPiS6_EEENSE_IJSB_SB_EEENS0_18inequality_wrapperIN6hipcub16HIPCUB_304000_NS8EqualityEEEPlJS6_EEE10hipError_tPvRmT3_T4_T5_T6_T7_T9_mT8_P12ihipStream_tbDpT10_ENKUlT_T0_E_clISt17integral_constantIbLb0EES17_EEDaS12_S13_EUlS12_E_NS1_11comp_targetILNS1_3genE3ELNS1_11target_archE908ELNS1_3gpuE7ELNS1_3repE0EEENS1_30default_config_static_selectorELNS0_4arch9wavefront6targetE0EEEvT1_
	.globl	_ZN7rocprim17ROCPRIM_400000_NS6detail17trampoline_kernelINS0_14default_configENS1_25partition_config_selectorILNS1_17partition_subalgoE8EiNS0_10empty_typeEbEEZZNS1_14partition_implILS5_8ELb0ES3_jPKiPS6_PKS6_NS0_5tupleIJPiS6_EEENSE_IJSB_SB_EEENS0_18inequality_wrapperIN6hipcub16HIPCUB_304000_NS8EqualityEEEPlJS6_EEE10hipError_tPvRmT3_T4_T5_T6_T7_T9_mT8_P12ihipStream_tbDpT10_ENKUlT_T0_E_clISt17integral_constantIbLb0EES17_EEDaS12_S13_EUlS12_E_NS1_11comp_targetILNS1_3genE3ELNS1_11target_archE908ELNS1_3gpuE7ELNS1_3repE0EEENS1_30default_config_static_selectorELNS0_4arch9wavefront6targetE0EEEvT1_
	.p2align	8
	.type	_ZN7rocprim17ROCPRIM_400000_NS6detail17trampoline_kernelINS0_14default_configENS1_25partition_config_selectorILNS1_17partition_subalgoE8EiNS0_10empty_typeEbEEZZNS1_14partition_implILS5_8ELb0ES3_jPKiPS6_PKS6_NS0_5tupleIJPiS6_EEENSE_IJSB_SB_EEENS0_18inequality_wrapperIN6hipcub16HIPCUB_304000_NS8EqualityEEEPlJS6_EEE10hipError_tPvRmT3_T4_T5_T6_T7_T9_mT8_P12ihipStream_tbDpT10_ENKUlT_T0_E_clISt17integral_constantIbLb0EES17_EEDaS12_S13_EUlS12_E_NS1_11comp_targetILNS1_3genE3ELNS1_11target_archE908ELNS1_3gpuE7ELNS1_3repE0EEENS1_30default_config_static_selectorELNS0_4arch9wavefront6targetE0EEEvT1_,@function
_ZN7rocprim17ROCPRIM_400000_NS6detail17trampoline_kernelINS0_14default_configENS1_25partition_config_selectorILNS1_17partition_subalgoE8EiNS0_10empty_typeEbEEZZNS1_14partition_implILS5_8ELb0ES3_jPKiPS6_PKS6_NS0_5tupleIJPiS6_EEENSE_IJSB_SB_EEENS0_18inequality_wrapperIN6hipcub16HIPCUB_304000_NS8EqualityEEEPlJS6_EEE10hipError_tPvRmT3_T4_T5_T6_T7_T9_mT8_P12ihipStream_tbDpT10_ENKUlT_T0_E_clISt17integral_constantIbLb0EES17_EEDaS12_S13_EUlS12_E_NS1_11comp_targetILNS1_3genE3ELNS1_11target_archE908ELNS1_3gpuE7ELNS1_3repE0EEENS1_30default_config_static_selectorELNS0_4arch9wavefront6targetE0EEEvT1_: ; @_ZN7rocprim17ROCPRIM_400000_NS6detail17trampoline_kernelINS0_14default_configENS1_25partition_config_selectorILNS1_17partition_subalgoE8EiNS0_10empty_typeEbEEZZNS1_14partition_implILS5_8ELb0ES3_jPKiPS6_PKS6_NS0_5tupleIJPiS6_EEENSE_IJSB_SB_EEENS0_18inequality_wrapperIN6hipcub16HIPCUB_304000_NS8EqualityEEEPlJS6_EEE10hipError_tPvRmT3_T4_T5_T6_T7_T9_mT8_P12ihipStream_tbDpT10_ENKUlT_T0_E_clISt17integral_constantIbLb0EES17_EEDaS12_S13_EUlS12_E_NS1_11comp_targetILNS1_3genE3ELNS1_11target_archE908ELNS1_3gpuE7ELNS1_3repE0EEENS1_30default_config_static_selectorELNS0_4arch9wavefront6targetE0EEEvT1_
; %bb.0:
	.section	.rodata,"a",@progbits
	.p2align	6, 0x0
	.amdhsa_kernel _ZN7rocprim17ROCPRIM_400000_NS6detail17trampoline_kernelINS0_14default_configENS1_25partition_config_selectorILNS1_17partition_subalgoE8EiNS0_10empty_typeEbEEZZNS1_14partition_implILS5_8ELb0ES3_jPKiPS6_PKS6_NS0_5tupleIJPiS6_EEENSE_IJSB_SB_EEENS0_18inequality_wrapperIN6hipcub16HIPCUB_304000_NS8EqualityEEEPlJS6_EEE10hipError_tPvRmT3_T4_T5_T6_T7_T9_mT8_P12ihipStream_tbDpT10_ENKUlT_T0_E_clISt17integral_constantIbLb0EES17_EEDaS12_S13_EUlS12_E_NS1_11comp_targetILNS1_3genE3ELNS1_11target_archE908ELNS1_3gpuE7ELNS1_3repE0EEENS1_30default_config_static_selectorELNS0_4arch9wavefront6targetE0EEEvT1_
		.amdhsa_group_segment_fixed_size 0
		.amdhsa_private_segment_fixed_size 0
		.amdhsa_kernarg_size 112
		.amdhsa_user_sgpr_count 2
		.amdhsa_user_sgpr_dispatch_ptr 0
		.amdhsa_user_sgpr_queue_ptr 0
		.amdhsa_user_sgpr_kernarg_segment_ptr 1
		.amdhsa_user_sgpr_dispatch_id 0
		.amdhsa_user_sgpr_kernarg_preload_length 0
		.amdhsa_user_sgpr_kernarg_preload_offset 0
		.amdhsa_user_sgpr_private_segment_size 0
		.amdhsa_wavefront_size32 1
		.amdhsa_uses_dynamic_stack 0
		.amdhsa_enable_private_segment 0
		.amdhsa_system_sgpr_workgroup_id_x 1
		.amdhsa_system_sgpr_workgroup_id_y 0
		.amdhsa_system_sgpr_workgroup_id_z 0
		.amdhsa_system_sgpr_workgroup_info 0
		.amdhsa_system_vgpr_workitem_id 0
		.amdhsa_next_free_vgpr 1
		.amdhsa_next_free_sgpr 1
		.amdhsa_named_barrier_count 0
		.amdhsa_reserve_vcc 0
		.amdhsa_float_round_mode_32 0
		.amdhsa_float_round_mode_16_64 0
		.amdhsa_float_denorm_mode_32 3
		.amdhsa_float_denorm_mode_16_64 3
		.amdhsa_fp16_overflow 0
		.amdhsa_memory_ordered 1
		.amdhsa_forward_progress 1
		.amdhsa_inst_pref_size 0
		.amdhsa_round_robin_scheduling 0
		.amdhsa_exception_fp_ieee_invalid_op 0
		.amdhsa_exception_fp_denorm_src 0
		.amdhsa_exception_fp_ieee_div_zero 0
		.amdhsa_exception_fp_ieee_overflow 0
		.amdhsa_exception_fp_ieee_underflow 0
		.amdhsa_exception_fp_ieee_inexact 0
		.amdhsa_exception_int_div_zero 0
	.end_amdhsa_kernel
	.section	.text._ZN7rocprim17ROCPRIM_400000_NS6detail17trampoline_kernelINS0_14default_configENS1_25partition_config_selectorILNS1_17partition_subalgoE8EiNS0_10empty_typeEbEEZZNS1_14partition_implILS5_8ELb0ES3_jPKiPS6_PKS6_NS0_5tupleIJPiS6_EEENSE_IJSB_SB_EEENS0_18inequality_wrapperIN6hipcub16HIPCUB_304000_NS8EqualityEEEPlJS6_EEE10hipError_tPvRmT3_T4_T5_T6_T7_T9_mT8_P12ihipStream_tbDpT10_ENKUlT_T0_E_clISt17integral_constantIbLb0EES17_EEDaS12_S13_EUlS12_E_NS1_11comp_targetILNS1_3genE3ELNS1_11target_archE908ELNS1_3gpuE7ELNS1_3repE0EEENS1_30default_config_static_selectorELNS0_4arch9wavefront6targetE0EEEvT1_,"axG",@progbits,_ZN7rocprim17ROCPRIM_400000_NS6detail17trampoline_kernelINS0_14default_configENS1_25partition_config_selectorILNS1_17partition_subalgoE8EiNS0_10empty_typeEbEEZZNS1_14partition_implILS5_8ELb0ES3_jPKiPS6_PKS6_NS0_5tupleIJPiS6_EEENSE_IJSB_SB_EEENS0_18inequality_wrapperIN6hipcub16HIPCUB_304000_NS8EqualityEEEPlJS6_EEE10hipError_tPvRmT3_T4_T5_T6_T7_T9_mT8_P12ihipStream_tbDpT10_ENKUlT_T0_E_clISt17integral_constantIbLb0EES17_EEDaS12_S13_EUlS12_E_NS1_11comp_targetILNS1_3genE3ELNS1_11target_archE908ELNS1_3gpuE7ELNS1_3repE0EEENS1_30default_config_static_selectorELNS0_4arch9wavefront6targetE0EEEvT1_,comdat
.Lfunc_end413:
	.size	_ZN7rocprim17ROCPRIM_400000_NS6detail17trampoline_kernelINS0_14default_configENS1_25partition_config_selectorILNS1_17partition_subalgoE8EiNS0_10empty_typeEbEEZZNS1_14partition_implILS5_8ELb0ES3_jPKiPS6_PKS6_NS0_5tupleIJPiS6_EEENSE_IJSB_SB_EEENS0_18inequality_wrapperIN6hipcub16HIPCUB_304000_NS8EqualityEEEPlJS6_EEE10hipError_tPvRmT3_T4_T5_T6_T7_T9_mT8_P12ihipStream_tbDpT10_ENKUlT_T0_E_clISt17integral_constantIbLb0EES17_EEDaS12_S13_EUlS12_E_NS1_11comp_targetILNS1_3genE3ELNS1_11target_archE908ELNS1_3gpuE7ELNS1_3repE0EEENS1_30default_config_static_selectorELNS0_4arch9wavefront6targetE0EEEvT1_, .Lfunc_end413-_ZN7rocprim17ROCPRIM_400000_NS6detail17trampoline_kernelINS0_14default_configENS1_25partition_config_selectorILNS1_17partition_subalgoE8EiNS0_10empty_typeEbEEZZNS1_14partition_implILS5_8ELb0ES3_jPKiPS6_PKS6_NS0_5tupleIJPiS6_EEENSE_IJSB_SB_EEENS0_18inequality_wrapperIN6hipcub16HIPCUB_304000_NS8EqualityEEEPlJS6_EEE10hipError_tPvRmT3_T4_T5_T6_T7_T9_mT8_P12ihipStream_tbDpT10_ENKUlT_T0_E_clISt17integral_constantIbLb0EES17_EEDaS12_S13_EUlS12_E_NS1_11comp_targetILNS1_3genE3ELNS1_11target_archE908ELNS1_3gpuE7ELNS1_3repE0EEENS1_30default_config_static_selectorELNS0_4arch9wavefront6targetE0EEEvT1_
                                        ; -- End function
	.set _ZN7rocprim17ROCPRIM_400000_NS6detail17trampoline_kernelINS0_14default_configENS1_25partition_config_selectorILNS1_17partition_subalgoE8EiNS0_10empty_typeEbEEZZNS1_14partition_implILS5_8ELb0ES3_jPKiPS6_PKS6_NS0_5tupleIJPiS6_EEENSE_IJSB_SB_EEENS0_18inequality_wrapperIN6hipcub16HIPCUB_304000_NS8EqualityEEEPlJS6_EEE10hipError_tPvRmT3_T4_T5_T6_T7_T9_mT8_P12ihipStream_tbDpT10_ENKUlT_T0_E_clISt17integral_constantIbLb0EES17_EEDaS12_S13_EUlS12_E_NS1_11comp_targetILNS1_3genE3ELNS1_11target_archE908ELNS1_3gpuE7ELNS1_3repE0EEENS1_30default_config_static_selectorELNS0_4arch9wavefront6targetE0EEEvT1_.num_vgpr, 0
	.set _ZN7rocprim17ROCPRIM_400000_NS6detail17trampoline_kernelINS0_14default_configENS1_25partition_config_selectorILNS1_17partition_subalgoE8EiNS0_10empty_typeEbEEZZNS1_14partition_implILS5_8ELb0ES3_jPKiPS6_PKS6_NS0_5tupleIJPiS6_EEENSE_IJSB_SB_EEENS0_18inequality_wrapperIN6hipcub16HIPCUB_304000_NS8EqualityEEEPlJS6_EEE10hipError_tPvRmT3_T4_T5_T6_T7_T9_mT8_P12ihipStream_tbDpT10_ENKUlT_T0_E_clISt17integral_constantIbLb0EES17_EEDaS12_S13_EUlS12_E_NS1_11comp_targetILNS1_3genE3ELNS1_11target_archE908ELNS1_3gpuE7ELNS1_3repE0EEENS1_30default_config_static_selectorELNS0_4arch9wavefront6targetE0EEEvT1_.num_agpr, 0
	.set _ZN7rocprim17ROCPRIM_400000_NS6detail17trampoline_kernelINS0_14default_configENS1_25partition_config_selectorILNS1_17partition_subalgoE8EiNS0_10empty_typeEbEEZZNS1_14partition_implILS5_8ELb0ES3_jPKiPS6_PKS6_NS0_5tupleIJPiS6_EEENSE_IJSB_SB_EEENS0_18inequality_wrapperIN6hipcub16HIPCUB_304000_NS8EqualityEEEPlJS6_EEE10hipError_tPvRmT3_T4_T5_T6_T7_T9_mT8_P12ihipStream_tbDpT10_ENKUlT_T0_E_clISt17integral_constantIbLb0EES17_EEDaS12_S13_EUlS12_E_NS1_11comp_targetILNS1_3genE3ELNS1_11target_archE908ELNS1_3gpuE7ELNS1_3repE0EEENS1_30default_config_static_selectorELNS0_4arch9wavefront6targetE0EEEvT1_.numbered_sgpr, 0
	.set _ZN7rocprim17ROCPRIM_400000_NS6detail17trampoline_kernelINS0_14default_configENS1_25partition_config_selectorILNS1_17partition_subalgoE8EiNS0_10empty_typeEbEEZZNS1_14partition_implILS5_8ELb0ES3_jPKiPS6_PKS6_NS0_5tupleIJPiS6_EEENSE_IJSB_SB_EEENS0_18inequality_wrapperIN6hipcub16HIPCUB_304000_NS8EqualityEEEPlJS6_EEE10hipError_tPvRmT3_T4_T5_T6_T7_T9_mT8_P12ihipStream_tbDpT10_ENKUlT_T0_E_clISt17integral_constantIbLb0EES17_EEDaS12_S13_EUlS12_E_NS1_11comp_targetILNS1_3genE3ELNS1_11target_archE908ELNS1_3gpuE7ELNS1_3repE0EEENS1_30default_config_static_selectorELNS0_4arch9wavefront6targetE0EEEvT1_.num_named_barrier, 0
	.set _ZN7rocprim17ROCPRIM_400000_NS6detail17trampoline_kernelINS0_14default_configENS1_25partition_config_selectorILNS1_17partition_subalgoE8EiNS0_10empty_typeEbEEZZNS1_14partition_implILS5_8ELb0ES3_jPKiPS6_PKS6_NS0_5tupleIJPiS6_EEENSE_IJSB_SB_EEENS0_18inequality_wrapperIN6hipcub16HIPCUB_304000_NS8EqualityEEEPlJS6_EEE10hipError_tPvRmT3_T4_T5_T6_T7_T9_mT8_P12ihipStream_tbDpT10_ENKUlT_T0_E_clISt17integral_constantIbLb0EES17_EEDaS12_S13_EUlS12_E_NS1_11comp_targetILNS1_3genE3ELNS1_11target_archE908ELNS1_3gpuE7ELNS1_3repE0EEENS1_30default_config_static_selectorELNS0_4arch9wavefront6targetE0EEEvT1_.private_seg_size, 0
	.set _ZN7rocprim17ROCPRIM_400000_NS6detail17trampoline_kernelINS0_14default_configENS1_25partition_config_selectorILNS1_17partition_subalgoE8EiNS0_10empty_typeEbEEZZNS1_14partition_implILS5_8ELb0ES3_jPKiPS6_PKS6_NS0_5tupleIJPiS6_EEENSE_IJSB_SB_EEENS0_18inequality_wrapperIN6hipcub16HIPCUB_304000_NS8EqualityEEEPlJS6_EEE10hipError_tPvRmT3_T4_T5_T6_T7_T9_mT8_P12ihipStream_tbDpT10_ENKUlT_T0_E_clISt17integral_constantIbLb0EES17_EEDaS12_S13_EUlS12_E_NS1_11comp_targetILNS1_3genE3ELNS1_11target_archE908ELNS1_3gpuE7ELNS1_3repE0EEENS1_30default_config_static_selectorELNS0_4arch9wavefront6targetE0EEEvT1_.uses_vcc, 0
	.set _ZN7rocprim17ROCPRIM_400000_NS6detail17trampoline_kernelINS0_14default_configENS1_25partition_config_selectorILNS1_17partition_subalgoE8EiNS0_10empty_typeEbEEZZNS1_14partition_implILS5_8ELb0ES3_jPKiPS6_PKS6_NS0_5tupleIJPiS6_EEENSE_IJSB_SB_EEENS0_18inequality_wrapperIN6hipcub16HIPCUB_304000_NS8EqualityEEEPlJS6_EEE10hipError_tPvRmT3_T4_T5_T6_T7_T9_mT8_P12ihipStream_tbDpT10_ENKUlT_T0_E_clISt17integral_constantIbLb0EES17_EEDaS12_S13_EUlS12_E_NS1_11comp_targetILNS1_3genE3ELNS1_11target_archE908ELNS1_3gpuE7ELNS1_3repE0EEENS1_30default_config_static_selectorELNS0_4arch9wavefront6targetE0EEEvT1_.uses_flat_scratch, 0
	.set _ZN7rocprim17ROCPRIM_400000_NS6detail17trampoline_kernelINS0_14default_configENS1_25partition_config_selectorILNS1_17partition_subalgoE8EiNS0_10empty_typeEbEEZZNS1_14partition_implILS5_8ELb0ES3_jPKiPS6_PKS6_NS0_5tupleIJPiS6_EEENSE_IJSB_SB_EEENS0_18inequality_wrapperIN6hipcub16HIPCUB_304000_NS8EqualityEEEPlJS6_EEE10hipError_tPvRmT3_T4_T5_T6_T7_T9_mT8_P12ihipStream_tbDpT10_ENKUlT_T0_E_clISt17integral_constantIbLb0EES17_EEDaS12_S13_EUlS12_E_NS1_11comp_targetILNS1_3genE3ELNS1_11target_archE908ELNS1_3gpuE7ELNS1_3repE0EEENS1_30default_config_static_selectorELNS0_4arch9wavefront6targetE0EEEvT1_.has_dyn_sized_stack, 0
	.set _ZN7rocprim17ROCPRIM_400000_NS6detail17trampoline_kernelINS0_14default_configENS1_25partition_config_selectorILNS1_17partition_subalgoE8EiNS0_10empty_typeEbEEZZNS1_14partition_implILS5_8ELb0ES3_jPKiPS6_PKS6_NS0_5tupleIJPiS6_EEENSE_IJSB_SB_EEENS0_18inequality_wrapperIN6hipcub16HIPCUB_304000_NS8EqualityEEEPlJS6_EEE10hipError_tPvRmT3_T4_T5_T6_T7_T9_mT8_P12ihipStream_tbDpT10_ENKUlT_T0_E_clISt17integral_constantIbLb0EES17_EEDaS12_S13_EUlS12_E_NS1_11comp_targetILNS1_3genE3ELNS1_11target_archE908ELNS1_3gpuE7ELNS1_3repE0EEENS1_30default_config_static_selectorELNS0_4arch9wavefront6targetE0EEEvT1_.has_recursion, 0
	.set _ZN7rocprim17ROCPRIM_400000_NS6detail17trampoline_kernelINS0_14default_configENS1_25partition_config_selectorILNS1_17partition_subalgoE8EiNS0_10empty_typeEbEEZZNS1_14partition_implILS5_8ELb0ES3_jPKiPS6_PKS6_NS0_5tupleIJPiS6_EEENSE_IJSB_SB_EEENS0_18inequality_wrapperIN6hipcub16HIPCUB_304000_NS8EqualityEEEPlJS6_EEE10hipError_tPvRmT3_T4_T5_T6_T7_T9_mT8_P12ihipStream_tbDpT10_ENKUlT_T0_E_clISt17integral_constantIbLb0EES17_EEDaS12_S13_EUlS12_E_NS1_11comp_targetILNS1_3genE3ELNS1_11target_archE908ELNS1_3gpuE7ELNS1_3repE0EEENS1_30default_config_static_selectorELNS0_4arch9wavefront6targetE0EEEvT1_.has_indirect_call, 0
	.section	.AMDGPU.csdata,"",@progbits
; Kernel info:
; codeLenInByte = 0
; TotalNumSgprs: 0
; NumVgprs: 0
; ScratchSize: 0
; MemoryBound: 0
; FloatMode: 240
; IeeeMode: 1
; LDSByteSize: 0 bytes/workgroup (compile time only)
; SGPRBlocks: 0
; VGPRBlocks: 0
; NumSGPRsForWavesPerEU: 1
; NumVGPRsForWavesPerEU: 1
; NamedBarCnt: 0
; Occupancy: 16
; WaveLimiterHint : 0
; COMPUTE_PGM_RSRC2:SCRATCH_EN: 0
; COMPUTE_PGM_RSRC2:USER_SGPR: 2
; COMPUTE_PGM_RSRC2:TRAP_HANDLER: 0
; COMPUTE_PGM_RSRC2:TGID_X_EN: 1
; COMPUTE_PGM_RSRC2:TGID_Y_EN: 0
; COMPUTE_PGM_RSRC2:TGID_Z_EN: 0
; COMPUTE_PGM_RSRC2:TIDIG_COMP_CNT: 0
	.section	.text._ZN7rocprim17ROCPRIM_400000_NS6detail17trampoline_kernelINS0_14default_configENS1_25partition_config_selectorILNS1_17partition_subalgoE8EiNS0_10empty_typeEbEEZZNS1_14partition_implILS5_8ELb0ES3_jPKiPS6_PKS6_NS0_5tupleIJPiS6_EEENSE_IJSB_SB_EEENS0_18inequality_wrapperIN6hipcub16HIPCUB_304000_NS8EqualityEEEPlJS6_EEE10hipError_tPvRmT3_T4_T5_T6_T7_T9_mT8_P12ihipStream_tbDpT10_ENKUlT_T0_E_clISt17integral_constantIbLb0EES17_EEDaS12_S13_EUlS12_E_NS1_11comp_targetILNS1_3genE2ELNS1_11target_archE906ELNS1_3gpuE6ELNS1_3repE0EEENS1_30default_config_static_selectorELNS0_4arch9wavefront6targetE0EEEvT1_,"axG",@progbits,_ZN7rocprim17ROCPRIM_400000_NS6detail17trampoline_kernelINS0_14default_configENS1_25partition_config_selectorILNS1_17partition_subalgoE8EiNS0_10empty_typeEbEEZZNS1_14partition_implILS5_8ELb0ES3_jPKiPS6_PKS6_NS0_5tupleIJPiS6_EEENSE_IJSB_SB_EEENS0_18inequality_wrapperIN6hipcub16HIPCUB_304000_NS8EqualityEEEPlJS6_EEE10hipError_tPvRmT3_T4_T5_T6_T7_T9_mT8_P12ihipStream_tbDpT10_ENKUlT_T0_E_clISt17integral_constantIbLb0EES17_EEDaS12_S13_EUlS12_E_NS1_11comp_targetILNS1_3genE2ELNS1_11target_archE906ELNS1_3gpuE6ELNS1_3repE0EEENS1_30default_config_static_selectorELNS0_4arch9wavefront6targetE0EEEvT1_,comdat
	.protected	_ZN7rocprim17ROCPRIM_400000_NS6detail17trampoline_kernelINS0_14default_configENS1_25partition_config_selectorILNS1_17partition_subalgoE8EiNS0_10empty_typeEbEEZZNS1_14partition_implILS5_8ELb0ES3_jPKiPS6_PKS6_NS0_5tupleIJPiS6_EEENSE_IJSB_SB_EEENS0_18inequality_wrapperIN6hipcub16HIPCUB_304000_NS8EqualityEEEPlJS6_EEE10hipError_tPvRmT3_T4_T5_T6_T7_T9_mT8_P12ihipStream_tbDpT10_ENKUlT_T0_E_clISt17integral_constantIbLb0EES17_EEDaS12_S13_EUlS12_E_NS1_11comp_targetILNS1_3genE2ELNS1_11target_archE906ELNS1_3gpuE6ELNS1_3repE0EEENS1_30default_config_static_selectorELNS0_4arch9wavefront6targetE0EEEvT1_ ; -- Begin function _ZN7rocprim17ROCPRIM_400000_NS6detail17trampoline_kernelINS0_14default_configENS1_25partition_config_selectorILNS1_17partition_subalgoE8EiNS0_10empty_typeEbEEZZNS1_14partition_implILS5_8ELb0ES3_jPKiPS6_PKS6_NS0_5tupleIJPiS6_EEENSE_IJSB_SB_EEENS0_18inequality_wrapperIN6hipcub16HIPCUB_304000_NS8EqualityEEEPlJS6_EEE10hipError_tPvRmT3_T4_T5_T6_T7_T9_mT8_P12ihipStream_tbDpT10_ENKUlT_T0_E_clISt17integral_constantIbLb0EES17_EEDaS12_S13_EUlS12_E_NS1_11comp_targetILNS1_3genE2ELNS1_11target_archE906ELNS1_3gpuE6ELNS1_3repE0EEENS1_30default_config_static_selectorELNS0_4arch9wavefront6targetE0EEEvT1_
	.globl	_ZN7rocprim17ROCPRIM_400000_NS6detail17trampoline_kernelINS0_14default_configENS1_25partition_config_selectorILNS1_17partition_subalgoE8EiNS0_10empty_typeEbEEZZNS1_14partition_implILS5_8ELb0ES3_jPKiPS6_PKS6_NS0_5tupleIJPiS6_EEENSE_IJSB_SB_EEENS0_18inequality_wrapperIN6hipcub16HIPCUB_304000_NS8EqualityEEEPlJS6_EEE10hipError_tPvRmT3_T4_T5_T6_T7_T9_mT8_P12ihipStream_tbDpT10_ENKUlT_T0_E_clISt17integral_constantIbLb0EES17_EEDaS12_S13_EUlS12_E_NS1_11comp_targetILNS1_3genE2ELNS1_11target_archE906ELNS1_3gpuE6ELNS1_3repE0EEENS1_30default_config_static_selectorELNS0_4arch9wavefront6targetE0EEEvT1_
	.p2align	8
	.type	_ZN7rocprim17ROCPRIM_400000_NS6detail17trampoline_kernelINS0_14default_configENS1_25partition_config_selectorILNS1_17partition_subalgoE8EiNS0_10empty_typeEbEEZZNS1_14partition_implILS5_8ELb0ES3_jPKiPS6_PKS6_NS0_5tupleIJPiS6_EEENSE_IJSB_SB_EEENS0_18inequality_wrapperIN6hipcub16HIPCUB_304000_NS8EqualityEEEPlJS6_EEE10hipError_tPvRmT3_T4_T5_T6_T7_T9_mT8_P12ihipStream_tbDpT10_ENKUlT_T0_E_clISt17integral_constantIbLb0EES17_EEDaS12_S13_EUlS12_E_NS1_11comp_targetILNS1_3genE2ELNS1_11target_archE906ELNS1_3gpuE6ELNS1_3repE0EEENS1_30default_config_static_selectorELNS0_4arch9wavefront6targetE0EEEvT1_,@function
_ZN7rocprim17ROCPRIM_400000_NS6detail17trampoline_kernelINS0_14default_configENS1_25partition_config_selectorILNS1_17partition_subalgoE8EiNS0_10empty_typeEbEEZZNS1_14partition_implILS5_8ELb0ES3_jPKiPS6_PKS6_NS0_5tupleIJPiS6_EEENSE_IJSB_SB_EEENS0_18inequality_wrapperIN6hipcub16HIPCUB_304000_NS8EqualityEEEPlJS6_EEE10hipError_tPvRmT3_T4_T5_T6_T7_T9_mT8_P12ihipStream_tbDpT10_ENKUlT_T0_E_clISt17integral_constantIbLb0EES17_EEDaS12_S13_EUlS12_E_NS1_11comp_targetILNS1_3genE2ELNS1_11target_archE906ELNS1_3gpuE6ELNS1_3repE0EEENS1_30default_config_static_selectorELNS0_4arch9wavefront6targetE0EEEvT1_: ; @_ZN7rocprim17ROCPRIM_400000_NS6detail17trampoline_kernelINS0_14default_configENS1_25partition_config_selectorILNS1_17partition_subalgoE8EiNS0_10empty_typeEbEEZZNS1_14partition_implILS5_8ELb0ES3_jPKiPS6_PKS6_NS0_5tupleIJPiS6_EEENSE_IJSB_SB_EEENS0_18inequality_wrapperIN6hipcub16HIPCUB_304000_NS8EqualityEEEPlJS6_EEE10hipError_tPvRmT3_T4_T5_T6_T7_T9_mT8_P12ihipStream_tbDpT10_ENKUlT_T0_E_clISt17integral_constantIbLb0EES17_EEDaS12_S13_EUlS12_E_NS1_11comp_targetILNS1_3genE2ELNS1_11target_archE906ELNS1_3gpuE6ELNS1_3repE0EEENS1_30default_config_static_selectorELNS0_4arch9wavefront6targetE0EEEvT1_
; %bb.0:
	.section	.rodata,"a",@progbits
	.p2align	6, 0x0
	.amdhsa_kernel _ZN7rocprim17ROCPRIM_400000_NS6detail17trampoline_kernelINS0_14default_configENS1_25partition_config_selectorILNS1_17partition_subalgoE8EiNS0_10empty_typeEbEEZZNS1_14partition_implILS5_8ELb0ES3_jPKiPS6_PKS6_NS0_5tupleIJPiS6_EEENSE_IJSB_SB_EEENS0_18inequality_wrapperIN6hipcub16HIPCUB_304000_NS8EqualityEEEPlJS6_EEE10hipError_tPvRmT3_T4_T5_T6_T7_T9_mT8_P12ihipStream_tbDpT10_ENKUlT_T0_E_clISt17integral_constantIbLb0EES17_EEDaS12_S13_EUlS12_E_NS1_11comp_targetILNS1_3genE2ELNS1_11target_archE906ELNS1_3gpuE6ELNS1_3repE0EEENS1_30default_config_static_selectorELNS0_4arch9wavefront6targetE0EEEvT1_
		.amdhsa_group_segment_fixed_size 0
		.amdhsa_private_segment_fixed_size 0
		.amdhsa_kernarg_size 112
		.amdhsa_user_sgpr_count 2
		.amdhsa_user_sgpr_dispatch_ptr 0
		.amdhsa_user_sgpr_queue_ptr 0
		.amdhsa_user_sgpr_kernarg_segment_ptr 1
		.amdhsa_user_sgpr_dispatch_id 0
		.amdhsa_user_sgpr_kernarg_preload_length 0
		.amdhsa_user_sgpr_kernarg_preload_offset 0
		.amdhsa_user_sgpr_private_segment_size 0
		.amdhsa_wavefront_size32 1
		.amdhsa_uses_dynamic_stack 0
		.amdhsa_enable_private_segment 0
		.amdhsa_system_sgpr_workgroup_id_x 1
		.amdhsa_system_sgpr_workgroup_id_y 0
		.amdhsa_system_sgpr_workgroup_id_z 0
		.amdhsa_system_sgpr_workgroup_info 0
		.amdhsa_system_vgpr_workitem_id 0
		.amdhsa_next_free_vgpr 1
		.amdhsa_next_free_sgpr 1
		.amdhsa_named_barrier_count 0
		.amdhsa_reserve_vcc 0
		.amdhsa_float_round_mode_32 0
		.amdhsa_float_round_mode_16_64 0
		.amdhsa_float_denorm_mode_32 3
		.amdhsa_float_denorm_mode_16_64 3
		.amdhsa_fp16_overflow 0
		.amdhsa_memory_ordered 1
		.amdhsa_forward_progress 1
		.amdhsa_inst_pref_size 0
		.amdhsa_round_robin_scheduling 0
		.amdhsa_exception_fp_ieee_invalid_op 0
		.amdhsa_exception_fp_denorm_src 0
		.amdhsa_exception_fp_ieee_div_zero 0
		.amdhsa_exception_fp_ieee_overflow 0
		.amdhsa_exception_fp_ieee_underflow 0
		.amdhsa_exception_fp_ieee_inexact 0
		.amdhsa_exception_int_div_zero 0
	.end_amdhsa_kernel
	.section	.text._ZN7rocprim17ROCPRIM_400000_NS6detail17trampoline_kernelINS0_14default_configENS1_25partition_config_selectorILNS1_17partition_subalgoE8EiNS0_10empty_typeEbEEZZNS1_14partition_implILS5_8ELb0ES3_jPKiPS6_PKS6_NS0_5tupleIJPiS6_EEENSE_IJSB_SB_EEENS0_18inequality_wrapperIN6hipcub16HIPCUB_304000_NS8EqualityEEEPlJS6_EEE10hipError_tPvRmT3_T4_T5_T6_T7_T9_mT8_P12ihipStream_tbDpT10_ENKUlT_T0_E_clISt17integral_constantIbLb0EES17_EEDaS12_S13_EUlS12_E_NS1_11comp_targetILNS1_3genE2ELNS1_11target_archE906ELNS1_3gpuE6ELNS1_3repE0EEENS1_30default_config_static_selectorELNS0_4arch9wavefront6targetE0EEEvT1_,"axG",@progbits,_ZN7rocprim17ROCPRIM_400000_NS6detail17trampoline_kernelINS0_14default_configENS1_25partition_config_selectorILNS1_17partition_subalgoE8EiNS0_10empty_typeEbEEZZNS1_14partition_implILS5_8ELb0ES3_jPKiPS6_PKS6_NS0_5tupleIJPiS6_EEENSE_IJSB_SB_EEENS0_18inequality_wrapperIN6hipcub16HIPCUB_304000_NS8EqualityEEEPlJS6_EEE10hipError_tPvRmT3_T4_T5_T6_T7_T9_mT8_P12ihipStream_tbDpT10_ENKUlT_T0_E_clISt17integral_constantIbLb0EES17_EEDaS12_S13_EUlS12_E_NS1_11comp_targetILNS1_3genE2ELNS1_11target_archE906ELNS1_3gpuE6ELNS1_3repE0EEENS1_30default_config_static_selectorELNS0_4arch9wavefront6targetE0EEEvT1_,comdat
.Lfunc_end414:
	.size	_ZN7rocprim17ROCPRIM_400000_NS6detail17trampoline_kernelINS0_14default_configENS1_25partition_config_selectorILNS1_17partition_subalgoE8EiNS0_10empty_typeEbEEZZNS1_14partition_implILS5_8ELb0ES3_jPKiPS6_PKS6_NS0_5tupleIJPiS6_EEENSE_IJSB_SB_EEENS0_18inequality_wrapperIN6hipcub16HIPCUB_304000_NS8EqualityEEEPlJS6_EEE10hipError_tPvRmT3_T4_T5_T6_T7_T9_mT8_P12ihipStream_tbDpT10_ENKUlT_T0_E_clISt17integral_constantIbLb0EES17_EEDaS12_S13_EUlS12_E_NS1_11comp_targetILNS1_3genE2ELNS1_11target_archE906ELNS1_3gpuE6ELNS1_3repE0EEENS1_30default_config_static_selectorELNS0_4arch9wavefront6targetE0EEEvT1_, .Lfunc_end414-_ZN7rocprim17ROCPRIM_400000_NS6detail17trampoline_kernelINS0_14default_configENS1_25partition_config_selectorILNS1_17partition_subalgoE8EiNS0_10empty_typeEbEEZZNS1_14partition_implILS5_8ELb0ES3_jPKiPS6_PKS6_NS0_5tupleIJPiS6_EEENSE_IJSB_SB_EEENS0_18inequality_wrapperIN6hipcub16HIPCUB_304000_NS8EqualityEEEPlJS6_EEE10hipError_tPvRmT3_T4_T5_T6_T7_T9_mT8_P12ihipStream_tbDpT10_ENKUlT_T0_E_clISt17integral_constantIbLb0EES17_EEDaS12_S13_EUlS12_E_NS1_11comp_targetILNS1_3genE2ELNS1_11target_archE906ELNS1_3gpuE6ELNS1_3repE0EEENS1_30default_config_static_selectorELNS0_4arch9wavefront6targetE0EEEvT1_
                                        ; -- End function
	.set _ZN7rocprim17ROCPRIM_400000_NS6detail17trampoline_kernelINS0_14default_configENS1_25partition_config_selectorILNS1_17partition_subalgoE8EiNS0_10empty_typeEbEEZZNS1_14partition_implILS5_8ELb0ES3_jPKiPS6_PKS6_NS0_5tupleIJPiS6_EEENSE_IJSB_SB_EEENS0_18inequality_wrapperIN6hipcub16HIPCUB_304000_NS8EqualityEEEPlJS6_EEE10hipError_tPvRmT3_T4_T5_T6_T7_T9_mT8_P12ihipStream_tbDpT10_ENKUlT_T0_E_clISt17integral_constantIbLb0EES17_EEDaS12_S13_EUlS12_E_NS1_11comp_targetILNS1_3genE2ELNS1_11target_archE906ELNS1_3gpuE6ELNS1_3repE0EEENS1_30default_config_static_selectorELNS0_4arch9wavefront6targetE0EEEvT1_.num_vgpr, 0
	.set _ZN7rocprim17ROCPRIM_400000_NS6detail17trampoline_kernelINS0_14default_configENS1_25partition_config_selectorILNS1_17partition_subalgoE8EiNS0_10empty_typeEbEEZZNS1_14partition_implILS5_8ELb0ES3_jPKiPS6_PKS6_NS0_5tupleIJPiS6_EEENSE_IJSB_SB_EEENS0_18inequality_wrapperIN6hipcub16HIPCUB_304000_NS8EqualityEEEPlJS6_EEE10hipError_tPvRmT3_T4_T5_T6_T7_T9_mT8_P12ihipStream_tbDpT10_ENKUlT_T0_E_clISt17integral_constantIbLb0EES17_EEDaS12_S13_EUlS12_E_NS1_11comp_targetILNS1_3genE2ELNS1_11target_archE906ELNS1_3gpuE6ELNS1_3repE0EEENS1_30default_config_static_selectorELNS0_4arch9wavefront6targetE0EEEvT1_.num_agpr, 0
	.set _ZN7rocprim17ROCPRIM_400000_NS6detail17trampoline_kernelINS0_14default_configENS1_25partition_config_selectorILNS1_17partition_subalgoE8EiNS0_10empty_typeEbEEZZNS1_14partition_implILS5_8ELb0ES3_jPKiPS6_PKS6_NS0_5tupleIJPiS6_EEENSE_IJSB_SB_EEENS0_18inequality_wrapperIN6hipcub16HIPCUB_304000_NS8EqualityEEEPlJS6_EEE10hipError_tPvRmT3_T4_T5_T6_T7_T9_mT8_P12ihipStream_tbDpT10_ENKUlT_T0_E_clISt17integral_constantIbLb0EES17_EEDaS12_S13_EUlS12_E_NS1_11comp_targetILNS1_3genE2ELNS1_11target_archE906ELNS1_3gpuE6ELNS1_3repE0EEENS1_30default_config_static_selectorELNS0_4arch9wavefront6targetE0EEEvT1_.numbered_sgpr, 0
	.set _ZN7rocprim17ROCPRIM_400000_NS6detail17trampoline_kernelINS0_14default_configENS1_25partition_config_selectorILNS1_17partition_subalgoE8EiNS0_10empty_typeEbEEZZNS1_14partition_implILS5_8ELb0ES3_jPKiPS6_PKS6_NS0_5tupleIJPiS6_EEENSE_IJSB_SB_EEENS0_18inequality_wrapperIN6hipcub16HIPCUB_304000_NS8EqualityEEEPlJS6_EEE10hipError_tPvRmT3_T4_T5_T6_T7_T9_mT8_P12ihipStream_tbDpT10_ENKUlT_T0_E_clISt17integral_constantIbLb0EES17_EEDaS12_S13_EUlS12_E_NS1_11comp_targetILNS1_3genE2ELNS1_11target_archE906ELNS1_3gpuE6ELNS1_3repE0EEENS1_30default_config_static_selectorELNS0_4arch9wavefront6targetE0EEEvT1_.num_named_barrier, 0
	.set _ZN7rocprim17ROCPRIM_400000_NS6detail17trampoline_kernelINS0_14default_configENS1_25partition_config_selectorILNS1_17partition_subalgoE8EiNS0_10empty_typeEbEEZZNS1_14partition_implILS5_8ELb0ES3_jPKiPS6_PKS6_NS0_5tupleIJPiS6_EEENSE_IJSB_SB_EEENS0_18inequality_wrapperIN6hipcub16HIPCUB_304000_NS8EqualityEEEPlJS6_EEE10hipError_tPvRmT3_T4_T5_T6_T7_T9_mT8_P12ihipStream_tbDpT10_ENKUlT_T0_E_clISt17integral_constantIbLb0EES17_EEDaS12_S13_EUlS12_E_NS1_11comp_targetILNS1_3genE2ELNS1_11target_archE906ELNS1_3gpuE6ELNS1_3repE0EEENS1_30default_config_static_selectorELNS0_4arch9wavefront6targetE0EEEvT1_.private_seg_size, 0
	.set _ZN7rocprim17ROCPRIM_400000_NS6detail17trampoline_kernelINS0_14default_configENS1_25partition_config_selectorILNS1_17partition_subalgoE8EiNS0_10empty_typeEbEEZZNS1_14partition_implILS5_8ELb0ES3_jPKiPS6_PKS6_NS0_5tupleIJPiS6_EEENSE_IJSB_SB_EEENS0_18inequality_wrapperIN6hipcub16HIPCUB_304000_NS8EqualityEEEPlJS6_EEE10hipError_tPvRmT3_T4_T5_T6_T7_T9_mT8_P12ihipStream_tbDpT10_ENKUlT_T0_E_clISt17integral_constantIbLb0EES17_EEDaS12_S13_EUlS12_E_NS1_11comp_targetILNS1_3genE2ELNS1_11target_archE906ELNS1_3gpuE6ELNS1_3repE0EEENS1_30default_config_static_selectorELNS0_4arch9wavefront6targetE0EEEvT1_.uses_vcc, 0
	.set _ZN7rocprim17ROCPRIM_400000_NS6detail17trampoline_kernelINS0_14default_configENS1_25partition_config_selectorILNS1_17partition_subalgoE8EiNS0_10empty_typeEbEEZZNS1_14partition_implILS5_8ELb0ES3_jPKiPS6_PKS6_NS0_5tupleIJPiS6_EEENSE_IJSB_SB_EEENS0_18inequality_wrapperIN6hipcub16HIPCUB_304000_NS8EqualityEEEPlJS6_EEE10hipError_tPvRmT3_T4_T5_T6_T7_T9_mT8_P12ihipStream_tbDpT10_ENKUlT_T0_E_clISt17integral_constantIbLb0EES17_EEDaS12_S13_EUlS12_E_NS1_11comp_targetILNS1_3genE2ELNS1_11target_archE906ELNS1_3gpuE6ELNS1_3repE0EEENS1_30default_config_static_selectorELNS0_4arch9wavefront6targetE0EEEvT1_.uses_flat_scratch, 0
	.set _ZN7rocprim17ROCPRIM_400000_NS6detail17trampoline_kernelINS0_14default_configENS1_25partition_config_selectorILNS1_17partition_subalgoE8EiNS0_10empty_typeEbEEZZNS1_14partition_implILS5_8ELb0ES3_jPKiPS6_PKS6_NS0_5tupleIJPiS6_EEENSE_IJSB_SB_EEENS0_18inequality_wrapperIN6hipcub16HIPCUB_304000_NS8EqualityEEEPlJS6_EEE10hipError_tPvRmT3_T4_T5_T6_T7_T9_mT8_P12ihipStream_tbDpT10_ENKUlT_T0_E_clISt17integral_constantIbLb0EES17_EEDaS12_S13_EUlS12_E_NS1_11comp_targetILNS1_3genE2ELNS1_11target_archE906ELNS1_3gpuE6ELNS1_3repE0EEENS1_30default_config_static_selectorELNS0_4arch9wavefront6targetE0EEEvT1_.has_dyn_sized_stack, 0
	.set _ZN7rocprim17ROCPRIM_400000_NS6detail17trampoline_kernelINS0_14default_configENS1_25partition_config_selectorILNS1_17partition_subalgoE8EiNS0_10empty_typeEbEEZZNS1_14partition_implILS5_8ELb0ES3_jPKiPS6_PKS6_NS0_5tupleIJPiS6_EEENSE_IJSB_SB_EEENS0_18inequality_wrapperIN6hipcub16HIPCUB_304000_NS8EqualityEEEPlJS6_EEE10hipError_tPvRmT3_T4_T5_T6_T7_T9_mT8_P12ihipStream_tbDpT10_ENKUlT_T0_E_clISt17integral_constantIbLb0EES17_EEDaS12_S13_EUlS12_E_NS1_11comp_targetILNS1_3genE2ELNS1_11target_archE906ELNS1_3gpuE6ELNS1_3repE0EEENS1_30default_config_static_selectorELNS0_4arch9wavefront6targetE0EEEvT1_.has_recursion, 0
	.set _ZN7rocprim17ROCPRIM_400000_NS6detail17trampoline_kernelINS0_14default_configENS1_25partition_config_selectorILNS1_17partition_subalgoE8EiNS0_10empty_typeEbEEZZNS1_14partition_implILS5_8ELb0ES3_jPKiPS6_PKS6_NS0_5tupleIJPiS6_EEENSE_IJSB_SB_EEENS0_18inequality_wrapperIN6hipcub16HIPCUB_304000_NS8EqualityEEEPlJS6_EEE10hipError_tPvRmT3_T4_T5_T6_T7_T9_mT8_P12ihipStream_tbDpT10_ENKUlT_T0_E_clISt17integral_constantIbLb0EES17_EEDaS12_S13_EUlS12_E_NS1_11comp_targetILNS1_3genE2ELNS1_11target_archE906ELNS1_3gpuE6ELNS1_3repE0EEENS1_30default_config_static_selectorELNS0_4arch9wavefront6targetE0EEEvT1_.has_indirect_call, 0
	.section	.AMDGPU.csdata,"",@progbits
; Kernel info:
; codeLenInByte = 0
; TotalNumSgprs: 0
; NumVgprs: 0
; ScratchSize: 0
; MemoryBound: 0
; FloatMode: 240
; IeeeMode: 1
; LDSByteSize: 0 bytes/workgroup (compile time only)
; SGPRBlocks: 0
; VGPRBlocks: 0
; NumSGPRsForWavesPerEU: 1
; NumVGPRsForWavesPerEU: 1
; NamedBarCnt: 0
; Occupancy: 16
; WaveLimiterHint : 0
; COMPUTE_PGM_RSRC2:SCRATCH_EN: 0
; COMPUTE_PGM_RSRC2:USER_SGPR: 2
; COMPUTE_PGM_RSRC2:TRAP_HANDLER: 0
; COMPUTE_PGM_RSRC2:TGID_X_EN: 1
; COMPUTE_PGM_RSRC2:TGID_Y_EN: 0
; COMPUTE_PGM_RSRC2:TGID_Z_EN: 0
; COMPUTE_PGM_RSRC2:TIDIG_COMP_CNT: 0
	.section	.text._ZN7rocprim17ROCPRIM_400000_NS6detail17trampoline_kernelINS0_14default_configENS1_25partition_config_selectorILNS1_17partition_subalgoE8EiNS0_10empty_typeEbEEZZNS1_14partition_implILS5_8ELb0ES3_jPKiPS6_PKS6_NS0_5tupleIJPiS6_EEENSE_IJSB_SB_EEENS0_18inequality_wrapperIN6hipcub16HIPCUB_304000_NS8EqualityEEEPlJS6_EEE10hipError_tPvRmT3_T4_T5_T6_T7_T9_mT8_P12ihipStream_tbDpT10_ENKUlT_T0_E_clISt17integral_constantIbLb0EES17_EEDaS12_S13_EUlS12_E_NS1_11comp_targetILNS1_3genE10ELNS1_11target_archE1200ELNS1_3gpuE4ELNS1_3repE0EEENS1_30default_config_static_selectorELNS0_4arch9wavefront6targetE0EEEvT1_,"axG",@progbits,_ZN7rocprim17ROCPRIM_400000_NS6detail17trampoline_kernelINS0_14default_configENS1_25partition_config_selectorILNS1_17partition_subalgoE8EiNS0_10empty_typeEbEEZZNS1_14partition_implILS5_8ELb0ES3_jPKiPS6_PKS6_NS0_5tupleIJPiS6_EEENSE_IJSB_SB_EEENS0_18inequality_wrapperIN6hipcub16HIPCUB_304000_NS8EqualityEEEPlJS6_EEE10hipError_tPvRmT3_T4_T5_T6_T7_T9_mT8_P12ihipStream_tbDpT10_ENKUlT_T0_E_clISt17integral_constantIbLb0EES17_EEDaS12_S13_EUlS12_E_NS1_11comp_targetILNS1_3genE10ELNS1_11target_archE1200ELNS1_3gpuE4ELNS1_3repE0EEENS1_30default_config_static_selectorELNS0_4arch9wavefront6targetE0EEEvT1_,comdat
	.protected	_ZN7rocprim17ROCPRIM_400000_NS6detail17trampoline_kernelINS0_14default_configENS1_25partition_config_selectorILNS1_17partition_subalgoE8EiNS0_10empty_typeEbEEZZNS1_14partition_implILS5_8ELb0ES3_jPKiPS6_PKS6_NS0_5tupleIJPiS6_EEENSE_IJSB_SB_EEENS0_18inequality_wrapperIN6hipcub16HIPCUB_304000_NS8EqualityEEEPlJS6_EEE10hipError_tPvRmT3_T4_T5_T6_T7_T9_mT8_P12ihipStream_tbDpT10_ENKUlT_T0_E_clISt17integral_constantIbLb0EES17_EEDaS12_S13_EUlS12_E_NS1_11comp_targetILNS1_3genE10ELNS1_11target_archE1200ELNS1_3gpuE4ELNS1_3repE0EEENS1_30default_config_static_selectorELNS0_4arch9wavefront6targetE0EEEvT1_ ; -- Begin function _ZN7rocprim17ROCPRIM_400000_NS6detail17trampoline_kernelINS0_14default_configENS1_25partition_config_selectorILNS1_17partition_subalgoE8EiNS0_10empty_typeEbEEZZNS1_14partition_implILS5_8ELb0ES3_jPKiPS6_PKS6_NS0_5tupleIJPiS6_EEENSE_IJSB_SB_EEENS0_18inequality_wrapperIN6hipcub16HIPCUB_304000_NS8EqualityEEEPlJS6_EEE10hipError_tPvRmT3_T4_T5_T6_T7_T9_mT8_P12ihipStream_tbDpT10_ENKUlT_T0_E_clISt17integral_constantIbLb0EES17_EEDaS12_S13_EUlS12_E_NS1_11comp_targetILNS1_3genE10ELNS1_11target_archE1200ELNS1_3gpuE4ELNS1_3repE0EEENS1_30default_config_static_selectorELNS0_4arch9wavefront6targetE0EEEvT1_
	.globl	_ZN7rocprim17ROCPRIM_400000_NS6detail17trampoline_kernelINS0_14default_configENS1_25partition_config_selectorILNS1_17partition_subalgoE8EiNS0_10empty_typeEbEEZZNS1_14partition_implILS5_8ELb0ES3_jPKiPS6_PKS6_NS0_5tupleIJPiS6_EEENSE_IJSB_SB_EEENS0_18inequality_wrapperIN6hipcub16HIPCUB_304000_NS8EqualityEEEPlJS6_EEE10hipError_tPvRmT3_T4_T5_T6_T7_T9_mT8_P12ihipStream_tbDpT10_ENKUlT_T0_E_clISt17integral_constantIbLb0EES17_EEDaS12_S13_EUlS12_E_NS1_11comp_targetILNS1_3genE10ELNS1_11target_archE1200ELNS1_3gpuE4ELNS1_3repE0EEENS1_30default_config_static_selectorELNS0_4arch9wavefront6targetE0EEEvT1_
	.p2align	8
	.type	_ZN7rocprim17ROCPRIM_400000_NS6detail17trampoline_kernelINS0_14default_configENS1_25partition_config_selectorILNS1_17partition_subalgoE8EiNS0_10empty_typeEbEEZZNS1_14partition_implILS5_8ELb0ES3_jPKiPS6_PKS6_NS0_5tupleIJPiS6_EEENSE_IJSB_SB_EEENS0_18inequality_wrapperIN6hipcub16HIPCUB_304000_NS8EqualityEEEPlJS6_EEE10hipError_tPvRmT3_T4_T5_T6_T7_T9_mT8_P12ihipStream_tbDpT10_ENKUlT_T0_E_clISt17integral_constantIbLb0EES17_EEDaS12_S13_EUlS12_E_NS1_11comp_targetILNS1_3genE10ELNS1_11target_archE1200ELNS1_3gpuE4ELNS1_3repE0EEENS1_30default_config_static_selectorELNS0_4arch9wavefront6targetE0EEEvT1_,@function
_ZN7rocprim17ROCPRIM_400000_NS6detail17trampoline_kernelINS0_14default_configENS1_25partition_config_selectorILNS1_17partition_subalgoE8EiNS0_10empty_typeEbEEZZNS1_14partition_implILS5_8ELb0ES3_jPKiPS6_PKS6_NS0_5tupleIJPiS6_EEENSE_IJSB_SB_EEENS0_18inequality_wrapperIN6hipcub16HIPCUB_304000_NS8EqualityEEEPlJS6_EEE10hipError_tPvRmT3_T4_T5_T6_T7_T9_mT8_P12ihipStream_tbDpT10_ENKUlT_T0_E_clISt17integral_constantIbLb0EES17_EEDaS12_S13_EUlS12_E_NS1_11comp_targetILNS1_3genE10ELNS1_11target_archE1200ELNS1_3gpuE4ELNS1_3repE0EEENS1_30default_config_static_selectorELNS0_4arch9wavefront6targetE0EEEvT1_: ; @_ZN7rocprim17ROCPRIM_400000_NS6detail17trampoline_kernelINS0_14default_configENS1_25partition_config_selectorILNS1_17partition_subalgoE8EiNS0_10empty_typeEbEEZZNS1_14partition_implILS5_8ELb0ES3_jPKiPS6_PKS6_NS0_5tupleIJPiS6_EEENSE_IJSB_SB_EEENS0_18inequality_wrapperIN6hipcub16HIPCUB_304000_NS8EqualityEEEPlJS6_EEE10hipError_tPvRmT3_T4_T5_T6_T7_T9_mT8_P12ihipStream_tbDpT10_ENKUlT_T0_E_clISt17integral_constantIbLb0EES17_EEDaS12_S13_EUlS12_E_NS1_11comp_targetILNS1_3genE10ELNS1_11target_archE1200ELNS1_3gpuE4ELNS1_3repE0EEENS1_30default_config_static_selectorELNS0_4arch9wavefront6targetE0EEEvT1_
; %bb.0:
	.section	.rodata,"a",@progbits
	.p2align	6, 0x0
	.amdhsa_kernel _ZN7rocprim17ROCPRIM_400000_NS6detail17trampoline_kernelINS0_14default_configENS1_25partition_config_selectorILNS1_17partition_subalgoE8EiNS0_10empty_typeEbEEZZNS1_14partition_implILS5_8ELb0ES3_jPKiPS6_PKS6_NS0_5tupleIJPiS6_EEENSE_IJSB_SB_EEENS0_18inequality_wrapperIN6hipcub16HIPCUB_304000_NS8EqualityEEEPlJS6_EEE10hipError_tPvRmT3_T4_T5_T6_T7_T9_mT8_P12ihipStream_tbDpT10_ENKUlT_T0_E_clISt17integral_constantIbLb0EES17_EEDaS12_S13_EUlS12_E_NS1_11comp_targetILNS1_3genE10ELNS1_11target_archE1200ELNS1_3gpuE4ELNS1_3repE0EEENS1_30default_config_static_selectorELNS0_4arch9wavefront6targetE0EEEvT1_
		.amdhsa_group_segment_fixed_size 0
		.amdhsa_private_segment_fixed_size 0
		.amdhsa_kernarg_size 112
		.amdhsa_user_sgpr_count 2
		.amdhsa_user_sgpr_dispatch_ptr 0
		.amdhsa_user_sgpr_queue_ptr 0
		.amdhsa_user_sgpr_kernarg_segment_ptr 1
		.amdhsa_user_sgpr_dispatch_id 0
		.amdhsa_user_sgpr_kernarg_preload_length 0
		.amdhsa_user_sgpr_kernarg_preload_offset 0
		.amdhsa_user_sgpr_private_segment_size 0
		.amdhsa_wavefront_size32 1
		.amdhsa_uses_dynamic_stack 0
		.amdhsa_enable_private_segment 0
		.amdhsa_system_sgpr_workgroup_id_x 1
		.amdhsa_system_sgpr_workgroup_id_y 0
		.amdhsa_system_sgpr_workgroup_id_z 0
		.amdhsa_system_sgpr_workgroup_info 0
		.amdhsa_system_vgpr_workitem_id 0
		.amdhsa_next_free_vgpr 1
		.amdhsa_next_free_sgpr 1
		.amdhsa_named_barrier_count 0
		.amdhsa_reserve_vcc 0
		.amdhsa_float_round_mode_32 0
		.amdhsa_float_round_mode_16_64 0
		.amdhsa_float_denorm_mode_32 3
		.amdhsa_float_denorm_mode_16_64 3
		.amdhsa_fp16_overflow 0
		.amdhsa_memory_ordered 1
		.amdhsa_forward_progress 1
		.amdhsa_inst_pref_size 0
		.amdhsa_round_robin_scheduling 0
		.amdhsa_exception_fp_ieee_invalid_op 0
		.amdhsa_exception_fp_denorm_src 0
		.amdhsa_exception_fp_ieee_div_zero 0
		.amdhsa_exception_fp_ieee_overflow 0
		.amdhsa_exception_fp_ieee_underflow 0
		.amdhsa_exception_fp_ieee_inexact 0
		.amdhsa_exception_int_div_zero 0
	.end_amdhsa_kernel
	.section	.text._ZN7rocprim17ROCPRIM_400000_NS6detail17trampoline_kernelINS0_14default_configENS1_25partition_config_selectorILNS1_17partition_subalgoE8EiNS0_10empty_typeEbEEZZNS1_14partition_implILS5_8ELb0ES3_jPKiPS6_PKS6_NS0_5tupleIJPiS6_EEENSE_IJSB_SB_EEENS0_18inequality_wrapperIN6hipcub16HIPCUB_304000_NS8EqualityEEEPlJS6_EEE10hipError_tPvRmT3_T4_T5_T6_T7_T9_mT8_P12ihipStream_tbDpT10_ENKUlT_T0_E_clISt17integral_constantIbLb0EES17_EEDaS12_S13_EUlS12_E_NS1_11comp_targetILNS1_3genE10ELNS1_11target_archE1200ELNS1_3gpuE4ELNS1_3repE0EEENS1_30default_config_static_selectorELNS0_4arch9wavefront6targetE0EEEvT1_,"axG",@progbits,_ZN7rocprim17ROCPRIM_400000_NS6detail17trampoline_kernelINS0_14default_configENS1_25partition_config_selectorILNS1_17partition_subalgoE8EiNS0_10empty_typeEbEEZZNS1_14partition_implILS5_8ELb0ES3_jPKiPS6_PKS6_NS0_5tupleIJPiS6_EEENSE_IJSB_SB_EEENS0_18inequality_wrapperIN6hipcub16HIPCUB_304000_NS8EqualityEEEPlJS6_EEE10hipError_tPvRmT3_T4_T5_T6_T7_T9_mT8_P12ihipStream_tbDpT10_ENKUlT_T0_E_clISt17integral_constantIbLb0EES17_EEDaS12_S13_EUlS12_E_NS1_11comp_targetILNS1_3genE10ELNS1_11target_archE1200ELNS1_3gpuE4ELNS1_3repE0EEENS1_30default_config_static_selectorELNS0_4arch9wavefront6targetE0EEEvT1_,comdat
.Lfunc_end415:
	.size	_ZN7rocprim17ROCPRIM_400000_NS6detail17trampoline_kernelINS0_14default_configENS1_25partition_config_selectorILNS1_17partition_subalgoE8EiNS0_10empty_typeEbEEZZNS1_14partition_implILS5_8ELb0ES3_jPKiPS6_PKS6_NS0_5tupleIJPiS6_EEENSE_IJSB_SB_EEENS0_18inequality_wrapperIN6hipcub16HIPCUB_304000_NS8EqualityEEEPlJS6_EEE10hipError_tPvRmT3_T4_T5_T6_T7_T9_mT8_P12ihipStream_tbDpT10_ENKUlT_T0_E_clISt17integral_constantIbLb0EES17_EEDaS12_S13_EUlS12_E_NS1_11comp_targetILNS1_3genE10ELNS1_11target_archE1200ELNS1_3gpuE4ELNS1_3repE0EEENS1_30default_config_static_selectorELNS0_4arch9wavefront6targetE0EEEvT1_, .Lfunc_end415-_ZN7rocprim17ROCPRIM_400000_NS6detail17trampoline_kernelINS0_14default_configENS1_25partition_config_selectorILNS1_17partition_subalgoE8EiNS0_10empty_typeEbEEZZNS1_14partition_implILS5_8ELb0ES3_jPKiPS6_PKS6_NS0_5tupleIJPiS6_EEENSE_IJSB_SB_EEENS0_18inequality_wrapperIN6hipcub16HIPCUB_304000_NS8EqualityEEEPlJS6_EEE10hipError_tPvRmT3_T4_T5_T6_T7_T9_mT8_P12ihipStream_tbDpT10_ENKUlT_T0_E_clISt17integral_constantIbLb0EES17_EEDaS12_S13_EUlS12_E_NS1_11comp_targetILNS1_3genE10ELNS1_11target_archE1200ELNS1_3gpuE4ELNS1_3repE0EEENS1_30default_config_static_selectorELNS0_4arch9wavefront6targetE0EEEvT1_
                                        ; -- End function
	.set _ZN7rocprim17ROCPRIM_400000_NS6detail17trampoline_kernelINS0_14default_configENS1_25partition_config_selectorILNS1_17partition_subalgoE8EiNS0_10empty_typeEbEEZZNS1_14partition_implILS5_8ELb0ES3_jPKiPS6_PKS6_NS0_5tupleIJPiS6_EEENSE_IJSB_SB_EEENS0_18inequality_wrapperIN6hipcub16HIPCUB_304000_NS8EqualityEEEPlJS6_EEE10hipError_tPvRmT3_T4_T5_T6_T7_T9_mT8_P12ihipStream_tbDpT10_ENKUlT_T0_E_clISt17integral_constantIbLb0EES17_EEDaS12_S13_EUlS12_E_NS1_11comp_targetILNS1_3genE10ELNS1_11target_archE1200ELNS1_3gpuE4ELNS1_3repE0EEENS1_30default_config_static_selectorELNS0_4arch9wavefront6targetE0EEEvT1_.num_vgpr, 0
	.set _ZN7rocprim17ROCPRIM_400000_NS6detail17trampoline_kernelINS0_14default_configENS1_25partition_config_selectorILNS1_17partition_subalgoE8EiNS0_10empty_typeEbEEZZNS1_14partition_implILS5_8ELb0ES3_jPKiPS6_PKS6_NS0_5tupleIJPiS6_EEENSE_IJSB_SB_EEENS0_18inequality_wrapperIN6hipcub16HIPCUB_304000_NS8EqualityEEEPlJS6_EEE10hipError_tPvRmT3_T4_T5_T6_T7_T9_mT8_P12ihipStream_tbDpT10_ENKUlT_T0_E_clISt17integral_constantIbLb0EES17_EEDaS12_S13_EUlS12_E_NS1_11comp_targetILNS1_3genE10ELNS1_11target_archE1200ELNS1_3gpuE4ELNS1_3repE0EEENS1_30default_config_static_selectorELNS0_4arch9wavefront6targetE0EEEvT1_.num_agpr, 0
	.set _ZN7rocprim17ROCPRIM_400000_NS6detail17trampoline_kernelINS0_14default_configENS1_25partition_config_selectorILNS1_17partition_subalgoE8EiNS0_10empty_typeEbEEZZNS1_14partition_implILS5_8ELb0ES3_jPKiPS6_PKS6_NS0_5tupleIJPiS6_EEENSE_IJSB_SB_EEENS0_18inequality_wrapperIN6hipcub16HIPCUB_304000_NS8EqualityEEEPlJS6_EEE10hipError_tPvRmT3_T4_T5_T6_T7_T9_mT8_P12ihipStream_tbDpT10_ENKUlT_T0_E_clISt17integral_constantIbLb0EES17_EEDaS12_S13_EUlS12_E_NS1_11comp_targetILNS1_3genE10ELNS1_11target_archE1200ELNS1_3gpuE4ELNS1_3repE0EEENS1_30default_config_static_selectorELNS0_4arch9wavefront6targetE0EEEvT1_.numbered_sgpr, 0
	.set _ZN7rocprim17ROCPRIM_400000_NS6detail17trampoline_kernelINS0_14default_configENS1_25partition_config_selectorILNS1_17partition_subalgoE8EiNS0_10empty_typeEbEEZZNS1_14partition_implILS5_8ELb0ES3_jPKiPS6_PKS6_NS0_5tupleIJPiS6_EEENSE_IJSB_SB_EEENS0_18inequality_wrapperIN6hipcub16HIPCUB_304000_NS8EqualityEEEPlJS6_EEE10hipError_tPvRmT3_T4_T5_T6_T7_T9_mT8_P12ihipStream_tbDpT10_ENKUlT_T0_E_clISt17integral_constantIbLb0EES17_EEDaS12_S13_EUlS12_E_NS1_11comp_targetILNS1_3genE10ELNS1_11target_archE1200ELNS1_3gpuE4ELNS1_3repE0EEENS1_30default_config_static_selectorELNS0_4arch9wavefront6targetE0EEEvT1_.num_named_barrier, 0
	.set _ZN7rocprim17ROCPRIM_400000_NS6detail17trampoline_kernelINS0_14default_configENS1_25partition_config_selectorILNS1_17partition_subalgoE8EiNS0_10empty_typeEbEEZZNS1_14partition_implILS5_8ELb0ES3_jPKiPS6_PKS6_NS0_5tupleIJPiS6_EEENSE_IJSB_SB_EEENS0_18inequality_wrapperIN6hipcub16HIPCUB_304000_NS8EqualityEEEPlJS6_EEE10hipError_tPvRmT3_T4_T5_T6_T7_T9_mT8_P12ihipStream_tbDpT10_ENKUlT_T0_E_clISt17integral_constantIbLb0EES17_EEDaS12_S13_EUlS12_E_NS1_11comp_targetILNS1_3genE10ELNS1_11target_archE1200ELNS1_3gpuE4ELNS1_3repE0EEENS1_30default_config_static_selectorELNS0_4arch9wavefront6targetE0EEEvT1_.private_seg_size, 0
	.set _ZN7rocprim17ROCPRIM_400000_NS6detail17trampoline_kernelINS0_14default_configENS1_25partition_config_selectorILNS1_17partition_subalgoE8EiNS0_10empty_typeEbEEZZNS1_14partition_implILS5_8ELb0ES3_jPKiPS6_PKS6_NS0_5tupleIJPiS6_EEENSE_IJSB_SB_EEENS0_18inequality_wrapperIN6hipcub16HIPCUB_304000_NS8EqualityEEEPlJS6_EEE10hipError_tPvRmT3_T4_T5_T6_T7_T9_mT8_P12ihipStream_tbDpT10_ENKUlT_T0_E_clISt17integral_constantIbLb0EES17_EEDaS12_S13_EUlS12_E_NS1_11comp_targetILNS1_3genE10ELNS1_11target_archE1200ELNS1_3gpuE4ELNS1_3repE0EEENS1_30default_config_static_selectorELNS0_4arch9wavefront6targetE0EEEvT1_.uses_vcc, 0
	.set _ZN7rocprim17ROCPRIM_400000_NS6detail17trampoline_kernelINS0_14default_configENS1_25partition_config_selectorILNS1_17partition_subalgoE8EiNS0_10empty_typeEbEEZZNS1_14partition_implILS5_8ELb0ES3_jPKiPS6_PKS6_NS0_5tupleIJPiS6_EEENSE_IJSB_SB_EEENS0_18inequality_wrapperIN6hipcub16HIPCUB_304000_NS8EqualityEEEPlJS6_EEE10hipError_tPvRmT3_T4_T5_T6_T7_T9_mT8_P12ihipStream_tbDpT10_ENKUlT_T0_E_clISt17integral_constantIbLb0EES17_EEDaS12_S13_EUlS12_E_NS1_11comp_targetILNS1_3genE10ELNS1_11target_archE1200ELNS1_3gpuE4ELNS1_3repE0EEENS1_30default_config_static_selectorELNS0_4arch9wavefront6targetE0EEEvT1_.uses_flat_scratch, 0
	.set _ZN7rocprim17ROCPRIM_400000_NS6detail17trampoline_kernelINS0_14default_configENS1_25partition_config_selectorILNS1_17partition_subalgoE8EiNS0_10empty_typeEbEEZZNS1_14partition_implILS5_8ELb0ES3_jPKiPS6_PKS6_NS0_5tupleIJPiS6_EEENSE_IJSB_SB_EEENS0_18inequality_wrapperIN6hipcub16HIPCUB_304000_NS8EqualityEEEPlJS6_EEE10hipError_tPvRmT3_T4_T5_T6_T7_T9_mT8_P12ihipStream_tbDpT10_ENKUlT_T0_E_clISt17integral_constantIbLb0EES17_EEDaS12_S13_EUlS12_E_NS1_11comp_targetILNS1_3genE10ELNS1_11target_archE1200ELNS1_3gpuE4ELNS1_3repE0EEENS1_30default_config_static_selectorELNS0_4arch9wavefront6targetE0EEEvT1_.has_dyn_sized_stack, 0
	.set _ZN7rocprim17ROCPRIM_400000_NS6detail17trampoline_kernelINS0_14default_configENS1_25partition_config_selectorILNS1_17partition_subalgoE8EiNS0_10empty_typeEbEEZZNS1_14partition_implILS5_8ELb0ES3_jPKiPS6_PKS6_NS0_5tupleIJPiS6_EEENSE_IJSB_SB_EEENS0_18inequality_wrapperIN6hipcub16HIPCUB_304000_NS8EqualityEEEPlJS6_EEE10hipError_tPvRmT3_T4_T5_T6_T7_T9_mT8_P12ihipStream_tbDpT10_ENKUlT_T0_E_clISt17integral_constantIbLb0EES17_EEDaS12_S13_EUlS12_E_NS1_11comp_targetILNS1_3genE10ELNS1_11target_archE1200ELNS1_3gpuE4ELNS1_3repE0EEENS1_30default_config_static_selectorELNS0_4arch9wavefront6targetE0EEEvT1_.has_recursion, 0
	.set _ZN7rocprim17ROCPRIM_400000_NS6detail17trampoline_kernelINS0_14default_configENS1_25partition_config_selectorILNS1_17partition_subalgoE8EiNS0_10empty_typeEbEEZZNS1_14partition_implILS5_8ELb0ES3_jPKiPS6_PKS6_NS0_5tupleIJPiS6_EEENSE_IJSB_SB_EEENS0_18inequality_wrapperIN6hipcub16HIPCUB_304000_NS8EqualityEEEPlJS6_EEE10hipError_tPvRmT3_T4_T5_T6_T7_T9_mT8_P12ihipStream_tbDpT10_ENKUlT_T0_E_clISt17integral_constantIbLb0EES17_EEDaS12_S13_EUlS12_E_NS1_11comp_targetILNS1_3genE10ELNS1_11target_archE1200ELNS1_3gpuE4ELNS1_3repE0EEENS1_30default_config_static_selectorELNS0_4arch9wavefront6targetE0EEEvT1_.has_indirect_call, 0
	.section	.AMDGPU.csdata,"",@progbits
; Kernel info:
; codeLenInByte = 0
; TotalNumSgprs: 0
; NumVgprs: 0
; ScratchSize: 0
; MemoryBound: 0
; FloatMode: 240
; IeeeMode: 1
; LDSByteSize: 0 bytes/workgroup (compile time only)
; SGPRBlocks: 0
; VGPRBlocks: 0
; NumSGPRsForWavesPerEU: 1
; NumVGPRsForWavesPerEU: 1
; NamedBarCnt: 0
; Occupancy: 16
; WaveLimiterHint : 0
; COMPUTE_PGM_RSRC2:SCRATCH_EN: 0
; COMPUTE_PGM_RSRC2:USER_SGPR: 2
; COMPUTE_PGM_RSRC2:TRAP_HANDLER: 0
; COMPUTE_PGM_RSRC2:TGID_X_EN: 1
; COMPUTE_PGM_RSRC2:TGID_Y_EN: 0
; COMPUTE_PGM_RSRC2:TGID_Z_EN: 0
; COMPUTE_PGM_RSRC2:TIDIG_COMP_CNT: 0
	.section	.text._ZN7rocprim17ROCPRIM_400000_NS6detail17trampoline_kernelINS0_14default_configENS1_25partition_config_selectorILNS1_17partition_subalgoE8EiNS0_10empty_typeEbEEZZNS1_14partition_implILS5_8ELb0ES3_jPKiPS6_PKS6_NS0_5tupleIJPiS6_EEENSE_IJSB_SB_EEENS0_18inequality_wrapperIN6hipcub16HIPCUB_304000_NS8EqualityEEEPlJS6_EEE10hipError_tPvRmT3_T4_T5_T6_T7_T9_mT8_P12ihipStream_tbDpT10_ENKUlT_T0_E_clISt17integral_constantIbLb0EES17_EEDaS12_S13_EUlS12_E_NS1_11comp_targetILNS1_3genE9ELNS1_11target_archE1100ELNS1_3gpuE3ELNS1_3repE0EEENS1_30default_config_static_selectorELNS0_4arch9wavefront6targetE0EEEvT1_,"axG",@progbits,_ZN7rocprim17ROCPRIM_400000_NS6detail17trampoline_kernelINS0_14default_configENS1_25partition_config_selectorILNS1_17partition_subalgoE8EiNS0_10empty_typeEbEEZZNS1_14partition_implILS5_8ELb0ES3_jPKiPS6_PKS6_NS0_5tupleIJPiS6_EEENSE_IJSB_SB_EEENS0_18inequality_wrapperIN6hipcub16HIPCUB_304000_NS8EqualityEEEPlJS6_EEE10hipError_tPvRmT3_T4_T5_T6_T7_T9_mT8_P12ihipStream_tbDpT10_ENKUlT_T0_E_clISt17integral_constantIbLb0EES17_EEDaS12_S13_EUlS12_E_NS1_11comp_targetILNS1_3genE9ELNS1_11target_archE1100ELNS1_3gpuE3ELNS1_3repE0EEENS1_30default_config_static_selectorELNS0_4arch9wavefront6targetE0EEEvT1_,comdat
	.protected	_ZN7rocprim17ROCPRIM_400000_NS6detail17trampoline_kernelINS0_14default_configENS1_25partition_config_selectorILNS1_17partition_subalgoE8EiNS0_10empty_typeEbEEZZNS1_14partition_implILS5_8ELb0ES3_jPKiPS6_PKS6_NS0_5tupleIJPiS6_EEENSE_IJSB_SB_EEENS0_18inequality_wrapperIN6hipcub16HIPCUB_304000_NS8EqualityEEEPlJS6_EEE10hipError_tPvRmT3_T4_T5_T6_T7_T9_mT8_P12ihipStream_tbDpT10_ENKUlT_T0_E_clISt17integral_constantIbLb0EES17_EEDaS12_S13_EUlS12_E_NS1_11comp_targetILNS1_3genE9ELNS1_11target_archE1100ELNS1_3gpuE3ELNS1_3repE0EEENS1_30default_config_static_selectorELNS0_4arch9wavefront6targetE0EEEvT1_ ; -- Begin function _ZN7rocprim17ROCPRIM_400000_NS6detail17trampoline_kernelINS0_14default_configENS1_25partition_config_selectorILNS1_17partition_subalgoE8EiNS0_10empty_typeEbEEZZNS1_14partition_implILS5_8ELb0ES3_jPKiPS6_PKS6_NS0_5tupleIJPiS6_EEENSE_IJSB_SB_EEENS0_18inequality_wrapperIN6hipcub16HIPCUB_304000_NS8EqualityEEEPlJS6_EEE10hipError_tPvRmT3_T4_T5_T6_T7_T9_mT8_P12ihipStream_tbDpT10_ENKUlT_T0_E_clISt17integral_constantIbLb0EES17_EEDaS12_S13_EUlS12_E_NS1_11comp_targetILNS1_3genE9ELNS1_11target_archE1100ELNS1_3gpuE3ELNS1_3repE0EEENS1_30default_config_static_selectorELNS0_4arch9wavefront6targetE0EEEvT1_
	.globl	_ZN7rocprim17ROCPRIM_400000_NS6detail17trampoline_kernelINS0_14default_configENS1_25partition_config_selectorILNS1_17partition_subalgoE8EiNS0_10empty_typeEbEEZZNS1_14partition_implILS5_8ELb0ES3_jPKiPS6_PKS6_NS0_5tupleIJPiS6_EEENSE_IJSB_SB_EEENS0_18inequality_wrapperIN6hipcub16HIPCUB_304000_NS8EqualityEEEPlJS6_EEE10hipError_tPvRmT3_T4_T5_T6_T7_T9_mT8_P12ihipStream_tbDpT10_ENKUlT_T0_E_clISt17integral_constantIbLb0EES17_EEDaS12_S13_EUlS12_E_NS1_11comp_targetILNS1_3genE9ELNS1_11target_archE1100ELNS1_3gpuE3ELNS1_3repE0EEENS1_30default_config_static_selectorELNS0_4arch9wavefront6targetE0EEEvT1_
	.p2align	8
	.type	_ZN7rocprim17ROCPRIM_400000_NS6detail17trampoline_kernelINS0_14default_configENS1_25partition_config_selectorILNS1_17partition_subalgoE8EiNS0_10empty_typeEbEEZZNS1_14partition_implILS5_8ELb0ES3_jPKiPS6_PKS6_NS0_5tupleIJPiS6_EEENSE_IJSB_SB_EEENS0_18inequality_wrapperIN6hipcub16HIPCUB_304000_NS8EqualityEEEPlJS6_EEE10hipError_tPvRmT3_T4_T5_T6_T7_T9_mT8_P12ihipStream_tbDpT10_ENKUlT_T0_E_clISt17integral_constantIbLb0EES17_EEDaS12_S13_EUlS12_E_NS1_11comp_targetILNS1_3genE9ELNS1_11target_archE1100ELNS1_3gpuE3ELNS1_3repE0EEENS1_30default_config_static_selectorELNS0_4arch9wavefront6targetE0EEEvT1_,@function
_ZN7rocprim17ROCPRIM_400000_NS6detail17trampoline_kernelINS0_14default_configENS1_25partition_config_selectorILNS1_17partition_subalgoE8EiNS0_10empty_typeEbEEZZNS1_14partition_implILS5_8ELb0ES3_jPKiPS6_PKS6_NS0_5tupleIJPiS6_EEENSE_IJSB_SB_EEENS0_18inequality_wrapperIN6hipcub16HIPCUB_304000_NS8EqualityEEEPlJS6_EEE10hipError_tPvRmT3_T4_T5_T6_T7_T9_mT8_P12ihipStream_tbDpT10_ENKUlT_T0_E_clISt17integral_constantIbLb0EES17_EEDaS12_S13_EUlS12_E_NS1_11comp_targetILNS1_3genE9ELNS1_11target_archE1100ELNS1_3gpuE3ELNS1_3repE0EEENS1_30default_config_static_selectorELNS0_4arch9wavefront6targetE0EEEvT1_: ; @_ZN7rocprim17ROCPRIM_400000_NS6detail17trampoline_kernelINS0_14default_configENS1_25partition_config_selectorILNS1_17partition_subalgoE8EiNS0_10empty_typeEbEEZZNS1_14partition_implILS5_8ELb0ES3_jPKiPS6_PKS6_NS0_5tupleIJPiS6_EEENSE_IJSB_SB_EEENS0_18inequality_wrapperIN6hipcub16HIPCUB_304000_NS8EqualityEEEPlJS6_EEE10hipError_tPvRmT3_T4_T5_T6_T7_T9_mT8_P12ihipStream_tbDpT10_ENKUlT_T0_E_clISt17integral_constantIbLb0EES17_EEDaS12_S13_EUlS12_E_NS1_11comp_targetILNS1_3genE9ELNS1_11target_archE1100ELNS1_3gpuE3ELNS1_3repE0EEENS1_30default_config_static_selectorELNS0_4arch9wavefront6targetE0EEEvT1_
; %bb.0:
	.section	.rodata,"a",@progbits
	.p2align	6, 0x0
	.amdhsa_kernel _ZN7rocprim17ROCPRIM_400000_NS6detail17trampoline_kernelINS0_14default_configENS1_25partition_config_selectorILNS1_17partition_subalgoE8EiNS0_10empty_typeEbEEZZNS1_14partition_implILS5_8ELb0ES3_jPKiPS6_PKS6_NS0_5tupleIJPiS6_EEENSE_IJSB_SB_EEENS0_18inequality_wrapperIN6hipcub16HIPCUB_304000_NS8EqualityEEEPlJS6_EEE10hipError_tPvRmT3_T4_T5_T6_T7_T9_mT8_P12ihipStream_tbDpT10_ENKUlT_T0_E_clISt17integral_constantIbLb0EES17_EEDaS12_S13_EUlS12_E_NS1_11comp_targetILNS1_3genE9ELNS1_11target_archE1100ELNS1_3gpuE3ELNS1_3repE0EEENS1_30default_config_static_selectorELNS0_4arch9wavefront6targetE0EEEvT1_
		.amdhsa_group_segment_fixed_size 0
		.amdhsa_private_segment_fixed_size 0
		.amdhsa_kernarg_size 112
		.amdhsa_user_sgpr_count 2
		.amdhsa_user_sgpr_dispatch_ptr 0
		.amdhsa_user_sgpr_queue_ptr 0
		.amdhsa_user_sgpr_kernarg_segment_ptr 1
		.amdhsa_user_sgpr_dispatch_id 0
		.amdhsa_user_sgpr_kernarg_preload_length 0
		.amdhsa_user_sgpr_kernarg_preload_offset 0
		.amdhsa_user_sgpr_private_segment_size 0
		.amdhsa_wavefront_size32 1
		.amdhsa_uses_dynamic_stack 0
		.amdhsa_enable_private_segment 0
		.amdhsa_system_sgpr_workgroup_id_x 1
		.amdhsa_system_sgpr_workgroup_id_y 0
		.amdhsa_system_sgpr_workgroup_id_z 0
		.amdhsa_system_sgpr_workgroup_info 0
		.amdhsa_system_vgpr_workitem_id 0
		.amdhsa_next_free_vgpr 1
		.amdhsa_next_free_sgpr 1
		.amdhsa_named_barrier_count 0
		.amdhsa_reserve_vcc 0
		.amdhsa_float_round_mode_32 0
		.amdhsa_float_round_mode_16_64 0
		.amdhsa_float_denorm_mode_32 3
		.amdhsa_float_denorm_mode_16_64 3
		.amdhsa_fp16_overflow 0
		.amdhsa_memory_ordered 1
		.amdhsa_forward_progress 1
		.amdhsa_inst_pref_size 0
		.amdhsa_round_robin_scheduling 0
		.amdhsa_exception_fp_ieee_invalid_op 0
		.amdhsa_exception_fp_denorm_src 0
		.amdhsa_exception_fp_ieee_div_zero 0
		.amdhsa_exception_fp_ieee_overflow 0
		.amdhsa_exception_fp_ieee_underflow 0
		.amdhsa_exception_fp_ieee_inexact 0
		.amdhsa_exception_int_div_zero 0
	.end_amdhsa_kernel
	.section	.text._ZN7rocprim17ROCPRIM_400000_NS6detail17trampoline_kernelINS0_14default_configENS1_25partition_config_selectorILNS1_17partition_subalgoE8EiNS0_10empty_typeEbEEZZNS1_14partition_implILS5_8ELb0ES3_jPKiPS6_PKS6_NS0_5tupleIJPiS6_EEENSE_IJSB_SB_EEENS0_18inequality_wrapperIN6hipcub16HIPCUB_304000_NS8EqualityEEEPlJS6_EEE10hipError_tPvRmT3_T4_T5_T6_T7_T9_mT8_P12ihipStream_tbDpT10_ENKUlT_T0_E_clISt17integral_constantIbLb0EES17_EEDaS12_S13_EUlS12_E_NS1_11comp_targetILNS1_3genE9ELNS1_11target_archE1100ELNS1_3gpuE3ELNS1_3repE0EEENS1_30default_config_static_selectorELNS0_4arch9wavefront6targetE0EEEvT1_,"axG",@progbits,_ZN7rocprim17ROCPRIM_400000_NS6detail17trampoline_kernelINS0_14default_configENS1_25partition_config_selectorILNS1_17partition_subalgoE8EiNS0_10empty_typeEbEEZZNS1_14partition_implILS5_8ELb0ES3_jPKiPS6_PKS6_NS0_5tupleIJPiS6_EEENSE_IJSB_SB_EEENS0_18inequality_wrapperIN6hipcub16HIPCUB_304000_NS8EqualityEEEPlJS6_EEE10hipError_tPvRmT3_T4_T5_T6_T7_T9_mT8_P12ihipStream_tbDpT10_ENKUlT_T0_E_clISt17integral_constantIbLb0EES17_EEDaS12_S13_EUlS12_E_NS1_11comp_targetILNS1_3genE9ELNS1_11target_archE1100ELNS1_3gpuE3ELNS1_3repE0EEENS1_30default_config_static_selectorELNS0_4arch9wavefront6targetE0EEEvT1_,comdat
.Lfunc_end416:
	.size	_ZN7rocprim17ROCPRIM_400000_NS6detail17trampoline_kernelINS0_14default_configENS1_25partition_config_selectorILNS1_17partition_subalgoE8EiNS0_10empty_typeEbEEZZNS1_14partition_implILS5_8ELb0ES3_jPKiPS6_PKS6_NS0_5tupleIJPiS6_EEENSE_IJSB_SB_EEENS0_18inequality_wrapperIN6hipcub16HIPCUB_304000_NS8EqualityEEEPlJS6_EEE10hipError_tPvRmT3_T4_T5_T6_T7_T9_mT8_P12ihipStream_tbDpT10_ENKUlT_T0_E_clISt17integral_constantIbLb0EES17_EEDaS12_S13_EUlS12_E_NS1_11comp_targetILNS1_3genE9ELNS1_11target_archE1100ELNS1_3gpuE3ELNS1_3repE0EEENS1_30default_config_static_selectorELNS0_4arch9wavefront6targetE0EEEvT1_, .Lfunc_end416-_ZN7rocprim17ROCPRIM_400000_NS6detail17trampoline_kernelINS0_14default_configENS1_25partition_config_selectorILNS1_17partition_subalgoE8EiNS0_10empty_typeEbEEZZNS1_14partition_implILS5_8ELb0ES3_jPKiPS6_PKS6_NS0_5tupleIJPiS6_EEENSE_IJSB_SB_EEENS0_18inequality_wrapperIN6hipcub16HIPCUB_304000_NS8EqualityEEEPlJS6_EEE10hipError_tPvRmT3_T4_T5_T6_T7_T9_mT8_P12ihipStream_tbDpT10_ENKUlT_T0_E_clISt17integral_constantIbLb0EES17_EEDaS12_S13_EUlS12_E_NS1_11comp_targetILNS1_3genE9ELNS1_11target_archE1100ELNS1_3gpuE3ELNS1_3repE0EEENS1_30default_config_static_selectorELNS0_4arch9wavefront6targetE0EEEvT1_
                                        ; -- End function
	.set _ZN7rocprim17ROCPRIM_400000_NS6detail17trampoline_kernelINS0_14default_configENS1_25partition_config_selectorILNS1_17partition_subalgoE8EiNS0_10empty_typeEbEEZZNS1_14partition_implILS5_8ELb0ES3_jPKiPS6_PKS6_NS0_5tupleIJPiS6_EEENSE_IJSB_SB_EEENS0_18inequality_wrapperIN6hipcub16HIPCUB_304000_NS8EqualityEEEPlJS6_EEE10hipError_tPvRmT3_T4_T5_T6_T7_T9_mT8_P12ihipStream_tbDpT10_ENKUlT_T0_E_clISt17integral_constantIbLb0EES17_EEDaS12_S13_EUlS12_E_NS1_11comp_targetILNS1_3genE9ELNS1_11target_archE1100ELNS1_3gpuE3ELNS1_3repE0EEENS1_30default_config_static_selectorELNS0_4arch9wavefront6targetE0EEEvT1_.num_vgpr, 0
	.set _ZN7rocprim17ROCPRIM_400000_NS6detail17trampoline_kernelINS0_14default_configENS1_25partition_config_selectorILNS1_17partition_subalgoE8EiNS0_10empty_typeEbEEZZNS1_14partition_implILS5_8ELb0ES3_jPKiPS6_PKS6_NS0_5tupleIJPiS6_EEENSE_IJSB_SB_EEENS0_18inequality_wrapperIN6hipcub16HIPCUB_304000_NS8EqualityEEEPlJS6_EEE10hipError_tPvRmT3_T4_T5_T6_T7_T9_mT8_P12ihipStream_tbDpT10_ENKUlT_T0_E_clISt17integral_constantIbLb0EES17_EEDaS12_S13_EUlS12_E_NS1_11comp_targetILNS1_3genE9ELNS1_11target_archE1100ELNS1_3gpuE3ELNS1_3repE0EEENS1_30default_config_static_selectorELNS0_4arch9wavefront6targetE0EEEvT1_.num_agpr, 0
	.set _ZN7rocprim17ROCPRIM_400000_NS6detail17trampoline_kernelINS0_14default_configENS1_25partition_config_selectorILNS1_17partition_subalgoE8EiNS0_10empty_typeEbEEZZNS1_14partition_implILS5_8ELb0ES3_jPKiPS6_PKS6_NS0_5tupleIJPiS6_EEENSE_IJSB_SB_EEENS0_18inequality_wrapperIN6hipcub16HIPCUB_304000_NS8EqualityEEEPlJS6_EEE10hipError_tPvRmT3_T4_T5_T6_T7_T9_mT8_P12ihipStream_tbDpT10_ENKUlT_T0_E_clISt17integral_constantIbLb0EES17_EEDaS12_S13_EUlS12_E_NS1_11comp_targetILNS1_3genE9ELNS1_11target_archE1100ELNS1_3gpuE3ELNS1_3repE0EEENS1_30default_config_static_selectorELNS0_4arch9wavefront6targetE0EEEvT1_.numbered_sgpr, 0
	.set _ZN7rocprim17ROCPRIM_400000_NS6detail17trampoline_kernelINS0_14default_configENS1_25partition_config_selectorILNS1_17partition_subalgoE8EiNS0_10empty_typeEbEEZZNS1_14partition_implILS5_8ELb0ES3_jPKiPS6_PKS6_NS0_5tupleIJPiS6_EEENSE_IJSB_SB_EEENS0_18inequality_wrapperIN6hipcub16HIPCUB_304000_NS8EqualityEEEPlJS6_EEE10hipError_tPvRmT3_T4_T5_T6_T7_T9_mT8_P12ihipStream_tbDpT10_ENKUlT_T0_E_clISt17integral_constantIbLb0EES17_EEDaS12_S13_EUlS12_E_NS1_11comp_targetILNS1_3genE9ELNS1_11target_archE1100ELNS1_3gpuE3ELNS1_3repE0EEENS1_30default_config_static_selectorELNS0_4arch9wavefront6targetE0EEEvT1_.num_named_barrier, 0
	.set _ZN7rocprim17ROCPRIM_400000_NS6detail17trampoline_kernelINS0_14default_configENS1_25partition_config_selectorILNS1_17partition_subalgoE8EiNS0_10empty_typeEbEEZZNS1_14partition_implILS5_8ELb0ES3_jPKiPS6_PKS6_NS0_5tupleIJPiS6_EEENSE_IJSB_SB_EEENS0_18inequality_wrapperIN6hipcub16HIPCUB_304000_NS8EqualityEEEPlJS6_EEE10hipError_tPvRmT3_T4_T5_T6_T7_T9_mT8_P12ihipStream_tbDpT10_ENKUlT_T0_E_clISt17integral_constantIbLb0EES17_EEDaS12_S13_EUlS12_E_NS1_11comp_targetILNS1_3genE9ELNS1_11target_archE1100ELNS1_3gpuE3ELNS1_3repE0EEENS1_30default_config_static_selectorELNS0_4arch9wavefront6targetE0EEEvT1_.private_seg_size, 0
	.set _ZN7rocprim17ROCPRIM_400000_NS6detail17trampoline_kernelINS0_14default_configENS1_25partition_config_selectorILNS1_17partition_subalgoE8EiNS0_10empty_typeEbEEZZNS1_14partition_implILS5_8ELb0ES3_jPKiPS6_PKS6_NS0_5tupleIJPiS6_EEENSE_IJSB_SB_EEENS0_18inequality_wrapperIN6hipcub16HIPCUB_304000_NS8EqualityEEEPlJS6_EEE10hipError_tPvRmT3_T4_T5_T6_T7_T9_mT8_P12ihipStream_tbDpT10_ENKUlT_T0_E_clISt17integral_constantIbLb0EES17_EEDaS12_S13_EUlS12_E_NS1_11comp_targetILNS1_3genE9ELNS1_11target_archE1100ELNS1_3gpuE3ELNS1_3repE0EEENS1_30default_config_static_selectorELNS0_4arch9wavefront6targetE0EEEvT1_.uses_vcc, 0
	.set _ZN7rocprim17ROCPRIM_400000_NS6detail17trampoline_kernelINS0_14default_configENS1_25partition_config_selectorILNS1_17partition_subalgoE8EiNS0_10empty_typeEbEEZZNS1_14partition_implILS5_8ELb0ES3_jPKiPS6_PKS6_NS0_5tupleIJPiS6_EEENSE_IJSB_SB_EEENS0_18inequality_wrapperIN6hipcub16HIPCUB_304000_NS8EqualityEEEPlJS6_EEE10hipError_tPvRmT3_T4_T5_T6_T7_T9_mT8_P12ihipStream_tbDpT10_ENKUlT_T0_E_clISt17integral_constantIbLb0EES17_EEDaS12_S13_EUlS12_E_NS1_11comp_targetILNS1_3genE9ELNS1_11target_archE1100ELNS1_3gpuE3ELNS1_3repE0EEENS1_30default_config_static_selectorELNS0_4arch9wavefront6targetE0EEEvT1_.uses_flat_scratch, 0
	.set _ZN7rocprim17ROCPRIM_400000_NS6detail17trampoline_kernelINS0_14default_configENS1_25partition_config_selectorILNS1_17partition_subalgoE8EiNS0_10empty_typeEbEEZZNS1_14partition_implILS5_8ELb0ES3_jPKiPS6_PKS6_NS0_5tupleIJPiS6_EEENSE_IJSB_SB_EEENS0_18inequality_wrapperIN6hipcub16HIPCUB_304000_NS8EqualityEEEPlJS6_EEE10hipError_tPvRmT3_T4_T5_T6_T7_T9_mT8_P12ihipStream_tbDpT10_ENKUlT_T0_E_clISt17integral_constantIbLb0EES17_EEDaS12_S13_EUlS12_E_NS1_11comp_targetILNS1_3genE9ELNS1_11target_archE1100ELNS1_3gpuE3ELNS1_3repE0EEENS1_30default_config_static_selectorELNS0_4arch9wavefront6targetE0EEEvT1_.has_dyn_sized_stack, 0
	.set _ZN7rocprim17ROCPRIM_400000_NS6detail17trampoline_kernelINS0_14default_configENS1_25partition_config_selectorILNS1_17partition_subalgoE8EiNS0_10empty_typeEbEEZZNS1_14partition_implILS5_8ELb0ES3_jPKiPS6_PKS6_NS0_5tupleIJPiS6_EEENSE_IJSB_SB_EEENS0_18inequality_wrapperIN6hipcub16HIPCUB_304000_NS8EqualityEEEPlJS6_EEE10hipError_tPvRmT3_T4_T5_T6_T7_T9_mT8_P12ihipStream_tbDpT10_ENKUlT_T0_E_clISt17integral_constantIbLb0EES17_EEDaS12_S13_EUlS12_E_NS1_11comp_targetILNS1_3genE9ELNS1_11target_archE1100ELNS1_3gpuE3ELNS1_3repE0EEENS1_30default_config_static_selectorELNS0_4arch9wavefront6targetE0EEEvT1_.has_recursion, 0
	.set _ZN7rocprim17ROCPRIM_400000_NS6detail17trampoline_kernelINS0_14default_configENS1_25partition_config_selectorILNS1_17partition_subalgoE8EiNS0_10empty_typeEbEEZZNS1_14partition_implILS5_8ELb0ES3_jPKiPS6_PKS6_NS0_5tupleIJPiS6_EEENSE_IJSB_SB_EEENS0_18inequality_wrapperIN6hipcub16HIPCUB_304000_NS8EqualityEEEPlJS6_EEE10hipError_tPvRmT3_T4_T5_T6_T7_T9_mT8_P12ihipStream_tbDpT10_ENKUlT_T0_E_clISt17integral_constantIbLb0EES17_EEDaS12_S13_EUlS12_E_NS1_11comp_targetILNS1_3genE9ELNS1_11target_archE1100ELNS1_3gpuE3ELNS1_3repE0EEENS1_30default_config_static_selectorELNS0_4arch9wavefront6targetE0EEEvT1_.has_indirect_call, 0
	.section	.AMDGPU.csdata,"",@progbits
; Kernel info:
; codeLenInByte = 0
; TotalNumSgprs: 0
; NumVgprs: 0
; ScratchSize: 0
; MemoryBound: 0
; FloatMode: 240
; IeeeMode: 1
; LDSByteSize: 0 bytes/workgroup (compile time only)
; SGPRBlocks: 0
; VGPRBlocks: 0
; NumSGPRsForWavesPerEU: 1
; NumVGPRsForWavesPerEU: 1
; NamedBarCnt: 0
; Occupancy: 16
; WaveLimiterHint : 0
; COMPUTE_PGM_RSRC2:SCRATCH_EN: 0
; COMPUTE_PGM_RSRC2:USER_SGPR: 2
; COMPUTE_PGM_RSRC2:TRAP_HANDLER: 0
; COMPUTE_PGM_RSRC2:TGID_X_EN: 1
; COMPUTE_PGM_RSRC2:TGID_Y_EN: 0
; COMPUTE_PGM_RSRC2:TGID_Z_EN: 0
; COMPUTE_PGM_RSRC2:TIDIG_COMP_CNT: 0
	.section	.text._ZN7rocprim17ROCPRIM_400000_NS6detail17trampoline_kernelINS0_14default_configENS1_25partition_config_selectorILNS1_17partition_subalgoE8EiNS0_10empty_typeEbEEZZNS1_14partition_implILS5_8ELb0ES3_jPKiPS6_PKS6_NS0_5tupleIJPiS6_EEENSE_IJSB_SB_EEENS0_18inequality_wrapperIN6hipcub16HIPCUB_304000_NS8EqualityEEEPlJS6_EEE10hipError_tPvRmT3_T4_T5_T6_T7_T9_mT8_P12ihipStream_tbDpT10_ENKUlT_T0_E_clISt17integral_constantIbLb0EES17_EEDaS12_S13_EUlS12_E_NS1_11comp_targetILNS1_3genE8ELNS1_11target_archE1030ELNS1_3gpuE2ELNS1_3repE0EEENS1_30default_config_static_selectorELNS0_4arch9wavefront6targetE0EEEvT1_,"axG",@progbits,_ZN7rocprim17ROCPRIM_400000_NS6detail17trampoline_kernelINS0_14default_configENS1_25partition_config_selectorILNS1_17partition_subalgoE8EiNS0_10empty_typeEbEEZZNS1_14partition_implILS5_8ELb0ES3_jPKiPS6_PKS6_NS0_5tupleIJPiS6_EEENSE_IJSB_SB_EEENS0_18inequality_wrapperIN6hipcub16HIPCUB_304000_NS8EqualityEEEPlJS6_EEE10hipError_tPvRmT3_T4_T5_T6_T7_T9_mT8_P12ihipStream_tbDpT10_ENKUlT_T0_E_clISt17integral_constantIbLb0EES17_EEDaS12_S13_EUlS12_E_NS1_11comp_targetILNS1_3genE8ELNS1_11target_archE1030ELNS1_3gpuE2ELNS1_3repE0EEENS1_30default_config_static_selectorELNS0_4arch9wavefront6targetE0EEEvT1_,comdat
	.protected	_ZN7rocprim17ROCPRIM_400000_NS6detail17trampoline_kernelINS0_14default_configENS1_25partition_config_selectorILNS1_17partition_subalgoE8EiNS0_10empty_typeEbEEZZNS1_14partition_implILS5_8ELb0ES3_jPKiPS6_PKS6_NS0_5tupleIJPiS6_EEENSE_IJSB_SB_EEENS0_18inequality_wrapperIN6hipcub16HIPCUB_304000_NS8EqualityEEEPlJS6_EEE10hipError_tPvRmT3_T4_T5_T6_T7_T9_mT8_P12ihipStream_tbDpT10_ENKUlT_T0_E_clISt17integral_constantIbLb0EES17_EEDaS12_S13_EUlS12_E_NS1_11comp_targetILNS1_3genE8ELNS1_11target_archE1030ELNS1_3gpuE2ELNS1_3repE0EEENS1_30default_config_static_selectorELNS0_4arch9wavefront6targetE0EEEvT1_ ; -- Begin function _ZN7rocprim17ROCPRIM_400000_NS6detail17trampoline_kernelINS0_14default_configENS1_25partition_config_selectorILNS1_17partition_subalgoE8EiNS0_10empty_typeEbEEZZNS1_14partition_implILS5_8ELb0ES3_jPKiPS6_PKS6_NS0_5tupleIJPiS6_EEENSE_IJSB_SB_EEENS0_18inequality_wrapperIN6hipcub16HIPCUB_304000_NS8EqualityEEEPlJS6_EEE10hipError_tPvRmT3_T4_T5_T6_T7_T9_mT8_P12ihipStream_tbDpT10_ENKUlT_T0_E_clISt17integral_constantIbLb0EES17_EEDaS12_S13_EUlS12_E_NS1_11comp_targetILNS1_3genE8ELNS1_11target_archE1030ELNS1_3gpuE2ELNS1_3repE0EEENS1_30default_config_static_selectorELNS0_4arch9wavefront6targetE0EEEvT1_
	.globl	_ZN7rocprim17ROCPRIM_400000_NS6detail17trampoline_kernelINS0_14default_configENS1_25partition_config_selectorILNS1_17partition_subalgoE8EiNS0_10empty_typeEbEEZZNS1_14partition_implILS5_8ELb0ES3_jPKiPS6_PKS6_NS0_5tupleIJPiS6_EEENSE_IJSB_SB_EEENS0_18inequality_wrapperIN6hipcub16HIPCUB_304000_NS8EqualityEEEPlJS6_EEE10hipError_tPvRmT3_T4_T5_T6_T7_T9_mT8_P12ihipStream_tbDpT10_ENKUlT_T0_E_clISt17integral_constantIbLb0EES17_EEDaS12_S13_EUlS12_E_NS1_11comp_targetILNS1_3genE8ELNS1_11target_archE1030ELNS1_3gpuE2ELNS1_3repE0EEENS1_30default_config_static_selectorELNS0_4arch9wavefront6targetE0EEEvT1_
	.p2align	8
	.type	_ZN7rocprim17ROCPRIM_400000_NS6detail17trampoline_kernelINS0_14default_configENS1_25partition_config_selectorILNS1_17partition_subalgoE8EiNS0_10empty_typeEbEEZZNS1_14partition_implILS5_8ELb0ES3_jPKiPS6_PKS6_NS0_5tupleIJPiS6_EEENSE_IJSB_SB_EEENS0_18inequality_wrapperIN6hipcub16HIPCUB_304000_NS8EqualityEEEPlJS6_EEE10hipError_tPvRmT3_T4_T5_T6_T7_T9_mT8_P12ihipStream_tbDpT10_ENKUlT_T0_E_clISt17integral_constantIbLb0EES17_EEDaS12_S13_EUlS12_E_NS1_11comp_targetILNS1_3genE8ELNS1_11target_archE1030ELNS1_3gpuE2ELNS1_3repE0EEENS1_30default_config_static_selectorELNS0_4arch9wavefront6targetE0EEEvT1_,@function
_ZN7rocprim17ROCPRIM_400000_NS6detail17trampoline_kernelINS0_14default_configENS1_25partition_config_selectorILNS1_17partition_subalgoE8EiNS0_10empty_typeEbEEZZNS1_14partition_implILS5_8ELb0ES3_jPKiPS6_PKS6_NS0_5tupleIJPiS6_EEENSE_IJSB_SB_EEENS0_18inequality_wrapperIN6hipcub16HIPCUB_304000_NS8EqualityEEEPlJS6_EEE10hipError_tPvRmT3_T4_T5_T6_T7_T9_mT8_P12ihipStream_tbDpT10_ENKUlT_T0_E_clISt17integral_constantIbLb0EES17_EEDaS12_S13_EUlS12_E_NS1_11comp_targetILNS1_3genE8ELNS1_11target_archE1030ELNS1_3gpuE2ELNS1_3repE0EEENS1_30default_config_static_selectorELNS0_4arch9wavefront6targetE0EEEvT1_: ; @_ZN7rocprim17ROCPRIM_400000_NS6detail17trampoline_kernelINS0_14default_configENS1_25partition_config_selectorILNS1_17partition_subalgoE8EiNS0_10empty_typeEbEEZZNS1_14partition_implILS5_8ELb0ES3_jPKiPS6_PKS6_NS0_5tupleIJPiS6_EEENSE_IJSB_SB_EEENS0_18inequality_wrapperIN6hipcub16HIPCUB_304000_NS8EqualityEEEPlJS6_EEE10hipError_tPvRmT3_T4_T5_T6_T7_T9_mT8_P12ihipStream_tbDpT10_ENKUlT_T0_E_clISt17integral_constantIbLb0EES17_EEDaS12_S13_EUlS12_E_NS1_11comp_targetILNS1_3genE8ELNS1_11target_archE1030ELNS1_3gpuE2ELNS1_3repE0EEENS1_30default_config_static_selectorELNS0_4arch9wavefront6targetE0EEEvT1_
; %bb.0:
	.section	.rodata,"a",@progbits
	.p2align	6, 0x0
	.amdhsa_kernel _ZN7rocprim17ROCPRIM_400000_NS6detail17trampoline_kernelINS0_14default_configENS1_25partition_config_selectorILNS1_17partition_subalgoE8EiNS0_10empty_typeEbEEZZNS1_14partition_implILS5_8ELb0ES3_jPKiPS6_PKS6_NS0_5tupleIJPiS6_EEENSE_IJSB_SB_EEENS0_18inequality_wrapperIN6hipcub16HIPCUB_304000_NS8EqualityEEEPlJS6_EEE10hipError_tPvRmT3_T4_T5_T6_T7_T9_mT8_P12ihipStream_tbDpT10_ENKUlT_T0_E_clISt17integral_constantIbLb0EES17_EEDaS12_S13_EUlS12_E_NS1_11comp_targetILNS1_3genE8ELNS1_11target_archE1030ELNS1_3gpuE2ELNS1_3repE0EEENS1_30default_config_static_selectorELNS0_4arch9wavefront6targetE0EEEvT1_
		.amdhsa_group_segment_fixed_size 0
		.amdhsa_private_segment_fixed_size 0
		.amdhsa_kernarg_size 112
		.amdhsa_user_sgpr_count 2
		.amdhsa_user_sgpr_dispatch_ptr 0
		.amdhsa_user_sgpr_queue_ptr 0
		.amdhsa_user_sgpr_kernarg_segment_ptr 1
		.amdhsa_user_sgpr_dispatch_id 0
		.amdhsa_user_sgpr_kernarg_preload_length 0
		.amdhsa_user_sgpr_kernarg_preload_offset 0
		.amdhsa_user_sgpr_private_segment_size 0
		.amdhsa_wavefront_size32 1
		.amdhsa_uses_dynamic_stack 0
		.amdhsa_enable_private_segment 0
		.amdhsa_system_sgpr_workgroup_id_x 1
		.amdhsa_system_sgpr_workgroup_id_y 0
		.amdhsa_system_sgpr_workgroup_id_z 0
		.amdhsa_system_sgpr_workgroup_info 0
		.amdhsa_system_vgpr_workitem_id 0
		.amdhsa_next_free_vgpr 1
		.amdhsa_next_free_sgpr 1
		.amdhsa_named_barrier_count 0
		.amdhsa_reserve_vcc 0
		.amdhsa_float_round_mode_32 0
		.amdhsa_float_round_mode_16_64 0
		.amdhsa_float_denorm_mode_32 3
		.amdhsa_float_denorm_mode_16_64 3
		.amdhsa_fp16_overflow 0
		.amdhsa_memory_ordered 1
		.amdhsa_forward_progress 1
		.amdhsa_inst_pref_size 0
		.amdhsa_round_robin_scheduling 0
		.amdhsa_exception_fp_ieee_invalid_op 0
		.amdhsa_exception_fp_denorm_src 0
		.amdhsa_exception_fp_ieee_div_zero 0
		.amdhsa_exception_fp_ieee_overflow 0
		.amdhsa_exception_fp_ieee_underflow 0
		.amdhsa_exception_fp_ieee_inexact 0
		.amdhsa_exception_int_div_zero 0
	.end_amdhsa_kernel
	.section	.text._ZN7rocprim17ROCPRIM_400000_NS6detail17trampoline_kernelINS0_14default_configENS1_25partition_config_selectorILNS1_17partition_subalgoE8EiNS0_10empty_typeEbEEZZNS1_14partition_implILS5_8ELb0ES3_jPKiPS6_PKS6_NS0_5tupleIJPiS6_EEENSE_IJSB_SB_EEENS0_18inequality_wrapperIN6hipcub16HIPCUB_304000_NS8EqualityEEEPlJS6_EEE10hipError_tPvRmT3_T4_T5_T6_T7_T9_mT8_P12ihipStream_tbDpT10_ENKUlT_T0_E_clISt17integral_constantIbLb0EES17_EEDaS12_S13_EUlS12_E_NS1_11comp_targetILNS1_3genE8ELNS1_11target_archE1030ELNS1_3gpuE2ELNS1_3repE0EEENS1_30default_config_static_selectorELNS0_4arch9wavefront6targetE0EEEvT1_,"axG",@progbits,_ZN7rocprim17ROCPRIM_400000_NS6detail17trampoline_kernelINS0_14default_configENS1_25partition_config_selectorILNS1_17partition_subalgoE8EiNS0_10empty_typeEbEEZZNS1_14partition_implILS5_8ELb0ES3_jPKiPS6_PKS6_NS0_5tupleIJPiS6_EEENSE_IJSB_SB_EEENS0_18inequality_wrapperIN6hipcub16HIPCUB_304000_NS8EqualityEEEPlJS6_EEE10hipError_tPvRmT3_T4_T5_T6_T7_T9_mT8_P12ihipStream_tbDpT10_ENKUlT_T0_E_clISt17integral_constantIbLb0EES17_EEDaS12_S13_EUlS12_E_NS1_11comp_targetILNS1_3genE8ELNS1_11target_archE1030ELNS1_3gpuE2ELNS1_3repE0EEENS1_30default_config_static_selectorELNS0_4arch9wavefront6targetE0EEEvT1_,comdat
.Lfunc_end417:
	.size	_ZN7rocprim17ROCPRIM_400000_NS6detail17trampoline_kernelINS0_14default_configENS1_25partition_config_selectorILNS1_17partition_subalgoE8EiNS0_10empty_typeEbEEZZNS1_14partition_implILS5_8ELb0ES3_jPKiPS6_PKS6_NS0_5tupleIJPiS6_EEENSE_IJSB_SB_EEENS0_18inequality_wrapperIN6hipcub16HIPCUB_304000_NS8EqualityEEEPlJS6_EEE10hipError_tPvRmT3_T4_T5_T6_T7_T9_mT8_P12ihipStream_tbDpT10_ENKUlT_T0_E_clISt17integral_constantIbLb0EES17_EEDaS12_S13_EUlS12_E_NS1_11comp_targetILNS1_3genE8ELNS1_11target_archE1030ELNS1_3gpuE2ELNS1_3repE0EEENS1_30default_config_static_selectorELNS0_4arch9wavefront6targetE0EEEvT1_, .Lfunc_end417-_ZN7rocprim17ROCPRIM_400000_NS6detail17trampoline_kernelINS0_14default_configENS1_25partition_config_selectorILNS1_17partition_subalgoE8EiNS0_10empty_typeEbEEZZNS1_14partition_implILS5_8ELb0ES3_jPKiPS6_PKS6_NS0_5tupleIJPiS6_EEENSE_IJSB_SB_EEENS0_18inequality_wrapperIN6hipcub16HIPCUB_304000_NS8EqualityEEEPlJS6_EEE10hipError_tPvRmT3_T4_T5_T6_T7_T9_mT8_P12ihipStream_tbDpT10_ENKUlT_T0_E_clISt17integral_constantIbLb0EES17_EEDaS12_S13_EUlS12_E_NS1_11comp_targetILNS1_3genE8ELNS1_11target_archE1030ELNS1_3gpuE2ELNS1_3repE0EEENS1_30default_config_static_selectorELNS0_4arch9wavefront6targetE0EEEvT1_
                                        ; -- End function
	.set _ZN7rocprim17ROCPRIM_400000_NS6detail17trampoline_kernelINS0_14default_configENS1_25partition_config_selectorILNS1_17partition_subalgoE8EiNS0_10empty_typeEbEEZZNS1_14partition_implILS5_8ELb0ES3_jPKiPS6_PKS6_NS0_5tupleIJPiS6_EEENSE_IJSB_SB_EEENS0_18inequality_wrapperIN6hipcub16HIPCUB_304000_NS8EqualityEEEPlJS6_EEE10hipError_tPvRmT3_T4_T5_T6_T7_T9_mT8_P12ihipStream_tbDpT10_ENKUlT_T0_E_clISt17integral_constantIbLb0EES17_EEDaS12_S13_EUlS12_E_NS1_11comp_targetILNS1_3genE8ELNS1_11target_archE1030ELNS1_3gpuE2ELNS1_3repE0EEENS1_30default_config_static_selectorELNS0_4arch9wavefront6targetE0EEEvT1_.num_vgpr, 0
	.set _ZN7rocprim17ROCPRIM_400000_NS6detail17trampoline_kernelINS0_14default_configENS1_25partition_config_selectorILNS1_17partition_subalgoE8EiNS0_10empty_typeEbEEZZNS1_14partition_implILS5_8ELb0ES3_jPKiPS6_PKS6_NS0_5tupleIJPiS6_EEENSE_IJSB_SB_EEENS0_18inequality_wrapperIN6hipcub16HIPCUB_304000_NS8EqualityEEEPlJS6_EEE10hipError_tPvRmT3_T4_T5_T6_T7_T9_mT8_P12ihipStream_tbDpT10_ENKUlT_T0_E_clISt17integral_constantIbLb0EES17_EEDaS12_S13_EUlS12_E_NS1_11comp_targetILNS1_3genE8ELNS1_11target_archE1030ELNS1_3gpuE2ELNS1_3repE0EEENS1_30default_config_static_selectorELNS0_4arch9wavefront6targetE0EEEvT1_.num_agpr, 0
	.set _ZN7rocprim17ROCPRIM_400000_NS6detail17trampoline_kernelINS0_14default_configENS1_25partition_config_selectorILNS1_17partition_subalgoE8EiNS0_10empty_typeEbEEZZNS1_14partition_implILS5_8ELb0ES3_jPKiPS6_PKS6_NS0_5tupleIJPiS6_EEENSE_IJSB_SB_EEENS0_18inequality_wrapperIN6hipcub16HIPCUB_304000_NS8EqualityEEEPlJS6_EEE10hipError_tPvRmT3_T4_T5_T6_T7_T9_mT8_P12ihipStream_tbDpT10_ENKUlT_T0_E_clISt17integral_constantIbLb0EES17_EEDaS12_S13_EUlS12_E_NS1_11comp_targetILNS1_3genE8ELNS1_11target_archE1030ELNS1_3gpuE2ELNS1_3repE0EEENS1_30default_config_static_selectorELNS0_4arch9wavefront6targetE0EEEvT1_.numbered_sgpr, 0
	.set _ZN7rocprim17ROCPRIM_400000_NS6detail17trampoline_kernelINS0_14default_configENS1_25partition_config_selectorILNS1_17partition_subalgoE8EiNS0_10empty_typeEbEEZZNS1_14partition_implILS5_8ELb0ES3_jPKiPS6_PKS6_NS0_5tupleIJPiS6_EEENSE_IJSB_SB_EEENS0_18inequality_wrapperIN6hipcub16HIPCUB_304000_NS8EqualityEEEPlJS6_EEE10hipError_tPvRmT3_T4_T5_T6_T7_T9_mT8_P12ihipStream_tbDpT10_ENKUlT_T0_E_clISt17integral_constantIbLb0EES17_EEDaS12_S13_EUlS12_E_NS1_11comp_targetILNS1_3genE8ELNS1_11target_archE1030ELNS1_3gpuE2ELNS1_3repE0EEENS1_30default_config_static_selectorELNS0_4arch9wavefront6targetE0EEEvT1_.num_named_barrier, 0
	.set _ZN7rocprim17ROCPRIM_400000_NS6detail17trampoline_kernelINS0_14default_configENS1_25partition_config_selectorILNS1_17partition_subalgoE8EiNS0_10empty_typeEbEEZZNS1_14partition_implILS5_8ELb0ES3_jPKiPS6_PKS6_NS0_5tupleIJPiS6_EEENSE_IJSB_SB_EEENS0_18inequality_wrapperIN6hipcub16HIPCUB_304000_NS8EqualityEEEPlJS6_EEE10hipError_tPvRmT3_T4_T5_T6_T7_T9_mT8_P12ihipStream_tbDpT10_ENKUlT_T0_E_clISt17integral_constantIbLb0EES17_EEDaS12_S13_EUlS12_E_NS1_11comp_targetILNS1_3genE8ELNS1_11target_archE1030ELNS1_3gpuE2ELNS1_3repE0EEENS1_30default_config_static_selectorELNS0_4arch9wavefront6targetE0EEEvT1_.private_seg_size, 0
	.set _ZN7rocprim17ROCPRIM_400000_NS6detail17trampoline_kernelINS0_14default_configENS1_25partition_config_selectorILNS1_17partition_subalgoE8EiNS0_10empty_typeEbEEZZNS1_14partition_implILS5_8ELb0ES3_jPKiPS6_PKS6_NS0_5tupleIJPiS6_EEENSE_IJSB_SB_EEENS0_18inequality_wrapperIN6hipcub16HIPCUB_304000_NS8EqualityEEEPlJS6_EEE10hipError_tPvRmT3_T4_T5_T6_T7_T9_mT8_P12ihipStream_tbDpT10_ENKUlT_T0_E_clISt17integral_constantIbLb0EES17_EEDaS12_S13_EUlS12_E_NS1_11comp_targetILNS1_3genE8ELNS1_11target_archE1030ELNS1_3gpuE2ELNS1_3repE0EEENS1_30default_config_static_selectorELNS0_4arch9wavefront6targetE0EEEvT1_.uses_vcc, 0
	.set _ZN7rocprim17ROCPRIM_400000_NS6detail17trampoline_kernelINS0_14default_configENS1_25partition_config_selectorILNS1_17partition_subalgoE8EiNS0_10empty_typeEbEEZZNS1_14partition_implILS5_8ELb0ES3_jPKiPS6_PKS6_NS0_5tupleIJPiS6_EEENSE_IJSB_SB_EEENS0_18inequality_wrapperIN6hipcub16HIPCUB_304000_NS8EqualityEEEPlJS6_EEE10hipError_tPvRmT3_T4_T5_T6_T7_T9_mT8_P12ihipStream_tbDpT10_ENKUlT_T0_E_clISt17integral_constantIbLb0EES17_EEDaS12_S13_EUlS12_E_NS1_11comp_targetILNS1_3genE8ELNS1_11target_archE1030ELNS1_3gpuE2ELNS1_3repE0EEENS1_30default_config_static_selectorELNS0_4arch9wavefront6targetE0EEEvT1_.uses_flat_scratch, 0
	.set _ZN7rocprim17ROCPRIM_400000_NS6detail17trampoline_kernelINS0_14default_configENS1_25partition_config_selectorILNS1_17partition_subalgoE8EiNS0_10empty_typeEbEEZZNS1_14partition_implILS5_8ELb0ES3_jPKiPS6_PKS6_NS0_5tupleIJPiS6_EEENSE_IJSB_SB_EEENS0_18inequality_wrapperIN6hipcub16HIPCUB_304000_NS8EqualityEEEPlJS6_EEE10hipError_tPvRmT3_T4_T5_T6_T7_T9_mT8_P12ihipStream_tbDpT10_ENKUlT_T0_E_clISt17integral_constantIbLb0EES17_EEDaS12_S13_EUlS12_E_NS1_11comp_targetILNS1_3genE8ELNS1_11target_archE1030ELNS1_3gpuE2ELNS1_3repE0EEENS1_30default_config_static_selectorELNS0_4arch9wavefront6targetE0EEEvT1_.has_dyn_sized_stack, 0
	.set _ZN7rocprim17ROCPRIM_400000_NS6detail17trampoline_kernelINS0_14default_configENS1_25partition_config_selectorILNS1_17partition_subalgoE8EiNS0_10empty_typeEbEEZZNS1_14partition_implILS5_8ELb0ES3_jPKiPS6_PKS6_NS0_5tupleIJPiS6_EEENSE_IJSB_SB_EEENS0_18inequality_wrapperIN6hipcub16HIPCUB_304000_NS8EqualityEEEPlJS6_EEE10hipError_tPvRmT3_T4_T5_T6_T7_T9_mT8_P12ihipStream_tbDpT10_ENKUlT_T0_E_clISt17integral_constantIbLb0EES17_EEDaS12_S13_EUlS12_E_NS1_11comp_targetILNS1_3genE8ELNS1_11target_archE1030ELNS1_3gpuE2ELNS1_3repE0EEENS1_30default_config_static_selectorELNS0_4arch9wavefront6targetE0EEEvT1_.has_recursion, 0
	.set _ZN7rocprim17ROCPRIM_400000_NS6detail17trampoline_kernelINS0_14default_configENS1_25partition_config_selectorILNS1_17partition_subalgoE8EiNS0_10empty_typeEbEEZZNS1_14partition_implILS5_8ELb0ES3_jPKiPS6_PKS6_NS0_5tupleIJPiS6_EEENSE_IJSB_SB_EEENS0_18inequality_wrapperIN6hipcub16HIPCUB_304000_NS8EqualityEEEPlJS6_EEE10hipError_tPvRmT3_T4_T5_T6_T7_T9_mT8_P12ihipStream_tbDpT10_ENKUlT_T0_E_clISt17integral_constantIbLb0EES17_EEDaS12_S13_EUlS12_E_NS1_11comp_targetILNS1_3genE8ELNS1_11target_archE1030ELNS1_3gpuE2ELNS1_3repE0EEENS1_30default_config_static_selectorELNS0_4arch9wavefront6targetE0EEEvT1_.has_indirect_call, 0
	.section	.AMDGPU.csdata,"",@progbits
; Kernel info:
; codeLenInByte = 0
; TotalNumSgprs: 0
; NumVgprs: 0
; ScratchSize: 0
; MemoryBound: 0
; FloatMode: 240
; IeeeMode: 1
; LDSByteSize: 0 bytes/workgroup (compile time only)
; SGPRBlocks: 0
; VGPRBlocks: 0
; NumSGPRsForWavesPerEU: 1
; NumVGPRsForWavesPerEU: 1
; NamedBarCnt: 0
; Occupancy: 16
; WaveLimiterHint : 0
; COMPUTE_PGM_RSRC2:SCRATCH_EN: 0
; COMPUTE_PGM_RSRC2:USER_SGPR: 2
; COMPUTE_PGM_RSRC2:TRAP_HANDLER: 0
; COMPUTE_PGM_RSRC2:TGID_X_EN: 1
; COMPUTE_PGM_RSRC2:TGID_Y_EN: 0
; COMPUTE_PGM_RSRC2:TGID_Z_EN: 0
; COMPUTE_PGM_RSRC2:TIDIG_COMP_CNT: 0
	.section	.text._ZN7rocprim17ROCPRIM_400000_NS6detail17trampoline_kernelINS0_14default_configENS1_25partition_config_selectorILNS1_17partition_subalgoE8EiNS0_10empty_typeEbEEZZNS1_14partition_implILS5_8ELb0ES3_jPKiPS6_PKS6_NS0_5tupleIJPiS6_EEENSE_IJSB_SB_EEENS0_18inequality_wrapperIN6hipcub16HIPCUB_304000_NS8EqualityEEEPlJS6_EEE10hipError_tPvRmT3_T4_T5_T6_T7_T9_mT8_P12ihipStream_tbDpT10_ENKUlT_T0_E_clISt17integral_constantIbLb1EES17_EEDaS12_S13_EUlS12_E_NS1_11comp_targetILNS1_3genE0ELNS1_11target_archE4294967295ELNS1_3gpuE0ELNS1_3repE0EEENS1_30default_config_static_selectorELNS0_4arch9wavefront6targetE0EEEvT1_,"axG",@progbits,_ZN7rocprim17ROCPRIM_400000_NS6detail17trampoline_kernelINS0_14default_configENS1_25partition_config_selectorILNS1_17partition_subalgoE8EiNS0_10empty_typeEbEEZZNS1_14partition_implILS5_8ELb0ES3_jPKiPS6_PKS6_NS0_5tupleIJPiS6_EEENSE_IJSB_SB_EEENS0_18inequality_wrapperIN6hipcub16HIPCUB_304000_NS8EqualityEEEPlJS6_EEE10hipError_tPvRmT3_T4_T5_T6_T7_T9_mT8_P12ihipStream_tbDpT10_ENKUlT_T0_E_clISt17integral_constantIbLb1EES17_EEDaS12_S13_EUlS12_E_NS1_11comp_targetILNS1_3genE0ELNS1_11target_archE4294967295ELNS1_3gpuE0ELNS1_3repE0EEENS1_30default_config_static_selectorELNS0_4arch9wavefront6targetE0EEEvT1_,comdat
	.protected	_ZN7rocprim17ROCPRIM_400000_NS6detail17trampoline_kernelINS0_14default_configENS1_25partition_config_selectorILNS1_17partition_subalgoE8EiNS0_10empty_typeEbEEZZNS1_14partition_implILS5_8ELb0ES3_jPKiPS6_PKS6_NS0_5tupleIJPiS6_EEENSE_IJSB_SB_EEENS0_18inequality_wrapperIN6hipcub16HIPCUB_304000_NS8EqualityEEEPlJS6_EEE10hipError_tPvRmT3_T4_T5_T6_T7_T9_mT8_P12ihipStream_tbDpT10_ENKUlT_T0_E_clISt17integral_constantIbLb1EES17_EEDaS12_S13_EUlS12_E_NS1_11comp_targetILNS1_3genE0ELNS1_11target_archE4294967295ELNS1_3gpuE0ELNS1_3repE0EEENS1_30default_config_static_selectorELNS0_4arch9wavefront6targetE0EEEvT1_ ; -- Begin function _ZN7rocprim17ROCPRIM_400000_NS6detail17trampoline_kernelINS0_14default_configENS1_25partition_config_selectorILNS1_17partition_subalgoE8EiNS0_10empty_typeEbEEZZNS1_14partition_implILS5_8ELb0ES3_jPKiPS6_PKS6_NS0_5tupleIJPiS6_EEENSE_IJSB_SB_EEENS0_18inequality_wrapperIN6hipcub16HIPCUB_304000_NS8EqualityEEEPlJS6_EEE10hipError_tPvRmT3_T4_T5_T6_T7_T9_mT8_P12ihipStream_tbDpT10_ENKUlT_T0_E_clISt17integral_constantIbLb1EES17_EEDaS12_S13_EUlS12_E_NS1_11comp_targetILNS1_3genE0ELNS1_11target_archE4294967295ELNS1_3gpuE0ELNS1_3repE0EEENS1_30default_config_static_selectorELNS0_4arch9wavefront6targetE0EEEvT1_
	.globl	_ZN7rocprim17ROCPRIM_400000_NS6detail17trampoline_kernelINS0_14default_configENS1_25partition_config_selectorILNS1_17partition_subalgoE8EiNS0_10empty_typeEbEEZZNS1_14partition_implILS5_8ELb0ES3_jPKiPS6_PKS6_NS0_5tupleIJPiS6_EEENSE_IJSB_SB_EEENS0_18inequality_wrapperIN6hipcub16HIPCUB_304000_NS8EqualityEEEPlJS6_EEE10hipError_tPvRmT3_T4_T5_T6_T7_T9_mT8_P12ihipStream_tbDpT10_ENKUlT_T0_E_clISt17integral_constantIbLb1EES17_EEDaS12_S13_EUlS12_E_NS1_11comp_targetILNS1_3genE0ELNS1_11target_archE4294967295ELNS1_3gpuE0ELNS1_3repE0EEENS1_30default_config_static_selectorELNS0_4arch9wavefront6targetE0EEEvT1_
	.p2align	8
	.type	_ZN7rocprim17ROCPRIM_400000_NS6detail17trampoline_kernelINS0_14default_configENS1_25partition_config_selectorILNS1_17partition_subalgoE8EiNS0_10empty_typeEbEEZZNS1_14partition_implILS5_8ELb0ES3_jPKiPS6_PKS6_NS0_5tupleIJPiS6_EEENSE_IJSB_SB_EEENS0_18inequality_wrapperIN6hipcub16HIPCUB_304000_NS8EqualityEEEPlJS6_EEE10hipError_tPvRmT3_T4_T5_T6_T7_T9_mT8_P12ihipStream_tbDpT10_ENKUlT_T0_E_clISt17integral_constantIbLb1EES17_EEDaS12_S13_EUlS12_E_NS1_11comp_targetILNS1_3genE0ELNS1_11target_archE4294967295ELNS1_3gpuE0ELNS1_3repE0EEENS1_30default_config_static_selectorELNS0_4arch9wavefront6targetE0EEEvT1_,@function
_ZN7rocprim17ROCPRIM_400000_NS6detail17trampoline_kernelINS0_14default_configENS1_25partition_config_selectorILNS1_17partition_subalgoE8EiNS0_10empty_typeEbEEZZNS1_14partition_implILS5_8ELb0ES3_jPKiPS6_PKS6_NS0_5tupleIJPiS6_EEENSE_IJSB_SB_EEENS0_18inequality_wrapperIN6hipcub16HIPCUB_304000_NS8EqualityEEEPlJS6_EEE10hipError_tPvRmT3_T4_T5_T6_T7_T9_mT8_P12ihipStream_tbDpT10_ENKUlT_T0_E_clISt17integral_constantIbLb1EES17_EEDaS12_S13_EUlS12_E_NS1_11comp_targetILNS1_3genE0ELNS1_11target_archE4294967295ELNS1_3gpuE0ELNS1_3repE0EEENS1_30default_config_static_selectorELNS0_4arch9wavefront6targetE0EEEvT1_: ; @_ZN7rocprim17ROCPRIM_400000_NS6detail17trampoline_kernelINS0_14default_configENS1_25partition_config_selectorILNS1_17partition_subalgoE8EiNS0_10empty_typeEbEEZZNS1_14partition_implILS5_8ELb0ES3_jPKiPS6_PKS6_NS0_5tupleIJPiS6_EEENSE_IJSB_SB_EEENS0_18inequality_wrapperIN6hipcub16HIPCUB_304000_NS8EqualityEEEPlJS6_EEE10hipError_tPvRmT3_T4_T5_T6_T7_T9_mT8_P12ihipStream_tbDpT10_ENKUlT_T0_E_clISt17integral_constantIbLb1EES17_EEDaS12_S13_EUlS12_E_NS1_11comp_targetILNS1_3genE0ELNS1_11target_archE4294967295ELNS1_3gpuE0ELNS1_3repE0EEENS1_30default_config_static_selectorELNS0_4arch9wavefront6targetE0EEEvT1_
; %bb.0:
	s_endpgm
	.section	.rodata,"a",@progbits
	.p2align	6, 0x0
	.amdhsa_kernel _ZN7rocprim17ROCPRIM_400000_NS6detail17trampoline_kernelINS0_14default_configENS1_25partition_config_selectorILNS1_17partition_subalgoE8EiNS0_10empty_typeEbEEZZNS1_14partition_implILS5_8ELb0ES3_jPKiPS6_PKS6_NS0_5tupleIJPiS6_EEENSE_IJSB_SB_EEENS0_18inequality_wrapperIN6hipcub16HIPCUB_304000_NS8EqualityEEEPlJS6_EEE10hipError_tPvRmT3_T4_T5_T6_T7_T9_mT8_P12ihipStream_tbDpT10_ENKUlT_T0_E_clISt17integral_constantIbLb1EES17_EEDaS12_S13_EUlS12_E_NS1_11comp_targetILNS1_3genE0ELNS1_11target_archE4294967295ELNS1_3gpuE0ELNS1_3repE0EEENS1_30default_config_static_selectorELNS0_4arch9wavefront6targetE0EEEvT1_
		.amdhsa_group_segment_fixed_size 0
		.amdhsa_private_segment_fixed_size 0
		.amdhsa_kernarg_size 128
		.amdhsa_user_sgpr_count 2
		.amdhsa_user_sgpr_dispatch_ptr 0
		.amdhsa_user_sgpr_queue_ptr 0
		.amdhsa_user_sgpr_kernarg_segment_ptr 1
		.amdhsa_user_sgpr_dispatch_id 0
		.amdhsa_user_sgpr_kernarg_preload_length 0
		.amdhsa_user_sgpr_kernarg_preload_offset 0
		.amdhsa_user_sgpr_private_segment_size 0
		.amdhsa_wavefront_size32 1
		.amdhsa_uses_dynamic_stack 0
		.amdhsa_enable_private_segment 0
		.amdhsa_system_sgpr_workgroup_id_x 1
		.amdhsa_system_sgpr_workgroup_id_y 0
		.amdhsa_system_sgpr_workgroup_id_z 0
		.amdhsa_system_sgpr_workgroup_info 0
		.amdhsa_system_vgpr_workitem_id 0
		.amdhsa_next_free_vgpr 1
		.amdhsa_next_free_sgpr 1
		.amdhsa_named_barrier_count 0
		.amdhsa_reserve_vcc 0
		.amdhsa_float_round_mode_32 0
		.amdhsa_float_round_mode_16_64 0
		.amdhsa_float_denorm_mode_32 3
		.amdhsa_float_denorm_mode_16_64 3
		.amdhsa_fp16_overflow 0
		.amdhsa_memory_ordered 1
		.amdhsa_forward_progress 1
		.amdhsa_inst_pref_size 1
		.amdhsa_round_robin_scheduling 0
		.amdhsa_exception_fp_ieee_invalid_op 0
		.amdhsa_exception_fp_denorm_src 0
		.amdhsa_exception_fp_ieee_div_zero 0
		.amdhsa_exception_fp_ieee_overflow 0
		.amdhsa_exception_fp_ieee_underflow 0
		.amdhsa_exception_fp_ieee_inexact 0
		.amdhsa_exception_int_div_zero 0
	.end_amdhsa_kernel
	.section	.text._ZN7rocprim17ROCPRIM_400000_NS6detail17trampoline_kernelINS0_14default_configENS1_25partition_config_selectorILNS1_17partition_subalgoE8EiNS0_10empty_typeEbEEZZNS1_14partition_implILS5_8ELb0ES3_jPKiPS6_PKS6_NS0_5tupleIJPiS6_EEENSE_IJSB_SB_EEENS0_18inequality_wrapperIN6hipcub16HIPCUB_304000_NS8EqualityEEEPlJS6_EEE10hipError_tPvRmT3_T4_T5_T6_T7_T9_mT8_P12ihipStream_tbDpT10_ENKUlT_T0_E_clISt17integral_constantIbLb1EES17_EEDaS12_S13_EUlS12_E_NS1_11comp_targetILNS1_3genE0ELNS1_11target_archE4294967295ELNS1_3gpuE0ELNS1_3repE0EEENS1_30default_config_static_selectorELNS0_4arch9wavefront6targetE0EEEvT1_,"axG",@progbits,_ZN7rocprim17ROCPRIM_400000_NS6detail17trampoline_kernelINS0_14default_configENS1_25partition_config_selectorILNS1_17partition_subalgoE8EiNS0_10empty_typeEbEEZZNS1_14partition_implILS5_8ELb0ES3_jPKiPS6_PKS6_NS0_5tupleIJPiS6_EEENSE_IJSB_SB_EEENS0_18inequality_wrapperIN6hipcub16HIPCUB_304000_NS8EqualityEEEPlJS6_EEE10hipError_tPvRmT3_T4_T5_T6_T7_T9_mT8_P12ihipStream_tbDpT10_ENKUlT_T0_E_clISt17integral_constantIbLb1EES17_EEDaS12_S13_EUlS12_E_NS1_11comp_targetILNS1_3genE0ELNS1_11target_archE4294967295ELNS1_3gpuE0ELNS1_3repE0EEENS1_30default_config_static_selectorELNS0_4arch9wavefront6targetE0EEEvT1_,comdat
.Lfunc_end418:
	.size	_ZN7rocprim17ROCPRIM_400000_NS6detail17trampoline_kernelINS0_14default_configENS1_25partition_config_selectorILNS1_17partition_subalgoE8EiNS0_10empty_typeEbEEZZNS1_14partition_implILS5_8ELb0ES3_jPKiPS6_PKS6_NS0_5tupleIJPiS6_EEENSE_IJSB_SB_EEENS0_18inequality_wrapperIN6hipcub16HIPCUB_304000_NS8EqualityEEEPlJS6_EEE10hipError_tPvRmT3_T4_T5_T6_T7_T9_mT8_P12ihipStream_tbDpT10_ENKUlT_T0_E_clISt17integral_constantIbLb1EES17_EEDaS12_S13_EUlS12_E_NS1_11comp_targetILNS1_3genE0ELNS1_11target_archE4294967295ELNS1_3gpuE0ELNS1_3repE0EEENS1_30default_config_static_selectorELNS0_4arch9wavefront6targetE0EEEvT1_, .Lfunc_end418-_ZN7rocprim17ROCPRIM_400000_NS6detail17trampoline_kernelINS0_14default_configENS1_25partition_config_selectorILNS1_17partition_subalgoE8EiNS0_10empty_typeEbEEZZNS1_14partition_implILS5_8ELb0ES3_jPKiPS6_PKS6_NS0_5tupleIJPiS6_EEENSE_IJSB_SB_EEENS0_18inequality_wrapperIN6hipcub16HIPCUB_304000_NS8EqualityEEEPlJS6_EEE10hipError_tPvRmT3_T4_T5_T6_T7_T9_mT8_P12ihipStream_tbDpT10_ENKUlT_T0_E_clISt17integral_constantIbLb1EES17_EEDaS12_S13_EUlS12_E_NS1_11comp_targetILNS1_3genE0ELNS1_11target_archE4294967295ELNS1_3gpuE0ELNS1_3repE0EEENS1_30default_config_static_selectorELNS0_4arch9wavefront6targetE0EEEvT1_
                                        ; -- End function
	.set _ZN7rocprim17ROCPRIM_400000_NS6detail17trampoline_kernelINS0_14default_configENS1_25partition_config_selectorILNS1_17partition_subalgoE8EiNS0_10empty_typeEbEEZZNS1_14partition_implILS5_8ELb0ES3_jPKiPS6_PKS6_NS0_5tupleIJPiS6_EEENSE_IJSB_SB_EEENS0_18inequality_wrapperIN6hipcub16HIPCUB_304000_NS8EqualityEEEPlJS6_EEE10hipError_tPvRmT3_T4_T5_T6_T7_T9_mT8_P12ihipStream_tbDpT10_ENKUlT_T0_E_clISt17integral_constantIbLb1EES17_EEDaS12_S13_EUlS12_E_NS1_11comp_targetILNS1_3genE0ELNS1_11target_archE4294967295ELNS1_3gpuE0ELNS1_3repE0EEENS1_30default_config_static_selectorELNS0_4arch9wavefront6targetE0EEEvT1_.num_vgpr, 0
	.set _ZN7rocprim17ROCPRIM_400000_NS6detail17trampoline_kernelINS0_14default_configENS1_25partition_config_selectorILNS1_17partition_subalgoE8EiNS0_10empty_typeEbEEZZNS1_14partition_implILS5_8ELb0ES3_jPKiPS6_PKS6_NS0_5tupleIJPiS6_EEENSE_IJSB_SB_EEENS0_18inequality_wrapperIN6hipcub16HIPCUB_304000_NS8EqualityEEEPlJS6_EEE10hipError_tPvRmT3_T4_T5_T6_T7_T9_mT8_P12ihipStream_tbDpT10_ENKUlT_T0_E_clISt17integral_constantIbLb1EES17_EEDaS12_S13_EUlS12_E_NS1_11comp_targetILNS1_3genE0ELNS1_11target_archE4294967295ELNS1_3gpuE0ELNS1_3repE0EEENS1_30default_config_static_selectorELNS0_4arch9wavefront6targetE0EEEvT1_.num_agpr, 0
	.set _ZN7rocprim17ROCPRIM_400000_NS6detail17trampoline_kernelINS0_14default_configENS1_25partition_config_selectorILNS1_17partition_subalgoE8EiNS0_10empty_typeEbEEZZNS1_14partition_implILS5_8ELb0ES3_jPKiPS6_PKS6_NS0_5tupleIJPiS6_EEENSE_IJSB_SB_EEENS0_18inequality_wrapperIN6hipcub16HIPCUB_304000_NS8EqualityEEEPlJS6_EEE10hipError_tPvRmT3_T4_T5_T6_T7_T9_mT8_P12ihipStream_tbDpT10_ENKUlT_T0_E_clISt17integral_constantIbLb1EES17_EEDaS12_S13_EUlS12_E_NS1_11comp_targetILNS1_3genE0ELNS1_11target_archE4294967295ELNS1_3gpuE0ELNS1_3repE0EEENS1_30default_config_static_selectorELNS0_4arch9wavefront6targetE0EEEvT1_.numbered_sgpr, 0
	.set _ZN7rocprim17ROCPRIM_400000_NS6detail17trampoline_kernelINS0_14default_configENS1_25partition_config_selectorILNS1_17partition_subalgoE8EiNS0_10empty_typeEbEEZZNS1_14partition_implILS5_8ELb0ES3_jPKiPS6_PKS6_NS0_5tupleIJPiS6_EEENSE_IJSB_SB_EEENS0_18inequality_wrapperIN6hipcub16HIPCUB_304000_NS8EqualityEEEPlJS6_EEE10hipError_tPvRmT3_T4_T5_T6_T7_T9_mT8_P12ihipStream_tbDpT10_ENKUlT_T0_E_clISt17integral_constantIbLb1EES17_EEDaS12_S13_EUlS12_E_NS1_11comp_targetILNS1_3genE0ELNS1_11target_archE4294967295ELNS1_3gpuE0ELNS1_3repE0EEENS1_30default_config_static_selectorELNS0_4arch9wavefront6targetE0EEEvT1_.num_named_barrier, 0
	.set _ZN7rocprim17ROCPRIM_400000_NS6detail17trampoline_kernelINS0_14default_configENS1_25partition_config_selectorILNS1_17partition_subalgoE8EiNS0_10empty_typeEbEEZZNS1_14partition_implILS5_8ELb0ES3_jPKiPS6_PKS6_NS0_5tupleIJPiS6_EEENSE_IJSB_SB_EEENS0_18inequality_wrapperIN6hipcub16HIPCUB_304000_NS8EqualityEEEPlJS6_EEE10hipError_tPvRmT3_T4_T5_T6_T7_T9_mT8_P12ihipStream_tbDpT10_ENKUlT_T0_E_clISt17integral_constantIbLb1EES17_EEDaS12_S13_EUlS12_E_NS1_11comp_targetILNS1_3genE0ELNS1_11target_archE4294967295ELNS1_3gpuE0ELNS1_3repE0EEENS1_30default_config_static_selectorELNS0_4arch9wavefront6targetE0EEEvT1_.private_seg_size, 0
	.set _ZN7rocprim17ROCPRIM_400000_NS6detail17trampoline_kernelINS0_14default_configENS1_25partition_config_selectorILNS1_17partition_subalgoE8EiNS0_10empty_typeEbEEZZNS1_14partition_implILS5_8ELb0ES3_jPKiPS6_PKS6_NS0_5tupleIJPiS6_EEENSE_IJSB_SB_EEENS0_18inequality_wrapperIN6hipcub16HIPCUB_304000_NS8EqualityEEEPlJS6_EEE10hipError_tPvRmT3_T4_T5_T6_T7_T9_mT8_P12ihipStream_tbDpT10_ENKUlT_T0_E_clISt17integral_constantIbLb1EES17_EEDaS12_S13_EUlS12_E_NS1_11comp_targetILNS1_3genE0ELNS1_11target_archE4294967295ELNS1_3gpuE0ELNS1_3repE0EEENS1_30default_config_static_selectorELNS0_4arch9wavefront6targetE0EEEvT1_.uses_vcc, 0
	.set _ZN7rocprim17ROCPRIM_400000_NS6detail17trampoline_kernelINS0_14default_configENS1_25partition_config_selectorILNS1_17partition_subalgoE8EiNS0_10empty_typeEbEEZZNS1_14partition_implILS5_8ELb0ES3_jPKiPS6_PKS6_NS0_5tupleIJPiS6_EEENSE_IJSB_SB_EEENS0_18inequality_wrapperIN6hipcub16HIPCUB_304000_NS8EqualityEEEPlJS6_EEE10hipError_tPvRmT3_T4_T5_T6_T7_T9_mT8_P12ihipStream_tbDpT10_ENKUlT_T0_E_clISt17integral_constantIbLb1EES17_EEDaS12_S13_EUlS12_E_NS1_11comp_targetILNS1_3genE0ELNS1_11target_archE4294967295ELNS1_3gpuE0ELNS1_3repE0EEENS1_30default_config_static_selectorELNS0_4arch9wavefront6targetE0EEEvT1_.uses_flat_scratch, 0
	.set _ZN7rocprim17ROCPRIM_400000_NS6detail17trampoline_kernelINS0_14default_configENS1_25partition_config_selectorILNS1_17partition_subalgoE8EiNS0_10empty_typeEbEEZZNS1_14partition_implILS5_8ELb0ES3_jPKiPS6_PKS6_NS0_5tupleIJPiS6_EEENSE_IJSB_SB_EEENS0_18inequality_wrapperIN6hipcub16HIPCUB_304000_NS8EqualityEEEPlJS6_EEE10hipError_tPvRmT3_T4_T5_T6_T7_T9_mT8_P12ihipStream_tbDpT10_ENKUlT_T0_E_clISt17integral_constantIbLb1EES17_EEDaS12_S13_EUlS12_E_NS1_11comp_targetILNS1_3genE0ELNS1_11target_archE4294967295ELNS1_3gpuE0ELNS1_3repE0EEENS1_30default_config_static_selectorELNS0_4arch9wavefront6targetE0EEEvT1_.has_dyn_sized_stack, 0
	.set _ZN7rocprim17ROCPRIM_400000_NS6detail17trampoline_kernelINS0_14default_configENS1_25partition_config_selectorILNS1_17partition_subalgoE8EiNS0_10empty_typeEbEEZZNS1_14partition_implILS5_8ELb0ES3_jPKiPS6_PKS6_NS0_5tupleIJPiS6_EEENSE_IJSB_SB_EEENS0_18inequality_wrapperIN6hipcub16HIPCUB_304000_NS8EqualityEEEPlJS6_EEE10hipError_tPvRmT3_T4_T5_T6_T7_T9_mT8_P12ihipStream_tbDpT10_ENKUlT_T0_E_clISt17integral_constantIbLb1EES17_EEDaS12_S13_EUlS12_E_NS1_11comp_targetILNS1_3genE0ELNS1_11target_archE4294967295ELNS1_3gpuE0ELNS1_3repE0EEENS1_30default_config_static_selectorELNS0_4arch9wavefront6targetE0EEEvT1_.has_recursion, 0
	.set _ZN7rocprim17ROCPRIM_400000_NS6detail17trampoline_kernelINS0_14default_configENS1_25partition_config_selectorILNS1_17partition_subalgoE8EiNS0_10empty_typeEbEEZZNS1_14partition_implILS5_8ELb0ES3_jPKiPS6_PKS6_NS0_5tupleIJPiS6_EEENSE_IJSB_SB_EEENS0_18inequality_wrapperIN6hipcub16HIPCUB_304000_NS8EqualityEEEPlJS6_EEE10hipError_tPvRmT3_T4_T5_T6_T7_T9_mT8_P12ihipStream_tbDpT10_ENKUlT_T0_E_clISt17integral_constantIbLb1EES17_EEDaS12_S13_EUlS12_E_NS1_11comp_targetILNS1_3genE0ELNS1_11target_archE4294967295ELNS1_3gpuE0ELNS1_3repE0EEENS1_30default_config_static_selectorELNS0_4arch9wavefront6targetE0EEEvT1_.has_indirect_call, 0
	.section	.AMDGPU.csdata,"",@progbits
; Kernel info:
; codeLenInByte = 4
; TotalNumSgprs: 0
; NumVgprs: 0
; ScratchSize: 0
; MemoryBound: 0
; FloatMode: 240
; IeeeMode: 1
; LDSByteSize: 0 bytes/workgroup (compile time only)
; SGPRBlocks: 0
; VGPRBlocks: 0
; NumSGPRsForWavesPerEU: 1
; NumVGPRsForWavesPerEU: 1
; NamedBarCnt: 0
; Occupancy: 16
; WaveLimiterHint : 0
; COMPUTE_PGM_RSRC2:SCRATCH_EN: 0
; COMPUTE_PGM_RSRC2:USER_SGPR: 2
; COMPUTE_PGM_RSRC2:TRAP_HANDLER: 0
; COMPUTE_PGM_RSRC2:TGID_X_EN: 1
; COMPUTE_PGM_RSRC2:TGID_Y_EN: 0
; COMPUTE_PGM_RSRC2:TGID_Z_EN: 0
; COMPUTE_PGM_RSRC2:TIDIG_COMP_CNT: 0
	.section	.text._ZN7rocprim17ROCPRIM_400000_NS6detail17trampoline_kernelINS0_14default_configENS1_25partition_config_selectorILNS1_17partition_subalgoE8EiNS0_10empty_typeEbEEZZNS1_14partition_implILS5_8ELb0ES3_jPKiPS6_PKS6_NS0_5tupleIJPiS6_EEENSE_IJSB_SB_EEENS0_18inequality_wrapperIN6hipcub16HIPCUB_304000_NS8EqualityEEEPlJS6_EEE10hipError_tPvRmT3_T4_T5_T6_T7_T9_mT8_P12ihipStream_tbDpT10_ENKUlT_T0_E_clISt17integral_constantIbLb1EES17_EEDaS12_S13_EUlS12_E_NS1_11comp_targetILNS1_3genE5ELNS1_11target_archE942ELNS1_3gpuE9ELNS1_3repE0EEENS1_30default_config_static_selectorELNS0_4arch9wavefront6targetE0EEEvT1_,"axG",@progbits,_ZN7rocprim17ROCPRIM_400000_NS6detail17trampoline_kernelINS0_14default_configENS1_25partition_config_selectorILNS1_17partition_subalgoE8EiNS0_10empty_typeEbEEZZNS1_14partition_implILS5_8ELb0ES3_jPKiPS6_PKS6_NS0_5tupleIJPiS6_EEENSE_IJSB_SB_EEENS0_18inequality_wrapperIN6hipcub16HIPCUB_304000_NS8EqualityEEEPlJS6_EEE10hipError_tPvRmT3_T4_T5_T6_T7_T9_mT8_P12ihipStream_tbDpT10_ENKUlT_T0_E_clISt17integral_constantIbLb1EES17_EEDaS12_S13_EUlS12_E_NS1_11comp_targetILNS1_3genE5ELNS1_11target_archE942ELNS1_3gpuE9ELNS1_3repE0EEENS1_30default_config_static_selectorELNS0_4arch9wavefront6targetE0EEEvT1_,comdat
	.protected	_ZN7rocprim17ROCPRIM_400000_NS6detail17trampoline_kernelINS0_14default_configENS1_25partition_config_selectorILNS1_17partition_subalgoE8EiNS0_10empty_typeEbEEZZNS1_14partition_implILS5_8ELb0ES3_jPKiPS6_PKS6_NS0_5tupleIJPiS6_EEENSE_IJSB_SB_EEENS0_18inequality_wrapperIN6hipcub16HIPCUB_304000_NS8EqualityEEEPlJS6_EEE10hipError_tPvRmT3_T4_T5_T6_T7_T9_mT8_P12ihipStream_tbDpT10_ENKUlT_T0_E_clISt17integral_constantIbLb1EES17_EEDaS12_S13_EUlS12_E_NS1_11comp_targetILNS1_3genE5ELNS1_11target_archE942ELNS1_3gpuE9ELNS1_3repE0EEENS1_30default_config_static_selectorELNS0_4arch9wavefront6targetE0EEEvT1_ ; -- Begin function _ZN7rocprim17ROCPRIM_400000_NS6detail17trampoline_kernelINS0_14default_configENS1_25partition_config_selectorILNS1_17partition_subalgoE8EiNS0_10empty_typeEbEEZZNS1_14partition_implILS5_8ELb0ES3_jPKiPS6_PKS6_NS0_5tupleIJPiS6_EEENSE_IJSB_SB_EEENS0_18inequality_wrapperIN6hipcub16HIPCUB_304000_NS8EqualityEEEPlJS6_EEE10hipError_tPvRmT3_T4_T5_T6_T7_T9_mT8_P12ihipStream_tbDpT10_ENKUlT_T0_E_clISt17integral_constantIbLb1EES17_EEDaS12_S13_EUlS12_E_NS1_11comp_targetILNS1_3genE5ELNS1_11target_archE942ELNS1_3gpuE9ELNS1_3repE0EEENS1_30default_config_static_selectorELNS0_4arch9wavefront6targetE0EEEvT1_
	.globl	_ZN7rocprim17ROCPRIM_400000_NS6detail17trampoline_kernelINS0_14default_configENS1_25partition_config_selectorILNS1_17partition_subalgoE8EiNS0_10empty_typeEbEEZZNS1_14partition_implILS5_8ELb0ES3_jPKiPS6_PKS6_NS0_5tupleIJPiS6_EEENSE_IJSB_SB_EEENS0_18inequality_wrapperIN6hipcub16HIPCUB_304000_NS8EqualityEEEPlJS6_EEE10hipError_tPvRmT3_T4_T5_T6_T7_T9_mT8_P12ihipStream_tbDpT10_ENKUlT_T0_E_clISt17integral_constantIbLb1EES17_EEDaS12_S13_EUlS12_E_NS1_11comp_targetILNS1_3genE5ELNS1_11target_archE942ELNS1_3gpuE9ELNS1_3repE0EEENS1_30default_config_static_selectorELNS0_4arch9wavefront6targetE0EEEvT1_
	.p2align	8
	.type	_ZN7rocprim17ROCPRIM_400000_NS6detail17trampoline_kernelINS0_14default_configENS1_25partition_config_selectorILNS1_17partition_subalgoE8EiNS0_10empty_typeEbEEZZNS1_14partition_implILS5_8ELb0ES3_jPKiPS6_PKS6_NS0_5tupleIJPiS6_EEENSE_IJSB_SB_EEENS0_18inequality_wrapperIN6hipcub16HIPCUB_304000_NS8EqualityEEEPlJS6_EEE10hipError_tPvRmT3_T4_T5_T6_T7_T9_mT8_P12ihipStream_tbDpT10_ENKUlT_T0_E_clISt17integral_constantIbLb1EES17_EEDaS12_S13_EUlS12_E_NS1_11comp_targetILNS1_3genE5ELNS1_11target_archE942ELNS1_3gpuE9ELNS1_3repE0EEENS1_30default_config_static_selectorELNS0_4arch9wavefront6targetE0EEEvT1_,@function
_ZN7rocprim17ROCPRIM_400000_NS6detail17trampoline_kernelINS0_14default_configENS1_25partition_config_selectorILNS1_17partition_subalgoE8EiNS0_10empty_typeEbEEZZNS1_14partition_implILS5_8ELb0ES3_jPKiPS6_PKS6_NS0_5tupleIJPiS6_EEENSE_IJSB_SB_EEENS0_18inequality_wrapperIN6hipcub16HIPCUB_304000_NS8EqualityEEEPlJS6_EEE10hipError_tPvRmT3_T4_T5_T6_T7_T9_mT8_P12ihipStream_tbDpT10_ENKUlT_T0_E_clISt17integral_constantIbLb1EES17_EEDaS12_S13_EUlS12_E_NS1_11comp_targetILNS1_3genE5ELNS1_11target_archE942ELNS1_3gpuE9ELNS1_3repE0EEENS1_30default_config_static_selectorELNS0_4arch9wavefront6targetE0EEEvT1_: ; @_ZN7rocprim17ROCPRIM_400000_NS6detail17trampoline_kernelINS0_14default_configENS1_25partition_config_selectorILNS1_17partition_subalgoE8EiNS0_10empty_typeEbEEZZNS1_14partition_implILS5_8ELb0ES3_jPKiPS6_PKS6_NS0_5tupleIJPiS6_EEENSE_IJSB_SB_EEENS0_18inequality_wrapperIN6hipcub16HIPCUB_304000_NS8EqualityEEEPlJS6_EEE10hipError_tPvRmT3_T4_T5_T6_T7_T9_mT8_P12ihipStream_tbDpT10_ENKUlT_T0_E_clISt17integral_constantIbLb1EES17_EEDaS12_S13_EUlS12_E_NS1_11comp_targetILNS1_3genE5ELNS1_11target_archE942ELNS1_3gpuE9ELNS1_3repE0EEENS1_30default_config_static_selectorELNS0_4arch9wavefront6targetE0EEEvT1_
; %bb.0:
	.section	.rodata,"a",@progbits
	.p2align	6, 0x0
	.amdhsa_kernel _ZN7rocprim17ROCPRIM_400000_NS6detail17trampoline_kernelINS0_14default_configENS1_25partition_config_selectorILNS1_17partition_subalgoE8EiNS0_10empty_typeEbEEZZNS1_14partition_implILS5_8ELb0ES3_jPKiPS6_PKS6_NS0_5tupleIJPiS6_EEENSE_IJSB_SB_EEENS0_18inequality_wrapperIN6hipcub16HIPCUB_304000_NS8EqualityEEEPlJS6_EEE10hipError_tPvRmT3_T4_T5_T6_T7_T9_mT8_P12ihipStream_tbDpT10_ENKUlT_T0_E_clISt17integral_constantIbLb1EES17_EEDaS12_S13_EUlS12_E_NS1_11comp_targetILNS1_3genE5ELNS1_11target_archE942ELNS1_3gpuE9ELNS1_3repE0EEENS1_30default_config_static_selectorELNS0_4arch9wavefront6targetE0EEEvT1_
		.amdhsa_group_segment_fixed_size 0
		.amdhsa_private_segment_fixed_size 0
		.amdhsa_kernarg_size 128
		.amdhsa_user_sgpr_count 2
		.amdhsa_user_sgpr_dispatch_ptr 0
		.amdhsa_user_sgpr_queue_ptr 0
		.amdhsa_user_sgpr_kernarg_segment_ptr 1
		.amdhsa_user_sgpr_dispatch_id 0
		.amdhsa_user_sgpr_kernarg_preload_length 0
		.amdhsa_user_sgpr_kernarg_preload_offset 0
		.amdhsa_user_sgpr_private_segment_size 0
		.amdhsa_wavefront_size32 1
		.amdhsa_uses_dynamic_stack 0
		.amdhsa_enable_private_segment 0
		.amdhsa_system_sgpr_workgroup_id_x 1
		.amdhsa_system_sgpr_workgroup_id_y 0
		.amdhsa_system_sgpr_workgroup_id_z 0
		.amdhsa_system_sgpr_workgroup_info 0
		.amdhsa_system_vgpr_workitem_id 0
		.amdhsa_next_free_vgpr 1
		.amdhsa_next_free_sgpr 1
		.amdhsa_named_barrier_count 0
		.amdhsa_reserve_vcc 0
		.amdhsa_float_round_mode_32 0
		.amdhsa_float_round_mode_16_64 0
		.amdhsa_float_denorm_mode_32 3
		.amdhsa_float_denorm_mode_16_64 3
		.amdhsa_fp16_overflow 0
		.amdhsa_memory_ordered 1
		.amdhsa_forward_progress 1
		.amdhsa_inst_pref_size 0
		.amdhsa_round_robin_scheduling 0
		.amdhsa_exception_fp_ieee_invalid_op 0
		.amdhsa_exception_fp_denorm_src 0
		.amdhsa_exception_fp_ieee_div_zero 0
		.amdhsa_exception_fp_ieee_overflow 0
		.amdhsa_exception_fp_ieee_underflow 0
		.amdhsa_exception_fp_ieee_inexact 0
		.amdhsa_exception_int_div_zero 0
	.end_amdhsa_kernel
	.section	.text._ZN7rocprim17ROCPRIM_400000_NS6detail17trampoline_kernelINS0_14default_configENS1_25partition_config_selectorILNS1_17partition_subalgoE8EiNS0_10empty_typeEbEEZZNS1_14partition_implILS5_8ELb0ES3_jPKiPS6_PKS6_NS0_5tupleIJPiS6_EEENSE_IJSB_SB_EEENS0_18inequality_wrapperIN6hipcub16HIPCUB_304000_NS8EqualityEEEPlJS6_EEE10hipError_tPvRmT3_T4_T5_T6_T7_T9_mT8_P12ihipStream_tbDpT10_ENKUlT_T0_E_clISt17integral_constantIbLb1EES17_EEDaS12_S13_EUlS12_E_NS1_11comp_targetILNS1_3genE5ELNS1_11target_archE942ELNS1_3gpuE9ELNS1_3repE0EEENS1_30default_config_static_selectorELNS0_4arch9wavefront6targetE0EEEvT1_,"axG",@progbits,_ZN7rocprim17ROCPRIM_400000_NS6detail17trampoline_kernelINS0_14default_configENS1_25partition_config_selectorILNS1_17partition_subalgoE8EiNS0_10empty_typeEbEEZZNS1_14partition_implILS5_8ELb0ES3_jPKiPS6_PKS6_NS0_5tupleIJPiS6_EEENSE_IJSB_SB_EEENS0_18inequality_wrapperIN6hipcub16HIPCUB_304000_NS8EqualityEEEPlJS6_EEE10hipError_tPvRmT3_T4_T5_T6_T7_T9_mT8_P12ihipStream_tbDpT10_ENKUlT_T0_E_clISt17integral_constantIbLb1EES17_EEDaS12_S13_EUlS12_E_NS1_11comp_targetILNS1_3genE5ELNS1_11target_archE942ELNS1_3gpuE9ELNS1_3repE0EEENS1_30default_config_static_selectorELNS0_4arch9wavefront6targetE0EEEvT1_,comdat
.Lfunc_end419:
	.size	_ZN7rocprim17ROCPRIM_400000_NS6detail17trampoline_kernelINS0_14default_configENS1_25partition_config_selectorILNS1_17partition_subalgoE8EiNS0_10empty_typeEbEEZZNS1_14partition_implILS5_8ELb0ES3_jPKiPS6_PKS6_NS0_5tupleIJPiS6_EEENSE_IJSB_SB_EEENS0_18inequality_wrapperIN6hipcub16HIPCUB_304000_NS8EqualityEEEPlJS6_EEE10hipError_tPvRmT3_T4_T5_T6_T7_T9_mT8_P12ihipStream_tbDpT10_ENKUlT_T0_E_clISt17integral_constantIbLb1EES17_EEDaS12_S13_EUlS12_E_NS1_11comp_targetILNS1_3genE5ELNS1_11target_archE942ELNS1_3gpuE9ELNS1_3repE0EEENS1_30default_config_static_selectorELNS0_4arch9wavefront6targetE0EEEvT1_, .Lfunc_end419-_ZN7rocprim17ROCPRIM_400000_NS6detail17trampoline_kernelINS0_14default_configENS1_25partition_config_selectorILNS1_17partition_subalgoE8EiNS0_10empty_typeEbEEZZNS1_14partition_implILS5_8ELb0ES3_jPKiPS6_PKS6_NS0_5tupleIJPiS6_EEENSE_IJSB_SB_EEENS0_18inequality_wrapperIN6hipcub16HIPCUB_304000_NS8EqualityEEEPlJS6_EEE10hipError_tPvRmT3_T4_T5_T6_T7_T9_mT8_P12ihipStream_tbDpT10_ENKUlT_T0_E_clISt17integral_constantIbLb1EES17_EEDaS12_S13_EUlS12_E_NS1_11comp_targetILNS1_3genE5ELNS1_11target_archE942ELNS1_3gpuE9ELNS1_3repE0EEENS1_30default_config_static_selectorELNS0_4arch9wavefront6targetE0EEEvT1_
                                        ; -- End function
	.set _ZN7rocprim17ROCPRIM_400000_NS6detail17trampoline_kernelINS0_14default_configENS1_25partition_config_selectorILNS1_17partition_subalgoE8EiNS0_10empty_typeEbEEZZNS1_14partition_implILS5_8ELb0ES3_jPKiPS6_PKS6_NS0_5tupleIJPiS6_EEENSE_IJSB_SB_EEENS0_18inequality_wrapperIN6hipcub16HIPCUB_304000_NS8EqualityEEEPlJS6_EEE10hipError_tPvRmT3_T4_T5_T6_T7_T9_mT8_P12ihipStream_tbDpT10_ENKUlT_T0_E_clISt17integral_constantIbLb1EES17_EEDaS12_S13_EUlS12_E_NS1_11comp_targetILNS1_3genE5ELNS1_11target_archE942ELNS1_3gpuE9ELNS1_3repE0EEENS1_30default_config_static_selectorELNS0_4arch9wavefront6targetE0EEEvT1_.num_vgpr, 0
	.set _ZN7rocprim17ROCPRIM_400000_NS6detail17trampoline_kernelINS0_14default_configENS1_25partition_config_selectorILNS1_17partition_subalgoE8EiNS0_10empty_typeEbEEZZNS1_14partition_implILS5_8ELb0ES3_jPKiPS6_PKS6_NS0_5tupleIJPiS6_EEENSE_IJSB_SB_EEENS0_18inequality_wrapperIN6hipcub16HIPCUB_304000_NS8EqualityEEEPlJS6_EEE10hipError_tPvRmT3_T4_T5_T6_T7_T9_mT8_P12ihipStream_tbDpT10_ENKUlT_T0_E_clISt17integral_constantIbLb1EES17_EEDaS12_S13_EUlS12_E_NS1_11comp_targetILNS1_3genE5ELNS1_11target_archE942ELNS1_3gpuE9ELNS1_3repE0EEENS1_30default_config_static_selectorELNS0_4arch9wavefront6targetE0EEEvT1_.num_agpr, 0
	.set _ZN7rocprim17ROCPRIM_400000_NS6detail17trampoline_kernelINS0_14default_configENS1_25partition_config_selectorILNS1_17partition_subalgoE8EiNS0_10empty_typeEbEEZZNS1_14partition_implILS5_8ELb0ES3_jPKiPS6_PKS6_NS0_5tupleIJPiS6_EEENSE_IJSB_SB_EEENS0_18inequality_wrapperIN6hipcub16HIPCUB_304000_NS8EqualityEEEPlJS6_EEE10hipError_tPvRmT3_T4_T5_T6_T7_T9_mT8_P12ihipStream_tbDpT10_ENKUlT_T0_E_clISt17integral_constantIbLb1EES17_EEDaS12_S13_EUlS12_E_NS1_11comp_targetILNS1_3genE5ELNS1_11target_archE942ELNS1_3gpuE9ELNS1_3repE0EEENS1_30default_config_static_selectorELNS0_4arch9wavefront6targetE0EEEvT1_.numbered_sgpr, 0
	.set _ZN7rocprim17ROCPRIM_400000_NS6detail17trampoline_kernelINS0_14default_configENS1_25partition_config_selectorILNS1_17partition_subalgoE8EiNS0_10empty_typeEbEEZZNS1_14partition_implILS5_8ELb0ES3_jPKiPS6_PKS6_NS0_5tupleIJPiS6_EEENSE_IJSB_SB_EEENS0_18inequality_wrapperIN6hipcub16HIPCUB_304000_NS8EqualityEEEPlJS6_EEE10hipError_tPvRmT3_T4_T5_T6_T7_T9_mT8_P12ihipStream_tbDpT10_ENKUlT_T0_E_clISt17integral_constantIbLb1EES17_EEDaS12_S13_EUlS12_E_NS1_11comp_targetILNS1_3genE5ELNS1_11target_archE942ELNS1_3gpuE9ELNS1_3repE0EEENS1_30default_config_static_selectorELNS0_4arch9wavefront6targetE0EEEvT1_.num_named_barrier, 0
	.set _ZN7rocprim17ROCPRIM_400000_NS6detail17trampoline_kernelINS0_14default_configENS1_25partition_config_selectorILNS1_17partition_subalgoE8EiNS0_10empty_typeEbEEZZNS1_14partition_implILS5_8ELb0ES3_jPKiPS6_PKS6_NS0_5tupleIJPiS6_EEENSE_IJSB_SB_EEENS0_18inequality_wrapperIN6hipcub16HIPCUB_304000_NS8EqualityEEEPlJS6_EEE10hipError_tPvRmT3_T4_T5_T6_T7_T9_mT8_P12ihipStream_tbDpT10_ENKUlT_T0_E_clISt17integral_constantIbLb1EES17_EEDaS12_S13_EUlS12_E_NS1_11comp_targetILNS1_3genE5ELNS1_11target_archE942ELNS1_3gpuE9ELNS1_3repE0EEENS1_30default_config_static_selectorELNS0_4arch9wavefront6targetE0EEEvT1_.private_seg_size, 0
	.set _ZN7rocprim17ROCPRIM_400000_NS6detail17trampoline_kernelINS0_14default_configENS1_25partition_config_selectorILNS1_17partition_subalgoE8EiNS0_10empty_typeEbEEZZNS1_14partition_implILS5_8ELb0ES3_jPKiPS6_PKS6_NS0_5tupleIJPiS6_EEENSE_IJSB_SB_EEENS0_18inequality_wrapperIN6hipcub16HIPCUB_304000_NS8EqualityEEEPlJS6_EEE10hipError_tPvRmT3_T4_T5_T6_T7_T9_mT8_P12ihipStream_tbDpT10_ENKUlT_T0_E_clISt17integral_constantIbLb1EES17_EEDaS12_S13_EUlS12_E_NS1_11comp_targetILNS1_3genE5ELNS1_11target_archE942ELNS1_3gpuE9ELNS1_3repE0EEENS1_30default_config_static_selectorELNS0_4arch9wavefront6targetE0EEEvT1_.uses_vcc, 0
	.set _ZN7rocprim17ROCPRIM_400000_NS6detail17trampoline_kernelINS0_14default_configENS1_25partition_config_selectorILNS1_17partition_subalgoE8EiNS0_10empty_typeEbEEZZNS1_14partition_implILS5_8ELb0ES3_jPKiPS6_PKS6_NS0_5tupleIJPiS6_EEENSE_IJSB_SB_EEENS0_18inequality_wrapperIN6hipcub16HIPCUB_304000_NS8EqualityEEEPlJS6_EEE10hipError_tPvRmT3_T4_T5_T6_T7_T9_mT8_P12ihipStream_tbDpT10_ENKUlT_T0_E_clISt17integral_constantIbLb1EES17_EEDaS12_S13_EUlS12_E_NS1_11comp_targetILNS1_3genE5ELNS1_11target_archE942ELNS1_3gpuE9ELNS1_3repE0EEENS1_30default_config_static_selectorELNS0_4arch9wavefront6targetE0EEEvT1_.uses_flat_scratch, 0
	.set _ZN7rocprim17ROCPRIM_400000_NS6detail17trampoline_kernelINS0_14default_configENS1_25partition_config_selectorILNS1_17partition_subalgoE8EiNS0_10empty_typeEbEEZZNS1_14partition_implILS5_8ELb0ES3_jPKiPS6_PKS6_NS0_5tupleIJPiS6_EEENSE_IJSB_SB_EEENS0_18inequality_wrapperIN6hipcub16HIPCUB_304000_NS8EqualityEEEPlJS6_EEE10hipError_tPvRmT3_T4_T5_T6_T7_T9_mT8_P12ihipStream_tbDpT10_ENKUlT_T0_E_clISt17integral_constantIbLb1EES17_EEDaS12_S13_EUlS12_E_NS1_11comp_targetILNS1_3genE5ELNS1_11target_archE942ELNS1_3gpuE9ELNS1_3repE0EEENS1_30default_config_static_selectorELNS0_4arch9wavefront6targetE0EEEvT1_.has_dyn_sized_stack, 0
	.set _ZN7rocprim17ROCPRIM_400000_NS6detail17trampoline_kernelINS0_14default_configENS1_25partition_config_selectorILNS1_17partition_subalgoE8EiNS0_10empty_typeEbEEZZNS1_14partition_implILS5_8ELb0ES3_jPKiPS6_PKS6_NS0_5tupleIJPiS6_EEENSE_IJSB_SB_EEENS0_18inequality_wrapperIN6hipcub16HIPCUB_304000_NS8EqualityEEEPlJS6_EEE10hipError_tPvRmT3_T4_T5_T6_T7_T9_mT8_P12ihipStream_tbDpT10_ENKUlT_T0_E_clISt17integral_constantIbLb1EES17_EEDaS12_S13_EUlS12_E_NS1_11comp_targetILNS1_3genE5ELNS1_11target_archE942ELNS1_3gpuE9ELNS1_3repE0EEENS1_30default_config_static_selectorELNS0_4arch9wavefront6targetE0EEEvT1_.has_recursion, 0
	.set _ZN7rocprim17ROCPRIM_400000_NS6detail17trampoline_kernelINS0_14default_configENS1_25partition_config_selectorILNS1_17partition_subalgoE8EiNS0_10empty_typeEbEEZZNS1_14partition_implILS5_8ELb0ES3_jPKiPS6_PKS6_NS0_5tupleIJPiS6_EEENSE_IJSB_SB_EEENS0_18inequality_wrapperIN6hipcub16HIPCUB_304000_NS8EqualityEEEPlJS6_EEE10hipError_tPvRmT3_T4_T5_T6_T7_T9_mT8_P12ihipStream_tbDpT10_ENKUlT_T0_E_clISt17integral_constantIbLb1EES17_EEDaS12_S13_EUlS12_E_NS1_11comp_targetILNS1_3genE5ELNS1_11target_archE942ELNS1_3gpuE9ELNS1_3repE0EEENS1_30default_config_static_selectorELNS0_4arch9wavefront6targetE0EEEvT1_.has_indirect_call, 0
	.section	.AMDGPU.csdata,"",@progbits
; Kernel info:
; codeLenInByte = 0
; TotalNumSgprs: 0
; NumVgprs: 0
; ScratchSize: 0
; MemoryBound: 0
; FloatMode: 240
; IeeeMode: 1
; LDSByteSize: 0 bytes/workgroup (compile time only)
; SGPRBlocks: 0
; VGPRBlocks: 0
; NumSGPRsForWavesPerEU: 1
; NumVGPRsForWavesPerEU: 1
; NamedBarCnt: 0
; Occupancy: 16
; WaveLimiterHint : 0
; COMPUTE_PGM_RSRC2:SCRATCH_EN: 0
; COMPUTE_PGM_RSRC2:USER_SGPR: 2
; COMPUTE_PGM_RSRC2:TRAP_HANDLER: 0
; COMPUTE_PGM_RSRC2:TGID_X_EN: 1
; COMPUTE_PGM_RSRC2:TGID_Y_EN: 0
; COMPUTE_PGM_RSRC2:TGID_Z_EN: 0
; COMPUTE_PGM_RSRC2:TIDIG_COMP_CNT: 0
	.section	.text._ZN7rocprim17ROCPRIM_400000_NS6detail17trampoline_kernelINS0_14default_configENS1_25partition_config_selectorILNS1_17partition_subalgoE8EiNS0_10empty_typeEbEEZZNS1_14partition_implILS5_8ELb0ES3_jPKiPS6_PKS6_NS0_5tupleIJPiS6_EEENSE_IJSB_SB_EEENS0_18inequality_wrapperIN6hipcub16HIPCUB_304000_NS8EqualityEEEPlJS6_EEE10hipError_tPvRmT3_T4_T5_T6_T7_T9_mT8_P12ihipStream_tbDpT10_ENKUlT_T0_E_clISt17integral_constantIbLb1EES17_EEDaS12_S13_EUlS12_E_NS1_11comp_targetILNS1_3genE4ELNS1_11target_archE910ELNS1_3gpuE8ELNS1_3repE0EEENS1_30default_config_static_selectorELNS0_4arch9wavefront6targetE0EEEvT1_,"axG",@progbits,_ZN7rocprim17ROCPRIM_400000_NS6detail17trampoline_kernelINS0_14default_configENS1_25partition_config_selectorILNS1_17partition_subalgoE8EiNS0_10empty_typeEbEEZZNS1_14partition_implILS5_8ELb0ES3_jPKiPS6_PKS6_NS0_5tupleIJPiS6_EEENSE_IJSB_SB_EEENS0_18inequality_wrapperIN6hipcub16HIPCUB_304000_NS8EqualityEEEPlJS6_EEE10hipError_tPvRmT3_T4_T5_T6_T7_T9_mT8_P12ihipStream_tbDpT10_ENKUlT_T0_E_clISt17integral_constantIbLb1EES17_EEDaS12_S13_EUlS12_E_NS1_11comp_targetILNS1_3genE4ELNS1_11target_archE910ELNS1_3gpuE8ELNS1_3repE0EEENS1_30default_config_static_selectorELNS0_4arch9wavefront6targetE0EEEvT1_,comdat
	.protected	_ZN7rocprim17ROCPRIM_400000_NS6detail17trampoline_kernelINS0_14default_configENS1_25partition_config_selectorILNS1_17partition_subalgoE8EiNS0_10empty_typeEbEEZZNS1_14partition_implILS5_8ELb0ES3_jPKiPS6_PKS6_NS0_5tupleIJPiS6_EEENSE_IJSB_SB_EEENS0_18inequality_wrapperIN6hipcub16HIPCUB_304000_NS8EqualityEEEPlJS6_EEE10hipError_tPvRmT3_T4_T5_T6_T7_T9_mT8_P12ihipStream_tbDpT10_ENKUlT_T0_E_clISt17integral_constantIbLb1EES17_EEDaS12_S13_EUlS12_E_NS1_11comp_targetILNS1_3genE4ELNS1_11target_archE910ELNS1_3gpuE8ELNS1_3repE0EEENS1_30default_config_static_selectorELNS0_4arch9wavefront6targetE0EEEvT1_ ; -- Begin function _ZN7rocprim17ROCPRIM_400000_NS6detail17trampoline_kernelINS0_14default_configENS1_25partition_config_selectorILNS1_17partition_subalgoE8EiNS0_10empty_typeEbEEZZNS1_14partition_implILS5_8ELb0ES3_jPKiPS6_PKS6_NS0_5tupleIJPiS6_EEENSE_IJSB_SB_EEENS0_18inequality_wrapperIN6hipcub16HIPCUB_304000_NS8EqualityEEEPlJS6_EEE10hipError_tPvRmT3_T4_T5_T6_T7_T9_mT8_P12ihipStream_tbDpT10_ENKUlT_T0_E_clISt17integral_constantIbLb1EES17_EEDaS12_S13_EUlS12_E_NS1_11comp_targetILNS1_3genE4ELNS1_11target_archE910ELNS1_3gpuE8ELNS1_3repE0EEENS1_30default_config_static_selectorELNS0_4arch9wavefront6targetE0EEEvT1_
	.globl	_ZN7rocprim17ROCPRIM_400000_NS6detail17trampoline_kernelINS0_14default_configENS1_25partition_config_selectorILNS1_17partition_subalgoE8EiNS0_10empty_typeEbEEZZNS1_14partition_implILS5_8ELb0ES3_jPKiPS6_PKS6_NS0_5tupleIJPiS6_EEENSE_IJSB_SB_EEENS0_18inequality_wrapperIN6hipcub16HIPCUB_304000_NS8EqualityEEEPlJS6_EEE10hipError_tPvRmT3_T4_T5_T6_T7_T9_mT8_P12ihipStream_tbDpT10_ENKUlT_T0_E_clISt17integral_constantIbLb1EES17_EEDaS12_S13_EUlS12_E_NS1_11comp_targetILNS1_3genE4ELNS1_11target_archE910ELNS1_3gpuE8ELNS1_3repE0EEENS1_30default_config_static_selectorELNS0_4arch9wavefront6targetE0EEEvT1_
	.p2align	8
	.type	_ZN7rocprim17ROCPRIM_400000_NS6detail17trampoline_kernelINS0_14default_configENS1_25partition_config_selectorILNS1_17partition_subalgoE8EiNS0_10empty_typeEbEEZZNS1_14partition_implILS5_8ELb0ES3_jPKiPS6_PKS6_NS0_5tupleIJPiS6_EEENSE_IJSB_SB_EEENS0_18inequality_wrapperIN6hipcub16HIPCUB_304000_NS8EqualityEEEPlJS6_EEE10hipError_tPvRmT3_T4_T5_T6_T7_T9_mT8_P12ihipStream_tbDpT10_ENKUlT_T0_E_clISt17integral_constantIbLb1EES17_EEDaS12_S13_EUlS12_E_NS1_11comp_targetILNS1_3genE4ELNS1_11target_archE910ELNS1_3gpuE8ELNS1_3repE0EEENS1_30default_config_static_selectorELNS0_4arch9wavefront6targetE0EEEvT1_,@function
_ZN7rocprim17ROCPRIM_400000_NS6detail17trampoline_kernelINS0_14default_configENS1_25partition_config_selectorILNS1_17partition_subalgoE8EiNS0_10empty_typeEbEEZZNS1_14partition_implILS5_8ELb0ES3_jPKiPS6_PKS6_NS0_5tupleIJPiS6_EEENSE_IJSB_SB_EEENS0_18inequality_wrapperIN6hipcub16HIPCUB_304000_NS8EqualityEEEPlJS6_EEE10hipError_tPvRmT3_T4_T5_T6_T7_T9_mT8_P12ihipStream_tbDpT10_ENKUlT_T0_E_clISt17integral_constantIbLb1EES17_EEDaS12_S13_EUlS12_E_NS1_11comp_targetILNS1_3genE4ELNS1_11target_archE910ELNS1_3gpuE8ELNS1_3repE0EEENS1_30default_config_static_selectorELNS0_4arch9wavefront6targetE0EEEvT1_: ; @_ZN7rocprim17ROCPRIM_400000_NS6detail17trampoline_kernelINS0_14default_configENS1_25partition_config_selectorILNS1_17partition_subalgoE8EiNS0_10empty_typeEbEEZZNS1_14partition_implILS5_8ELb0ES3_jPKiPS6_PKS6_NS0_5tupleIJPiS6_EEENSE_IJSB_SB_EEENS0_18inequality_wrapperIN6hipcub16HIPCUB_304000_NS8EqualityEEEPlJS6_EEE10hipError_tPvRmT3_T4_T5_T6_T7_T9_mT8_P12ihipStream_tbDpT10_ENKUlT_T0_E_clISt17integral_constantIbLb1EES17_EEDaS12_S13_EUlS12_E_NS1_11comp_targetILNS1_3genE4ELNS1_11target_archE910ELNS1_3gpuE8ELNS1_3repE0EEENS1_30default_config_static_selectorELNS0_4arch9wavefront6targetE0EEEvT1_
; %bb.0:
	.section	.rodata,"a",@progbits
	.p2align	6, 0x0
	.amdhsa_kernel _ZN7rocprim17ROCPRIM_400000_NS6detail17trampoline_kernelINS0_14default_configENS1_25partition_config_selectorILNS1_17partition_subalgoE8EiNS0_10empty_typeEbEEZZNS1_14partition_implILS5_8ELb0ES3_jPKiPS6_PKS6_NS0_5tupleIJPiS6_EEENSE_IJSB_SB_EEENS0_18inequality_wrapperIN6hipcub16HIPCUB_304000_NS8EqualityEEEPlJS6_EEE10hipError_tPvRmT3_T4_T5_T6_T7_T9_mT8_P12ihipStream_tbDpT10_ENKUlT_T0_E_clISt17integral_constantIbLb1EES17_EEDaS12_S13_EUlS12_E_NS1_11comp_targetILNS1_3genE4ELNS1_11target_archE910ELNS1_3gpuE8ELNS1_3repE0EEENS1_30default_config_static_selectorELNS0_4arch9wavefront6targetE0EEEvT1_
		.amdhsa_group_segment_fixed_size 0
		.amdhsa_private_segment_fixed_size 0
		.amdhsa_kernarg_size 128
		.amdhsa_user_sgpr_count 2
		.amdhsa_user_sgpr_dispatch_ptr 0
		.amdhsa_user_sgpr_queue_ptr 0
		.amdhsa_user_sgpr_kernarg_segment_ptr 1
		.amdhsa_user_sgpr_dispatch_id 0
		.amdhsa_user_sgpr_kernarg_preload_length 0
		.amdhsa_user_sgpr_kernarg_preload_offset 0
		.amdhsa_user_sgpr_private_segment_size 0
		.amdhsa_wavefront_size32 1
		.amdhsa_uses_dynamic_stack 0
		.amdhsa_enable_private_segment 0
		.amdhsa_system_sgpr_workgroup_id_x 1
		.amdhsa_system_sgpr_workgroup_id_y 0
		.amdhsa_system_sgpr_workgroup_id_z 0
		.amdhsa_system_sgpr_workgroup_info 0
		.amdhsa_system_vgpr_workitem_id 0
		.amdhsa_next_free_vgpr 1
		.amdhsa_next_free_sgpr 1
		.amdhsa_named_barrier_count 0
		.amdhsa_reserve_vcc 0
		.amdhsa_float_round_mode_32 0
		.amdhsa_float_round_mode_16_64 0
		.amdhsa_float_denorm_mode_32 3
		.amdhsa_float_denorm_mode_16_64 3
		.amdhsa_fp16_overflow 0
		.amdhsa_memory_ordered 1
		.amdhsa_forward_progress 1
		.amdhsa_inst_pref_size 0
		.amdhsa_round_robin_scheduling 0
		.amdhsa_exception_fp_ieee_invalid_op 0
		.amdhsa_exception_fp_denorm_src 0
		.amdhsa_exception_fp_ieee_div_zero 0
		.amdhsa_exception_fp_ieee_overflow 0
		.amdhsa_exception_fp_ieee_underflow 0
		.amdhsa_exception_fp_ieee_inexact 0
		.amdhsa_exception_int_div_zero 0
	.end_amdhsa_kernel
	.section	.text._ZN7rocprim17ROCPRIM_400000_NS6detail17trampoline_kernelINS0_14default_configENS1_25partition_config_selectorILNS1_17partition_subalgoE8EiNS0_10empty_typeEbEEZZNS1_14partition_implILS5_8ELb0ES3_jPKiPS6_PKS6_NS0_5tupleIJPiS6_EEENSE_IJSB_SB_EEENS0_18inequality_wrapperIN6hipcub16HIPCUB_304000_NS8EqualityEEEPlJS6_EEE10hipError_tPvRmT3_T4_T5_T6_T7_T9_mT8_P12ihipStream_tbDpT10_ENKUlT_T0_E_clISt17integral_constantIbLb1EES17_EEDaS12_S13_EUlS12_E_NS1_11comp_targetILNS1_3genE4ELNS1_11target_archE910ELNS1_3gpuE8ELNS1_3repE0EEENS1_30default_config_static_selectorELNS0_4arch9wavefront6targetE0EEEvT1_,"axG",@progbits,_ZN7rocprim17ROCPRIM_400000_NS6detail17trampoline_kernelINS0_14default_configENS1_25partition_config_selectorILNS1_17partition_subalgoE8EiNS0_10empty_typeEbEEZZNS1_14partition_implILS5_8ELb0ES3_jPKiPS6_PKS6_NS0_5tupleIJPiS6_EEENSE_IJSB_SB_EEENS0_18inequality_wrapperIN6hipcub16HIPCUB_304000_NS8EqualityEEEPlJS6_EEE10hipError_tPvRmT3_T4_T5_T6_T7_T9_mT8_P12ihipStream_tbDpT10_ENKUlT_T0_E_clISt17integral_constantIbLb1EES17_EEDaS12_S13_EUlS12_E_NS1_11comp_targetILNS1_3genE4ELNS1_11target_archE910ELNS1_3gpuE8ELNS1_3repE0EEENS1_30default_config_static_selectorELNS0_4arch9wavefront6targetE0EEEvT1_,comdat
.Lfunc_end420:
	.size	_ZN7rocprim17ROCPRIM_400000_NS6detail17trampoline_kernelINS0_14default_configENS1_25partition_config_selectorILNS1_17partition_subalgoE8EiNS0_10empty_typeEbEEZZNS1_14partition_implILS5_8ELb0ES3_jPKiPS6_PKS6_NS0_5tupleIJPiS6_EEENSE_IJSB_SB_EEENS0_18inequality_wrapperIN6hipcub16HIPCUB_304000_NS8EqualityEEEPlJS6_EEE10hipError_tPvRmT3_T4_T5_T6_T7_T9_mT8_P12ihipStream_tbDpT10_ENKUlT_T0_E_clISt17integral_constantIbLb1EES17_EEDaS12_S13_EUlS12_E_NS1_11comp_targetILNS1_3genE4ELNS1_11target_archE910ELNS1_3gpuE8ELNS1_3repE0EEENS1_30default_config_static_selectorELNS0_4arch9wavefront6targetE0EEEvT1_, .Lfunc_end420-_ZN7rocprim17ROCPRIM_400000_NS6detail17trampoline_kernelINS0_14default_configENS1_25partition_config_selectorILNS1_17partition_subalgoE8EiNS0_10empty_typeEbEEZZNS1_14partition_implILS5_8ELb0ES3_jPKiPS6_PKS6_NS0_5tupleIJPiS6_EEENSE_IJSB_SB_EEENS0_18inequality_wrapperIN6hipcub16HIPCUB_304000_NS8EqualityEEEPlJS6_EEE10hipError_tPvRmT3_T4_T5_T6_T7_T9_mT8_P12ihipStream_tbDpT10_ENKUlT_T0_E_clISt17integral_constantIbLb1EES17_EEDaS12_S13_EUlS12_E_NS1_11comp_targetILNS1_3genE4ELNS1_11target_archE910ELNS1_3gpuE8ELNS1_3repE0EEENS1_30default_config_static_selectorELNS0_4arch9wavefront6targetE0EEEvT1_
                                        ; -- End function
	.set _ZN7rocprim17ROCPRIM_400000_NS6detail17trampoline_kernelINS0_14default_configENS1_25partition_config_selectorILNS1_17partition_subalgoE8EiNS0_10empty_typeEbEEZZNS1_14partition_implILS5_8ELb0ES3_jPKiPS6_PKS6_NS0_5tupleIJPiS6_EEENSE_IJSB_SB_EEENS0_18inequality_wrapperIN6hipcub16HIPCUB_304000_NS8EqualityEEEPlJS6_EEE10hipError_tPvRmT3_T4_T5_T6_T7_T9_mT8_P12ihipStream_tbDpT10_ENKUlT_T0_E_clISt17integral_constantIbLb1EES17_EEDaS12_S13_EUlS12_E_NS1_11comp_targetILNS1_3genE4ELNS1_11target_archE910ELNS1_3gpuE8ELNS1_3repE0EEENS1_30default_config_static_selectorELNS0_4arch9wavefront6targetE0EEEvT1_.num_vgpr, 0
	.set _ZN7rocprim17ROCPRIM_400000_NS6detail17trampoline_kernelINS0_14default_configENS1_25partition_config_selectorILNS1_17partition_subalgoE8EiNS0_10empty_typeEbEEZZNS1_14partition_implILS5_8ELb0ES3_jPKiPS6_PKS6_NS0_5tupleIJPiS6_EEENSE_IJSB_SB_EEENS0_18inequality_wrapperIN6hipcub16HIPCUB_304000_NS8EqualityEEEPlJS6_EEE10hipError_tPvRmT3_T4_T5_T6_T7_T9_mT8_P12ihipStream_tbDpT10_ENKUlT_T0_E_clISt17integral_constantIbLb1EES17_EEDaS12_S13_EUlS12_E_NS1_11comp_targetILNS1_3genE4ELNS1_11target_archE910ELNS1_3gpuE8ELNS1_3repE0EEENS1_30default_config_static_selectorELNS0_4arch9wavefront6targetE0EEEvT1_.num_agpr, 0
	.set _ZN7rocprim17ROCPRIM_400000_NS6detail17trampoline_kernelINS0_14default_configENS1_25partition_config_selectorILNS1_17partition_subalgoE8EiNS0_10empty_typeEbEEZZNS1_14partition_implILS5_8ELb0ES3_jPKiPS6_PKS6_NS0_5tupleIJPiS6_EEENSE_IJSB_SB_EEENS0_18inequality_wrapperIN6hipcub16HIPCUB_304000_NS8EqualityEEEPlJS6_EEE10hipError_tPvRmT3_T4_T5_T6_T7_T9_mT8_P12ihipStream_tbDpT10_ENKUlT_T0_E_clISt17integral_constantIbLb1EES17_EEDaS12_S13_EUlS12_E_NS1_11comp_targetILNS1_3genE4ELNS1_11target_archE910ELNS1_3gpuE8ELNS1_3repE0EEENS1_30default_config_static_selectorELNS0_4arch9wavefront6targetE0EEEvT1_.numbered_sgpr, 0
	.set _ZN7rocprim17ROCPRIM_400000_NS6detail17trampoline_kernelINS0_14default_configENS1_25partition_config_selectorILNS1_17partition_subalgoE8EiNS0_10empty_typeEbEEZZNS1_14partition_implILS5_8ELb0ES3_jPKiPS6_PKS6_NS0_5tupleIJPiS6_EEENSE_IJSB_SB_EEENS0_18inequality_wrapperIN6hipcub16HIPCUB_304000_NS8EqualityEEEPlJS6_EEE10hipError_tPvRmT3_T4_T5_T6_T7_T9_mT8_P12ihipStream_tbDpT10_ENKUlT_T0_E_clISt17integral_constantIbLb1EES17_EEDaS12_S13_EUlS12_E_NS1_11comp_targetILNS1_3genE4ELNS1_11target_archE910ELNS1_3gpuE8ELNS1_3repE0EEENS1_30default_config_static_selectorELNS0_4arch9wavefront6targetE0EEEvT1_.num_named_barrier, 0
	.set _ZN7rocprim17ROCPRIM_400000_NS6detail17trampoline_kernelINS0_14default_configENS1_25partition_config_selectorILNS1_17partition_subalgoE8EiNS0_10empty_typeEbEEZZNS1_14partition_implILS5_8ELb0ES3_jPKiPS6_PKS6_NS0_5tupleIJPiS6_EEENSE_IJSB_SB_EEENS0_18inequality_wrapperIN6hipcub16HIPCUB_304000_NS8EqualityEEEPlJS6_EEE10hipError_tPvRmT3_T4_T5_T6_T7_T9_mT8_P12ihipStream_tbDpT10_ENKUlT_T0_E_clISt17integral_constantIbLb1EES17_EEDaS12_S13_EUlS12_E_NS1_11comp_targetILNS1_3genE4ELNS1_11target_archE910ELNS1_3gpuE8ELNS1_3repE0EEENS1_30default_config_static_selectorELNS0_4arch9wavefront6targetE0EEEvT1_.private_seg_size, 0
	.set _ZN7rocprim17ROCPRIM_400000_NS6detail17trampoline_kernelINS0_14default_configENS1_25partition_config_selectorILNS1_17partition_subalgoE8EiNS0_10empty_typeEbEEZZNS1_14partition_implILS5_8ELb0ES3_jPKiPS6_PKS6_NS0_5tupleIJPiS6_EEENSE_IJSB_SB_EEENS0_18inequality_wrapperIN6hipcub16HIPCUB_304000_NS8EqualityEEEPlJS6_EEE10hipError_tPvRmT3_T4_T5_T6_T7_T9_mT8_P12ihipStream_tbDpT10_ENKUlT_T0_E_clISt17integral_constantIbLb1EES17_EEDaS12_S13_EUlS12_E_NS1_11comp_targetILNS1_3genE4ELNS1_11target_archE910ELNS1_3gpuE8ELNS1_3repE0EEENS1_30default_config_static_selectorELNS0_4arch9wavefront6targetE0EEEvT1_.uses_vcc, 0
	.set _ZN7rocprim17ROCPRIM_400000_NS6detail17trampoline_kernelINS0_14default_configENS1_25partition_config_selectorILNS1_17partition_subalgoE8EiNS0_10empty_typeEbEEZZNS1_14partition_implILS5_8ELb0ES3_jPKiPS6_PKS6_NS0_5tupleIJPiS6_EEENSE_IJSB_SB_EEENS0_18inequality_wrapperIN6hipcub16HIPCUB_304000_NS8EqualityEEEPlJS6_EEE10hipError_tPvRmT3_T4_T5_T6_T7_T9_mT8_P12ihipStream_tbDpT10_ENKUlT_T0_E_clISt17integral_constantIbLb1EES17_EEDaS12_S13_EUlS12_E_NS1_11comp_targetILNS1_3genE4ELNS1_11target_archE910ELNS1_3gpuE8ELNS1_3repE0EEENS1_30default_config_static_selectorELNS0_4arch9wavefront6targetE0EEEvT1_.uses_flat_scratch, 0
	.set _ZN7rocprim17ROCPRIM_400000_NS6detail17trampoline_kernelINS0_14default_configENS1_25partition_config_selectorILNS1_17partition_subalgoE8EiNS0_10empty_typeEbEEZZNS1_14partition_implILS5_8ELb0ES3_jPKiPS6_PKS6_NS0_5tupleIJPiS6_EEENSE_IJSB_SB_EEENS0_18inequality_wrapperIN6hipcub16HIPCUB_304000_NS8EqualityEEEPlJS6_EEE10hipError_tPvRmT3_T4_T5_T6_T7_T9_mT8_P12ihipStream_tbDpT10_ENKUlT_T0_E_clISt17integral_constantIbLb1EES17_EEDaS12_S13_EUlS12_E_NS1_11comp_targetILNS1_3genE4ELNS1_11target_archE910ELNS1_3gpuE8ELNS1_3repE0EEENS1_30default_config_static_selectorELNS0_4arch9wavefront6targetE0EEEvT1_.has_dyn_sized_stack, 0
	.set _ZN7rocprim17ROCPRIM_400000_NS6detail17trampoline_kernelINS0_14default_configENS1_25partition_config_selectorILNS1_17partition_subalgoE8EiNS0_10empty_typeEbEEZZNS1_14partition_implILS5_8ELb0ES3_jPKiPS6_PKS6_NS0_5tupleIJPiS6_EEENSE_IJSB_SB_EEENS0_18inequality_wrapperIN6hipcub16HIPCUB_304000_NS8EqualityEEEPlJS6_EEE10hipError_tPvRmT3_T4_T5_T6_T7_T9_mT8_P12ihipStream_tbDpT10_ENKUlT_T0_E_clISt17integral_constantIbLb1EES17_EEDaS12_S13_EUlS12_E_NS1_11comp_targetILNS1_3genE4ELNS1_11target_archE910ELNS1_3gpuE8ELNS1_3repE0EEENS1_30default_config_static_selectorELNS0_4arch9wavefront6targetE0EEEvT1_.has_recursion, 0
	.set _ZN7rocprim17ROCPRIM_400000_NS6detail17trampoline_kernelINS0_14default_configENS1_25partition_config_selectorILNS1_17partition_subalgoE8EiNS0_10empty_typeEbEEZZNS1_14partition_implILS5_8ELb0ES3_jPKiPS6_PKS6_NS0_5tupleIJPiS6_EEENSE_IJSB_SB_EEENS0_18inequality_wrapperIN6hipcub16HIPCUB_304000_NS8EqualityEEEPlJS6_EEE10hipError_tPvRmT3_T4_T5_T6_T7_T9_mT8_P12ihipStream_tbDpT10_ENKUlT_T0_E_clISt17integral_constantIbLb1EES17_EEDaS12_S13_EUlS12_E_NS1_11comp_targetILNS1_3genE4ELNS1_11target_archE910ELNS1_3gpuE8ELNS1_3repE0EEENS1_30default_config_static_selectorELNS0_4arch9wavefront6targetE0EEEvT1_.has_indirect_call, 0
	.section	.AMDGPU.csdata,"",@progbits
; Kernel info:
; codeLenInByte = 0
; TotalNumSgprs: 0
; NumVgprs: 0
; ScratchSize: 0
; MemoryBound: 0
; FloatMode: 240
; IeeeMode: 1
; LDSByteSize: 0 bytes/workgroup (compile time only)
; SGPRBlocks: 0
; VGPRBlocks: 0
; NumSGPRsForWavesPerEU: 1
; NumVGPRsForWavesPerEU: 1
; NamedBarCnt: 0
; Occupancy: 16
; WaveLimiterHint : 0
; COMPUTE_PGM_RSRC2:SCRATCH_EN: 0
; COMPUTE_PGM_RSRC2:USER_SGPR: 2
; COMPUTE_PGM_RSRC2:TRAP_HANDLER: 0
; COMPUTE_PGM_RSRC2:TGID_X_EN: 1
; COMPUTE_PGM_RSRC2:TGID_Y_EN: 0
; COMPUTE_PGM_RSRC2:TGID_Z_EN: 0
; COMPUTE_PGM_RSRC2:TIDIG_COMP_CNT: 0
	.section	.text._ZN7rocprim17ROCPRIM_400000_NS6detail17trampoline_kernelINS0_14default_configENS1_25partition_config_selectorILNS1_17partition_subalgoE8EiNS0_10empty_typeEbEEZZNS1_14partition_implILS5_8ELb0ES3_jPKiPS6_PKS6_NS0_5tupleIJPiS6_EEENSE_IJSB_SB_EEENS0_18inequality_wrapperIN6hipcub16HIPCUB_304000_NS8EqualityEEEPlJS6_EEE10hipError_tPvRmT3_T4_T5_T6_T7_T9_mT8_P12ihipStream_tbDpT10_ENKUlT_T0_E_clISt17integral_constantIbLb1EES17_EEDaS12_S13_EUlS12_E_NS1_11comp_targetILNS1_3genE3ELNS1_11target_archE908ELNS1_3gpuE7ELNS1_3repE0EEENS1_30default_config_static_selectorELNS0_4arch9wavefront6targetE0EEEvT1_,"axG",@progbits,_ZN7rocprim17ROCPRIM_400000_NS6detail17trampoline_kernelINS0_14default_configENS1_25partition_config_selectorILNS1_17partition_subalgoE8EiNS0_10empty_typeEbEEZZNS1_14partition_implILS5_8ELb0ES3_jPKiPS6_PKS6_NS0_5tupleIJPiS6_EEENSE_IJSB_SB_EEENS0_18inequality_wrapperIN6hipcub16HIPCUB_304000_NS8EqualityEEEPlJS6_EEE10hipError_tPvRmT3_T4_T5_T6_T7_T9_mT8_P12ihipStream_tbDpT10_ENKUlT_T0_E_clISt17integral_constantIbLb1EES17_EEDaS12_S13_EUlS12_E_NS1_11comp_targetILNS1_3genE3ELNS1_11target_archE908ELNS1_3gpuE7ELNS1_3repE0EEENS1_30default_config_static_selectorELNS0_4arch9wavefront6targetE0EEEvT1_,comdat
	.protected	_ZN7rocprim17ROCPRIM_400000_NS6detail17trampoline_kernelINS0_14default_configENS1_25partition_config_selectorILNS1_17partition_subalgoE8EiNS0_10empty_typeEbEEZZNS1_14partition_implILS5_8ELb0ES3_jPKiPS6_PKS6_NS0_5tupleIJPiS6_EEENSE_IJSB_SB_EEENS0_18inequality_wrapperIN6hipcub16HIPCUB_304000_NS8EqualityEEEPlJS6_EEE10hipError_tPvRmT3_T4_T5_T6_T7_T9_mT8_P12ihipStream_tbDpT10_ENKUlT_T0_E_clISt17integral_constantIbLb1EES17_EEDaS12_S13_EUlS12_E_NS1_11comp_targetILNS1_3genE3ELNS1_11target_archE908ELNS1_3gpuE7ELNS1_3repE0EEENS1_30default_config_static_selectorELNS0_4arch9wavefront6targetE0EEEvT1_ ; -- Begin function _ZN7rocprim17ROCPRIM_400000_NS6detail17trampoline_kernelINS0_14default_configENS1_25partition_config_selectorILNS1_17partition_subalgoE8EiNS0_10empty_typeEbEEZZNS1_14partition_implILS5_8ELb0ES3_jPKiPS6_PKS6_NS0_5tupleIJPiS6_EEENSE_IJSB_SB_EEENS0_18inequality_wrapperIN6hipcub16HIPCUB_304000_NS8EqualityEEEPlJS6_EEE10hipError_tPvRmT3_T4_T5_T6_T7_T9_mT8_P12ihipStream_tbDpT10_ENKUlT_T0_E_clISt17integral_constantIbLb1EES17_EEDaS12_S13_EUlS12_E_NS1_11comp_targetILNS1_3genE3ELNS1_11target_archE908ELNS1_3gpuE7ELNS1_3repE0EEENS1_30default_config_static_selectorELNS0_4arch9wavefront6targetE0EEEvT1_
	.globl	_ZN7rocprim17ROCPRIM_400000_NS6detail17trampoline_kernelINS0_14default_configENS1_25partition_config_selectorILNS1_17partition_subalgoE8EiNS0_10empty_typeEbEEZZNS1_14partition_implILS5_8ELb0ES3_jPKiPS6_PKS6_NS0_5tupleIJPiS6_EEENSE_IJSB_SB_EEENS0_18inequality_wrapperIN6hipcub16HIPCUB_304000_NS8EqualityEEEPlJS6_EEE10hipError_tPvRmT3_T4_T5_T6_T7_T9_mT8_P12ihipStream_tbDpT10_ENKUlT_T0_E_clISt17integral_constantIbLb1EES17_EEDaS12_S13_EUlS12_E_NS1_11comp_targetILNS1_3genE3ELNS1_11target_archE908ELNS1_3gpuE7ELNS1_3repE0EEENS1_30default_config_static_selectorELNS0_4arch9wavefront6targetE0EEEvT1_
	.p2align	8
	.type	_ZN7rocprim17ROCPRIM_400000_NS6detail17trampoline_kernelINS0_14default_configENS1_25partition_config_selectorILNS1_17partition_subalgoE8EiNS0_10empty_typeEbEEZZNS1_14partition_implILS5_8ELb0ES3_jPKiPS6_PKS6_NS0_5tupleIJPiS6_EEENSE_IJSB_SB_EEENS0_18inequality_wrapperIN6hipcub16HIPCUB_304000_NS8EqualityEEEPlJS6_EEE10hipError_tPvRmT3_T4_T5_T6_T7_T9_mT8_P12ihipStream_tbDpT10_ENKUlT_T0_E_clISt17integral_constantIbLb1EES17_EEDaS12_S13_EUlS12_E_NS1_11comp_targetILNS1_3genE3ELNS1_11target_archE908ELNS1_3gpuE7ELNS1_3repE0EEENS1_30default_config_static_selectorELNS0_4arch9wavefront6targetE0EEEvT1_,@function
_ZN7rocprim17ROCPRIM_400000_NS6detail17trampoline_kernelINS0_14default_configENS1_25partition_config_selectorILNS1_17partition_subalgoE8EiNS0_10empty_typeEbEEZZNS1_14partition_implILS5_8ELb0ES3_jPKiPS6_PKS6_NS0_5tupleIJPiS6_EEENSE_IJSB_SB_EEENS0_18inequality_wrapperIN6hipcub16HIPCUB_304000_NS8EqualityEEEPlJS6_EEE10hipError_tPvRmT3_T4_T5_T6_T7_T9_mT8_P12ihipStream_tbDpT10_ENKUlT_T0_E_clISt17integral_constantIbLb1EES17_EEDaS12_S13_EUlS12_E_NS1_11comp_targetILNS1_3genE3ELNS1_11target_archE908ELNS1_3gpuE7ELNS1_3repE0EEENS1_30default_config_static_selectorELNS0_4arch9wavefront6targetE0EEEvT1_: ; @_ZN7rocprim17ROCPRIM_400000_NS6detail17trampoline_kernelINS0_14default_configENS1_25partition_config_selectorILNS1_17partition_subalgoE8EiNS0_10empty_typeEbEEZZNS1_14partition_implILS5_8ELb0ES3_jPKiPS6_PKS6_NS0_5tupleIJPiS6_EEENSE_IJSB_SB_EEENS0_18inequality_wrapperIN6hipcub16HIPCUB_304000_NS8EqualityEEEPlJS6_EEE10hipError_tPvRmT3_T4_T5_T6_T7_T9_mT8_P12ihipStream_tbDpT10_ENKUlT_T0_E_clISt17integral_constantIbLb1EES17_EEDaS12_S13_EUlS12_E_NS1_11comp_targetILNS1_3genE3ELNS1_11target_archE908ELNS1_3gpuE7ELNS1_3repE0EEENS1_30default_config_static_selectorELNS0_4arch9wavefront6targetE0EEEvT1_
; %bb.0:
	.section	.rodata,"a",@progbits
	.p2align	6, 0x0
	.amdhsa_kernel _ZN7rocprim17ROCPRIM_400000_NS6detail17trampoline_kernelINS0_14default_configENS1_25partition_config_selectorILNS1_17partition_subalgoE8EiNS0_10empty_typeEbEEZZNS1_14partition_implILS5_8ELb0ES3_jPKiPS6_PKS6_NS0_5tupleIJPiS6_EEENSE_IJSB_SB_EEENS0_18inequality_wrapperIN6hipcub16HIPCUB_304000_NS8EqualityEEEPlJS6_EEE10hipError_tPvRmT3_T4_T5_T6_T7_T9_mT8_P12ihipStream_tbDpT10_ENKUlT_T0_E_clISt17integral_constantIbLb1EES17_EEDaS12_S13_EUlS12_E_NS1_11comp_targetILNS1_3genE3ELNS1_11target_archE908ELNS1_3gpuE7ELNS1_3repE0EEENS1_30default_config_static_selectorELNS0_4arch9wavefront6targetE0EEEvT1_
		.amdhsa_group_segment_fixed_size 0
		.amdhsa_private_segment_fixed_size 0
		.amdhsa_kernarg_size 128
		.amdhsa_user_sgpr_count 2
		.amdhsa_user_sgpr_dispatch_ptr 0
		.amdhsa_user_sgpr_queue_ptr 0
		.amdhsa_user_sgpr_kernarg_segment_ptr 1
		.amdhsa_user_sgpr_dispatch_id 0
		.amdhsa_user_sgpr_kernarg_preload_length 0
		.amdhsa_user_sgpr_kernarg_preload_offset 0
		.amdhsa_user_sgpr_private_segment_size 0
		.amdhsa_wavefront_size32 1
		.amdhsa_uses_dynamic_stack 0
		.amdhsa_enable_private_segment 0
		.amdhsa_system_sgpr_workgroup_id_x 1
		.amdhsa_system_sgpr_workgroup_id_y 0
		.amdhsa_system_sgpr_workgroup_id_z 0
		.amdhsa_system_sgpr_workgroup_info 0
		.amdhsa_system_vgpr_workitem_id 0
		.amdhsa_next_free_vgpr 1
		.amdhsa_next_free_sgpr 1
		.amdhsa_named_barrier_count 0
		.amdhsa_reserve_vcc 0
		.amdhsa_float_round_mode_32 0
		.amdhsa_float_round_mode_16_64 0
		.amdhsa_float_denorm_mode_32 3
		.amdhsa_float_denorm_mode_16_64 3
		.amdhsa_fp16_overflow 0
		.amdhsa_memory_ordered 1
		.amdhsa_forward_progress 1
		.amdhsa_inst_pref_size 0
		.amdhsa_round_robin_scheduling 0
		.amdhsa_exception_fp_ieee_invalid_op 0
		.amdhsa_exception_fp_denorm_src 0
		.amdhsa_exception_fp_ieee_div_zero 0
		.amdhsa_exception_fp_ieee_overflow 0
		.amdhsa_exception_fp_ieee_underflow 0
		.amdhsa_exception_fp_ieee_inexact 0
		.amdhsa_exception_int_div_zero 0
	.end_amdhsa_kernel
	.section	.text._ZN7rocprim17ROCPRIM_400000_NS6detail17trampoline_kernelINS0_14default_configENS1_25partition_config_selectorILNS1_17partition_subalgoE8EiNS0_10empty_typeEbEEZZNS1_14partition_implILS5_8ELb0ES3_jPKiPS6_PKS6_NS0_5tupleIJPiS6_EEENSE_IJSB_SB_EEENS0_18inequality_wrapperIN6hipcub16HIPCUB_304000_NS8EqualityEEEPlJS6_EEE10hipError_tPvRmT3_T4_T5_T6_T7_T9_mT8_P12ihipStream_tbDpT10_ENKUlT_T0_E_clISt17integral_constantIbLb1EES17_EEDaS12_S13_EUlS12_E_NS1_11comp_targetILNS1_3genE3ELNS1_11target_archE908ELNS1_3gpuE7ELNS1_3repE0EEENS1_30default_config_static_selectorELNS0_4arch9wavefront6targetE0EEEvT1_,"axG",@progbits,_ZN7rocprim17ROCPRIM_400000_NS6detail17trampoline_kernelINS0_14default_configENS1_25partition_config_selectorILNS1_17partition_subalgoE8EiNS0_10empty_typeEbEEZZNS1_14partition_implILS5_8ELb0ES3_jPKiPS6_PKS6_NS0_5tupleIJPiS6_EEENSE_IJSB_SB_EEENS0_18inequality_wrapperIN6hipcub16HIPCUB_304000_NS8EqualityEEEPlJS6_EEE10hipError_tPvRmT3_T4_T5_T6_T7_T9_mT8_P12ihipStream_tbDpT10_ENKUlT_T0_E_clISt17integral_constantIbLb1EES17_EEDaS12_S13_EUlS12_E_NS1_11comp_targetILNS1_3genE3ELNS1_11target_archE908ELNS1_3gpuE7ELNS1_3repE0EEENS1_30default_config_static_selectorELNS0_4arch9wavefront6targetE0EEEvT1_,comdat
.Lfunc_end421:
	.size	_ZN7rocprim17ROCPRIM_400000_NS6detail17trampoline_kernelINS0_14default_configENS1_25partition_config_selectorILNS1_17partition_subalgoE8EiNS0_10empty_typeEbEEZZNS1_14partition_implILS5_8ELb0ES3_jPKiPS6_PKS6_NS0_5tupleIJPiS6_EEENSE_IJSB_SB_EEENS0_18inequality_wrapperIN6hipcub16HIPCUB_304000_NS8EqualityEEEPlJS6_EEE10hipError_tPvRmT3_T4_T5_T6_T7_T9_mT8_P12ihipStream_tbDpT10_ENKUlT_T0_E_clISt17integral_constantIbLb1EES17_EEDaS12_S13_EUlS12_E_NS1_11comp_targetILNS1_3genE3ELNS1_11target_archE908ELNS1_3gpuE7ELNS1_3repE0EEENS1_30default_config_static_selectorELNS0_4arch9wavefront6targetE0EEEvT1_, .Lfunc_end421-_ZN7rocprim17ROCPRIM_400000_NS6detail17trampoline_kernelINS0_14default_configENS1_25partition_config_selectorILNS1_17partition_subalgoE8EiNS0_10empty_typeEbEEZZNS1_14partition_implILS5_8ELb0ES3_jPKiPS6_PKS6_NS0_5tupleIJPiS6_EEENSE_IJSB_SB_EEENS0_18inequality_wrapperIN6hipcub16HIPCUB_304000_NS8EqualityEEEPlJS6_EEE10hipError_tPvRmT3_T4_T5_T6_T7_T9_mT8_P12ihipStream_tbDpT10_ENKUlT_T0_E_clISt17integral_constantIbLb1EES17_EEDaS12_S13_EUlS12_E_NS1_11comp_targetILNS1_3genE3ELNS1_11target_archE908ELNS1_3gpuE7ELNS1_3repE0EEENS1_30default_config_static_selectorELNS0_4arch9wavefront6targetE0EEEvT1_
                                        ; -- End function
	.set _ZN7rocprim17ROCPRIM_400000_NS6detail17trampoline_kernelINS0_14default_configENS1_25partition_config_selectorILNS1_17partition_subalgoE8EiNS0_10empty_typeEbEEZZNS1_14partition_implILS5_8ELb0ES3_jPKiPS6_PKS6_NS0_5tupleIJPiS6_EEENSE_IJSB_SB_EEENS0_18inequality_wrapperIN6hipcub16HIPCUB_304000_NS8EqualityEEEPlJS6_EEE10hipError_tPvRmT3_T4_T5_T6_T7_T9_mT8_P12ihipStream_tbDpT10_ENKUlT_T0_E_clISt17integral_constantIbLb1EES17_EEDaS12_S13_EUlS12_E_NS1_11comp_targetILNS1_3genE3ELNS1_11target_archE908ELNS1_3gpuE7ELNS1_3repE0EEENS1_30default_config_static_selectorELNS0_4arch9wavefront6targetE0EEEvT1_.num_vgpr, 0
	.set _ZN7rocprim17ROCPRIM_400000_NS6detail17trampoline_kernelINS0_14default_configENS1_25partition_config_selectorILNS1_17partition_subalgoE8EiNS0_10empty_typeEbEEZZNS1_14partition_implILS5_8ELb0ES3_jPKiPS6_PKS6_NS0_5tupleIJPiS6_EEENSE_IJSB_SB_EEENS0_18inequality_wrapperIN6hipcub16HIPCUB_304000_NS8EqualityEEEPlJS6_EEE10hipError_tPvRmT3_T4_T5_T6_T7_T9_mT8_P12ihipStream_tbDpT10_ENKUlT_T0_E_clISt17integral_constantIbLb1EES17_EEDaS12_S13_EUlS12_E_NS1_11comp_targetILNS1_3genE3ELNS1_11target_archE908ELNS1_3gpuE7ELNS1_3repE0EEENS1_30default_config_static_selectorELNS0_4arch9wavefront6targetE0EEEvT1_.num_agpr, 0
	.set _ZN7rocprim17ROCPRIM_400000_NS6detail17trampoline_kernelINS0_14default_configENS1_25partition_config_selectorILNS1_17partition_subalgoE8EiNS0_10empty_typeEbEEZZNS1_14partition_implILS5_8ELb0ES3_jPKiPS6_PKS6_NS0_5tupleIJPiS6_EEENSE_IJSB_SB_EEENS0_18inequality_wrapperIN6hipcub16HIPCUB_304000_NS8EqualityEEEPlJS6_EEE10hipError_tPvRmT3_T4_T5_T6_T7_T9_mT8_P12ihipStream_tbDpT10_ENKUlT_T0_E_clISt17integral_constantIbLb1EES17_EEDaS12_S13_EUlS12_E_NS1_11comp_targetILNS1_3genE3ELNS1_11target_archE908ELNS1_3gpuE7ELNS1_3repE0EEENS1_30default_config_static_selectorELNS0_4arch9wavefront6targetE0EEEvT1_.numbered_sgpr, 0
	.set _ZN7rocprim17ROCPRIM_400000_NS6detail17trampoline_kernelINS0_14default_configENS1_25partition_config_selectorILNS1_17partition_subalgoE8EiNS0_10empty_typeEbEEZZNS1_14partition_implILS5_8ELb0ES3_jPKiPS6_PKS6_NS0_5tupleIJPiS6_EEENSE_IJSB_SB_EEENS0_18inequality_wrapperIN6hipcub16HIPCUB_304000_NS8EqualityEEEPlJS6_EEE10hipError_tPvRmT3_T4_T5_T6_T7_T9_mT8_P12ihipStream_tbDpT10_ENKUlT_T0_E_clISt17integral_constantIbLb1EES17_EEDaS12_S13_EUlS12_E_NS1_11comp_targetILNS1_3genE3ELNS1_11target_archE908ELNS1_3gpuE7ELNS1_3repE0EEENS1_30default_config_static_selectorELNS0_4arch9wavefront6targetE0EEEvT1_.num_named_barrier, 0
	.set _ZN7rocprim17ROCPRIM_400000_NS6detail17trampoline_kernelINS0_14default_configENS1_25partition_config_selectorILNS1_17partition_subalgoE8EiNS0_10empty_typeEbEEZZNS1_14partition_implILS5_8ELb0ES3_jPKiPS6_PKS6_NS0_5tupleIJPiS6_EEENSE_IJSB_SB_EEENS0_18inequality_wrapperIN6hipcub16HIPCUB_304000_NS8EqualityEEEPlJS6_EEE10hipError_tPvRmT3_T4_T5_T6_T7_T9_mT8_P12ihipStream_tbDpT10_ENKUlT_T0_E_clISt17integral_constantIbLb1EES17_EEDaS12_S13_EUlS12_E_NS1_11comp_targetILNS1_3genE3ELNS1_11target_archE908ELNS1_3gpuE7ELNS1_3repE0EEENS1_30default_config_static_selectorELNS0_4arch9wavefront6targetE0EEEvT1_.private_seg_size, 0
	.set _ZN7rocprim17ROCPRIM_400000_NS6detail17trampoline_kernelINS0_14default_configENS1_25partition_config_selectorILNS1_17partition_subalgoE8EiNS0_10empty_typeEbEEZZNS1_14partition_implILS5_8ELb0ES3_jPKiPS6_PKS6_NS0_5tupleIJPiS6_EEENSE_IJSB_SB_EEENS0_18inequality_wrapperIN6hipcub16HIPCUB_304000_NS8EqualityEEEPlJS6_EEE10hipError_tPvRmT3_T4_T5_T6_T7_T9_mT8_P12ihipStream_tbDpT10_ENKUlT_T0_E_clISt17integral_constantIbLb1EES17_EEDaS12_S13_EUlS12_E_NS1_11comp_targetILNS1_3genE3ELNS1_11target_archE908ELNS1_3gpuE7ELNS1_3repE0EEENS1_30default_config_static_selectorELNS0_4arch9wavefront6targetE0EEEvT1_.uses_vcc, 0
	.set _ZN7rocprim17ROCPRIM_400000_NS6detail17trampoline_kernelINS0_14default_configENS1_25partition_config_selectorILNS1_17partition_subalgoE8EiNS0_10empty_typeEbEEZZNS1_14partition_implILS5_8ELb0ES3_jPKiPS6_PKS6_NS0_5tupleIJPiS6_EEENSE_IJSB_SB_EEENS0_18inequality_wrapperIN6hipcub16HIPCUB_304000_NS8EqualityEEEPlJS6_EEE10hipError_tPvRmT3_T4_T5_T6_T7_T9_mT8_P12ihipStream_tbDpT10_ENKUlT_T0_E_clISt17integral_constantIbLb1EES17_EEDaS12_S13_EUlS12_E_NS1_11comp_targetILNS1_3genE3ELNS1_11target_archE908ELNS1_3gpuE7ELNS1_3repE0EEENS1_30default_config_static_selectorELNS0_4arch9wavefront6targetE0EEEvT1_.uses_flat_scratch, 0
	.set _ZN7rocprim17ROCPRIM_400000_NS6detail17trampoline_kernelINS0_14default_configENS1_25partition_config_selectorILNS1_17partition_subalgoE8EiNS0_10empty_typeEbEEZZNS1_14partition_implILS5_8ELb0ES3_jPKiPS6_PKS6_NS0_5tupleIJPiS6_EEENSE_IJSB_SB_EEENS0_18inequality_wrapperIN6hipcub16HIPCUB_304000_NS8EqualityEEEPlJS6_EEE10hipError_tPvRmT3_T4_T5_T6_T7_T9_mT8_P12ihipStream_tbDpT10_ENKUlT_T0_E_clISt17integral_constantIbLb1EES17_EEDaS12_S13_EUlS12_E_NS1_11comp_targetILNS1_3genE3ELNS1_11target_archE908ELNS1_3gpuE7ELNS1_3repE0EEENS1_30default_config_static_selectorELNS0_4arch9wavefront6targetE0EEEvT1_.has_dyn_sized_stack, 0
	.set _ZN7rocprim17ROCPRIM_400000_NS6detail17trampoline_kernelINS0_14default_configENS1_25partition_config_selectorILNS1_17partition_subalgoE8EiNS0_10empty_typeEbEEZZNS1_14partition_implILS5_8ELb0ES3_jPKiPS6_PKS6_NS0_5tupleIJPiS6_EEENSE_IJSB_SB_EEENS0_18inequality_wrapperIN6hipcub16HIPCUB_304000_NS8EqualityEEEPlJS6_EEE10hipError_tPvRmT3_T4_T5_T6_T7_T9_mT8_P12ihipStream_tbDpT10_ENKUlT_T0_E_clISt17integral_constantIbLb1EES17_EEDaS12_S13_EUlS12_E_NS1_11comp_targetILNS1_3genE3ELNS1_11target_archE908ELNS1_3gpuE7ELNS1_3repE0EEENS1_30default_config_static_selectorELNS0_4arch9wavefront6targetE0EEEvT1_.has_recursion, 0
	.set _ZN7rocprim17ROCPRIM_400000_NS6detail17trampoline_kernelINS0_14default_configENS1_25partition_config_selectorILNS1_17partition_subalgoE8EiNS0_10empty_typeEbEEZZNS1_14partition_implILS5_8ELb0ES3_jPKiPS6_PKS6_NS0_5tupleIJPiS6_EEENSE_IJSB_SB_EEENS0_18inequality_wrapperIN6hipcub16HIPCUB_304000_NS8EqualityEEEPlJS6_EEE10hipError_tPvRmT3_T4_T5_T6_T7_T9_mT8_P12ihipStream_tbDpT10_ENKUlT_T0_E_clISt17integral_constantIbLb1EES17_EEDaS12_S13_EUlS12_E_NS1_11comp_targetILNS1_3genE3ELNS1_11target_archE908ELNS1_3gpuE7ELNS1_3repE0EEENS1_30default_config_static_selectorELNS0_4arch9wavefront6targetE0EEEvT1_.has_indirect_call, 0
	.section	.AMDGPU.csdata,"",@progbits
; Kernel info:
; codeLenInByte = 0
; TotalNumSgprs: 0
; NumVgprs: 0
; ScratchSize: 0
; MemoryBound: 0
; FloatMode: 240
; IeeeMode: 1
; LDSByteSize: 0 bytes/workgroup (compile time only)
; SGPRBlocks: 0
; VGPRBlocks: 0
; NumSGPRsForWavesPerEU: 1
; NumVGPRsForWavesPerEU: 1
; NamedBarCnt: 0
; Occupancy: 16
; WaveLimiterHint : 0
; COMPUTE_PGM_RSRC2:SCRATCH_EN: 0
; COMPUTE_PGM_RSRC2:USER_SGPR: 2
; COMPUTE_PGM_RSRC2:TRAP_HANDLER: 0
; COMPUTE_PGM_RSRC2:TGID_X_EN: 1
; COMPUTE_PGM_RSRC2:TGID_Y_EN: 0
; COMPUTE_PGM_RSRC2:TGID_Z_EN: 0
; COMPUTE_PGM_RSRC2:TIDIG_COMP_CNT: 0
	.section	.text._ZN7rocprim17ROCPRIM_400000_NS6detail17trampoline_kernelINS0_14default_configENS1_25partition_config_selectorILNS1_17partition_subalgoE8EiNS0_10empty_typeEbEEZZNS1_14partition_implILS5_8ELb0ES3_jPKiPS6_PKS6_NS0_5tupleIJPiS6_EEENSE_IJSB_SB_EEENS0_18inequality_wrapperIN6hipcub16HIPCUB_304000_NS8EqualityEEEPlJS6_EEE10hipError_tPvRmT3_T4_T5_T6_T7_T9_mT8_P12ihipStream_tbDpT10_ENKUlT_T0_E_clISt17integral_constantIbLb1EES17_EEDaS12_S13_EUlS12_E_NS1_11comp_targetILNS1_3genE2ELNS1_11target_archE906ELNS1_3gpuE6ELNS1_3repE0EEENS1_30default_config_static_selectorELNS0_4arch9wavefront6targetE0EEEvT1_,"axG",@progbits,_ZN7rocprim17ROCPRIM_400000_NS6detail17trampoline_kernelINS0_14default_configENS1_25partition_config_selectorILNS1_17partition_subalgoE8EiNS0_10empty_typeEbEEZZNS1_14partition_implILS5_8ELb0ES3_jPKiPS6_PKS6_NS0_5tupleIJPiS6_EEENSE_IJSB_SB_EEENS0_18inequality_wrapperIN6hipcub16HIPCUB_304000_NS8EqualityEEEPlJS6_EEE10hipError_tPvRmT3_T4_T5_T6_T7_T9_mT8_P12ihipStream_tbDpT10_ENKUlT_T0_E_clISt17integral_constantIbLb1EES17_EEDaS12_S13_EUlS12_E_NS1_11comp_targetILNS1_3genE2ELNS1_11target_archE906ELNS1_3gpuE6ELNS1_3repE0EEENS1_30default_config_static_selectorELNS0_4arch9wavefront6targetE0EEEvT1_,comdat
	.protected	_ZN7rocprim17ROCPRIM_400000_NS6detail17trampoline_kernelINS0_14default_configENS1_25partition_config_selectorILNS1_17partition_subalgoE8EiNS0_10empty_typeEbEEZZNS1_14partition_implILS5_8ELb0ES3_jPKiPS6_PKS6_NS0_5tupleIJPiS6_EEENSE_IJSB_SB_EEENS0_18inequality_wrapperIN6hipcub16HIPCUB_304000_NS8EqualityEEEPlJS6_EEE10hipError_tPvRmT3_T4_T5_T6_T7_T9_mT8_P12ihipStream_tbDpT10_ENKUlT_T0_E_clISt17integral_constantIbLb1EES17_EEDaS12_S13_EUlS12_E_NS1_11comp_targetILNS1_3genE2ELNS1_11target_archE906ELNS1_3gpuE6ELNS1_3repE0EEENS1_30default_config_static_selectorELNS0_4arch9wavefront6targetE0EEEvT1_ ; -- Begin function _ZN7rocprim17ROCPRIM_400000_NS6detail17trampoline_kernelINS0_14default_configENS1_25partition_config_selectorILNS1_17partition_subalgoE8EiNS0_10empty_typeEbEEZZNS1_14partition_implILS5_8ELb0ES3_jPKiPS6_PKS6_NS0_5tupleIJPiS6_EEENSE_IJSB_SB_EEENS0_18inequality_wrapperIN6hipcub16HIPCUB_304000_NS8EqualityEEEPlJS6_EEE10hipError_tPvRmT3_T4_T5_T6_T7_T9_mT8_P12ihipStream_tbDpT10_ENKUlT_T0_E_clISt17integral_constantIbLb1EES17_EEDaS12_S13_EUlS12_E_NS1_11comp_targetILNS1_3genE2ELNS1_11target_archE906ELNS1_3gpuE6ELNS1_3repE0EEENS1_30default_config_static_selectorELNS0_4arch9wavefront6targetE0EEEvT1_
	.globl	_ZN7rocprim17ROCPRIM_400000_NS6detail17trampoline_kernelINS0_14default_configENS1_25partition_config_selectorILNS1_17partition_subalgoE8EiNS0_10empty_typeEbEEZZNS1_14partition_implILS5_8ELb0ES3_jPKiPS6_PKS6_NS0_5tupleIJPiS6_EEENSE_IJSB_SB_EEENS0_18inequality_wrapperIN6hipcub16HIPCUB_304000_NS8EqualityEEEPlJS6_EEE10hipError_tPvRmT3_T4_T5_T6_T7_T9_mT8_P12ihipStream_tbDpT10_ENKUlT_T0_E_clISt17integral_constantIbLb1EES17_EEDaS12_S13_EUlS12_E_NS1_11comp_targetILNS1_3genE2ELNS1_11target_archE906ELNS1_3gpuE6ELNS1_3repE0EEENS1_30default_config_static_selectorELNS0_4arch9wavefront6targetE0EEEvT1_
	.p2align	8
	.type	_ZN7rocprim17ROCPRIM_400000_NS6detail17trampoline_kernelINS0_14default_configENS1_25partition_config_selectorILNS1_17partition_subalgoE8EiNS0_10empty_typeEbEEZZNS1_14partition_implILS5_8ELb0ES3_jPKiPS6_PKS6_NS0_5tupleIJPiS6_EEENSE_IJSB_SB_EEENS0_18inequality_wrapperIN6hipcub16HIPCUB_304000_NS8EqualityEEEPlJS6_EEE10hipError_tPvRmT3_T4_T5_T6_T7_T9_mT8_P12ihipStream_tbDpT10_ENKUlT_T0_E_clISt17integral_constantIbLb1EES17_EEDaS12_S13_EUlS12_E_NS1_11comp_targetILNS1_3genE2ELNS1_11target_archE906ELNS1_3gpuE6ELNS1_3repE0EEENS1_30default_config_static_selectorELNS0_4arch9wavefront6targetE0EEEvT1_,@function
_ZN7rocprim17ROCPRIM_400000_NS6detail17trampoline_kernelINS0_14default_configENS1_25partition_config_selectorILNS1_17partition_subalgoE8EiNS0_10empty_typeEbEEZZNS1_14partition_implILS5_8ELb0ES3_jPKiPS6_PKS6_NS0_5tupleIJPiS6_EEENSE_IJSB_SB_EEENS0_18inequality_wrapperIN6hipcub16HIPCUB_304000_NS8EqualityEEEPlJS6_EEE10hipError_tPvRmT3_T4_T5_T6_T7_T9_mT8_P12ihipStream_tbDpT10_ENKUlT_T0_E_clISt17integral_constantIbLb1EES17_EEDaS12_S13_EUlS12_E_NS1_11comp_targetILNS1_3genE2ELNS1_11target_archE906ELNS1_3gpuE6ELNS1_3repE0EEENS1_30default_config_static_selectorELNS0_4arch9wavefront6targetE0EEEvT1_: ; @_ZN7rocprim17ROCPRIM_400000_NS6detail17trampoline_kernelINS0_14default_configENS1_25partition_config_selectorILNS1_17partition_subalgoE8EiNS0_10empty_typeEbEEZZNS1_14partition_implILS5_8ELb0ES3_jPKiPS6_PKS6_NS0_5tupleIJPiS6_EEENSE_IJSB_SB_EEENS0_18inequality_wrapperIN6hipcub16HIPCUB_304000_NS8EqualityEEEPlJS6_EEE10hipError_tPvRmT3_T4_T5_T6_T7_T9_mT8_P12ihipStream_tbDpT10_ENKUlT_T0_E_clISt17integral_constantIbLb1EES17_EEDaS12_S13_EUlS12_E_NS1_11comp_targetILNS1_3genE2ELNS1_11target_archE906ELNS1_3gpuE6ELNS1_3repE0EEENS1_30default_config_static_selectorELNS0_4arch9wavefront6targetE0EEEvT1_
; %bb.0:
	.section	.rodata,"a",@progbits
	.p2align	6, 0x0
	.amdhsa_kernel _ZN7rocprim17ROCPRIM_400000_NS6detail17trampoline_kernelINS0_14default_configENS1_25partition_config_selectorILNS1_17partition_subalgoE8EiNS0_10empty_typeEbEEZZNS1_14partition_implILS5_8ELb0ES3_jPKiPS6_PKS6_NS0_5tupleIJPiS6_EEENSE_IJSB_SB_EEENS0_18inequality_wrapperIN6hipcub16HIPCUB_304000_NS8EqualityEEEPlJS6_EEE10hipError_tPvRmT3_T4_T5_T6_T7_T9_mT8_P12ihipStream_tbDpT10_ENKUlT_T0_E_clISt17integral_constantIbLb1EES17_EEDaS12_S13_EUlS12_E_NS1_11comp_targetILNS1_3genE2ELNS1_11target_archE906ELNS1_3gpuE6ELNS1_3repE0EEENS1_30default_config_static_selectorELNS0_4arch9wavefront6targetE0EEEvT1_
		.amdhsa_group_segment_fixed_size 0
		.amdhsa_private_segment_fixed_size 0
		.amdhsa_kernarg_size 128
		.amdhsa_user_sgpr_count 2
		.amdhsa_user_sgpr_dispatch_ptr 0
		.amdhsa_user_sgpr_queue_ptr 0
		.amdhsa_user_sgpr_kernarg_segment_ptr 1
		.amdhsa_user_sgpr_dispatch_id 0
		.amdhsa_user_sgpr_kernarg_preload_length 0
		.amdhsa_user_sgpr_kernarg_preload_offset 0
		.amdhsa_user_sgpr_private_segment_size 0
		.amdhsa_wavefront_size32 1
		.amdhsa_uses_dynamic_stack 0
		.amdhsa_enable_private_segment 0
		.amdhsa_system_sgpr_workgroup_id_x 1
		.amdhsa_system_sgpr_workgroup_id_y 0
		.amdhsa_system_sgpr_workgroup_id_z 0
		.amdhsa_system_sgpr_workgroup_info 0
		.amdhsa_system_vgpr_workitem_id 0
		.amdhsa_next_free_vgpr 1
		.amdhsa_next_free_sgpr 1
		.amdhsa_named_barrier_count 0
		.amdhsa_reserve_vcc 0
		.amdhsa_float_round_mode_32 0
		.amdhsa_float_round_mode_16_64 0
		.amdhsa_float_denorm_mode_32 3
		.amdhsa_float_denorm_mode_16_64 3
		.amdhsa_fp16_overflow 0
		.amdhsa_memory_ordered 1
		.amdhsa_forward_progress 1
		.amdhsa_inst_pref_size 0
		.amdhsa_round_robin_scheduling 0
		.amdhsa_exception_fp_ieee_invalid_op 0
		.amdhsa_exception_fp_denorm_src 0
		.amdhsa_exception_fp_ieee_div_zero 0
		.amdhsa_exception_fp_ieee_overflow 0
		.amdhsa_exception_fp_ieee_underflow 0
		.amdhsa_exception_fp_ieee_inexact 0
		.amdhsa_exception_int_div_zero 0
	.end_amdhsa_kernel
	.section	.text._ZN7rocprim17ROCPRIM_400000_NS6detail17trampoline_kernelINS0_14default_configENS1_25partition_config_selectorILNS1_17partition_subalgoE8EiNS0_10empty_typeEbEEZZNS1_14partition_implILS5_8ELb0ES3_jPKiPS6_PKS6_NS0_5tupleIJPiS6_EEENSE_IJSB_SB_EEENS0_18inequality_wrapperIN6hipcub16HIPCUB_304000_NS8EqualityEEEPlJS6_EEE10hipError_tPvRmT3_T4_T5_T6_T7_T9_mT8_P12ihipStream_tbDpT10_ENKUlT_T0_E_clISt17integral_constantIbLb1EES17_EEDaS12_S13_EUlS12_E_NS1_11comp_targetILNS1_3genE2ELNS1_11target_archE906ELNS1_3gpuE6ELNS1_3repE0EEENS1_30default_config_static_selectorELNS0_4arch9wavefront6targetE0EEEvT1_,"axG",@progbits,_ZN7rocprim17ROCPRIM_400000_NS6detail17trampoline_kernelINS0_14default_configENS1_25partition_config_selectorILNS1_17partition_subalgoE8EiNS0_10empty_typeEbEEZZNS1_14partition_implILS5_8ELb0ES3_jPKiPS6_PKS6_NS0_5tupleIJPiS6_EEENSE_IJSB_SB_EEENS0_18inequality_wrapperIN6hipcub16HIPCUB_304000_NS8EqualityEEEPlJS6_EEE10hipError_tPvRmT3_T4_T5_T6_T7_T9_mT8_P12ihipStream_tbDpT10_ENKUlT_T0_E_clISt17integral_constantIbLb1EES17_EEDaS12_S13_EUlS12_E_NS1_11comp_targetILNS1_3genE2ELNS1_11target_archE906ELNS1_3gpuE6ELNS1_3repE0EEENS1_30default_config_static_selectorELNS0_4arch9wavefront6targetE0EEEvT1_,comdat
.Lfunc_end422:
	.size	_ZN7rocprim17ROCPRIM_400000_NS6detail17trampoline_kernelINS0_14default_configENS1_25partition_config_selectorILNS1_17partition_subalgoE8EiNS0_10empty_typeEbEEZZNS1_14partition_implILS5_8ELb0ES3_jPKiPS6_PKS6_NS0_5tupleIJPiS6_EEENSE_IJSB_SB_EEENS0_18inequality_wrapperIN6hipcub16HIPCUB_304000_NS8EqualityEEEPlJS6_EEE10hipError_tPvRmT3_T4_T5_T6_T7_T9_mT8_P12ihipStream_tbDpT10_ENKUlT_T0_E_clISt17integral_constantIbLb1EES17_EEDaS12_S13_EUlS12_E_NS1_11comp_targetILNS1_3genE2ELNS1_11target_archE906ELNS1_3gpuE6ELNS1_3repE0EEENS1_30default_config_static_selectorELNS0_4arch9wavefront6targetE0EEEvT1_, .Lfunc_end422-_ZN7rocprim17ROCPRIM_400000_NS6detail17trampoline_kernelINS0_14default_configENS1_25partition_config_selectorILNS1_17partition_subalgoE8EiNS0_10empty_typeEbEEZZNS1_14partition_implILS5_8ELb0ES3_jPKiPS6_PKS6_NS0_5tupleIJPiS6_EEENSE_IJSB_SB_EEENS0_18inequality_wrapperIN6hipcub16HIPCUB_304000_NS8EqualityEEEPlJS6_EEE10hipError_tPvRmT3_T4_T5_T6_T7_T9_mT8_P12ihipStream_tbDpT10_ENKUlT_T0_E_clISt17integral_constantIbLb1EES17_EEDaS12_S13_EUlS12_E_NS1_11comp_targetILNS1_3genE2ELNS1_11target_archE906ELNS1_3gpuE6ELNS1_3repE0EEENS1_30default_config_static_selectorELNS0_4arch9wavefront6targetE0EEEvT1_
                                        ; -- End function
	.set _ZN7rocprim17ROCPRIM_400000_NS6detail17trampoline_kernelINS0_14default_configENS1_25partition_config_selectorILNS1_17partition_subalgoE8EiNS0_10empty_typeEbEEZZNS1_14partition_implILS5_8ELb0ES3_jPKiPS6_PKS6_NS0_5tupleIJPiS6_EEENSE_IJSB_SB_EEENS0_18inequality_wrapperIN6hipcub16HIPCUB_304000_NS8EqualityEEEPlJS6_EEE10hipError_tPvRmT3_T4_T5_T6_T7_T9_mT8_P12ihipStream_tbDpT10_ENKUlT_T0_E_clISt17integral_constantIbLb1EES17_EEDaS12_S13_EUlS12_E_NS1_11comp_targetILNS1_3genE2ELNS1_11target_archE906ELNS1_3gpuE6ELNS1_3repE0EEENS1_30default_config_static_selectorELNS0_4arch9wavefront6targetE0EEEvT1_.num_vgpr, 0
	.set _ZN7rocprim17ROCPRIM_400000_NS6detail17trampoline_kernelINS0_14default_configENS1_25partition_config_selectorILNS1_17partition_subalgoE8EiNS0_10empty_typeEbEEZZNS1_14partition_implILS5_8ELb0ES3_jPKiPS6_PKS6_NS0_5tupleIJPiS6_EEENSE_IJSB_SB_EEENS0_18inequality_wrapperIN6hipcub16HIPCUB_304000_NS8EqualityEEEPlJS6_EEE10hipError_tPvRmT3_T4_T5_T6_T7_T9_mT8_P12ihipStream_tbDpT10_ENKUlT_T0_E_clISt17integral_constantIbLb1EES17_EEDaS12_S13_EUlS12_E_NS1_11comp_targetILNS1_3genE2ELNS1_11target_archE906ELNS1_3gpuE6ELNS1_3repE0EEENS1_30default_config_static_selectorELNS0_4arch9wavefront6targetE0EEEvT1_.num_agpr, 0
	.set _ZN7rocprim17ROCPRIM_400000_NS6detail17trampoline_kernelINS0_14default_configENS1_25partition_config_selectorILNS1_17partition_subalgoE8EiNS0_10empty_typeEbEEZZNS1_14partition_implILS5_8ELb0ES3_jPKiPS6_PKS6_NS0_5tupleIJPiS6_EEENSE_IJSB_SB_EEENS0_18inequality_wrapperIN6hipcub16HIPCUB_304000_NS8EqualityEEEPlJS6_EEE10hipError_tPvRmT3_T4_T5_T6_T7_T9_mT8_P12ihipStream_tbDpT10_ENKUlT_T0_E_clISt17integral_constantIbLb1EES17_EEDaS12_S13_EUlS12_E_NS1_11comp_targetILNS1_3genE2ELNS1_11target_archE906ELNS1_3gpuE6ELNS1_3repE0EEENS1_30default_config_static_selectorELNS0_4arch9wavefront6targetE0EEEvT1_.numbered_sgpr, 0
	.set _ZN7rocprim17ROCPRIM_400000_NS6detail17trampoline_kernelINS0_14default_configENS1_25partition_config_selectorILNS1_17partition_subalgoE8EiNS0_10empty_typeEbEEZZNS1_14partition_implILS5_8ELb0ES3_jPKiPS6_PKS6_NS0_5tupleIJPiS6_EEENSE_IJSB_SB_EEENS0_18inequality_wrapperIN6hipcub16HIPCUB_304000_NS8EqualityEEEPlJS6_EEE10hipError_tPvRmT3_T4_T5_T6_T7_T9_mT8_P12ihipStream_tbDpT10_ENKUlT_T0_E_clISt17integral_constantIbLb1EES17_EEDaS12_S13_EUlS12_E_NS1_11comp_targetILNS1_3genE2ELNS1_11target_archE906ELNS1_3gpuE6ELNS1_3repE0EEENS1_30default_config_static_selectorELNS0_4arch9wavefront6targetE0EEEvT1_.num_named_barrier, 0
	.set _ZN7rocprim17ROCPRIM_400000_NS6detail17trampoline_kernelINS0_14default_configENS1_25partition_config_selectorILNS1_17partition_subalgoE8EiNS0_10empty_typeEbEEZZNS1_14partition_implILS5_8ELb0ES3_jPKiPS6_PKS6_NS0_5tupleIJPiS6_EEENSE_IJSB_SB_EEENS0_18inequality_wrapperIN6hipcub16HIPCUB_304000_NS8EqualityEEEPlJS6_EEE10hipError_tPvRmT3_T4_T5_T6_T7_T9_mT8_P12ihipStream_tbDpT10_ENKUlT_T0_E_clISt17integral_constantIbLb1EES17_EEDaS12_S13_EUlS12_E_NS1_11comp_targetILNS1_3genE2ELNS1_11target_archE906ELNS1_3gpuE6ELNS1_3repE0EEENS1_30default_config_static_selectorELNS0_4arch9wavefront6targetE0EEEvT1_.private_seg_size, 0
	.set _ZN7rocprim17ROCPRIM_400000_NS6detail17trampoline_kernelINS0_14default_configENS1_25partition_config_selectorILNS1_17partition_subalgoE8EiNS0_10empty_typeEbEEZZNS1_14partition_implILS5_8ELb0ES3_jPKiPS6_PKS6_NS0_5tupleIJPiS6_EEENSE_IJSB_SB_EEENS0_18inequality_wrapperIN6hipcub16HIPCUB_304000_NS8EqualityEEEPlJS6_EEE10hipError_tPvRmT3_T4_T5_T6_T7_T9_mT8_P12ihipStream_tbDpT10_ENKUlT_T0_E_clISt17integral_constantIbLb1EES17_EEDaS12_S13_EUlS12_E_NS1_11comp_targetILNS1_3genE2ELNS1_11target_archE906ELNS1_3gpuE6ELNS1_3repE0EEENS1_30default_config_static_selectorELNS0_4arch9wavefront6targetE0EEEvT1_.uses_vcc, 0
	.set _ZN7rocprim17ROCPRIM_400000_NS6detail17trampoline_kernelINS0_14default_configENS1_25partition_config_selectorILNS1_17partition_subalgoE8EiNS0_10empty_typeEbEEZZNS1_14partition_implILS5_8ELb0ES3_jPKiPS6_PKS6_NS0_5tupleIJPiS6_EEENSE_IJSB_SB_EEENS0_18inequality_wrapperIN6hipcub16HIPCUB_304000_NS8EqualityEEEPlJS6_EEE10hipError_tPvRmT3_T4_T5_T6_T7_T9_mT8_P12ihipStream_tbDpT10_ENKUlT_T0_E_clISt17integral_constantIbLb1EES17_EEDaS12_S13_EUlS12_E_NS1_11comp_targetILNS1_3genE2ELNS1_11target_archE906ELNS1_3gpuE6ELNS1_3repE0EEENS1_30default_config_static_selectorELNS0_4arch9wavefront6targetE0EEEvT1_.uses_flat_scratch, 0
	.set _ZN7rocprim17ROCPRIM_400000_NS6detail17trampoline_kernelINS0_14default_configENS1_25partition_config_selectorILNS1_17partition_subalgoE8EiNS0_10empty_typeEbEEZZNS1_14partition_implILS5_8ELb0ES3_jPKiPS6_PKS6_NS0_5tupleIJPiS6_EEENSE_IJSB_SB_EEENS0_18inequality_wrapperIN6hipcub16HIPCUB_304000_NS8EqualityEEEPlJS6_EEE10hipError_tPvRmT3_T4_T5_T6_T7_T9_mT8_P12ihipStream_tbDpT10_ENKUlT_T0_E_clISt17integral_constantIbLb1EES17_EEDaS12_S13_EUlS12_E_NS1_11comp_targetILNS1_3genE2ELNS1_11target_archE906ELNS1_3gpuE6ELNS1_3repE0EEENS1_30default_config_static_selectorELNS0_4arch9wavefront6targetE0EEEvT1_.has_dyn_sized_stack, 0
	.set _ZN7rocprim17ROCPRIM_400000_NS6detail17trampoline_kernelINS0_14default_configENS1_25partition_config_selectorILNS1_17partition_subalgoE8EiNS0_10empty_typeEbEEZZNS1_14partition_implILS5_8ELb0ES3_jPKiPS6_PKS6_NS0_5tupleIJPiS6_EEENSE_IJSB_SB_EEENS0_18inequality_wrapperIN6hipcub16HIPCUB_304000_NS8EqualityEEEPlJS6_EEE10hipError_tPvRmT3_T4_T5_T6_T7_T9_mT8_P12ihipStream_tbDpT10_ENKUlT_T0_E_clISt17integral_constantIbLb1EES17_EEDaS12_S13_EUlS12_E_NS1_11comp_targetILNS1_3genE2ELNS1_11target_archE906ELNS1_3gpuE6ELNS1_3repE0EEENS1_30default_config_static_selectorELNS0_4arch9wavefront6targetE0EEEvT1_.has_recursion, 0
	.set _ZN7rocprim17ROCPRIM_400000_NS6detail17trampoline_kernelINS0_14default_configENS1_25partition_config_selectorILNS1_17partition_subalgoE8EiNS0_10empty_typeEbEEZZNS1_14partition_implILS5_8ELb0ES3_jPKiPS6_PKS6_NS0_5tupleIJPiS6_EEENSE_IJSB_SB_EEENS0_18inequality_wrapperIN6hipcub16HIPCUB_304000_NS8EqualityEEEPlJS6_EEE10hipError_tPvRmT3_T4_T5_T6_T7_T9_mT8_P12ihipStream_tbDpT10_ENKUlT_T0_E_clISt17integral_constantIbLb1EES17_EEDaS12_S13_EUlS12_E_NS1_11comp_targetILNS1_3genE2ELNS1_11target_archE906ELNS1_3gpuE6ELNS1_3repE0EEENS1_30default_config_static_selectorELNS0_4arch9wavefront6targetE0EEEvT1_.has_indirect_call, 0
	.section	.AMDGPU.csdata,"",@progbits
; Kernel info:
; codeLenInByte = 0
; TotalNumSgprs: 0
; NumVgprs: 0
; ScratchSize: 0
; MemoryBound: 0
; FloatMode: 240
; IeeeMode: 1
; LDSByteSize: 0 bytes/workgroup (compile time only)
; SGPRBlocks: 0
; VGPRBlocks: 0
; NumSGPRsForWavesPerEU: 1
; NumVGPRsForWavesPerEU: 1
; NamedBarCnt: 0
; Occupancy: 16
; WaveLimiterHint : 0
; COMPUTE_PGM_RSRC2:SCRATCH_EN: 0
; COMPUTE_PGM_RSRC2:USER_SGPR: 2
; COMPUTE_PGM_RSRC2:TRAP_HANDLER: 0
; COMPUTE_PGM_RSRC2:TGID_X_EN: 1
; COMPUTE_PGM_RSRC2:TGID_Y_EN: 0
; COMPUTE_PGM_RSRC2:TGID_Z_EN: 0
; COMPUTE_PGM_RSRC2:TIDIG_COMP_CNT: 0
	.section	.text._ZN7rocprim17ROCPRIM_400000_NS6detail17trampoline_kernelINS0_14default_configENS1_25partition_config_selectorILNS1_17partition_subalgoE8EiNS0_10empty_typeEbEEZZNS1_14partition_implILS5_8ELb0ES3_jPKiPS6_PKS6_NS0_5tupleIJPiS6_EEENSE_IJSB_SB_EEENS0_18inequality_wrapperIN6hipcub16HIPCUB_304000_NS8EqualityEEEPlJS6_EEE10hipError_tPvRmT3_T4_T5_T6_T7_T9_mT8_P12ihipStream_tbDpT10_ENKUlT_T0_E_clISt17integral_constantIbLb1EES17_EEDaS12_S13_EUlS12_E_NS1_11comp_targetILNS1_3genE10ELNS1_11target_archE1200ELNS1_3gpuE4ELNS1_3repE0EEENS1_30default_config_static_selectorELNS0_4arch9wavefront6targetE0EEEvT1_,"axG",@progbits,_ZN7rocprim17ROCPRIM_400000_NS6detail17trampoline_kernelINS0_14default_configENS1_25partition_config_selectorILNS1_17partition_subalgoE8EiNS0_10empty_typeEbEEZZNS1_14partition_implILS5_8ELb0ES3_jPKiPS6_PKS6_NS0_5tupleIJPiS6_EEENSE_IJSB_SB_EEENS0_18inequality_wrapperIN6hipcub16HIPCUB_304000_NS8EqualityEEEPlJS6_EEE10hipError_tPvRmT3_T4_T5_T6_T7_T9_mT8_P12ihipStream_tbDpT10_ENKUlT_T0_E_clISt17integral_constantIbLb1EES17_EEDaS12_S13_EUlS12_E_NS1_11comp_targetILNS1_3genE10ELNS1_11target_archE1200ELNS1_3gpuE4ELNS1_3repE0EEENS1_30default_config_static_selectorELNS0_4arch9wavefront6targetE0EEEvT1_,comdat
	.protected	_ZN7rocprim17ROCPRIM_400000_NS6detail17trampoline_kernelINS0_14default_configENS1_25partition_config_selectorILNS1_17partition_subalgoE8EiNS0_10empty_typeEbEEZZNS1_14partition_implILS5_8ELb0ES3_jPKiPS6_PKS6_NS0_5tupleIJPiS6_EEENSE_IJSB_SB_EEENS0_18inequality_wrapperIN6hipcub16HIPCUB_304000_NS8EqualityEEEPlJS6_EEE10hipError_tPvRmT3_T4_T5_T6_T7_T9_mT8_P12ihipStream_tbDpT10_ENKUlT_T0_E_clISt17integral_constantIbLb1EES17_EEDaS12_S13_EUlS12_E_NS1_11comp_targetILNS1_3genE10ELNS1_11target_archE1200ELNS1_3gpuE4ELNS1_3repE0EEENS1_30default_config_static_selectorELNS0_4arch9wavefront6targetE0EEEvT1_ ; -- Begin function _ZN7rocprim17ROCPRIM_400000_NS6detail17trampoline_kernelINS0_14default_configENS1_25partition_config_selectorILNS1_17partition_subalgoE8EiNS0_10empty_typeEbEEZZNS1_14partition_implILS5_8ELb0ES3_jPKiPS6_PKS6_NS0_5tupleIJPiS6_EEENSE_IJSB_SB_EEENS0_18inequality_wrapperIN6hipcub16HIPCUB_304000_NS8EqualityEEEPlJS6_EEE10hipError_tPvRmT3_T4_T5_T6_T7_T9_mT8_P12ihipStream_tbDpT10_ENKUlT_T0_E_clISt17integral_constantIbLb1EES17_EEDaS12_S13_EUlS12_E_NS1_11comp_targetILNS1_3genE10ELNS1_11target_archE1200ELNS1_3gpuE4ELNS1_3repE0EEENS1_30default_config_static_selectorELNS0_4arch9wavefront6targetE0EEEvT1_
	.globl	_ZN7rocprim17ROCPRIM_400000_NS6detail17trampoline_kernelINS0_14default_configENS1_25partition_config_selectorILNS1_17partition_subalgoE8EiNS0_10empty_typeEbEEZZNS1_14partition_implILS5_8ELb0ES3_jPKiPS6_PKS6_NS0_5tupleIJPiS6_EEENSE_IJSB_SB_EEENS0_18inequality_wrapperIN6hipcub16HIPCUB_304000_NS8EqualityEEEPlJS6_EEE10hipError_tPvRmT3_T4_T5_T6_T7_T9_mT8_P12ihipStream_tbDpT10_ENKUlT_T0_E_clISt17integral_constantIbLb1EES17_EEDaS12_S13_EUlS12_E_NS1_11comp_targetILNS1_3genE10ELNS1_11target_archE1200ELNS1_3gpuE4ELNS1_3repE0EEENS1_30default_config_static_selectorELNS0_4arch9wavefront6targetE0EEEvT1_
	.p2align	8
	.type	_ZN7rocprim17ROCPRIM_400000_NS6detail17trampoline_kernelINS0_14default_configENS1_25partition_config_selectorILNS1_17partition_subalgoE8EiNS0_10empty_typeEbEEZZNS1_14partition_implILS5_8ELb0ES3_jPKiPS6_PKS6_NS0_5tupleIJPiS6_EEENSE_IJSB_SB_EEENS0_18inequality_wrapperIN6hipcub16HIPCUB_304000_NS8EqualityEEEPlJS6_EEE10hipError_tPvRmT3_T4_T5_T6_T7_T9_mT8_P12ihipStream_tbDpT10_ENKUlT_T0_E_clISt17integral_constantIbLb1EES17_EEDaS12_S13_EUlS12_E_NS1_11comp_targetILNS1_3genE10ELNS1_11target_archE1200ELNS1_3gpuE4ELNS1_3repE0EEENS1_30default_config_static_selectorELNS0_4arch9wavefront6targetE0EEEvT1_,@function
_ZN7rocprim17ROCPRIM_400000_NS6detail17trampoline_kernelINS0_14default_configENS1_25partition_config_selectorILNS1_17partition_subalgoE8EiNS0_10empty_typeEbEEZZNS1_14partition_implILS5_8ELb0ES3_jPKiPS6_PKS6_NS0_5tupleIJPiS6_EEENSE_IJSB_SB_EEENS0_18inequality_wrapperIN6hipcub16HIPCUB_304000_NS8EqualityEEEPlJS6_EEE10hipError_tPvRmT3_T4_T5_T6_T7_T9_mT8_P12ihipStream_tbDpT10_ENKUlT_T0_E_clISt17integral_constantIbLb1EES17_EEDaS12_S13_EUlS12_E_NS1_11comp_targetILNS1_3genE10ELNS1_11target_archE1200ELNS1_3gpuE4ELNS1_3repE0EEENS1_30default_config_static_selectorELNS0_4arch9wavefront6targetE0EEEvT1_: ; @_ZN7rocprim17ROCPRIM_400000_NS6detail17trampoline_kernelINS0_14default_configENS1_25partition_config_selectorILNS1_17partition_subalgoE8EiNS0_10empty_typeEbEEZZNS1_14partition_implILS5_8ELb0ES3_jPKiPS6_PKS6_NS0_5tupleIJPiS6_EEENSE_IJSB_SB_EEENS0_18inequality_wrapperIN6hipcub16HIPCUB_304000_NS8EqualityEEEPlJS6_EEE10hipError_tPvRmT3_T4_T5_T6_T7_T9_mT8_P12ihipStream_tbDpT10_ENKUlT_T0_E_clISt17integral_constantIbLb1EES17_EEDaS12_S13_EUlS12_E_NS1_11comp_targetILNS1_3genE10ELNS1_11target_archE1200ELNS1_3gpuE4ELNS1_3repE0EEENS1_30default_config_static_selectorELNS0_4arch9wavefront6targetE0EEEvT1_
; %bb.0:
	.section	.rodata,"a",@progbits
	.p2align	6, 0x0
	.amdhsa_kernel _ZN7rocprim17ROCPRIM_400000_NS6detail17trampoline_kernelINS0_14default_configENS1_25partition_config_selectorILNS1_17partition_subalgoE8EiNS0_10empty_typeEbEEZZNS1_14partition_implILS5_8ELb0ES3_jPKiPS6_PKS6_NS0_5tupleIJPiS6_EEENSE_IJSB_SB_EEENS0_18inequality_wrapperIN6hipcub16HIPCUB_304000_NS8EqualityEEEPlJS6_EEE10hipError_tPvRmT3_T4_T5_T6_T7_T9_mT8_P12ihipStream_tbDpT10_ENKUlT_T0_E_clISt17integral_constantIbLb1EES17_EEDaS12_S13_EUlS12_E_NS1_11comp_targetILNS1_3genE10ELNS1_11target_archE1200ELNS1_3gpuE4ELNS1_3repE0EEENS1_30default_config_static_selectorELNS0_4arch9wavefront6targetE0EEEvT1_
		.amdhsa_group_segment_fixed_size 0
		.amdhsa_private_segment_fixed_size 0
		.amdhsa_kernarg_size 128
		.amdhsa_user_sgpr_count 2
		.amdhsa_user_sgpr_dispatch_ptr 0
		.amdhsa_user_sgpr_queue_ptr 0
		.amdhsa_user_sgpr_kernarg_segment_ptr 1
		.amdhsa_user_sgpr_dispatch_id 0
		.amdhsa_user_sgpr_kernarg_preload_length 0
		.amdhsa_user_sgpr_kernarg_preload_offset 0
		.amdhsa_user_sgpr_private_segment_size 0
		.amdhsa_wavefront_size32 1
		.amdhsa_uses_dynamic_stack 0
		.amdhsa_enable_private_segment 0
		.amdhsa_system_sgpr_workgroup_id_x 1
		.amdhsa_system_sgpr_workgroup_id_y 0
		.amdhsa_system_sgpr_workgroup_id_z 0
		.amdhsa_system_sgpr_workgroup_info 0
		.amdhsa_system_vgpr_workitem_id 0
		.amdhsa_next_free_vgpr 1
		.amdhsa_next_free_sgpr 1
		.amdhsa_named_barrier_count 0
		.amdhsa_reserve_vcc 0
		.amdhsa_float_round_mode_32 0
		.amdhsa_float_round_mode_16_64 0
		.amdhsa_float_denorm_mode_32 3
		.amdhsa_float_denorm_mode_16_64 3
		.amdhsa_fp16_overflow 0
		.amdhsa_memory_ordered 1
		.amdhsa_forward_progress 1
		.amdhsa_inst_pref_size 0
		.amdhsa_round_robin_scheduling 0
		.amdhsa_exception_fp_ieee_invalid_op 0
		.amdhsa_exception_fp_denorm_src 0
		.amdhsa_exception_fp_ieee_div_zero 0
		.amdhsa_exception_fp_ieee_overflow 0
		.amdhsa_exception_fp_ieee_underflow 0
		.amdhsa_exception_fp_ieee_inexact 0
		.amdhsa_exception_int_div_zero 0
	.end_amdhsa_kernel
	.section	.text._ZN7rocprim17ROCPRIM_400000_NS6detail17trampoline_kernelINS0_14default_configENS1_25partition_config_selectorILNS1_17partition_subalgoE8EiNS0_10empty_typeEbEEZZNS1_14partition_implILS5_8ELb0ES3_jPKiPS6_PKS6_NS0_5tupleIJPiS6_EEENSE_IJSB_SB_EEENS0_18inequality_wrapperIN6hipcub16HIPCUB_304000_NS8EqualityEEEPlJS6_EEE10hipError_tPvRmT3_T4_T5_T6_T7_T9_mT8_P12ihipStream_tbDpT10_ENKUlT_T0_E_clISt17integral_constantIbLb1EES17_EEDaS12_S13_EUlS12_E_NS1_11comp_targetILNS1_3genE10ELNS1_11target_archE1200ELNS1_3gpuE4ELNS1_3repE0EEENS1_30default_config_static_selectorELNS0_4arch9wavefront6targetE0EEEvT1_,"axG",@progbits,_ZN7rocprim17ROCPRIM_400000_NS6detail17trampoline_kernelINS0_14default_configENS1_25partition_config_selectorILNS1_17partition_subalgoE8EiNS0_10empty_typeEbEEZZNS1_14partition_implILS5_8ELb0ES3_jPKiPS6_PKS6_NS0_5tupleIJPiS6_EEENSE_IJSB_SB_EEENS0_18inequality_wrapperIN6hipcub16HIPCUB_304000_NS8EqualityEEEPlJS6_EEE10hipError_tPvRmT3_T4_T5_T6_T7_T9_mT8_P12ihipStream_tbDpT10_ENKUlT_T0_E_clISt17integral_constantIbLb1EES17_EEDaS12_S13_EUlS12_E_NS1_11comp_targetILNS1_3genE10ELNS1_11target_archE1200ELNS1_3gpuE4ELNS1_3repE0EEENS1_30default_config_static_selectorELNS0_4arch9wavefront6targetE0EEEvT1_,comdat
.Lfunc_end423:
	.size	_ZN7rocprim17ROCPRIM_400000_NS6detail17trampoline_kernelINS0_14default_configENS1_25partition_config_selectorILNS1_17partition_subalgoE8EiNS0_10empty_typeEbEEZZNS1_14partition_implILS5_8ELb0ES3_jPKiPS6_PKS6_NS0_5tupleIJPiS6_EEENSE_IJSB_SB_EEENS0_18inequality_wrapperIN6hipcub16HIPCUB_304000_NS8EqualityEEEPlJS6_EEE10hipError_tPvRmT3_T4_T5_T6_T7_T9_mT8_P12ihipStream_tbDpT10_ENKUlT_T0_E_clISt17integral_constantIbLb1EES17_EEDaS12_S13_EUlS12_E_NS1_11comp_targetILNS1_3genE10ELNS1_11target_archE1200ELNS1_3gpuE4ELNS1_3repE0EEENS1_30default_config_static_selectorELNS0_4arch9wavefront6targetE0EEEvT1_, .Lfunc_end423-_ZN7rocprim17ROCPRIM_400000_NS6detail17trampoline_kernelINS0_14default_configENS1_25partition_config_selectorILNS1_17partition_subalgoE8EiNS0_10empty_typeEbEEZZNS1_14partition_implILS5_8ELb0ES3_jPKiPS6_PKS6_NS0_5tupleIJPiS6_EEENSE_IJSB_SB_EEENS0_18inequality_wrapperIN6hipcub16HIPCUB_304000_NS8EqualityEEEPlJS6_EEE10hipError_tPvRmT3_T4_T5_T6_T7_T9_mT8_P12ihipStream_tbDpT10_ENKUlT_T0_E_clISt17integral_constantIbLb1EES17_EEDaS12_S13_EUlS12_E_NS1_11comp_targetILNS1_3genE10ELNS1_11target_archE1200ELNS1_3gpuE4ELNS1_3repE0EEENS1_30default_config_static_selectorELNS0_4arch9wavefront6targetE0EEEvT1_
                                        ; -- End function
	.set _ZN7rocprim17ROCPRIM_400000_NS6detail17trampoline_kernelINS0_14default_configENS1_25partition_config_selectorILNS1_17partition_subalgoE8EiNS0_10empty_typeEbEEZZNS1_14partition_implILS5_8ELb0ES3_jPKiPS6_PKS6_NS0_5tupleIJPiS6_EEENSE_IJSB_SB_EEENS0_18inequality_wrapperIN6hipcub16HIPCUB_304000_NS8EqualityEEEPlJS6_EEE10hipError_tPvRmT3_T4_T5_T6_T7_T9_mT8_P12ihipStream_tbDpT10_ENKUlT_T0_E_clISt17integral_constantIbLb1EES17_EEDaS12_S13_EUlS12_E_NS1_11comp_targetILNS1_3genE10ELNS1_11target_archE1200ELNS1_3gpuE4ELNS1_3repE0EEENS1_30default_config_static_selectorELNS0_4arch9wavefront6targetE0EEEvT1_.num_vgpr, 0
	.set _ZN7rocprim17ROCPRIM_400000_NS6detail17trampoline_kernelINS0_14default_configENS1_25partition_config_selectorILNS1_17partition_subalgoE8EiNS0_10empty_typeEbEEZZNS1_14partition_implILS5_8ELb0ES3_jPKiPS6_PKS6_NS0_5tupleIJPiS6_EEENSE_IJSB_SB_EEENS0_18inequality_wrapperIN6hipcub16HIPCUB_304000_NS8EqualityEEEPlJS6_EEE10hipError_tPvRmT3_T4_T5_T6_T7_T9_mT8_P12ihipStream_tbDpT10_ENKUlT_T0_E_clISt17integral_constantIbLb1EES17_EEDaS12_S13_EUlS12_E_NS1_11comp_targetILNS1_3genE10ELNS1_11target_archE1200ELNS1_3gpuE4ELNS1_3repE0EEENS1_30default_config_static_selectorELNS0_4arch9wavefront6targetE0EEEvT1_.num_agpr, 0
	.set _ZN7rocprim17ROCPRIM_400000_NS6detail17trampoline_kernelINS0_14default_configENS1_25partition_config_selectorILNS1_17partition_subalgoE8EiNS0_10empty_typeEbEEZZNS1_14partition_implILS5_8ELb0ES3_jPKiPS6_PKS6_NS0_5tupleIJPiS6_EEENSE_IJSB_SB_EEENS0_18inequality_wrapperIN6hipcub16HIPCUB_304000_NS8EqualityEEEPlJS6_EEE10hipError_tPvRmT3_T4_T5_T6_T7_T9_mT8_P12ihipStream_tbDpT10_ENKUlT_T0_E_clISt17integral_constantIbLb1EES17_EEDaS12_S13_EUlS12_E_NS1_11comp_targetILNS1_3genE10ELNS1_11target_archE1200ELNS1_3gpuE4ELNS1_3repE0EEENS1_30default_config_static_selectorELNS0_4arch9wavefront6targetE0EEEvT1_.numbered_sgpr, 0
	.set _ZN7rocprim17ROCPRIM_400000_NS6detail17trampoline_kernelINS0_14default_configENS1_25partition_config_selectorILNS1_17partition_subalgoE8EiNS0_10empty_typeEbEEZZNS1_14partition_implILS5_8ELb0ES3_jPKiPS6_PKS6_NS0_5tupleIJPiS6_EEENSE_IJSB_SB_EEENS0_18inequality_wrapperIN6hipcub16HIPCUB_304000_NS8EqualityEEEPlJS6_EEE10hipError_tPvRmT3_T4_T5_T6_T7_T9_mT8_P12ihipStream_tbDpT10_ENKUlT_T0_E_clISt17integral_constantIbLb1EES17_EEDaS12_S13_EUlS12_E_NS1_11comp_targetILNS1_3genE10ELNS1_11target_archE1200ELNS1_3gpuE4ELNS1_3repE0EEENS1_30default_config_static_selectorELNS0_4arch9wavefront6targetE0EEEvT1_.num_named_barrier, 0
	.set _ZN7rocprim17ROCPRIM_400000_NS6detail17trampoline_kernelINS0_14default_configENS1_25partition_config_selectorILNS1_17partition_subalgoE8EiNS0_10empty_typeEbEEZZNS1_14partition_implILS5_8ELb0ES3_jPKiPS6_PKS6_NS0_5tupleIJPiS6_EEENSE_IJSB_SB_EEENS0_18inequality_wrapperIN6hipcub16HIPCUB_304000_NS8EqualityEEEPlJS6_EEE10hipError_tPvRmT3_T4_T5_T6_T7_T9_mT8_P12ihipStream_tbDpT10_ENKUlT_T0_E_clISt17integral_constantIbLb1EES17_EEDaS12_S13_EUlS12_E_NS1_11comp_targetILNS1_3genE10ELNS1_11target_archE1200ELNS1_3gpuE4ELNS1_3repE0EEENS1_30default_config_static_selectorELNS0_4arch9wavefront6targetE0EEEvT1_.private_seg_size, 0
	.set _ZN7rocprim17ROCPRIM_400000_NS6detail17trampoline_kernelINS0_14default_configENS1_25partition_config_selectorILNS1_17partition_subalgoE8EiNS0_10empty_typeEbEEZZNS1_14partition_implILS5_8ELb0ES3_jPKiPS6_PKS6_NS0_5tupleIJPiS6_EEENSE_IJSB_SB_EEENS0_18inequality_wrapperIN6hipcub16HIPCUB_304000_NS8EqualityEEEPlJS6_EEE10hipError_tPvRmT3_T4_T5_T6_T7_T9_mT8_P12ihipStream_tbDpT10_ENKUlT_T0_E_clISt17integral_constantIbLb1EES17_EEDaS12_S13_EUlS12_E_NS1_11comp_targetILNS1_3genE10ELNS1_11target_archE1200ELNS1_3gpuE4ELNS1_3repE0EEENS1_30default_config_static_selectorELNS0_4arch9wavefront6targetE0EEEvT1_.uses_vcc, 0
	.set _ZN7rocprim17ROCPRIM_400000_NS6detail17trampoline_kernelINS0_14default_configENS1_25partition_config_selectorILNS1_17partition_subalgoE8EiNS0_10empty_typeEbEEZZNS1_14partition_implILS5_8ELb0ES3_jPKiPS6_PKS6_NS0_5tupleIJPiS6_EEENSE_IJSB_SB_EEENS0_18inequality_wrapperIN6hipcub16HIPCUB_304000_NS8EqualityEEEPlJS6_EEE10hipError_tPvRmT3_T4_T5_T6_T7_T9_mT8_P12ihipStream_tbDpT10_ENKUlT_T0_E_clISt17integral_constantIbLb1EES17_EEDaS12_S13_EUlS12_E_NS1_11comp_targetILNS1_3genE10ELNS1_11target_archE1200ELNS1_3gpuE4ELNS1_3repE0EEENS1_30default_config_static_selectorELNS0_4arch9wavefront6targetE0EEEvT1_.uses_flat_scratch, 0
	.set _ZN7rocprim17ROCPRIM_400000_NS6detail17trampoline_kernelINS0_14default_configENS1_25partition_config_selectorILNS1_17partition_subalgoE8EiNS0_10empty_typeEbEEZZNS1_14partition_implILS5_8ELb0ES3_jPKiPS6_PKS6_NS0_5tupleIJPiS6_EEENSE_IJSB_SB_EEENS0_18inequality_wrapperIN6hipcub16HIPCUB_304000_NS8EqualityEEEPlJS6_EEE10hipError_tPvRmT3_T4_T5_T6_T7_T9_mT8_P12ihipStream_tbDpT10_ENKUlT_T0_E_clISt17integral_constantIbLb1EES17_EEDaS12_S13_EUlS12_E_NS1_11comp_targetILNS1_3genE10ELNS1_11target_archE1200ELNS1_3gpuE4ELNS1_3repE0EEENS1_30default_config_static_selectorELNS0_4arch9wavefront6targetE0EEEvT1_.has_dyn_sized_stack, 0
	.set _ZN7rocprim17ROCPRIM_400000_NS6detail17trampoline_kernelINS0_14default_configENS1_25partition_config_selectorILNS1_17partition_subalgoE8EiNS0_10empty_typeEbEEZZNS1_14partition_implILS5_8ELb0ES3_jPKiPS6_PKS6_NS0_5tupleIJPiS6_EEENSE_IJSB_SB_EEENS0_18inequality_wrapperIN6hipcub16HIPCUB_304000_NS8EqualityEEEPlJS6_EEE10hipError_tPvRmT3_T4_T5_T6_T7_T9_mT8_P12ihipStream_tbDpT10_ENKUlT_T0_E_clISt17integral_constantIbLb1EES17_EEDaS12_S13_EUlS12_E_NS1_11comp_targetILNS1_3genE10ELNS1_11target_archE1200ELNS1_3gpuE4ELNS1_3repE0EEENS1_30default_config_static_selectorELNS0_4arch9wavefront6targetE0EEEvT1_.has_recursion, 0
	.set _ZN7rocprim17ROCPRIM_400000_NS6detail17trampoline_kernelINS0_14default_configENS1_25partition_config_selectorILNS1_17partition_subalgoE8EiNS0_10empty_typeEbEEZZNS1_14partition_implILS5_8ELb0ES3_jPKiPS6_PKS6_NS0_5tupleIJPiS6_EEENSE_IJSB_SB_EEENS0_18inequality_wrapperIN6hipcub16HIPCUB_304000_NS8EqualityEEEPlJS6_EEE10hipError_tPvRmT3_T4_T5_T6_T7_T9_mT8_P12ihipStream_tbDpT10_ENKUlT_T0_E_clISt17integral_constantIbLb1EES17_EEDaS12_S13_EUlS12_E_NS1_11comp_targetILNS1_3genE10ELNS1_11target_archE1200ELNS1_3gpuE4ELNS1_3repE0EEENS1_30default_config_static_selectorELNS0_4arch9wavefront6targetE0EEEvT1_.has_indirect_call, 0
	.section	.AMDGPU.csdata,"",@progbits
; Kernel info:
; codeLenInByte = 0
; TotalNumSgprs: 0
; NumVgprs: 0
; ScratchSize: 0
; MemoryBound: 0
; FloatMode: 240
; IeeeMode: 1
; LDSByteSize: 0 bytes/workgroup (compile time only)
; SGPRBlocks: 0
; VGPRBlocks: 0
; NumSGPRsForWavesPerEU: 1
; NumVGPRsForWavesPerEU: 1
; NamedBarCnt: 0
; Occupancy: 16
; WaveLimiterHint : 0
; COMPUTE_PGM_RSRC2:SCRATCH_EN: 0
; COMPUTE_PGM_RSRC2:USER_SGPR: 2
; COMPUTE_PGM_RSRC2:TRAP_HANDLER: 0
; COMPUTE_PGM_RSRC2:TGID_X_EN: 1
; COMPUTE_PGM_RSRC2:TGID_Y_EN: 0
; COMPUTE_PGM_RSRC2:TGID_Z_EN: 0
; COMPUTE_PGM_RSRC2:TIDIG_COMP_CNT: 0
	.section	.text._ZN7rocprim17ROCPRIM_400000_NS6detail17trampoline_kernelINS0_14default_configENS1_25partition_config_selectorILNS1_17partition_subalgoE8EiNS0_10empty_typeEbEEZZNS1_14partition_implILS5_8ELb0ES3_jPKiPS6_PKS6_NS0_5tupleIJPiS6_EEENSE_IJSB_SB_EEENS0_18inequality_wrapperIN6hipcub16HIPCUB_304000_NS8EqualityEEEPlJS6_EEE10hipError_tPvRmT3_T4_T5_T6_T7_T9_mT8_P12ihipStream_tbDpT10_ENKUlT_T0_E_clISt17integral_constantIbLb1EES17_EEDaS12_S13_EUlS12_E_NS1_11comp_targetILNS1_3genE9ELNS1_11target_archE1100ELNS1_3gpuE3ELNS1_3repE0EEENS1_30default_config_static_selectorELNS0_4arch9wavefront6targetE0EEEvT1_,"axG",@progbits,_ZN7rocprim17ROCPRIM_400000_NS6detail17trampoline_kernelINS0_14default_configENS1_25partition_config_selectorILNS1_17partition_subalgoE8EiNS0_10empty_typeEbEEZZNS1_14partition_implILS5_8ELb0ES3_jPKiPS6_PKS6_NS0_5tupleIJPiS6_EEENSE_IJSB_SB_EEENS0_18inequality_wrapperIN6hipcub16HIPCUB_304000_NS8EqualityEEEPlJS6_EEE10hipError_tPvRmT3_T4_T5_T6_T7_T9_mT8_P12ihipStream_tbDpT10_ENKUlT_T0_E_clISt17integral_constantIbLb1EES17_EEDaS12_S13_EUlS12_E_NS1_11comp_targetILNS1_3genE9ELNS1_11target_archE1100ELNS1_3gpuE3ELNS1_3repE0EEENS1_30default_config_static_selectorELNS0_4arch9wavefront6targetE0EEEvT1_,comdat
	.protected	_ZN7rocprim17ROCPRIM_400000_NS6detail17trampoline_kernelINS0_14default_configENS1_25partition_config_selectorILNS1_17partition_subalgoE8EiNS0_10empty_typeEbEEZZNS1_14partition_implILS5_8ELb0ES3_jPKiPS6_PKS6_NS0_5tupleIJPiS6_EEENSE_IJSB_SB_EEENS0_18inequality_wrapperIN6hipcub16HIPCUB_304000_NS8EqualityEEEPlJS6_EEE10hipError_tPvRmT3_T4_T5_T6_T7_T9_mT8_P12ihipStream_tbDpT10_ENKUlT_T0_E_clISt17integral_constantIbLb1EES17_EEDaS12_S13_EUlS12_E_NS1_11comp_targetILNS1_3genE9ELNS1_11target_archE1100ELNS1_3gpuE3ELNS1_3repE0EEENS1_30default_config_static_selectorELNS0_4arch9wavefront6targetE0EEEvT1_ ; -- Begin function _ZN7rocprim17ROCPRIM_400000_NS6detail17trampoline_kernelINS0_14default_configENS1_25partition_config_selectorILNS1_17partition_subalgoE8EiNS0_10empty_typeEbEEZZNS1_14partition_implILS5_8ELb0ES3_jPKiPS6_PKS6_NS0_5tupleIJPiS6_EEENSE_IJSB_SB_EEENS0_18inequality_wrapperIN6hipcub16HIPCUB_304000_NS8EqualityEEEPlJS6_EEE10hipError_tPvRmT3_T4_T5_T6_T7_T9_mT8_P12ihipStream_tbDpT10_ENKUlT_T0_E_clISt17integral_constantIbLb1EES17_EEDaS12_S13_EUlS12_E_NS1_11comp_targetILNS1_3genE9ELNS1_11target_archE1100ELNS1_3gpuE3ELNS1_3repE0EEENS1_30default_config_static_selectorELNS0_4arch9wavefront6targetE0EEEvT1_
	.globl	_ZN7rocprim17ROCPRIM_400000_NS6detail17trampoline_kernelINS0_14default_configENS1_25partition_config_selectorILNS1_17partition_subalgoE8EiNS0_10empty_typeEbEEZZNS1_14partition_implILS5_8ELb0ES3_jPKiPS6_PKS6_NS0_5tupleIJPiS6_EEENSE_IJSB_SB_EEENS0_18inequality_wrapperIN6hipcub16HIPCUB_304000_NS8EqualityEEEPlJS6_EEE10hipError_tPvRmT3_T4_T5_T6_T7_T9_mT8_P12ihipStream_tbDpT10_ENKUlT_T0_E_clISt17integral_constantIbLb1EES17_EEDaS12_S13_EUlS12_E_NS1_11comp_targetILNS1_3genE9ELNS1_11target_archE1100ELNS1_3gpuE3ELNS1_3repE0EEENS1_30default_config_static_selectorELNS0_4arch9wavefront6targetE0EEEvT1_
	.p2align	8
	.type	_ZN7rocprim17ROCPRIM_400000_NS6detail17trampoline_kernelINS0_14default_configENS1_25partition_config_selectorILNS1_17partition_subalgoE8EiNS0_10empty_typeEbEEZZNS1_14partition_implILS5_8ELb0ES3_jPKiPS6_PKS6_NS0_5tupleIJPiS6_EEENSE_IJSB_SB_EEENS0_18inequality_wrapperIN6hipcub16HIPCUB_304000_NS8EqualityEEEPlJS6_EEE10hipError_tPvRmT3_T4_T5_T6_T7_T9_mT8_P12ihipStream_tbDpT10_ENKUlT_T0_E_clISt17integral_constantIbLb1EES17_EEDaS12_S13_EUlS12_E_NS1_11comp_targetILNS1_3genE9ELNS1_11target_archE1100ELNS1_3gpuE3ELNS1_3repE0EEENS1_30default_config_static_selectorELNS0_4arch9wavefront6targetE0EEEvT1_,@function
_ZN7rocprim17ROCPRIM_400000_NS6detail17trampoline_kernelINS0_14default_configENS1_25partition_config_selectorILNS1_17partition_subalgoE8EiNS0_10empty_typeEbEEZZNS1_14partition_implILS5_8ELb0ES3_jPKiPS6_PKS6_NS0_5tupleIJPiS6_EEENSE_IJSB_SB_EEENS0_18inequality_wrapperIN6hipcub16HIPCUB_304000_NS8EqualityEEEPlJS6_EEE10hipError_tPvRmT3_T4_T5_T6_T7_T9_mT8_P12ihipStream_tbDpT10_ENKUlT_T0_E_clISt17integral_constantIbLb1EES17_EEDaS12_S13_EUlS12_E_NS1_11comp_targetILNS1_3genE9ELNS1_11target_archE1100ELNS1_3gpuE3ELNS1_3repE0EEENS1_30default_config_static_selectorELNS0_4arch9wavefront6targetE0EEEvT1_: ; @_ZN7rocprim17ROCPRIM_400000_NS6detail17trampoline_kernelINS0_14default_configENS1_25partition_config_selectorILNS1_17partition_subalgoE8EiNS0_10empty_typeEbEEZZNS1_14partition_implILS5_8ELb0ES3_jPKiPS6_PKS6_NS0_5tupleIJPiS6_EEENSE_IJSB_SB_EEENS0_18inequality_wrapperIN6hipcub16HIPCUB_304000_NS8EqualityEEEPlJS6_EEE10hipError_tPvRmT3_T4_T5_T6_T7_T9_mT8_P12ihipStream_tbDpT10_ENKUlT_T0_E_clISt17integral_constantIbLb1EES17_EEDaS12_S13_EUlS12_E_NS1_11comp_targetILNS1_3genE9ELNS1_11target_archE1100ELNS1_3gpuE3ELNS1_3repE0EEENS1_30default_config_static_selectorELNS0_4arch9wavefront6targetE0EEEvT1_
; %bb.0:
	.section	.rodata,"a",@progbits
	.p2align	6, 0x0
	.amdhsa_kernel _ZN7rocprim17ROCPRIM_400000_NS6detail17trampoline_kernelINS0_14default_configENS1_25partition_config_selectorILNS1_17partition_subalgoE8EiNS0_10empty_typeEbEEZZNS1_14partition_implILS5_8ELb0ES3_jPKiPS6_PKS6_NS0_5tupleIJPiS6_EEENSE_IJSB_SB_EEENS0_18inequality_wrapperIN6hipcub16HIPCUB_304000_NS8EqualityEEEPlJS6_EEE10hipError_tPvRmT3_T4_T5_T6_T7_T9_mT8_P12ihipStream_tbDpT10_ENKUlT_T0_E_clISt17integral_constantIbLb1EES17_EEDaS12_S13_EUlS12_E_NS1_11comp_targetILNS1_3genE9ELNS1_11target_archE1100ELNS1_3gpuE3ELNS1_3repE0EEENS1_30default_config_static_selectorELNS0_4arch9wavefront6targetE0EEEvT1_
		.amdhsa_group_segment_fixed_size 0
		.amdhsa_private_segment_fixed_size 0
		.amdhsa_kernarg_size 128
		.amdhsa_user_sgpr_count 2
		.amdhsa_user_sgpr_dispatch_ptr 0
		.amdhsa_user_sgpr_queue_ptr 0
		.amdhsa_user_sgpr_kernarg_segment_ptr 1
		.amdhsa_user_sgpr_dispatch_id 0
		.amdhsa_user_sgpr_kernarg_preload_length 0
		.amdhsa_user_sgpr_kernarg_preload_offset 0
		.amdhsa_user_sgpr_private_segment_size 0
		.amdhsa_wavefront_size32 1
		.amdhsa_uses_dynamic_stack 0
		.amdhsa_enable_private_segment 0
		.amdhsa_system_sgpr_workgroup_id_x 1
		.amdhsa_system_sgpr_workgroup_id_y 0
		.amdhsa_system_sgpr_workgroup_id_z 0
		.amdhsa_system_sgpr_workgroup_info 0
		.amdhsa_system_vgpr_workitem_id 0
		.amdhsa_next_free_vgpr 1
		.amdhsa_next_free_sgpr 1
		.amdhsa_named_barrier_count 0
		.amdhsa_reserve_vcc 0
		.amdhsa_float_round_mode_32 0
		.amdhsa_float_round_mode_16_64 0
		.amdhsa_float_denorm_mode_32 3
		.amdhsa_float_denorm_mode_16_64 3
		.amdhsa_fp16_overflow 0
		.amdhsa_memory_ordered 1
		.amdhsa_forward_progress 1
		.amdhsa_inst_pref_size 0
		.amdhsa_round_robin_scheduling 0
		.amdhsa_exception_fp_ieee_invalid_op 0
		.amdhsa_exception_fp_denorm_src 0
		.amdhsa_exception_fp_ieee_div_zero 0
		.amdhsa_exception_fp_ieee_overflow 0
		.amdhsa_exception_fp_ieee_underflow 0
		.amdhsa_exception_fp_ieee_inexact 0
		.amdhsa_exception_int_div_zero 0
	.end_amdhsa_kernel
	.section	.text._ZN7rocprim17ROCPRIM_400000_NS6detail17trampoline_kernelINS0_14default_configENS1_25partition_config_selectorILNS1_17partition_subalgoE8EiNS0_10empty_typeEbEEZZNS1_14partition_implILS5_8ELb0ES3_jPKiPS6_PKS6_NS0_5tupleIJPiS6_EEENSE_IJSB_SB_EEENS0_18inequality_wrapperIN6hipcub16HIPCUB_304000_NS8EqualityEEEPlJS6_EEE10hipError_tPvRmT3_T4_T5_T6_T7_T9_mT8_P12ihipStream_tbDpT10_ENKUlT_T0_E_clISt17integral_constantIbLb1EES17_EEDaS12_S13_EUlS12_E_NS1_11comp_targetILNS1_3genE9ELNS1_11target_archE1100ELNS1_3gpuE3ELNS1_3repE0EEENS1_30default_config_static_selectorELNS0_4arch9wavefront6targetE0EEEvT1_,"axG",@progbits,_ZN7rocprim17ROCPRIM_400000_NS6detail17trampoline_kernelINS0_14default_configENS1_25partition_config_selectorILNS1_17partition_subalgoE8EiNS0_10empty_typeEbEEZZNS1_14partition_implILS5_8ELb0ES3_jPKiPS6_PKS6_NS0_5tupleIJPiS6_EEENSE_IJSB_SB_EEENS0_18inequality_wrapperIN6hipcub16HIPCUB_304000_NS8EqualityEEEPlJS6_EEE10hipError_tPvRmT3_T4_T5_T6_T7_T9_mT8_P12ihipStream_tbDpT10_ENKUlT_T0_E_clISt17integral_constantIbLb1EES17_EEDaS12_S13_EUlS12_E_NS1_11comp_targetILNS1_3genE9ELNS1_11target_archE1100ELNS1_3gpuE3ELNS1_3repE0EEENS1_30default_config_static_selectorELNS0_4arch9wavefront6targetE0EEEvT1_,comdat
.Lfunc_end424:
	.size	_ZN7rocprim17ROCPRIM_400000_NS6detail17trampoline_kernelINS0_14default_configENS1_25partition_config_selectorILNS1_17partition_subalgoE8EiNS0_10empty_typeEbEEZZNS1_14partition_implILS5_8ELb0ES3_jPKiPS6_PKS6_NS0_5tupleIJPiS6_EEENSE_IJSB_SB_EEENS0_18inequality_wrapperIN6hipcub16HIPCUB_304000_NS8EqualityEEEPlJS6_EEE10hipError_tPvRmT3_T4_T5_T6_T7_T9_mT8_P12ihipStream_tbDpT10_ENKUlT_T0_E_clISt17integral_constantIbLb1EES17_EEDaS12_S13_EUlS12_E_NS1_11comp_targetILNS1_3genE9ELNS1_11target_archE1100ELNS1_3gpuE3ELNS1_3repE0EEENS1_30default_config_static_selectorELNS0_4arch9wavefront6targetE0EEEvT1_, .Lfunc_end424-_ZN7rocprim17ROCPRIM_400000_NS6detail17trampoline_kernelINS0_14default_configENS1_25partition_config_selectorILNS1_17partition_subalgoE8EiNS0_10empty_typeEbEEZZNS1_14partition_implILS5_8ELb0ES3_jPKiPS6_PKS6_NS0_5tupleIJPiS6_EEENSE_IJSB_SB_EEENS0_18inequality_wrapperIN6hipcub16HIPCUB_304000_NS8EqualityEEEPlJS6_EEE10hipError_tPvRmT3_T4_T5_T6_T7_T9_mT8_P12ihipStream_tbDpT10_ENKUlT_T0_E_clISt17integral_constantIbLb1EES17_EEDaS12_S13_EUlS12_E_NS1_11comp_targetILNS1_3genE9ELNS1_11target_archE1100ELNS1_3gpuE3ELNS1_3repE0EEENS1_30default_config_static_selectorELNS0_4arch9wavefront6targetE0EEEvT1_
                                        ; -- End function
	.set _ZN7rocprim17ROCPRIM_400000_NS6detail17trampoline_kernelINS0_14default_configENS1_25partition_config_selectorILNS1_17partition_subalgoE8EiNS0_10empty_typeEbEEZZNS1_14partition_implILS5_8ELb0ES3_jPKiPS6_PKS6_NS0_5tupleIJPiS6_EEENSE_IJSB_SB_EEENS0_18inequality_wrapperIN6hipcub16HIPCUB_304000_NS8EqualityEEEPlJS6_EEE10hipError_tPvRmT3_T4_T5_T6_T7_T9_mT8_P12ihipStream_tbDpT10_ENKUlT_T0_E_clISt17integral_constantIbLb1EES17_EEDaS12_S13_EUlS12_E_NS1_11comp_targetILNS1_3genE9ELNS1_11target_archE1100ELNS1_3gpuE3ELNS1_3repE0EEENS1_30default_config_static_selectorELNS0_4arch9wavefront6targetE0EEEvT1_.num_vgpr, 0
	.set _ZN7rocprim17ROCPRIM_400000_NS6detail17trampoline_kernelINS0_14default_configENS1_25partition_config_selectorILNS1_17partition_subalgoE8EiNS0_10empty_typeEbEEZZNS1_14partition_implILS5_8ELb0ES3_jPKiPS6_PKS6_NS0_5tupleIJPiS6_EEENSE_IJSB_SB_EEENS0_18inequality_wrapperIN6hipcub16HIPCUB_304000_NS8EqualityEEEPlJS6_EEE10hipError_tPvRmT3_T4_T5_T6_T7_T9_mT8_P12ihipStream_tbDpT10_ENKUlT_T0_E_clISt17integral_constantIbLb1EES17_EEDaS12_S13_EUlS12_E_NS1_11comp_targetILNS1_3genE9ELNS1_11target_archE1100ELNS1_3gpuE3ELNS1_3repE0EEENS1_30default_config_static_selectorELNS0_4arch9wavefront6targetE0EEEvT1_.num_agpr, 0
	.set _ZN7rocprim17ROCPRIM_400000_NS6detail17trampoline_kernelINS0_14default_configENS1_25partition_config_selectorILNS1_17partition_subalgoE8EiNS0_10empty_typeEbEEZZNS1_14partition_implILS5_8ELb0ES3_jPKiPS6_PKS6_NS0_5tupleIJPiS6_EEENSE_IJSB_SB_EEENS0_18inequality_wrapperIN6hipcub16HIPCUB_304000_NS8EqualityEEEPlJS6_EEE10hipError_tPvRmT3_T4_T5_T6_T7_T9_mT8_P12ihipStream_tbDpT10_ENKUlT_T0_E_clISt17integral_constantIbLb1EES17_EEDaS12_S13_EUlS12_E_NS1_11comp_targetILNS1_3genE9ELNS1_11target_archE1100ELNS1_3gpuE3ELNS1_3repE0EEENS1_30default_config_static_selectorELNS0_4arch9wavefront6targetE0EEEvT1_.numbered_sgpr, 0
	.set _ZN7rocprim17ROCPRIM_400000_NS6detail17trampoline_kernelINS0_14default_configENS1_25partition_config_selectorILNS1_17partition_subalgoE8EiNS0_10empty_typeEbEEZZNS1_14partition_implILS5_8ELb0ES3_jPKiPS6_PKS6_NS0_5tupleIJPiS6_EEENSE_IJSB_SB_EEENS0_18inequality_wrapperIN6hipcub16HIPCUB_304000_NS8EqualityEEEPlJS6_EEE10hipError_tPvRmT3_T4_T5_T6_T7_T9_mT8_P12ihipStream_tbDpT10_ENKUlT_T0_E_clISt17integral_constantIbLb1EES17_EEDaS12_S13_EUlS12_E_NS1_11comp_targetILNS1_3genE9ELNS1_11target_archE1100ELNS1_3gpuE3ELNS1_3repE0EEENS1_30default_config_static_selectorELNS0_4arch9wavefront6targetE0EEEvT1_.num_named_barrier, 0
	.set _ZN7rocprim17ROCPRIM_400000_NS6detail17trampoline_kernelINS0_14default_configENS1_25partition_config_selectorILNS1_17partition_subalgoE8EiNS0_10empty_typeEbEEZZNS1_14partition_implILS5_8ELb0ES3_jPKiPS6_PKS6_NS0_5tupleIJPiS6_EEENSE_IJSB_SB_EEENS0_18inequality_wrapperIN6hipcub16HIPCUB_304000_NS8EqualityEEEPlJS6_EEE10hipError_tPvRmT3_T4_T5_T6_T7_T9_mT8_P12ihipStream_tbDpT10_ENKUlT_T0_E_clISt17integral_constantIbLb1EES17_EEDaS12_S13_EUlS12_E_NS1_11comp_targetILNS1_3genE9ELNS1_11target_archE1100ELNS1_3gpuE3ELNS1_3repE0EEENS1_30default_config_static_selectorELNS0_4arch9wavefront6targetE0EEEvT1_.private_seg_size, 0
	.set _ZN7rocprim17ROCPRIM_400000_NS6detail17trampoline_kernelINS0_14default_configENS1_25partition_config_selectorILNS1_17partition_subalgoE8EiNS0_10empty_typeEbEEZZNS1_14partition_implILS5_8ELb0ES3_jPKiPS6_PKS6_NS0_5tupleIJPiS6_EEENSE_IJSB_SB_EEENS0_18inequality_wrapperIN6hipcub16HIPCUB_304000_NS8EqualityEEEPlJS6_EEE10hipError_tPvRmT3_T4_T5_T6_T7_T9_mT8_P12ihipStream_tbDpT10_ENKUlT_T0_E_clISt17integral_constantIbLb1EES17_EEDaS12_S13_EUlS12_E_NS1_11comp_targetILNS1_3genE9ELNS1_11target_archE1100ELNS1_3gpuE3ELNS1_3repE0EEENS1_30default_config_static_selectorELNS0_4arch9wavefront6targetE0EEEvT1_.uses_vcc, 0
	.set _ZN7rocprim17ROCPRIM_400000_NS6detail17trampoline_kernelINS0_14default_configENS1_25partition_config_selectorILNS1_17partition_subalgoE8EiNS0_10empty_typeEbEEZZNS1_14partition_implILS5_8ELb0ES3_jPKiPS6_PKS6_NS0_5tupleIJPiS6_EEENSE_IJSB_SB_EEENS0_18inequality_wrapperIN6hipcub16HIPCUB_304000_NS8EqualityEEEPlJS6_EEE10hipError_tPvRmT3_T4_T5_T6_T7_T9_mT8_P12ihipStream_tbDpT10_ENKUlT_T0_E_clISt17integral_constantIbLb1EES17_EEDaS12_S13_EUlS12_E_NS1_11comp_targetILNS1_3genE9ELNS1_11target_archE1100ELNS1_3gpuE3ELNS1_3repE0EEENS1_30default_config_static_selectorELNS0_4arch9wavefront6targetE0EEEvT1_.uses_flat_scratch, 0
	.set _ZN7rocprim17ROCPRIM_400000_NS6detail17trampoline_kernelINS0_14default_configENS1_25partition_config_selectorILNS1_17partition_subalgoE8EiNS0_10empty_typeEbEEZZNS1_14partition_implILS5_8ELb0ES3_jPKiPS6_PKS6_NS0_5tupleIJPiS6_EEENSE_IJSB_SB_EEENS0_18inequality_wrapperIN6hipcub16HIPCUB_304000_NS8EqualityEEEPlJS6_EEE10hipError_tPvRmT3_T4_T5_T6_T7_T9_mT8_P12ihipStream_tbDpT10_ENKUlT_T0_E_clISt17integral_constantIbLb1EES17_EEDaS12_S13_EUlS12_E_NS1_11comp_targetILNS1_3genE9ELNS1_11target_archE1100ELNS1_3gpuE3ELNS1_3repE0EEENS1_30default_config_static_selectorELNS0_4arch9wavefront6targetE0EEEvT1_.has_dyn_sized_stack, 0
	.set _ZN7rocprim17ROCPRIM_400000_NS6detail17trampoline_kernelINS0_14default_configENS1_25partition_config_selectorILNS1_17partition_subalgoE8EiNS0_10empty_typeEbEEZZNS1_14partition_implILS5_8ELb0ES3_jPKiPS6_PKS6_NS0_5tupleIJPiS6_EEENSE_IJSB_SB_EEENS0_18inequality_wrapperIN6hipcub16HIPCUB_304000_NS8EqualityEEEPlJS6_EEE10hipError_tPvRmT3_T4_T5_T6_T7_T9_mT8_P12ihipStream_tbDpT10_ENKUlT_T0_E_clISt17integral_constantIbLb1EES17_EEDaS12_S13_EUlS12_E_NS1_11comp_targetILNS1_3genE9ELNS1_11target_archE1100ELNS1_3gpuE3ELNS1_3repE0EEENS1_30default_config_static_selectorELNS0_4arch9wavefront6targetE0EEEvT1_.has_recursion, 0
	.set _ZN7rocprim17ROCPRIM_400000_NS6detail17trampoline_kernelINS0_14default_configENS1_25partition_config_selectorILNS1_17partition_subalgoE8EiNS0_10empty_typeEbEEZZNS1_14partition_implILS5_8ELb0ES3_jPKiPS6_PKS6_NS0_5tupleIJPiS6_EEENSE_IJSB_SB_EEENS0_18inequality_wrapperIN6hipcub16HIPCUB_304000_NS8EqualityEEEPlJS6_EEE10hipError_tPvRmT3_T4_T5_T6_T7_T9_mT8_P12ihipStream_tbDpT10_ENKUlT_T0_E_clISt17integral_constantIbLb1EES17_EEDaS12_S13_EUlS12_E_NS1_11comp_targetILNS1_3genE9ELNS1_11target_archE1100ELNS1_3gpuE3ELNS1_3repE0EEENS1_30default_config_static_selectorELNS0_4arch9wavefront6targetE0EEEvT1_.has_indirect_call, 0
	.section	.AMDGPU.csdata,"",@progbits
; Kernel info:
; codeLenInByte = 0
; TotalNumSgprs: 0
; NumVgprs: 0
; ScratchSize: 0
; MemoryBound: 0
; FloatMode: 240
; IeeeMode: 1
; LDSByteSize: 0 bytes/workgroup (compile time only)
; SGPRBlocks: 0
; VGPRBlocks: 0
; NumSGPRsForWavesPerEU: 1
; NumVGPRsForWavesPerEU: 1
; NamedBarCnt: 0
; Occupancy: 16
; WaveLimiterHint : 0
; COMPUTE_PGM_RSRC2:SCRATCH_EN: 0
; COMPUTE_PGM_RSRC2:USER_SGPR: 2
; COMPUTE_PGM_RSRC2:TRAP_HANDLER: 0
; COMPUTE_PGM_RSRC2:TGID_X_EN: 1
; COMPUTE_PGM_RSRC2:TGID_Y_EN: 0
; COMPUTE_PGM_RSRC2:TGID_Z_EN: 0
; COMPUTE_PGM_RSRC2:TIDIG_COMP_CNT: 0
	.section	.text._ZN7rocprim17ROCPRIM_400000_NS6detail17trampoline_kernelINS0_14default_configENS1_25partition_config_selectorILNS1_17partition_subalgoE8EiNS0_10empty_typeEbEEZZNS1_14partition_implILS5_8ELb0ES3_jPKiPS6_PKS6_NS0_5tupleIJPiS6_EEENSE_IJSB_SB_EEENS0_18inequality_wrapperIN6hipcub16HIPCUB_304000_NS8EqualityEEEPlJS6_EEE10hipError_tPvRmT3_T4_T5_T6_T7_T9_mT8_P12ihipStream_tbDpT10_ENKUlT_T0_E_clISt17integral_constantIbLb1EES17_EEDaS12_S13_EUlS12_E_NS1_11comp_targetILNS1_3genE8ELNS1_11target_archE1030ELNS1_3gpuE2ELNS1_3repE0EEENS1_30default_config_static_selectorELNS0_4arch9wavefront6targetE0EEEvT1_,"axG",@progbits,_ZN7rocprim17ROCPRIM_400000_NS6detail17trampoline_kernelINS0_14default_configENS1_25partition_config_selectorILNS1_17partition_subalgoE8EiNS0_10empty_typeEbEEZZNS1_14partition_implILS5_8ELb0ES3_jPKiPS6_PKS6_NS0_5tupleIJPiS6_EEENSE_IJSB_SB_EEENS0_18inequality_wrapperIN6hipcub16HIPCUB_304000_NS8EqualityEEEPlJS6_EEE10hipError_tPvRmT3_T4_T5_T6_T7_T9_mT8_P12ihipStream_tbDpT10_ENKUlT_T0_E_clISt17integral_constantIbLb1EES17_EEDaS12_S13_EUlS12_E_NS1_11comp_targetILNS1_3genE8ELNS1_11target_archE1030ELNS1_3gpuE2ELNS1_3repE0EEENS1_30default_config_static_selectorELNS0_4arch9wavefront6targetE0EEEvT1_,comdat
	.protected	_ZN7rocprim17ROCPRIM_400000_NS6detail17trampoline_kernelINS0_14default_configENS1_25partition_config_selectorILNS1_17partition_subalgoE8EiNS0_10empty_typeEbEEZZNS1_14partition_implILS5_8ELb0ES3_jPKiPS6_PKS6_NS0_5tupleIJPiS6_EEENSE_IJSB_SB_EEENS0_18inequality_wrapperIN6hipcub16HIPCUB_304000_NS8EqualityEEEPlJS6_EEE10hipError_tPvRmT3_T4_T5_T6_T7_T9_mT8_P12ihipStream_tbDpT10_ENKUlT_T0_E_clISt17integral_constantIbLb1EES17_EEDaS12_S13_EUlS12_E_NS1_11comp_targetILNS1_3genE8ELNS1_11target_archE1030ELNS1_3gpuE2ELNS1_3repE0EEENS1_30default_config_static_selectorELNS0_4arch9wavefront6targetE0EEEvT1_ ; -- Begin function _ZN7rocprim17ROCPRIM_400000_NS6detail17trampoline_kernelINS0_14default_configENS1_25partition_config_selectorILNS1_17partition_subalgoE8EiNS0_10empty_typeEbEEZZNS1_14partition_implILS5_8ELb0ES3_jPKiPS6_PKS6_NS0_5tupleIJPiS6_EEENSE_IJSB_SB_EEENS0_18inequality_wrapperIN6hipcub16HIPCUB_304000_NS8EqualityEEEPlJS6_EEE10hipError_tPvRmT3_T4_T5_T6_T7_T9_mT8_P12ihipStream_tbDpT10_ENKUlT_T0_E_clISt17integral_constantIbLb1EES17_EEDaS12_S13_EUlS12_E_NS1_11comp_targetILNS1_3genE8ELNS1_11target_archE1030ELNS1_3gpuE2ELNS1_3repE0EEENS1_30default_config_static_selectorELNS0_4arch9wavefront6targetE0EEEvT1_
	.globl	_ZN7rocprim17ROCPRIM_400000_NS6detail17trampoline_kernelINS0_14default_configENS1_25partition_config_selectorILNS1_17partition_subalgoE8EiNS0_10empty_typeEbEEZZNS1_14partition_implILS5_8ELb0ES3_jPKiPS6_PKS6_NS0_5tupleIJPiS6_EEENSE_IJSB_SB_EEENS0_18inequality_wrapperIN6hipcub16HIPCUB_304000_NS8EqualityEEEPlJS6_EEE10hipError_tPvRmT3_T4_T5_T6_T7_T9_mT8_P12ihipStream_tbDpT10_ENKUlT_T0_E_clISt17integral_constantIbLb1EES17_EEDaS12_S13_EUlS12_E_NS1_11comp_targetILNS1_3genE8ELNS1_11target_archE1030ELNS1_3gpuE2ELNS1_3repE0EEENS1_30default_config_static_selectorELNS0_4arch9wavefront6targetE0EEEvT1_
	.p2align	8
	.type	_ZN7rocprim17ROCPRIM_400000_NS6detail17trampoline_kernelINS0_14default_configENS1_25partition_config_selectorILNS1_17partition_subalgoE8EiNS0_10empty_typeEbEEZZNS1_14partition_implILS5_8ELb0ES3_jPKiPS6_PKS6_NS0_5tupleIJPiS6_EEENSE_IJSB_SB_EEENS0_18inequality_wrapperIN6hipcub16HIPCUB_304000_NS8EqualityEEEPlJS6_EEE10hipError_tPvRmT3_T4_T5_T6_T7_T9_mT8_P12ihipStream_tbDpT10_ENKUlT_T0_E_clISt17integral_constantIbLb1EES17_EEDaS12_S13_EUlS12_E_NS1_11comp_targetILNS1_3genE8ELNS1_11target_archE1030ELNS1_3gpuE2ELNS1_3repE0EEENS1_30default_config_static_selectorELNS0_4arch9wavefront6targetE0EEEvT1_,@function
_ZN7rocprim17ROCPRIM_400000_NS6detail17trampoline_kernelINS0_14default_configENS1_25partition_config_selectorILNS1_17partition_subalgoE8EiNS0_10empty_typeEbEEZZNS1_14partition_implILS5_8ELb0ES3_jPKiPS6_PKS6_NS0_5tupleIJPiS6_EEENSE_IJSB_SB_EEENS0_18inequality_wrapperIN6hipcub16HIPCUB_304000_NS8EqualityEEEPlJS6_EEE10hipError_tPvRmT3_T4_T5_T6_T7_T9_mT8_P12ihipStream_tbDpT10_ENKUlT_T0_E_clISt17integral_constantIbLb1EES17_EEDaS12_S13_EUlS12_E_NS1_11comp_targetILNS1_3genE8ELNS1_11target_archE1030ELNS1_3gpuE2ELNS1_3repE0EEENS1_30default_config_static_selectorELNS0_4arch9wavefront6targetE0EEEvT1_: ; @_ZN7rocprim17ROCPRIM_400000_NS6detail17trampoline_kernelINS0_14default_configENS1_25partition_config_selectorILNS1_17partition_subalgoE8EiNS0_10empty_typeEbEEZZNS1_14partition_implILS5_8ELb0ES3_jPKiPS6_PKS6_NS0_5tupleIJPiS6_EEENSE_IJSB_SB_EEENS0_18inequality_wrapperIN6hipcub16HIPCUB_304000_NS8EqualityEEEPlJS6_EEE10hipError_tPvRmT3_T4_T5_T6_T7_T9_mT8_P12ihipStream_tbDpT10_ENKUlT_T0_E_clISt17integral_constantIbLb1EES17_EEDaS12_S13_EUlS12_E_NS1_11comp_targetILNS1_3genE8ELNS1_11target_archE1030ELNS1_3gpuE2ELNS1_3repE0EEENS1_30default_config_static_selectorELNS0_4arch9wavefront6targetE0EEEvT1_
; %bb.0:
	.section	.rodata,"a",@progbits
	.p2align	6, 0x0
	.amdhsa_kernel _ZN7rocprim17ROCPRIM_400000_NS6detail17trampoline_kernelINS0_14default_configENS1_25partition_config_selectorILNS1_17partition_subalgoE8EiNS0_10empty_typeEbEEZZNS1_14partition_implILS5_8ELb0ES3_jPKiPS6_PKS6_NS0_5tupleIJPiS6_EEENSE_IJSB_SB_EEENS0_18inequality_wrapperIN6hipcub16HIPCUB_304000_NS8EqualityEEEPlJS6_EEE10hipError_tPvRmT3_T4_T5_T6_T7_T9_mT8_P12ihipStream_tbDpT10_ENKUlT_T0_E_clISt17integral_constantIbLb1EES17_EEDaS12_S13_EUlS12_E_NS1_11comp_targetILNS1_3genE8ELNS1_11target_archE1030ELNS1_3gpuE2ELNS1_3repE0EEENS1_30default_config_static_selectorELNS0_4arch9wavefront6targetE0EEEvT1_
		.amdhsa_group_segment_fixed_size 0
		.amdhsa_private_segment_fixed_size 0
		.amdhsa_kernarg_size 128
		.amdhsa_user_sgpr_count 2
		.amdhsa_user_sgpr_dispatch_ptr 0
		.amdhsa_user_sgpr_queue_ptr 0
		.amdhsa_user_sgpr_kernarg_segment_ptr 1
		.amdhsa_user_sgpr_dispatch_id 0
		.amdhsa_user_sgpr_kernarg_preload_length 0
		.amdhsa_user_sgpr_kernarg_preload_offset 0
		.amdhsa_user_sgpr_private_segment_size 0
		.amdhsa_wavefront_size32 1
		.amdhsa_uses_dynamic_stack 0
		.amdhsa_enable_private_segment 0
		.amdhsa_system_sgpr_workgroup_id_x 1
		.amdhsa_system_sgpr_workgroup_id_y 0
		.amdhsa_system_sgpr_workgroup_id_z 0
		.amdhsa_system_sgpr_workgroup_info 0
		.amdhsa_system_vgpr_workitem_id 0
		.amdhsa_next_free_vgpr 1
		.amdhsa_next_free_sgpr 1
		.amdhsa_named_barrier_count 0
		.amdhsa_reserve_vcc 0
		.amdhsa_float_round_mode_32 0
		.amdhsa_float_round_mode_16_64 0
		.amdhsa_float_denorm_mode_32 3
		.amdhsa_float_denorm_mode_16_64 3
		.amdhsa_fp16_overflow 0
		.amdhsa_memory_ordered 1
		.amdhsa_forward_progress 1
		.amdhsa_inst_pref_size 0
		.amdhsa_round_robin_scheduling 0
		.amdhsa_exception_fp_ieee_invalid_op 0
		.amdhsa_exception_fp_denorm_src 0
		.amdhsa_exception_fp_ieee_div_zero 0
		.amdhsa_exception_fp_ieee_overflow 0
		.amdhsa_exception_fp_ieee_underflow 0
		.amdhsa_exception_fp_ieee_inexact 0
		.amdhsa_exception_int_div_zero 0
	.end_amdhsa_kernel
	.section	.text._ZN7rocprim17ROCPRIM_400000_NS6detail17trampoline_kernelINS0_14default_configENS1_25partition_config_selectorILNS1_17partition_subalgoE8EiNS0_10empty_typeEbEEZZNS1_14partition_implILS5_8ELb0ES3_jPKiPS6_PKS6_NS0_5tupleIJPiS6_EEENSE_IJSB_SB_EEENS0_18inequality_wrapperIN6hipcub16HIPCUB_304000_NS8EqualityEEEPlJS6_EEE10hipError_tPvRmT3_T4_T5_T6_T7_T9_mT8_P12ihipStream_tbDpT10_ENKUlT_T0_E_clISt17integral_constantIbLb1EES17_EEDaS12_S13_EUlS12_E_NS1_11comp_targetILNS1_3genE8ELNS1_11target_archE1030ELNS1_3gpuE2ELNS1_3repE0EEENS1_30default_config_static_selectorELNS0_4arch9wavefront6targetE0EEEvT1_,"axG",@progbits,_ZN7rocprim17ROCPRIM_400000_NS6detail17trampoline_kernelINS0_14default_configENS1_25partition_config_selectorILNS1_17partition_subalgoE8EiNS0_10empty_typeEbEEZZNS1_14partition_implILS5_8ELb0ES3_jPKiPS6_PKS6_NS0_5tupleIJPiS6_EEENSE_IJSB_SB_EEENS0_18inequality_wrapperIN6hipcub16HIPCUB_304000_NS8EqualityEEEPlJS6_EEE10hipError_tPvRmT3_T4_T5_T6_T7_T9_mT8_P12ihipStream_tbDpT10_ENKUlT_T0_E_clISt17integral_constantIbLb1EES17_EEDaS12_S13_EUlS12_E_NS1_11comp_targetILNS1_3genE8ELNS1_11target_archE1030ELNS1_3gpuE2ELNS1_3repE0EEENS1_30default_config_static_selectorELNS0_4arch9wavefront6targetE0EEEvT1_,comdat
.Lfunc_end425:
	.size	_ZN7rocprim17ROCPRIM_400000_NS6detail17trampoline_kernelINS0_14default_configENS1_25partition_config_selectorILNS1_17partition_subalgoE8EiNS0_10empty_typeEbEEZZNS1_14partition_implILS5_8ELb0ES3_jPKiPS6_PKS6_NS0_5tupleIJPiS6_EEENSE_IJSB_SB_EEENS0_18inequality_wrapperIN6hipcub16HIPCUB_304000_NS8EqualityEEEPlJS6_EEE10hipError_tPvRmT3_T4_T5_T6_T7_T9_mT8_P12ihipStream_tbDpT10_ENKUlT_T0_E_clISt17integral_constantIbLb1EES17_EEDaS12_S13_EUlS12_E_NS1_11comp_targetILNS1_3genE8ELNS1_11target_archE1030ELNS1_3gpuE2ELNS1_3repE0EEENS1_30default_config_static_selectorELNS0_4arch9wavefront6targetE0EEEvT1_, .Lfunc_end425-_ZN7rocprim17ROCPRIM_400000_NS6detail17trampoline_kernelINS0_14default_configENS1_25partition_config_selectorILNS1_17partition_subalgoE8EiNS0_10empty_typeEbEEZZNS1_14partition_implILS5_8ELb0ES3_jPKiPS6_PKS6_NS0_5tupleIJPiS6_EEENSE_IJSB_SB_EEENS0_18inequality_wrapperIN6hipcub16HIPCUB_304000_NS8EqualityEEEPlJS6_EEE10hipError_tPvRmT3_T4_T5_T6_T7_T9_mT8_P12ihipStream_tbDpT10_ENKUlT_T0_E_clISt17integral_constantIbLb1EES17_EEDaS12_S13_EUlS12_E_NS1_11comp_targetILNS1_3genE8ELNS1_11target_archE1030ELNS1_3gpuE2ELNS1_3repE0EEENS1_30default_config_static_selectorELNS0_4arch9wavefront6targetE0EEEvT1_
                                        ; -- End function
	.set _ZN7rocprim17ROCPRIM_400000_NS6detail17trampoline_kernelINS0_14default_configENS1_25partition_config_selectorILNS1_17partition_subalgoE8EiNS0_10empty_typeEbEEZZNS1_14partition_implILS5_8ELb0ES3_jPKiPS6_PKS6_NS0_5tupleIJPiS6_EEENSE_IJSB_SB_EEENS0_18inequality_wrapperIN6hipcub16HIPCUB_304000_NS8EqualityEEEPlJS6_EEE10hipError_tPvRmT3_T4_T5_T6_T7_T9_mT8_P12ihipStream_tbDpT10_ENKUlT_T0_E_clISt17integral_constantIbLb1EES17_EEDaS12_S13_EUlS12_E_NS1_11comp_targetILNS1_3genE8ELNS1_11target_archE1030ELNS1_3gpuE2ELNS1_3repE0EEENS1_30default_config_static_selectorELNS0_4arch9wavefront6targetE0EEEvT1_.num_vgpr, 0
	.set _ZN7rocprim17ROCPRIM_400000_NS6detail17trampoline_kernelINS0_14default_configENS1_25partition_config_selectorILNS1_17partition_subalgoE8EiNS0_10empty_typeEbEEZZNS1_14partition_implILS5_8ELb0ES3_jPKiPS6_PKS6_NS0_5tupleIJPiS6_EEENSE_IJSB_SB_EEENS0_18inequality_wrapperIN6hipcub16HIPCUB_304000_NS8EqualityEEEPlJS6_EEE10hipError_tPvRmT3_T4_T5_T6_T7_T9_mT8_P12ihipStream_tbDpT10_ENKUlT_T0_E_clISt17integral_constantIbLb1EES17_EEDaS12_S13_EUlS12_E_NS1_11comp_targetILNS1_3genE8ELNS1_11target_archE1030ELNS1_3gpuE2ELNS1_3repE0EEENS1_30default_config_static_selectorELNS0_4arch9wavefront6targetE0EEEvT1_.num_agpr, 0
	.set _ZN7rocprim17ROCPRIM_400000_NS6detail17trampoline_kernelINS0_14default_configENS1_25partition_config_selectorILNS1_17partition_subalgoE8EiNS0_10empty_typeEbEEZZNS1_14partition_implILS5_8ELb0ES3_jPKiPS6_PKS6_NS0_5tupleIJPiS6_EEENSE_IJSB_SB_EEENS0_18inequality_wrapperIN6hipcub16HIPCUB_304000_NS8EqualityEEEPlJS6_EEE10hipError_tPvRmT3_T4_T5_T6_T7_T9_mT8_P12ihipStream_tbDpT10_ENKUlT_T0_E_clISt17integral_constantIbLb1EES17_EEDaS12_S13_EUlS12_E_NS1_11comp_targetILNS1_3genE8ELNS1_11target_archE1030ELNS1_3gpuE2ELNS1_3repE0EEENS1_30default_config_static_selectorELNS0_4arch9wavefront6targetE0EEEvT1_.numbered_sgpr, 0
	.set _ZN7rocprim17ROCPRIM_400000_NS6detail17trampoline_kernelINS0_14default_configENS1_25partition_config_selectorILNS1_17partition_subalgoE8EiNS0_10empty_typeEbEEZZNS1_14partition_implILS5_8ELb0ES3_jPKiPS6_PKS6_NS0_5tupleIJPiS6_EEENSE_IJSB_SB_EEENS0_18inequality_wrapperIN6hipcub16HIPCUB_304000_NS8EqualityEEEPlJS6_EEE10hipError_tPvRmT3_T4_T5_T6_T7_T9_mT8_P12ihipStream_tbDpT10_ENKUlT_T0_E_clISt17integral_constantIbLb1EES17_EEDaS12_S13_EUlS12_E_NS1_11comp_targetILNS1_3genE8ELNS1_11target_archE1030ELNS1_3gpuE2ELNS1_3repE0EEENS1_30default_config_static_selectorELNS0_4arch9wavefront6targetE0EEEvT1_.num_named_barrier, 0
	.set _ZN7rocprim17ROCPRIM_400000_NS6detail17trampoline_kernelINS0_14default_configENS1_25partition_config_selectorILNS1_17partition_subalgoE8EiNS0_10empty_typeEbEEZZNS1_14partition_implILS5_8ELb0ES3_jPKiPS6_PKS6_NS0_5tupleIJPiS6_EEENSE_IJSB_SB_EEENS0_18inequality_wrapperIN6hipcub16HIPCUB_304000_NS8EqualityEEEPlJS6_EEE10hipError_tPvRmT3_T4_T5_T6_T7_T9_mT8_P12ihipStream_tbDpT10_ENKUlT_T0_E_clISt17integral_constantIbLb1EES17_EEDaS12_S13_EUlS12_E_NS1_11comp_targetILNS1_3genE8ELNS1_11target_archE1030ELNS1_3gpuE2ELNS1_3repE0EEENS1_30default_config_static_selectorELNS0_4arch9wavefront6targetE0EEEvT1_.private_seg_size, 0
	.set _ZN7rocprim17ROCPRIM_400000_NS6detail17trampoline_kernelINS0_14default_configENS1_25partition_config_selectorILNS1_17partition_subalgoE8EiNS0_10empty_typeEbEEZZNS1_14partition_implILS5_8ELb0ES3_jPKiPS6_PKS6_NS0_5tupleIJPiS6_EEENSE_IJSB_SB_EEENS0_18inequality_wrapperIN6hipcub16HIPCUB_304000_NS8EqualityEEEPlJS6_EEE10hipError_tPvRmT3_T4_T5_T6_T7_T9_mT8_P12ihipStream_tbDpT10_ENKUlT_T0_E_clISt17integral_constantIbLb1EES17_EEDaS12_S13_EUlS12_E_NS1_11comp_targetILNS1_3genE8ELNS1_11target_archE1030ELNS1_3gpuE2ELNS1_3repE0EEENS1_30default_config_static_selectorELNS0_4arch9wavefront6targetE0EEEvT1_.uses_vcc, 0
	.set _ZN7rocprim17ROCPRIM_400000_NS6detail17trampoline_kernelINS0_14default_configENS1_25partition_config_selectorILNS1_17partition_subalgoE8EiNS0_10empty_typeEbEEZZNS1_14partition_implILS5_8ELb0ES3_jPKiPS6_PKS6_NS0_5tupleIJPiS6_EEENSE_IJSB_SB_EEENS0_18inequality_wrapperIN6hipcub16HIPCUB_304000_NS8EqualityEEEPlJS6_EEE10hipError_tPvRmT3_T4_T5_T6_T7_T9_mT8_P12ihipStream_tbDpT10_ENKUlT_T0_E_clISt17integral_constantIbLb1EES17_EEDaS12_S13_EUlS12_E_NS1_11comp_targetILNS1_3genE8ELNS1_11target_archE1030ELNS1_3gpuE2ELNS1_3repE0EEENS1_30default_config_static_selectorELNS0_4arch9wavefront6targetE0EEEvT1_.uses_flat_scratch, 0
	.set _ZN7rocprim17ROCPRIM_400000_NS6detail17trampoline_kernelINS0_14default_configENS1_25partition_config_selectorILNS1_17partition_subalgoE8EiNS0_10empty_typeEbEEZZNS1_14partition_implILS5_8ELb0ES3_jPKiPS6_PKS6_NS0_5tupleIJPiS6_EEENSE_IJSB_SB_EEENS0_18inequality_wrapperIN6hipcub16HIPCUB_304000_NS8EqualityEEEPlJS6_EEE10hipError_tPvRmT3_T4_T5_T6_T7_T9_mT8_P12ihipStream_tbDpT10_ENKUlT_T0_E_clISt17integral_constantIbLb1EES17_EEDaS12_S13_EUlS12_E_NS1_11comp_targetILNS1_3genE8ELNS1_11target_archE1030ELNS1_3gpuE2ELNS1_3repE0EEENS1_30default_config_static_selectorELNS0_4arch9wavefront6targetE0EEEvT1_.has_dyn_sized_stack, 0
	.set _ZN7rocprim17ROCPRIM_400000_NS6detail17trampoline_kernelINS0_14default_configENS1_25partition_config_selectorILNS1_17partition_subalgoE8EiNS0_10empty_typeEbEEZZNS1_14partition_implILS5_8ELb0ES3_jPKiPS6_PKS6_NS0_5tupleIJPiS6_EEENSE_IJSB_SB_EEENS0_18inequality_wrapperIN6hipcub16HIPCUB_304000_NS8EqualityEEEPlJS6_EEE10hipError_tPvRmT3_T4_T5_T6_T7_T9_mT8_P12ihipStream_tbDpT10_ENKUlT_T0_E_clISt17integral_constantIbLb1EES17_EEDaS12_S13_EUlS12_E_NS1_11comp_targetILNS1_3genE8ELNS1_11target_archE1030ELNS1_3gpuE2ELNS1_3repE0EEENS1_30default_config_static_selectorELNS0_4arch9wavefront6targetE0EEEvT1_.has_recursion, 0
	.set _ZN7rocprim17ROCPRIM_400000_NS6detail17trampoline_kernelINS0_14default_configENS1_25partition_config_selectorILNS1_17partition_subalgoE8EiNS0_10empty_typeEbEEZZNS1_14partition_implILS5_8ELb0ES3_jPKiPS6_PKS6_NS0_5tupleIJPiS6_EEENSE_IJSB_SB_EEENS0_18inequality_wrapperIN6hipcub16HIPCUB_304000_NS8EqualityEEEPlJS6_EEE10hipError_tPvRmT3_T4_T5_T6_T7_T9_mT8_P12ihipStream_tbDpT10_ENKUlT_T0_E_clISt17integral_constantIbLb1EES17_EEDaS12_S13_EUlS12_E_NS1_11comp_targetILNS1_3genE8ELNS1_11target_archE1030ELNS1_3gpuE2ELNS1_3repE0EEENS1_30default_config_static_selectorELNS0_4arch9wavefront6targetE0EEEvT1_.has_indirect_call, 0
	.section	.AMDGPU.csdata,"",@progbits
; Kernel info:
; codeLenInByte = 0
; TotalNumSgprs: 0
; NumVgprs: 0
; ScratchSize: 0
; MemoryBound: 0
; FloatMode: 240
; IeeeMode: 1
; LDSByteSize: 0 bytes/workgroup (compile time only)
; SGPRBlocks: 0
; VGPRBlocks: 0
; NumSGPRsForWavesPerEU: 1
; NumVGPRsForWavesPerEU: 1
; NamedBarCnt: 0
; Occupancy: 16
; WaveLimiterHint : 0
; COMPUTE_PGM_RSRC2:SCRATCH_EN: 0
; COMPUTE_PGM_RSRC2:USER_SGPR: 2
; COMPUTE_PGM_RSRC2:TRAP_HANDLER: 0
; COMPUTE_PGM_RSRC2:TGID_X_EN: 1
; COMPUTE_PGM_RSRC2:TGID_Y_EN: 0
; COMPUTE_PGM_RSRC2:TGID_Z_EN: 0
; COMPUTE_PGM_RSRC2:TIDIG_COMP_CNT: 0
	.section	.text._ZN7rocprim17ROCPRIM_400000_NS6detail17trampoline_kernelINS0_14default_configENS1_25partition_config_selectorILNS1_17partition_subalgoE8EiNS0_10empty_typeEbEEZZNS1_14partition_implILS5_8ELb0ES3_jPKiPS6_PKS6_NS0_5tupleIJPiS6_EEENSE_IJSB_SB_EEENS0_18inequality_wrapperIN6hipcub16HIPCUB_304000_NS8EqualityEEEPlJS6_EEE10hipError_tPvRmT3_T4_T5_T6_T7_T9_mT8_P12ihipStream_tbDpT10_ENKUlT_T0_E_clISt17integral_constantIbLb1EES16_IbLb0EEEEDaS12_S13_EUlS12_E_NS1_11comp_targetILNS1_3genE0ELNS1_11target_archE4294967295ELNS1_3gpuE0ELNS1_3repE0EEENS1_30default_config_static_selectorELNS0_4arch9wavefront6targetE0EEEvT1_,"axG",@progbits,_ZN7rocprim17ROCPRIM_400000_NS6detail17trampoline_kernelINS0_14default_configENS1_25partition_config_selectorILNS1_17partition_subalgoE8EiNS0_10empty_typeEbEEZZNS1_14partition_implILS5_8ELb0ES3_jPKiPS6_PKS6_NS0_5tupleIJPiS6_EEENSE_IJSB_SB_EEENS0_18inequality_wrapperIN6hipcub16HIPCUB_304000_NS8EqualityEEEPlJS6_EEE10hipError_tPvRmT3_T4_T5_T6_T7_T9_mT8_P12ihipStream_tbDpT10_ENKUlT_T0_E_clISt17integral_constantIbLb1EES16_IbLb0EEEEDaS12_S13_EUlS12_E_NS1_11comp_targetILNS1_3genE0ELNS1_11target_archE4294967295ELNS1_3gpuE0ELNS1_3repE0EEENS1_30default_config_static_selectorELNS0_4arch9wavefront6targetE0EEEvT1_,comdat
	.protected	_ZN7rocprim17ROCPRIM_400000_NS6detail17trampoline_kernelINS0_14default_configENS1_25partition_config_selectorILNS1_17partition_subalgoE8EiNS0_10empty_typeEbEEZZNS1_14partition_implILS5_8ELb0ES3_jPKiPS6_PKS6_NS0_5tupleIJPiS6_EEENSE_IJSB_SB_EEENS0_18inequality_wrapperIN6hipcub16HIPCUB_304000_NS8EqualityEEEPlJS6_EEE10hipError_tPvRmT3_T4_T5_T6_T7_T9_mT8_P12ihipStream_tbDpT10_ENKUlT_T0_E_clISt17integral_constantIbLb1EES16_IbLb0EEEEDaS12_S13_EUlS12_E_NS1_11comp_targetILNS1_3genE0ELNS1_11target_archE4294967295ELNS1_3gpuE0ELNS1_3repE0EEENS1_30default_config_static_selectorELNS0_4arch9wavefront6targetE0EEEvT1_ ; -- Begin function _ZN7rocprim17ROCPRIM_400000_NS6detail17trampoline_kernelINS0_14default_configENS1_25partition_config_selectorILNS1_17partition_subalgoE8EiNS0_10empty_typeEbEEZZNS1_14partition_implILS5_8ELb0ES3_jPKiPS6_PKS6_NS0_5tupleIJPiS6_EEENSE_IJSB_SB_EEENS0_18inequality_wrapperIN6hipcub16HIPCUB_304000_NS8EqualityEEEPlJS6_EEE10hipError_tPvRmT3_T4_T5_T6_T7_T9_mT8_P12ihipStream_tbDpT10_ENKUlT_T0_E_clISt17integral_constantIbLb1EES16_IbLb0EEEEDaS12_S13_EUlS12_E_NS1_11comp_targetILNS1_3genE0ELNS1_11target_archE4294967295ELNS1_3gpuE0ELNS1_3repE0EEENS1_30default_config_static_selectorELNS0_4arch9wavefront6targetE0EEEvT1_
	.globl	_ZN7rocprim17ROCPRIM_400000_NS6detail17trampoline_kernelINS0_14default_configENS1_25partition_config_selectorILNS1_17partition_subalgoE8EiNS0_10empty_typeEbEEZZNS1_14partition_implILS5_8ELb0ES3_jPKiPS6_PKS6_NS0_5tupleIJPiS6_EEENSE_IJSB_SB_EEENS0_18inequality_wrapperIN6hipcub16HIPCUB_304000_NS8EqualityEEEPlJS6_EEE10hipError_tPvRmT3_T4_T5_T6_T7_T9_mT8_P12ihipStream_tbDpT10_ENKUlT_T0_E_clISt17integral_constantIbLb1EES16_IbLb0EEEEDaS12_S13_EUlS12_E_NS1_11comp_targetILNS1_3genE0ELNS1_11target_archE4294967295ELNS1_3gpuE0ELNS1_3repE0EEENS1_30default_config_static_selectorELNS0_4arch9wavefront6targetE0EEEvT1_
	.p2align	8
	.type	_ZN7rocprim17ROCPRIM_400000_NS6detail17trampoline_kernelINS0_14default_configENS1_25partition_config_selectorILNS1_17partition_subalgoE8EiNS0_10empty_typeEbEEZZNS1_14partition_implILS5_8ELb0ES3_jPKiPS6_PKS6_NS0_5tupleIJPiS6_EEENSE_IJSB_SB_EEENS0_18inequality_wrapperIN6hipcub16HIPCUB_304000_NS8EqualityEEEPlJS6_EEE10hipError_tPvRmT3_T4_T5_T6_T7_T9_mT8_P12ihipStream_tbDpT10_ENKUlT_T0_E_clISt17integral_constantIbLb1EES16_IbLb0EEEEDaS12_S13_EUlS12_E_NS1_11comp_targetILNS1_3genE0ELNS1_11target_archE4294967295ELNS1_3gpuE0ELNS1_3repE0EEENS1_30default_config_static_selectorELNS0_4arch9wavefront6targetE0EEEvT1_,@function
_ZN7rocprim17ROCPRIM_400000_NS6detail17trampoline_kernelINS0_14default_configENS1_25partition_config_selectorILNS1_17partition_subalgoE8EiNS0_10empty_typeEbEEZZNS1_14partition_implILS5_8ELb0ES3_jPKiPS6_PKS6_NS0_5tupleIJPiS6_EEENSE_IJSB_SB_EEENS0_18inequality_wrapperIN6hipcub16HIPCUB_304000_NS8EqualityEEEPlJS6_EEE10hipError_tPvRmT3_T4_T5_T6_T7_T9_mT8_P12ihipStream_tbDpT10_ENKUlT_T0_E_clISt17integral_constantIbLb1EES16_IbLb0EEEEDaS12_S13_EUlS12_E_NS1_11comp_targetILNS1_3genE0ELNS1_11target_archE4294967295ELNS1_3gpuE0ELNS1_3repE0EEENS1_30default_config_static_selectorELNS0_4arch9wavefront6targetE0EEEvT1_: ; @_ZN7rocprim17ROCPRIM_400000_NS6detail17trampoline_kernelINS0_14default_configENS1_25partition_config_selectorILNS1_17partition_subalgoE8EiNS0_10empty_typeEbEEZZNS1_14partition_implILS5_8ELb0ES3_jPKiPS6_PKS6_NS0_5tupleIJPiS6_EEENSE_IJSB_SB_EEENS0_18inequality_wrapperIN6hipcub16HIPCUB_304000_NS8EqualityEEEPlJS6_EEE10hipError_tPvRmT3_T4_T5_T6_T7_T9_mT8_P12ihipStream_tbDpT10_ENKUlT_T0_E_clISt17integral_constantIbLb1EES16_IbLb0EEEEDaS12_S13_EUlS12_E_NS1_11comp_targetILNS1_3genE0ELNS1_11target_archE4294967295ELNS1_3gpuE0ELNS1_3repE0EEENS1_30default_config_static_selectorELNS0_4arch9wavefront6targetE0EEEvT1_
; %bb.0:
	s_endpgm
	.section	.rodata,"a",@progbits
	.p2align	6, 0x0
	.amdhsa_kernel _ZN7rocprim17ROCPRIM_400000_NS6detail17trampoline_kernelINS0_14default_configENS1_25partition_config_selectorILNS1_17partition_subalgoE8EiNS0_10empty_typeEbEEZZNS1_14partition_implILS5_8ELb0ES3_jPKiPS6_PKS6_NS0_5tupleIJPiS6_EEENSE_IJSB_SB_EEENS0_18inequality_wrapperIN6hipcub16HIPCUB_304000_NS8EqualityEEEPlJS6_EEE10hipError_tPvRmT3_T4_T5_T6_T7_T9_mT8_P12ihipStream_tbDpT10_ENKUlT_T0_E_clISt17integral_constantIbLb1EES16_IbLb0EEEEDaS12_S13_EUlS12_E_NS1_11comp_targetILNS1_3genE0ELNS1_11target_archE4294967295ELNS1_3gpuE0ELNS1_3repE0EEENS1_30default_config_static_selectorELNS0_4arch9wavefront6targetE0EEEvT1_
		.amdhsa_group_segment_fixed_size 0
		.amdhsa_private_segment_fixed_size 0
		.amdhsa_kernarg_size 112
		.amdhsa_user_sgpr_count 2
		.amdhsa_user_sgpr_dispatch_ptr 0
		.amdhsa_user_sgpr_queue_ptr 0
		.amdhsa_user_sgpr_kernarg_segment_ptr 1
		.amdhsa_user_sgpr_dispatch_id 0
		.amdhsa_user_sgpr_kernarg_preload_length 0
		.amdhsa_user_sgpr_kernarg_preload_offset 0
		.amdhsa_user_sgpr_private_segment_size 0
		.amdhsa_wavefront_size32 1
		.amdhsa_uses_dynamic_stack 0
		.amdhsa_enable_private_segment 0
		.amdhsa_system_sgpr_workgroup_id_x 1
		.amdhsa_system_sgpr_workgroup_id_y 0
		.amdhsa_system_sgpr_workgroup_id_z 0
		.amdhsa_system_sgpr_workgroup_info 0
		.amdhsa_system_vgpr_workitem_id 0
		.amdhsa_next_free_vgpr 1
		.amdhsa_next_free_sgpr 1
		.amdhsa_named_barrier_count 0
		.amdhsa_reserve_vcc 0
		.amdhsa_float_round_mode_32 0
		.amdhsa_float_round_mode_16_64 0
		.amdhsa_float_denorm_mode_32 3
		.amdhsa_float_denorm_mode_16_64 3
		.amdhsa_fp16_overflow 0
		.amdhsa_memory_ordered 1
		.amdhsa_forward_progress 1
		.amdhsa_inst_pref_size 1
		.amdhsa_round_robin_scheduling 0
		.amdhsa_exception_fp_ieee_invalid_op 0
		.amdhsa_exception_fp_denorm_src 0
		.amdhsa_exception_fp_ieee_div_zero 0
		.amdhsa_exception_fp_ieee_overflow 0
		.amdhsa_exception_fp_ieee_underflow 0
		.amdhsa_exception_fp_ieee_inexact 0
		.amdhsa_exception_int_div_zero 0
	.end_amdhsa_kernel
	.section	.text._ZN7rocprim17ROCPRIM_400000_NS6detail17trampoline_kernelINS0_14default_configENS1_25partition_config_selectorILNS1_17partition_subalgoE8EiNS0_10empty_typeEbEEZZNS1_14partition_implILS5_8ELb0ES3_jPKiPS6_PKS6_NS0_5tupleIJPiS6_EEENSE_IJSB_SB_EEENS0_18inequality_wrapperIN6hipcub16HIPCUB_304000_NS8EqualityEEEPlJS6_EEE10hipError_tPvRmT3_T4_T5_T6_T7_T9_mT8_P12ihipStream_tbDpT10_ENKUlT_T0_E_clISt17integral_constantIbLb1EES16_IbLb0EEEEDaS12_S13_EUlS12_E_NS1_11comp_targetILNS1_3genE0ELNS1_11target_archE4294967295ELNS1_3gpuE0ELNS1_3repE0EEENS1_30default_config_static_selectorELNS0_4arch9wavefront6targetE0EEEvT1_,"axG",@progbits,_ZN7rocprim17ROCPRIM_400000_NS6detail17trampoline_kernelINS0_14default_configENS1_25partition_config_selectorILNS1_17partition_subalgoE8EiNS0_10empty_typeEbEEZZNS1_14partition_implILS5_8ELb0ES3_jPKiPS6_PKS6_NS0_5tupleIJPiS6_EEENSE_IJSB_SB_EEENS0_18inequality_wrapperIN6hipcub16HIPCUB_304000_NS8EqualityEEEPlJS6_EEE10hipError_tPvRmT3_T4_T5_T6_T7_T9_mT8_P12ihipStream_tbDpT10_ENKUlT_T0_E_clISt17integral_constantIbLb1EES16_IbLb0EEEEDaS12_S13_EUlS12_E_NS1_11comp_targetILNS1_3genE0ELNS1_11target_archE4294967295ELNS1_3gpuE0ELNS1_3repE0EEENS1_30default_config_static_selectorELNS0_4arch9wavefront6targetE0EEEvT1_,comdat
.Lfunc_end426:
	.size	_ZN7rocprim17ROCPRIM_400000_NS6detail17trampoline_kernelINS0_14default_configENS1_25partition_config_selectorILNS1_17partition_subalgoE8EiNS0_10empty_typeEbEEZZNS1_14partition_implILS5_8ELb0ES3_jPKiPS6_PKS6_NS0_5tupleIJPiS6_EEENSE_IJSB_SB_EEENS0_18inequality_wrapperIN6hipcub16HIPCUB_304000_NS8EqualityEEEPlJS6_EEE10hipError_tPvRmT3_T4_T5_T6_T7_T9_mT8_P12ihipStream_tbDpT10_ENKUlT_T0_E_clISt17integral_constantIbLb1EES16_IbLb0EEEEDaS12_S13_EUlS12_E_NS1_11comp_targetILNS1_3genE0ELNS1_11target_archE4294967295ELNS1_3gpuE0ELNS1_3repE0EEENS1_30default_config_static_selectorELNS0_4arch9wavefront6targetE0EEEvT1_, .Lfunc_end426-_ZN7rocprim17ROCPRIM_400000_NS6detail17trampoline_kernelINS0_14default_configENS1_25partition_config_selectorILNS1_17partition_subalgoE8EiNS0_10empty_typeEbEEZZNS1_14partition_implILS5_8ELb0ES3_jPKiPS6_PKS6_NS0_5tupleIJPiS6_EEENSE_IJSB_SB_EEENS0_18inequality_wrapperIN6hipcub16HIPCUB_304000_NS8EqualityEEEPlJS6_EEE10hipError_tPvRmT3_T4_T5_T6_T7_T9_mT8_P12ihipStream_tbDpT10_ENKUlT_T0_E_clISt17integral_constantIbLb1EES16_IbLb0EEEEDaS12_S13_EUlS12_E_NS1_11comp_targetILNS1_3genE0ELNS1_11target_archE4294967295ELNS1_3gpuE0ELNS1_3repE0EEENS1_30default_config_static_selectorELNS0_4arch9wavefront6targetE0EEEvT1_
                                        ; -- End function
	.set _ZN7rocprim17ROCPRIM_400000_NS6detail17trampoline_kernelINS0_14default_configENS1_25partition_config_selectorILNS1_17partition_subalgoE8EiNS0_10empty_typeEbEEZZNS1_14partition_implILS5_8ELb0ES3_jPKiPS6_PKS6_NS0_5tupleIJPiS6_EEENSE_IJSB_SB_EEENS0_18inequality_wrapperIN6hipcub16HIPCUB_304000_NS8EqualityEEEPlJS6_EEE10hipError_tPvRmT3_T4_T5_T6_T7_T9_mT8_P12ihipStream_tbDpT10_ENKUlT_T0_E_clISt17integral_constantIbLb1EES16_IbLb0EEEEDaS12_S13_EUlS12_E_NS1_11comp_targetILNS1_3genE0ELNS1_11target_archE4294967295ELNS1_3gpuE0ELNS1_3repE0EEENS1_30default_config_static_selectorELNS0_4arch9wavefront6targetE0EEEvT1_.num_vgpr, 0
	.set _ZN7rocprim17ROCPRIM_400000_NS6detail17trampoline_kernelINS0_14default_configENS1_25partition_config_selectorILNS1_17partition_subalgoE8EiNS0_10empty_typeEbEEZZNS1_14partition_implILS5_8ELb0ES3_jPKiPS6_PKS6_NS0_5tupleIJPiS6_EEENSE_IJSB_SB_EEENS0_18inequality_wrapperIN6hipcub16HIPCUB_304000_NS8EqualityEEEPlJS6_EEE10hipError_tPvRmT3_T4_T5_T6_T7_T9_mT8_P12ihipStream_tbDpT10_ENKUlT_T0_E_clISt17integral_constantIbLb1EES16_IbLb0EEEEDaS12_S13_EUlS12_E_NS1_11comp_targetILNS1_3genE0ELNS1_11target_archE4294967295ELNS1_3gpuE0ELNS1_3repE0EEENS1_30default_config_static_selectorELNS0_4arch9wavefront6targetE0EEEvT1_.num_agpr, 0
	.set _ZN7rocprim17ROCPRIM_400000_NS6detail17trampoline_kernelINS0_14default_configENS1_25partition_config_selectorILNS1_17partition_subalgoE8EiNS0_10empty_typeEbEEZZNS1_14partition_implILS5_8ELb0ES3_jPKiPS6_PKS6_NS0_5tupleIJPiS6_EEENSE_IJSB_SB_EEENS0_18inequality_wrapperIN6hipcub16HIPCUB_304000_NS8EqualityEEEPlJS6_EEE10hipError_tPvRmT3_T4_T5_T6_T7_T9_mT8_P12ihipStream_tbDpT10_ENKUlT_T0_E_clISt17integral_constantIbLb1EES16_IbLb0EEEEDaS12_S13_EUlS12_E_NS1_11comp_targetILNS1_3genE0ELNS1_11target_archE4294967295ELNS1_3gpuE0ELNS1_3repE0EEENS1_30default_config_static_selectorELNS0_4arch9wavefront6targetE0EEEvT1_.numbered_sgpr, 0
	.set _ZN7rocprim17ROCPRIM_400000_NS6detail17trampoline_kernelINS0_14default_configENS1_25partition_config_selectorILNS1_17partition_subalgoE8EiNS0_10empty_typeEbEEZZNS1_14partition_implILS5_8ELb0ES3_jPKiPS6_PKS6_NS0_5tupleIJPiS6_EEENSE_IJSB_SB_EEENS0_18inequality_wrapperIN6hipcub16HIPCUB_304000_NS8EqualityEEEPlJS6_EEE10hipError_tPvRmT3_T4_T5_T6_T7_T9_mT8_P12ihipStream_tbDpT10_ENKUlT_T0_E_clISt17integral_constantIbLb1EES16_IbLb0EEEEDaS12_S13_EUlS12_E_NS1_11comp_targetILNS1_3genE0ELNS1_11target_archE4294967295ELNS1_3gpuE0ELNS1_3repE0EEENS1_30default_config_static_selectorELNS0_4arch9wavefront6targetE0EEEvT1_.num_named_barrier, 0
	.set _ZN7rocprim17ROCPRIM_400000_NS6detail17trampoline_kernelINS0_14default_configENS1_25partition_config_selectorILNS1_17partition_subalgoE8EiNS0_10empty_typeEbEEZZNS1_14partition_implILS5_8ELb0ES3_jPKiPS6_PKS6_NS0_5tupleIJPiS6_EEENSE_IJSB_SB_EEENS0_18inequality_wrapperIN6hipcub16HIPCUB_304000_NS8EqualityEEEPlJS6_EEE10hipError_tPvRmT3_T4_T5_T6_T7_T9_mT8_P12ihipStream_tbDpT10_ENKUlT_T0_E_clISt17integral_constantIbLb1EES16_IbLb0EEEEDaS12_S13_EUlS12_E_NS1_11comp_targetILNS1_3genE0ELNS1_11target_archE4294967295ELNS1_3gpuE0ELNS1_3repE0EEENS1_30default_config_static_selectorELNS0_4arch9wavefront6targetE0EEEvT1_.private_seg_size, 0
	.set _ZN7rocprim17ROCPRIM_400000_NS6detail17trampoline_kernelINS0_14default_configENS1_25partition_config_selectorILNS1_17partition_subalgoE8EiNS0_10empty_typeEbEEZZNS1_14partition_implILS5_8ELb0ES3_jPKiPS6_PKS6_NS0_5tupleIJPiS6_EEENSE_IJSB_SB_EEENS0_18inequality_wrapperIN6hipcub16HIPCUB_304000_NS8EqualityEEEPlJS6_EEE10hipError_tPvRmT3_T4_T5_T6_T7_T9_mT8_P12ihipStream_tbDpT10_ENKUlT_T0_E_clISt17integral_constantIbLb1EES16_IbLb0EEEEDaS12_S13_EUlS12_E_NS1_11comp_targetILNS1_3genE0ELNS1_11target_archE4294967295ELNS1_3gpuE0ELNS1_3repE0EEENS1_30default_config_static_selectorELNS0_4arch9wavefront6targetE0EEEvT1_.uses_vcc, 0
	.set _ZN7rocprim17ROCPRIM_400000_NS6detail17trampoline_kernelINS0_14default_configENS1_25partition_config_selectorILNS1_17partition_subalgoE8EiNS0_10empty_typeEbEEZZNS1_14partition_implILS5_8ELb0ES3_jPKiPS6_PKS6_NS0_5tupleIJPiS6_EEENSE_IJSB_SB_EEENS0_18inequality_wrapperIN6hipcub16HIPCUB_304000_NS8EqualityEEEPlJS6_EEE10hipError_tPvRmT3_T4_T5_T6_T7_T9_mT8_P12ihipStream_tbDpT10_ENKUlT_T0_E_clISt17integral_constantIbLb1EES16_IbLb0EEEEDaS12_S13_EUlS12_E_NS1_11comp_targetILNS1_3genE0ELNS1_11target_archE4294967295ELNS1_3gpuE0ELNS1_3repE0EEENS1_30default_config_static_selectorELNS0_4arch9wavefront6targetE0EEEvT1_.uses_flat_scratch, 0
	.set _ZN7rocprim17ROCPRIM_400000_NS6detail17trampoline_kernelINS0_14default_configENS1_25partition_config_selectorILNS1_17partition_subalgoE8EiNS0_10empty_typeEbEEZZNS1_14partition_implILS5_8ELb0ES3_jPKiPS6_PKS6_NS0_5tupleIJPiS6_EEENSE_IJSB_SB_EEENS0_18inequality_wrapperIN6hipcub16HIPCUB_304000_NS8EqualityEEEPlJS6_EEE10hipError_tPvRmT3_T4_T5_T6_T7_T9_mT8_P12ihipStream_tbDpT10_ENKUlT_T0_E_clISt17integral_constantIbLb1EES16_IbLb0EEEEDaS12_S13_EUlS12_E_NS1_11comp_targetILNS1_3genE0ELNS1_11target_archE4294967295ELNS1_3gpuE0ELNS1_3repE0EEENS1_30default_config_static_selectorELNS0_4arch9wavefront6targetE0EEEvT1_.has_dyn_sized_stack, 0
	.set _ZN7rocprim17ROCPRIM_400000_NS6detail17trampoline_kernelINS0_14default_configENS1_25partition_config_selectorILNS1_17partition_subalgoE8EiNS0_10empty_typeEbEEZZNS1_14partition_implILS5_8ELb0ES3_jPKiPS6_PKS6_NS0_5tupleIJPiS6_EEENSE_IJSB_SB_EEENS0_18inequality_wrapperIN6hipcub16HIPCUB_304000_NS8EqualityEEEPlJS6_EEE10hipError_tPvRmT3_T4_T5_T6_T7_T9_mT8_P12ihipStream_tbDpT10_ENKUlT_T0_E_clISt17integral_constantIbLb1EES16_IbLb0EEEEDaS12_S13_EUlS12_E_NS1_11comp_targetILNS1_3genE0ELNS1_11target_archE4294967295ELNS1_3gpuE0ELNS1_3repE0EEENS1_30default_config_static_selectorELNS0_4arch9wavefront6targetE0EEEvT1_.has_recursion, 0
	.set _ZN7rocprim17ROCPRIM_400000_NS6detail17trampoline_kernelINS0_14default_configENS1_25partition_config_selectorILNS1_17partition_subalgoE8EiNS0_10empty_typeEbEEZZNS1_14partition_implILS5_8ELb0ES3_jPKiPS6_PKS6_NS0_5tupleIJPiS6_EEENSE_IJSB_SB_EEENS0_18inequality_wrapperIN6hipcub16HIPCUB_304000_NS8EqualityEEEPlJS6_EEE10hipError_tPvRmT3_T4_T5_T6_T7_T9_mT8_P12ihipStream_tbDpT10_ENKUlT_T0_E_clISt17integral_constantIbLb1EES16_IbLb0EEEEDaS12_S13_EUlS12_E_NS1_11comp_targetILNS1_3genE0ELNS1_11target_archE4294967295ELNS1_3gpuE0ELNS1_3repE0EEENS1_30default_config_static_selectorELNS0_4arch9wavefront6targetE0EEEvT1_.has_indirect_call, 0
	.section	.AMDGPU.csdata,"",@progbits
; Kernel info:
; codeLenInByte = 4
; TotalNumSgprs: 0
; NumVgprs: 0
; ScratchSize: 0
; MemoryBound: 0
; FloatMode: 240
; IeeeMode: 1
; LDSByteSize: 0 bytes/workgroup (compile time only)
; SGPRBlocks: 0
; VGPRBlocks: 0
; NumSGPRsForWavesPerEU: 1
; NumVGPRsForWavesPerEU: 1
; NamedBarCnt: 0
; Occupancy: 16
; WaveLimiterHint : 0
; COMPUTE_PGM_RSRC2:SCRATCH_EN: 0
; COMPUTE_PGM_RSRC2:USER_SGPR: 2
; COMPUTE_PGM_RSRC2:TRAP_HANDLER: 0
; COMPUTE_PGM_RSRC2:TGID_X_EN: 1
; COMPUTE_PGM_RSRC2:TGID_Y_EN: 0
; COMPUTE_PGM_RSRC2:TGID_Z_EN: 0
; COMPUTE_PGM_RSRC2:TIDIG_COMP_CNT: 0
	.section	.text._ZN7rocprim17ROCPRIM_400000_NS6detail17trampoline_kernelINS0_14default_configENS1_25partition_config_selectorILNS1_17partition_subalgoE8EiNS0_10empty_typeEbEEZZNS1_14partition_implILS5_8ELb0ES3_jPKiPS6_PKS6_NS0_5tupleIJPiS6_EEENSE_IJSB_SB_EEENS0_18inequality_wrapperIN6hipcub16HIPCUB_304000_NS8EqualityEEEPlJS6_EEE10hipError_tPvRmT3_T4_T5_T6_T7_T9_mT8_P12ihipStream_tbDpT10_ENKUlT_T0_E_clISt17integral_constantIbLb1EES16_IbLb0EEEEDaS12_S13_EUlS12_E_NS1_11comp_targetILNS1_3genE5ELNS1_11target_archE942ELNS1_3gpuE9ELNS1_3repE0EEENS1_30default_config_static_selectorELNS0_4arch9wavefront6targetE0EEEvT1_,"axG",@progbits,_ZN7rocprim17ROCPRIM_400000_NS6detail17trampoline_kernelINS0_14default_configENS1_25partition_config_selectorILNS1_17partition_subalgoE8EiNS0_10empty_typeEbEEZZNS1_14partition_implILS5_8ELb0ES3_jPKiPS6_PKS6_NS0_5tupleIJPiS6_EEENSE_IJSB_SB_EEENS0_18inequality_wrapperIN6hipcub16HIPCUB_304000_NS8EqualityEEEPlJS6_EEE10hipError_tPvRmT3_T4_T5_T6_T7_T9_mT8_P12ihipStream_tbDpT10_ENKUlT_T0_E_clISt17integral_constantIbLb1EES16_IbLb0EEEEDaS12_S13_EUlS12_E_NS1_11comp_targetILNS1_3genE5ELNS1_11target_archE942ELNS1_3gpuE9ELNS1_3repE0EEENS1_30default_config_static_selectorELNS0_4arch9wavefront6targetE0EEEvT1_,comdat
	.protected	_ZN7rocprim17ROCPRIM_400000_NS6detail17trampoline_kernelINS0_14default_configENS1_25partition_config_selectorILNS1_17partition_subalgoE8EiNS0_10empty_typeEbEEZZNS1_14partition_implILS5_8ELb0ES3_jPKiPS6_PKS6_NS0_5tupleIJPiS6_EEENSE_IJSB_SB_EEENS0_18inequality_wrapperIN6hipcub16HIPCUB_304000_NS8EqualityEEEPlJS6_EEE10hipError_tPvRmT3_T4_T5_T6_T7_T9_mT8_P12ihipStream_tbDpT10_ENKUlT_T0_E_clISt17integral_constantIbLb1EES16_IbLb0EEEEDaS12_S13_EUlS12_E_NS1_11comp_targetILNS1_3genE5ELNS1_11target_archE942ELNS1_3gpuE9ELNS1_3repE0EEENS1_30default_config_static_selectorELNS0_4arch9wavefront6targetE0EEEvT1_ ; -- Begin function _ZN7rocprim17ROCPRIM_400000_NS6detail17trampoline_kernelINS0_14default_configENS1_25partition_config_selectorILNS1_17partition_subalgoE8EiNS0_10empty_typeEbEEZZNS1_14partition_implILS5_8ELb0ES3_jPKiPS6_PKS6_NS0_5tupleIJPiS6_EEENSE_IJSB_SB_EEENS0_18inequality_wrapperIN6hipcub16HIPCUB_304000_NS8EqualityEEEPlJS6_EEE10hipError_tPvRmT3_T4_T5_T6_T7_T9_mT8_P12ihipStream_tbDpT10_ENKUlT_T0_E_clISt17integral_constantIbLb1EES16_IbLb0EEEEDaS12_S13_EUlS12_E_NS1_11comp_targetILNS1_3genE5ELNS1_11target_archE942ELNS1_3gpuE9ELNS1_3repE0EEENS1_30default_config_static_selectorELNS0_4arch9wavefront6targetE0EEEvT1_
	.globl	_ZN7rocprim17ROCPRIM_400000_NS6detail17trampoline_kernelINS0_14default_configENS1_25partition_config_selectorILNS1_17partition_subalgoE8EiNS0_10empty_typeEbEEZZNS1_14partition_implILS5_8ELb0ES3_jPKiPS6_PKS6_NS0_5tupleIJPiS6_EEENSE_IJSB_SB_EEENS0_18inequality_wrapperIN6hipcub16HIPCUB_304000_NS8EqualityEEEPlJS6_EEE10hipError_tPvRmT3_T4_T5_T6_T7_T9_mT8_P12ihipStream_tbDpT10_ENKUlT_T0_E_clISt17integral_constantIbLb1EES16_IbLb0EEEEDaS12_S13_EUlS12_E_NS1_11comp_targetILNS1_3genE5ELNS1_11target_archE942ELNS1_3gpuE9ELNS1_3repE0EEENS1_30default_config_static_selectorELNS0_4arch9wavefront6targetE0EEEvT1_
	.p2align	8
	.type	_ZN7rocprim17ROCPRIM_400000_NS6detail17trampoline_kernelINS0_14default_configENS1_25partition_config_selectorILNS1_17partition_subalgoE8EiNS0_10empty_typeEbEEZZNS1_14partition_implILS5_8ELb0ES3_jPKiPS6_PKS6_NS0_5tupleIJPiS6_EEENSE_IJSB_SB_EEENS0_18inequality_wrapperIN6hipcub16HIPCUB_304000_NS8EqualityEEEPlJS6_EEE10hipError_tPvRmT3_T4_T5_T6_T7_T9_mT8_P12ihipStream_tbDpT10_ENKUlT_T0_E_clISt17integral_constantIbLb1EES16_IbLb0EEEEDaS12_S13_EUlS12_E_NS1_11comp_targetILNS1_3genE5ELNS1_11target_archE942ELNS1_3gpuE9ELNS1_3repE0EEENS1_30default_config_static_selectorELNS0_4arch9wavefront6targetE0EEEvT1_,@function
_ZN7rocprim17ROCPRIM_400000_NS6detail17trampoline_kernelINS0_14default_configENS1_25partition_config_selectorILNS1_17partition_subalgoE8EiNS0_10empty_typeEbEEZZNS1_14partition_implILS5_8ELb0ES3_jPKiPS6_PKS6_NS0_5tupleIJPiS6_EEENSE_IJSB_SB_EEENS0_18inequality_wrapperIN6hipcub16HIPCUB_304000_NS8EqualityEEEPlJS6_EEE10hipError_tPvRmT3_T4_T5_T6_T7_T9_mT8_P12ihipStream_tbDpT10_ENKUlT_T0_E_clISt17integral_constantIbLb1EES16_IbLb0EEEEDaS12_S13_EUlS12_E_NS1_11comp_targetILNS1_3genE5ELNS1_11target_archE942ELNS1_3gpuE9ELNS1_3repE0EEENS1_30default_config_static_selectorELNS0_4arch9wavefront6targetE0EEEvT1_: ; @_ZN7rocprim17ROCPRIM_400000_NS6detail17trampoline_kernelINS0_14default_configENS1_25partition_config_selectorILNS1_17partition_subalgoE8EiNS0_10empty_typeEbEEZZNS1_14partition_implILS5_8ELb0ES3_jPKiPS6_PKS6_NS0_5tupleIJPiS6_EEENSE_IJSB_SB_EEENS0_18inequality_wrapperIN6hipcub16HIPCUB_304000_NS8EqualityEEEPlJS6_EEE10hipError_tPvRmT3_T4_T5_T6_T7_T9_mT8_P12ihipStream_tbDpT10_ENKUlT_T0_E_clISt17integral_constantIbLb1EES16_IbLb0EEEEDaS12_S13_EUlS12_E_NS1_11comp_targetILNS1_3genE5ELNS1_11target_archE942ELNS1_3gpuE9ELNS1_3repE0EEENS1_30default_config_static_selectorELNS0_4arch9wavefront6targetE0EEEvT1_
; %bb.0:
	.section	.rodata,"a",@progbits
	.p2align	6, 0x0
	.amdhsa_kernel _ZN7rocprim17ROCPRIM_400000_NS6detail17trampoline_kernelINS0_14default_configENS1_25partition_config_selectorILNS1_17partition_subalgoE8EiNS0_10empty_typeEbEEZZNS1_14partition_implILS5_8ELb0ES3_jPKiPS6_PKS6_NS0_5tupleIJPiS6_EEENSE_IJSB_SB_EEENS0_18inequality_wrapperIN6hipcub16HIPCUB_304000_NS8EqualityEEEPlJS6_EEE10hipError_tPvRmT3_T4_T5_T6_T7_T9_mT8_P12ihipStream_tbDpT10_ENKUlT_T0_E_clISt17integral_constantIbLb1EES16_IbLb0EEEEDaS12_S13_EUlS12_E_NS1_11comp_targetILNS1_3genE5ELNS1_11target_archE942ELNS1_3gpuE9ELNS1_3repE0EEENS1_30default_config_static_selectorELNS0_4arch9wavefront6targetE0EEEvT1_
		.amdhsa_group_segment_fixed_size 0
		.amdhsa_private_segment_fixed_size 0
		.amdhsa_kernarg_size 112
		.amdhsa_user_sgpr_count 2
		.amdhsa_user_sgpr_dispatch_ptr 0
		.amdhsa_user_sgpr_queue_ptr 0
		.amdhsa_user_sgpr_kernarg_segment_ptr 1
		.amdhsa_user_sgpr_dispatch_id 0
		.amdhsa_user_sgpr_kernarg_preload_length 0
		.amdhsa_user_sgpr_kernarg_preload_offset 0
		.amdhsa_user_sgpr_private_segment_size 0
		.amdhsa_wavefront_size32 1
		.amdhsa_uses_dynamic_stack 0
		.amdhsa_enable_private_segment 0
		.amdhsa_system_sgpr_workgroup_id_x 1
		.amdhsa_system_sgpr_workgroup_id_y 0
		.amdhsa_system_sgpr_workgroup_id_z 0
		.amdhsa_system_sgpr_workgroup_info 0
		.amdhsa_system_vgpr_workitem_id 0
		.amdhsa_next_free_vgpr 1
		.amdhsa_next_free_sgpr 1
		.amdhsa_named_barrier_count 0
		.amdhsa_reserve_vcc 0
		.amdhsa_float_round_mode_32 0
		.amdhsa_float_round_mode_16_64 0
		.amdhsa_float_denorm_mode_32 3
		.amdhsa_float_denorm_mode_16_64 3
		.amdhsa_fp16_overflow 0
		.amdhsa_memory_ordered 1
		.amdhsa_forward_progress 1
		.amdhsa_inst_pref_size 0
		.amdhsa_round_robin_scheduling 0
		.amdhsa_exception_fp_ieee_invalid_op 0
		.amdhsa_exception_fp_denorm_src 0
		.amdhsa_exception_fp_ieee_div_zero 0
		.amdhsa_exception_fp_ieee_overflow 0
		.amdhsa_exception_fp_ieee_underflow 0
		.amdhsa_exception_fp_ieee_inexact 0
		.amdhsa_exception_int_div_zero 0
	.end_amdhsa_kernel
	.section	.text._ZN7rocprim17ROCPRIM_400000_NS6detail17trampoline_kernelINS0_14default_configENS1_25partition_config_selectorILNS1_17partition_subalgoE8EiNS0_10empty_typeEbEEZZNS1_14partition_implILS5_8ELb0ES3_jPKiPS6_PKS6_NS0_5tupleIJPiS6_EEENSE_IJSB_SB_EEENS0_18inequality_wrapperIN6hipcub16HIPCUB_304000_NS8EqualityEEEPlJS6_EEE10hipError_tPvRmT3_T4_T5_T6_T7_T9_mT8_P12ihipStream_tbDpT10_ENKUlT_T0_E_clISt17integral_constantIbLb1EES16_IbLb0EEEEDaS12_S13_EUlS12_E_NS1_11comp_targetILNS1_3genE5ELNS1_11target_archE942ELNS1_3gpuE9ELNS1_3repE0EEENS1_30default_config_static_selectorELNS0_4arch9wavefront6targetE0EEEvT1_,"axG",@progbits,_ZN7rocprim17ROCPRIM_400000_NS6detail17trampoline_kernelINS0_14default_configENS1_25partition_config_selectorILNS1_17partition_subalgoE8EiNS0_10empty_typeEbEEZZNS1_14partition_implILS5_8ELb0ES3_jPKiPS6_PKS6_NS0_5tupleIJPiS6_EEENSE_IJSB_SB_EEENS0_18inequality_wrapperIN6hipcub16HIPCUB_304000_NS8EqualityEEEPlJS6_EEE10hipError_tPvRmT3_T4_T5_T6_T7_T9_mT8_P12ihipStream_tbDpT10_ENKUlT_T0_E_clISt17integral_constantIbLb1EES16_IbLb0EEEEDaS12_S13_EUlS12_E_NS1_11comp_targetILNS1_3genE5ELNS1_11target_archE942ELNS1_3gpuE9ELNS1_3repE0EEENS1_30default_config_static_selectorELNS0_4arch9wavefront6targetE0EEEvT1_,comdat
.Lfunc_end427:
	.size	_ZN7rocprim17ROCPRIM_400000_NS6detail17trampoline_kernelINS0_14default_configENS1_25partition_config_selectorILNS1_17partition_subalgoE8EiNS0_10empty_typeEbEEZZNS1_14partition_implILS5_8ELb0ES3_jPKiPS6_PKS6_NS0_5tupleIJPiS6_EEENSE_IJSB_SB_EEENS0_18inequality_wrapperIN6hipcub16HIPCUB_304000_NS8EqualityEEEPlJS6_EEE10hipError_tPvRmT3_T4_T5_T6_T7_T9_mT8_P12ihipStream_tbDpT10_ENKUlT_T0_E_clISt17integral_constantIbLb1EES16_IbLb0EEEEDaS12_S13_EUlS12_E_NS1_11comp_targetILNS1_3genE5ELNS1_11target_archE942ELNS1_3gpuE9ELNS1_3repE0EEENS1_30default_config_static_selectorELNS0_4arch9wavefront6targetE0EEEvT1_, .Lfunc_end427-_ZN7rocprim17ROCPRIM_400000_NS6detail17trampoline_kernelINS0_14default_configENS1_25partition_config_selectorILNS1_17partition_subalgoE8EiNS0_10empty_typeEbEEZZNS1_14partition_implILS5_8ELb0ES3_jPKiPS6_PKS6_NS0_5tupleIJPiS6_EEENSE_IJSB_SB_EEENS0_18inequality_wrapperIN6hipcub16HIPCUB_304000_NS8EqualityEEEPlJS6_EEE10hipError_tPvRmT3_T4_T5_T6_T7_T9_mT8_P12ihipStream_tbDpT10_ENKUlT_T0_E_clISt17integral_constantIbLb1EES16_IbLb0EEEEDaS12_S13_EUlS12_E_NS1_11comp_targetILNS1_3genE5ELNS1_11target_archE942ELNS1_3gpuE9ELNS1_3repE0EEENS1_30default_config_static_selectorELNS0_4arch9wavefront6targetE0EEEvT1_
                                        ; -- End function
	.set _ZN7rocprim17ROCPRIM_400000_NS6detail17trampoline_kernelINS0_14default_configENS1_25partition_config_selectorILNS1_17partition_subalgoE8EiNS0_10empty_typeEbEEZZNS1_14partition_implILS5_8ELb0ES3_jPKiPS6_PKS6_NS0_5tupleIJPiS6_EEENSE_IJSB_SB_EEENS0_18inequality_wrapperIN6hipcub16HIPCUB_304000_NS8EqualityEEEPlJS6_EEE10hipError_tPvRmT3_T4_T5_T6_T7_T9_mT8_P12ihipStream_tbDpT10_ENKUlT_T0_E_clISt17integral_constantIbLb1EES16_IbLb0EEEEDaS12_S13_EUlS12_E_NS1_11comp_targetILNS1_3genE5ELNS1_11target_archE942ELNS1_3gpuE9ELNS1_3repE0EEENS1_30default_config_static_selectorELNS0_4arch9wavefront6targetE0EEEvT1_.num_vgpr, 0
	.set _ZN7rocprim17ROCPRIM_400000_NS6detail17trampoline_kernelINS0_14default_configENS1_25partition_config_selectorILNS1_17partition_subalgoE8EiNS0_10empty_typeEbEEZZNS1_14partition_implILS5_8ELb0ES3_jPKiPS6_PKS6_NS0_5tupleIJPiS6_EEENSE_IJSB_SB_EEENS0_18inequality_wrapperIN6hipcub16HIPCUB_304000_NS8EqualityEEEPlJS6_EEE10hipError_tPvRmT3_T4_T5_T6_T7_T9_mT8_P12ihipStream_tbDpT10_ENKUlT_T0_E_clISt17integral_constantIbLb1EES16_IbLb0EEEEDaS12_S13_EUlS12_E_NS1_11comp_targetILNS1_3genE5ELNS1_11target_archE942ELNS1_3gpuE9ELNS1_3repE0EEENS1_30default_config_static_selectorELNS0_4arch9wavefront6targetE0EEEvT1_.num_agpr, 0
	.set _ZN7rocprim17ROCPRIM_400000_NS6detail17trampoline_kernelINS0_14default_configENS1_25partition_config_selectorILNS1_17partition_subalgoE8EiNS0_10empty_typeEbEEZZNS1_14partition_implILS5_8ELb0ES3_jPKiPS6_PKS6_NS0_5tupleIJPiS6_EEENSE_IJSB_SB_EEENS0_18inequality_wrapperIN6hipcub16HIPCUB_304000_NS8EqualityEEEPlJS6_EEE10hipError_tPvRmT3_T4_T5_T6_T7_T9_mT8_P12ihipStream_tbDpT10_ENKUlT_T0_E_clISt17integral_constantIbLb1EES16_IbLb0EEEEDaS12_S13_EUlS12_E_NS1_11comp_targetILNS1_3genE5ELNS1_11target_archE942ELNS1_3gpuE9ELNS1_3repE0EEENS1_30default_config_static_selectorELNS0_4arch9wavefront6targetE0EEEvT1_.numbered_sgpr, 0
	.set _ZN7rocprim17ROCPRIM_400000_NS6detail17trampoline_kernelINS0_14default_configENS1_25partition_config_selectorILNS1_17partition_subalgoE8EiNS0_10empty_typeEbEEZZNS1_14partition_implILS5_8ELb0ES3_jPKiPS6_PKS6_NS0_5tupleIJPiS6_EEENSE_IJSB_SB_EEENS0_18inequality_wrapperIN6hipcub16HIPCUB_304000_NS8EqualityEEEPlJS6_EEE10hipError_tPvRmT3_T4_T5_T6_T7_T9_mT8_P12ihipStream_tbDpT10_ENKUlT_T0_E_clISt17integral_constantIbLb1EES16_IbLb0EEEEDaS12_S13_EUlS12_E_NS1_11comp_targetILNS1_3genE5ELNS1_11target_archE942ELNS1_3gpuE9ELNS1_3repE0EEENS1_30default_config_static_selectorELNS0_4arch9wavefront6targetE0EEEvT1_.num_named_barrier, 0
	.set _ZN7rocprim17ROCPRIM_400000_NS6detail17trampoline_kernelINS0_14default_configENS1_25partition_config_selectorILNS1_17partition_subalgoE8EiNS0_10empty_typeEbEEZZNS1_14partition_implILS5_8ELb0ES3_jPKiPS6_PKS6_NS0_5tupleIJPiS6_EEENSE_IJSB_SB_EEENS0_18inequality_wrapperIN6hipcub16HIPCUB_304000_NS8EqualityEEEPlJS6_EEE10hipError_tPvRmT3_T4_T5_T6_T7_T9_mT8_P12ihipStream_tbDpT10_ENKUlT_T0_E_clISt17integral_constantIbLb1EES16_IbLb0EEEEDaS12_S13_EUlS12_E_NS1_11comp_targetILNS1_3genE5ELNS1_11target_archE942ELNS1_3gpuE9ELNS1_3repE0EEENS1_30default_config_static_selectorELNS0_4arch9wavefront6targetE0EEEvT1_.private_seg_size, 0
	.set _ZN7rocprim17ROCPRIM_400000_NS6detail17trampoline_kernelINS0_14default_configENS1_25partition_config_selectorILNS1_17partition_subalgoE8EiNS0_10empty_typeEbEEZZNS1_14partition_implILS5_8ELb0ES3_jPKiPS6_PKS6_NS0_5tupleIJPiS6_EEENSE_IJSB_SB_EEENS0_18inequality_wrapperIN6hipcub16HIPCUB_304000_NS8EqualityEEEPlJS6_EEE10hipError_tPvRmT3_T4_T5_T6_T7_T9_mT8_P12ihipStream_tbDpT10_ENKUlT_T0_E_clISt17integral_constantIbLb1EES16_IbLb0EEEEDaS12_S13_EUlS12_E_NS1_11comp_targetILNS1_3genE5ELNS1_11target_archE942ELNS1_3gpuE9ELNS1_3repE0EEENS1_30default_config_static_selectorELNS0_4arch9wavefront6targetE0EEEvT1_.uses_vcc, 0
	.set _ZN7rocprim17ROCPRIM_400000_NS6detail17trampoline_kernelINS0_14default_configENS1_25partition_config_selectorILNS1_17partition_subalgoE8EiNS0_10empty_typeEbEEZZNS1_14partition_implILS5_8ELb0ES3_jPKiPS6_PKS6_NS0_5tupleIJPiS6_EEENSE_IJSB_SB_EEENS0_18inequality_wrapperIN6hipcub16HIPCUB_304000_NS8EqualityEEEPlJS6_EEE10hipError_tPvRmT3_T4_T5_T6_T7_T9_mT8_P12ihipStream_tbDpT10_ENKUlT_T0_E_clISt17integral_constantIbLb1EES16_IbLb0EEEEDaS12_S13_EUlS12_E_NS1_11comp_targetILNS1_3genE5ELNS1_11target_archE942ELNS1_3gpuE9ELNS1_3repE0EEENS1_30default_config_static_selectorELNS0_4arch9wavefront6targetE0EEEvT1_.uses_flat_scratch, 0
	.set _ZN7rocprim17ROCPRIM_400000_NS6detail17trampoline_kernelINS0_14default_configENS1_25partition_config_selectorILNS1_17partition_subalgoE8EiNS0_10empty_typeEbEEZZNS1_14partition_implILS5_8ELb0ES3_jPKiPS6_PKS6_NS0_5tupleIJPiS6_EEENSE_IJSB_SB_EEENS0_18inequality_wrapperIN6hipcub16HIPCUB_304000_NS8EqualityEEEPlJS6_EEE10hipError_tPvRmT3_T4_T5_T6_T7_T9_mT8_P12ihipStream_tbDpT10_ENKUlT_T0_E_clISt17integral_constantIbLb1EES16_IbLb0EEEEDaS12_S13_EUlS12_E_NS1_11comp_targetILNS1_3genE5ELNS1_11target_archE942ELNS1_3gpuE9ELNS1_3repE0EEENS1_30default_config_static_selectorELNS0_4arch9wavefront6targetE0EEEvT1_.has_dyn_sized_stack, 0
	.set _ZN7rocprim17ROCPRIM_400000_NS6detail17trampoline_kernelINS0_14default_configENS1_25partition_config_selectorILNS1_17partition_subalgoE8EiNS0_10empty_typeEbEEZZNS1_14partition_implILS5_8ELb0ES3_jPKiPS6_PKS6_NS0_5tupleIJPiS6_EEENSE_IJSB_SB_EEENS0_18inequality_wrapperIN6hipcub16HIPCUB_304000_NS8EqualityEEEPlJS6_EEE10hipError_tPvRmT3_T4_T5_T6_T7_T9_mT8_P12ihipStream_tbDpT10_ENKUlT_T0_E_clISt17integral_constantIbLb1EES16_IbLb0EEEEDaS12_S13_EUlS12_E_NS1_11comp_targetILNS1_3genE5ELNS1_11target_archE942ELNS1_3gpuE9ELNS1_3repE0EEENS1_30default_config_static_selectorELNS0_4arch9wavefront6targetE0EEEvT1_.has_recursion, 0
	.set _ZN7rocprim17ROCPRIM_400000_NS6detail17trampoline_kernelINS0_14default_configENS1_25partition_config_selectorILNS1_17partition_subalgoE8EiNS0_10empty_typeEbEEZZNS1_14partition_implILS5_8ELb0ES3_jPKiPS6_PKS6_NS0_5tupleIJPiS6_EEENSE_IJSB_SB_EEENS0_18inequality_wrapperIN6hipcub16HIPCUB_304000_NS8EqualityEEEPlJS6_EEE10hipError_tPvRmT3_T4_T5_T6_T7_T9_mT8_P12ihipStream_tbDpT10_ENKUlT_T0_E_clISt17integral_constantIbLb1EES16_IbLb0EEEEDaS12_S13_EUlS12_E_NS1_11comp_targetILNS1_3genE5ELNS1_11target_archE942ELNS1_3gpuE9ELNS1_3repE0EEENS1_30default_config_static_selectorELNS0_4arch9wavefront6targetE0EEEvT1_.has_indirect_call, 0
	.section	.AMDGPU.csdata,"",@progbits
; Kernel info:
; codeLenInByte = 0
; TotalNumSgprs: 0
; NumVgprs: 0
; ScratchSize: 0
; MemoryBound: 0
; FloatMode: 240
; IeeeMode: 1
; LDSByteSize: 0 bytes/workgroup (compile time only)
; SGPRBlocks: 0
; VGPRBlocks: 0
; NumSGPRsForWavesPerEU: 1
; NumVGPRsForWavesPerEU: 1
; NamedBarCnt: 0
; Occupancy: 16
; WaveLimiterHint : 0
; COMPUTE_PGM_RSRC2:SCRATCH_EN: 0
; COMPUTE_PGM_RSRC2:USER_SGPR: 2
; COMPUTE_PGM_RSRC2:TRAP_HANDLER: 0
; COMPUTE_PGM_RSRC2:TGID_X_EN: 1
; COMPUTE_PGM_RSRC2:TGID_Y_EN: 0
; COMPUTE_PGM_RSRC2:TGID_Z_EN: 0
; COMPUTE_PGM_RSRC2:TIDIG_COMP_CNT: 0
	.section	.text._ZN7rocprim17ROCPRIM_400000_NS6detail17trampoline_kernelINS0_14default_configENS1_25partition_config_selectorILNS1_17partition_subalgoE8EiNS0_10empty_typeEbEEZZNS1_14partition_implILS5_8ELb0ES3_jPKiPS6_PKS6_NS0_5tupleIJPiS6_EEENSE_IJSB_SB_EEENS0_18inequality_wrapperIN6hipcub16HIPCUB_304000_NS8EqualityEEEPlJS6_EEE10hipError_tPvRmT3_T4_T5_T6_T7_T9_mT8_P12ihipStream_tbDpT10_ENKUlT_T0_E_clISt17integral_constantIbLb1EES16_IbLb0EEEEDaS12_S13_EUlS12_E_NS1_11comp_targetILNS1_3genE4ELNS1_11target_archE910ELNS1_3gpuE8ELNS1_3repE0EEENS1_30default_config_static_selectorELNS0_4arch9wavefront6targetE0EEEvT1_,"axG",@progbits,_ZN7rocprim17ROCPRIM_400000_NS6detail17trampoline_kernelINS0_14default_configENS1_25partition_config_selectorILNS1_17partition_subalgoE8EiNS0_10empty_typeEbEEZZNS1_14partition_implILS5_8ELb0ES3_jPKiPS6_PKS6_NS0_5tupleIJPiS6_EEENSE_IJSB_SB_EEENS0_18inequality_wrapperIN6hipcub16HIPCUB_304000_NS8EqualityEEEPlJS6_EEE10hipError_tPvRmT3_T4_T5_T6_T7_T9_mT8_P12ihipStream_tbDpT10_ENKUlT_T0_E_clISt17integral_constantIbLb1EES16_IbLb0EEEEDaS12_S13_EUlS12_E_NS1_11comp_targetILNS1_3genE4ELNS1_11target_archE910ELNS1_3gpuE8ELNS1_3repE0EEENS1_30default_config_static_selectorELNS0_4arch9wavefront6targetE0EEEvT1_,comdat
	.protected	_ZN7rocprim17ROCPRIM_400000_NS6detail17trampoline_kernelINS0_14default_configENS1_25partition_config_selectorILNS1_17partition_subalgoE8EiNS0_10empty_typeEbEEZZNS1_14partition_implILS5_8ELb0ES3_jPKiPS6_PKS6_NS0_5tupleIJPiS6_EEENSE_IJSB_SB_EEENS0_18inequality_wrapperIN6hipcub16HIPCUB_304000_NS8EqualityEEEPlJS6_EEE10hipError_tPvRmT3_T4_T5_T6_T7_T9_mT8_P12ihipStream_tbDpT10_ENKUlT_T0_E_clISt17integral_constantIbLb1EES16_IbLb0EEEEDaS12_S13_EUlS12_E_NS1_11comp_targetILNS1_3genE4ELNS1_11target_archE910ELNS1_3gpuE8ELNS1_3repE0EEENS1_30default_config_static_selectorELNS0_4arch9wavefront6targetE0EEEvT1_ ; -- Begin function _ZN7rocprim17ROCPRIM_400000_NS6detail17trampoline_kernelINS0_14default_configENS1_25partition_config_selectorILNS1_17partition_subalgoE8EiNS0_10empty_typeEbEEZZNS1_14partition_implILS5_8ELb0ES3_jPKiPS6_PKS6_NS0_5tupleIJPiS6_EEENSE_IJSB_SB_EEENS0_18inequality_wrapperIN6hipcub16HIPCUB_304000_NS8EqualityEEEPlJS6_EEE10hipError_tPvRmT3_T4_T5_T6_T7_T9_mT8_P12ihipStream_tbDpT10_ENKUlT_T0_E_clISt17integral_constantIbLb1EES16_IbLb0EEEEDaS12_S13_EUlS12_E_NS1_11comp_targetILNS1_3genE4ELNS1_11target_archE910ELNS1_3gpuE8ELNS1_3repE0EEENS1_30default_config_static_selectorELNS0_4arch9wavefront6targetE0EEEvT1_
	.globl	_ZN7rocprim17ROCPRIM_400000_NS6detail17trampoline_kernelINS0_14default_configENS1_25partition_config_selectorILNS1_17partition_subalgoE8EiNS0_10empty_typeEbEEZZNS1_14partition_implILS5_8ELb0ES3_jPKiPS6_PKS6_NS0_5tupleIJPiS6_EEENSE_IJSB_SB_EEENS0_18inequality_wrapperIN6hipcub16HIPCUB_304000_NS8EqualityEEEPlJS6_EEE10hipError_tPvRmT3_T4_T5_T6_T7_T9_mT8_P12ihipStream_tbDpT10_ENKUlT_T0_E_clISt17integral_constantIbLb1EES16_IbLb0EEEEDaS12_S13_EUlS12_E_NS1_11comp_targetILNS1_3genE4ELNS1_11target_archE910ELNS1_3gpuE8ELNS1_3repE0EEENS1_30default_config_static_selectorELNS0_4arch9wavefront6targetE0EEEvT1_
	.p2align	8
	.type	_ZN7rocprim17ROCPRIM_400000_NS6detail17trampoline_kernelINS0_14default_configENS1_25partition_config_selectorILNS1_17partition_subalgoE8EiNS0_10empty_typeEbEEZZNS1_14partition_implILS5_8ELb0ES3_jPKiPS6_PKS6_NS0_5tupleIJPiS6_EEENSE_IJSB_SB_EEENS0_18inequality_wrapperIN6hipcub16HIPCUB_304000_NS8EqualityEEEPlJS6_EEE10hipError_tPvRmT3_T4_T5_T6_T7_T9_mT8_P12ihipStream_tbDpT10_ENKUlT_T0_E_clISt17integral_constantIbLb1EES16_IbLb0EEEEDaS12_S13_EUlS12_E_NS1_11comp_targetILNS1_3genE4ELNS1_11target_archE910ELNS1_3gpuE8ELNS1_3repE0EEENS1_30default_config_static_selectorELNS0_4arch9wavefront6targetE0EEEvT1_,@function
_ZN7rocprim17ROCPRIM_400000_NS6detail17trampoline_kernelINS0_14default_configENS1_25partition_config_selectorILNS1_17partition_subalgoE8EiNS0_10empty_typeEbEEZZNS1_14partition_implILS5_8ELb0ES3_jPKiPS6_PKS6_NS0_5tupleIJPiS6_EEENSE_IJSB_SB_EEENS0_18inequality_wrapperIN6hipcub16HIPCUB_304000_NS8EqualityEEEPlJS6_EEE10hipError_tPvRmT3_T4_T5_T6_T7_T9_mT8_P12ihipStream_tbDpT10_ENKUlT_T0_E_clISt17integral_constantIbLb1EES16_IbLb0EEEEDaS12_S13_EUlS12_E_NS1_11comp_targetILNS1_3genE4ELNS1_11target_archE910ELNS1_3gpuE8ELNS1_3repE0EEENS1_30default_config_static_selectorELNS0_4arch9wavefront6targetE0EEEvT1_: ; @_ZN7rocprim17ROCPRIM_400000_NS6detail17trampoline_kernelINS0_14default_configENS1_25partition_config_selectorILNS1_17partition_subalgoE8EiNS0_10empty_typeEbEEZZNS1_14partition_implILS5_8ELb0ES3_jPKiPS6_PKS6_NS0_5tupleIJPiS6_EEENSE_IJSB_SB_EEENS0_18inequality_wrapperIN6hipcub16HIPCUB_304000_NS8EqualityEEEPlJS6_EEE10hipError_tPvRmT3_T4_T5_T6_T7_T9_mT8_P12ihipStream_tbDpT10_ENKUlT_T0_E_clISt17integral_constantIbLb1EES16_IbLb0EEEEDaS12_S13_EUlS12_E_NS1_11comp_targetILNS1_3genE4ELNS1_11target_archE910ELNS1_3gpuE8ELNS1_3repE0EEENS1_30default_config_static_selectorELNS0_4arch9wavefront6targetE0EEEvT1_
; %bb.0:
	.section	.rodata,"a",@progbits
	.p2align	6, 0x0
	.amdhsa_kernel _ZN7rocprim17ROCPRIM_400000_NS6detail17trampoline_kernelINS0_14default_configENS1_25partition_config_selectorILNS1_17partition_subalgoE8EiNS0_10empty_typeEbEEZZNS1_14partition_implILS5_8ELb0ES3_jPKiPS6_PKS6_NS0_5tupleIJPiS6_EEENSE_IJSB_SB_EEENS0_18inequality_wrapperIN6hipcub16HIPCUB_304000_NS8EqualityEEEPlJS6_EEE10hipError_tPvRmT3_T4_T5_T6_T7_T9_mT8_P12ihipStream_tbDpT10_ENKUlT_T0_E_clISt17integral_constantIbLb1EES16_IbLb0EEEEDaS12_S13_EUlS12_E_NS1_11comp_targetILNS1_3genE4ELNS1_11target_archE910ELNS1_3gpuE8ELNS1_3repE0EEENS1_30default_config_static_selectorELNS0_4arch9wavefront6targetE0EEEvT1_
		.amdhsa_group_segment_fixed_size 0
		.amdhsa_private_segment_fixed_size 0
		.amdhsa_kernarg_size 112
		.amdhsa_user_sgpr_count 2
		.amdhsa_user_sgpr_dispatch_ptr 0
		.amdhsa_user_sgpr_queue_ptr 0
		.amdhsa_user_sgpr_kernarg_segment_ptr 1
		.amdhsa_user_sgpr_dispatch_id 0
		.amdhsa_user_sgpr_kernarg_preload_length 0
		.amdhsa_user_sgpr_kernarg_preload_offset 0
		.amdhsa_user_sgpr_private_segment_size 0
		.amdhsa_wavefront_size32 1
		.amdhsa_uses_dynamic_stack 0
		.amdhsa_enable_private_segment 0
		.amdhsa_system_sgpr_workgroup_id_x 1
		.amdhsa_system_sgpr_workgroup_id_y 0
		.amdhsa_system_sgpr_workgroup_id_z 0
		.amdhsa_system_sgpr_workgroup_info 0
		.amdhsa_system_vgpr_workitem_id 0
		.amdhsa_next_free_vgpr 1
		.amdhsa_next_free_sgpr 1
		.amdhsa_named_barrier_count 0
		.amdhsa_reserve_vcc 0
		.amdhsa_float_round_mode_32 0
		.amdhsa_float_round_mode_16_64 0
		.amdhsa_float_denorm_mode_32 3
		.amdhsa_float_denorm_mode_16_64 3
		.amdhsa_fp16_overflow 0
		.amdhsa_memory_ordered 1
		.amdhsa_forward_progress 1
		.amdhsa_inst_pref_size 0
		.amdhsa_round_robin_scheduling 0
		.amdhsa_exception_fp_ieee_invalid_op 0
		.amdhsa_exception_fp_denorm_src 0
		.amdhsa_exception_fp_ieee_div_zero 0
		.amdhsa_exception_fp_ieee_overflow 0
		.amdhsa_exception_fp_ieee_underflow 0
		.amdhsa_exception_fp_ieee_inexact 0
		.amdhsa_exception_int_div_zero 0
	.end_amdhsa_kernel
	.section	.text._ZN7rocprim17ROCPRIM_400000_NS6detail17trampoline_kernelINS0_14default_configENS1_25partition_config_selectorILNS1_17partition_subalgoE8EiNS0_10empty_typeEbEEZZNS1_14partition_implILS5_8ELb0ES3_jPKiPS6_PKS6_NS0_5tupleIJPiS6_EEENSE_IJSB_SB_EEENS0_18inequality_wrapperIN6hipcub16HIPCUB_304000_NS8EqualityEEEPlJS6_EEE10hipError_tPvRmT3_T4_T5_T6_T7_T9_mT8_P12ihipStream_tbDpT10_ENKUlT_T0_E_clISt17integral_constantIbLb1EES16_IbLb0EEEEDaS12_S13_EUlS12_E_NS1_11comp_targetILNS1_3genE4ELNS1_11target_archE910ELNS1_3gpuE8ELNS1_3repE0EEENS1_30default_config_static_selectorELNS0_4arch9wavefront6targetE0EEEvT1_,"axG",@progbits,_ZN7rocprim17ROCPRIM_400000_NS6detail17trampoline_kernelINS0_14default_configENS1_25partition_config_selectorILNS1_17partition_subalgoE8EiNS0_10empty_typeEbEEZZNS1_14partition_implILS5_8ELb0ES3_jPKiPS6_PKS6_NS0_5tupleIJPiS6_EEENSE_IJSB_SB_EEENS0_18inequality_wrapperIN6hipcub16HIPCUB_304000_NS8EqualityEEEPlJS6_EEE10hipError_tPvRmT3_T4_T5_T6_T7_T9_mT8_P12ihipStream_tbDpT10_ENKUlT_T0_E_clISt17integral_constantIbLb1EES16_IbLb0EEEEDaS12_S13_EUlS12_E_NS1_11comp_targetILNS1_3genE4ELNS1_11target_archE910ELNS1_3gpuE8ELNS1_3repE0EEENS1_30default_config_static_selectorELNS0_4arch9wavefront6targetE0EEEvT1_,comdat
.Lfunc_end428:
	.size	_ZN7rocprim17ROCPRIM_400000_NS6detail17trampoline_kernelINS0_14default_configENS1_25partition_config_selectorILNS1_17partition_subalgoE8EiNS0_10empty_typeEbEEZZNS1_14partition_implILS5_8ELb0ES3_jPKiPS6_PKS6_NS0_5tupleIJPiS6_EEENSE_IJSB_SB_EEENS0_18inequality_wrapperIN6hipcub16HIPCUB_304000_NS8EqualityEEEPlJS6_EEE10hipError_tPvRmT3_T4_T5_T6_T7_T9_mT8_P12ihipStream_tbDpT10_ENKUlT_T0_E_clISt17integral_constantIbLb1EES16_IbLb0EEEEDaS12_S13_EUlS12_E_NS1_11comp_targetILNS1_3genE4ELNS1_11target_archE910ELNS1_3gpuE8ELNS1_3repE0EEENS1_30default_config_static_selectorELNS0_4arch9wavefront6targetE0EEEvT1_, .Lfunc_end428-_ZN7rocprim17ROCPRIM_400000_NS6detail17trampoline_kernelINS0_14default_configENS1_25partition_config_selectorILNS1_17partition_subalgoE8EiNS0_10empty_typeEbEEZZNS1_14partition_implILS5_8ELb0ES3_jPKiPS6_PKS6_NS0_5tupleIJPiS6_EEENSE_IJSB_SB_EEENS0_18inequality_wrapperIN6hipcub16HIPCUB_304000_NS8EqualityEEEPlJS6_EEE10hipError_tPvRmT3_T4_T5_T6_T7_T9_mT8_P12ihipStream_tbDpT10_ENKUlT_T0_E_clISt17integral_constantIbLb1EES16_IbLb0EEEEDaS12_S13_EUlS12_E_NS1_11comp_targetILNS1_3genE4ELNS1_11target_archE910ELNS1_3gpuE8ELNS1_3repE0EEENS1_30default_config_static_selectorELNS0_4arch9wavefront6targetE0EEEvT1_
                                        ; -- End function
	.set _ZN7rocprim17ROCPRIM_400000_NS6detail17trampoline_kernelINS0_14default_configENS1_25partition_config_selectorILNS1_17partition_subalgoE8EiNS0_10empty_typeEbEEZZNS1_14partition_implILS5_8ELb0ES3_jPKiPS6_PKS6_NS0_5tupleIJPiS6_EEENSE_IJSB_SB_EEENS0_18inequality_wrapperIN6hipcub16HIPCUB_304000_NS8EqualityEEEPlJS6_EEE10hipError_tPvRmT3_T4_T5_T6_T7_T9_mT8_P12ihipStream_tbDpT10_ENKUlT_T0_E_clISt17integral_constantIbLb1EES16_IbLb0EEEEDaS12_S13_EUlS12_E_NS1_11comp_targetILNS1_3genE4ELNS1_11target_archE910ELNS1_3gpuE8ELNS1_3repE0EEENS1_30default_config_static_selectorELNS0_4arch9wavefront6targetE0EEEvT1_.num_vgpr, 0
	.set _ZN7rocprim17ROCPRIM_400000_NS6detail17trampoline_kernelINS0_14default_configENS1_25partition_config_selectorILNS1_17partition_subalgoE8EiNS0_10empty_typeEbEEZZNS1_14partition_implILS5_8ELb0ES3_jPKiPS6_PKS6_NS0_5tupleIJPiS6_EEENSE_IJSB_SB_EEENS0_18inequality_wrapperIN6hipcub16HIPCUB_304000_NS8EqualityEEEPlJS6_EEE10hipError_tPvRmT3_T4_T5_T6_T7_T9_mT8_P12ihipStream_tbDpT10_ENKUlT_T0_E_clISt17integral_constantIbLb1EES16_IbLb0EEEEDaS12_S13_EUlS12_E_NS1_11comp_targetILNS1_3genE4ELNS1_11target_archE910ELNS1_3gpuE8ELNS1_3repE0EEENS1_30default_config_static_selectorELNS0_4arch9wavefront6targetE0EEEvT1_.num_agpr, 0
	.set _ZN7rocprim17ROCPRIM_400000_NS6detail17trampoline_kernelINS0_14default_configENS1_25partition_config_selectorILNS1_17partition_subalgoE8EiNS0_10empty_typeEbEEZZNS1_14partition_implILS5_8ELb0ES3_jPKiPS6_PKS6_NS0_5tupleIJPiS6_EEENSE_IJSB_SB_EEENS0_18inequality_wrapperIN6hipcub16HIPCUB_304000_NS8EqualityEEEPlJS6_EEE10hipError_tPvRmT3_T4_T5_T6_T7_T9_mT8_P12ihipStream_tbDpT10_ENKUlT_T0_E_clISt17integral_constantIbLb1EES16_IbLb0EEEEDaS12_S13_EUlS12_E_NS1_11comp_targetILNS1_3genE4ELNS1_11target_archE910ELNS1_3gpuE8ELNS1_3repE0EEENS1_30default_config_static_selectorELNS0_4arch9wavefront6targetE0EEEvT1_.numbered_sgpr, 0
	.set _ZN7rocprim17ROCPRIM_400000_NS6detail17trampoline_kernelINS0_14default_configENS1_25partition_config_selectorILNS1_17partition_subalgoE8EiNS0_10empty_typeEbEEZZNS1_14partition_implILS5_8ELb0ES3_jPKiPS6_PKS6_NS0_5tupleIJPiS6_EEENSE_IJSB_SB_EEENS0_18inequality_wrapperIN6hipcub16HIPCUB_304000_NS8EqualityEEEPlJS6_EEE10hipError_tPvRmT3_T4_T5_T6_T7_T9_mT8_P12ihipStream_tbDpT10_ENKUlT_T0_E_clISt17integral_constantIbLb1EES16_IbLb0EEEEDaS12_S13_EUlS12_E_NS1_11comp_targetILNS1_3genE4ELNS1_11target_archE910ELNS1_3gpuE8ELNS1_3repE0EEENS1_30default_config_static_selectorELNS0_4arch9wavefront6targetE0EEEvT1_.num_named_barrier, 0
	.set _ZN7rocprim17ROCPRIM_400000_NS6detail17trampoline_kernelINS0_14default_configENS1_25partition_config_selectorILNS1_17partition_subalgoE8EiNS0_10empty_typeEbEEZZNS1_14partition_implILS5_8ELb0ES3_jPKiPS6_PKS6_NS0_5tupleIJPiS6_EEENSE_IJSB_SB_EEENS0_18inequality_wrapperIN6hipcub16HIPCUB_304000_NS8EqualityEEEPlJS6_EEE10hipError_tPvRmT3_T4_T5_T6_T7_T9_mT8_P12ihipStream_tbDpT10_ENKUlT_T0_E_clISt17integral_constantIbLb1EES16_IbLb0EEEEDaS12_S13_EUlS12_E_NS1_11comp_targetILNS1_3genE4ELNS1_11target_archE910ELNS1_3gpuE8ELNS1_3repE0EEENS1_30default_config_static_selectorELNS0_4arch9wavefront6targetE0EEEvT1_.private_seg_size, 0
	.set _ZN7rocprim17ROCPRIM_400000_NS6detail17trampoline_kernelINS0_14default_configENS1_25partition_config_selectorILNS1_17partition_subalgoE8EiNS0_10empty_typeEbEEZZNS1_14partition_implILS5_8ELb0ES3_jPKiPS6_PKS6_NS0_5tupleIJPiS6_EEENSE_IJSB_SB_EEENS0_18inequality_wrapperIN6hipcub16HIPCUB_304000_NS8EqualityEEEPlJS6_EEE10hipError_tPvRmT3_T4_T5_T6_T7_T9_mT8_P12ihipStream_tbDpT10_ENKUlT_T0_E_clISt17integral_constantIbLb1EES16_IbLb0EEEEDaS12_S13_EUlS12_E_NS1_11comp_targetILNS1_3genE4ELNS1_11target_archE910ELNS1_3gpuE8ELNS1_3repE0EEENS1_30default_config_static_selectorELNS0_4arch9wavefront6targetE0EEEvT1_.uses_vcc, 0
	.set _ZN7rocprim17ROCPRIM_400000_NS6detail17trampoline_kernelINS0_14default_configENS1_25partition_config_selectorILNS1_17partition_subalgoE8EiNS0_10empty_typeEbEEZZNS1_14partition_implILS5_8ELb0ES3_jPKiPS6_PKS6_NS0_5tupleIJPiS6_EEENSE_IJSB_SB_EEENS0_18inequality_wrapperIN6hipcub16HIPCUB_304000_NS8EqualityEEEPlJS6_EEE10hipError_tPvRmT3_T4_T5_T6_T7_T9_mT8_P12ihipStream_tbDpT10_ENKUlT_T0_E_clISt17integral_constantIbLb1EES16_IbLb0EEEEDaS12_S13_EUlS12_E_NS1_11comp_targetILNS1_3genE4ELNS1_11target_archE910ELNS1_3gpuE8ELNS1_3repE0EEENS1_30default_config_static_selectorELNS0_4arch9wavefront6targetE0EEEvT1_.uses_flat_scratch, 0
	.set _ZN7rocprim17ROCPRIM_400000_NS6detail17trampoline_kernelINS0_14default_configENS1_25partition_config_selectorILNS1_17partition_subalgoE8EiNS0_10empty_typeEbEEZZNS1_14partition_implILS5_8ELb0ES3_jPKiPS6_PKS6_NS0_5tupleIJPiS6_EEENSE_IJSB_SB_EEENS0_18inequality_wrapperIN6hipcub16HIPCUB_304000_NS8EqualityEEEPlJS6_EEE10hipError_tPvRmT3_T4_T5_T6_T7_T9_mT8_P12ihipStream_tbDpT10_ENKUlT_T0_E_clISt17integral_constantIbLb1EES16_IbLb0EEEEDaS12_S13_EUlS12_E_NS1_11comp_targetILNS1_3genE4ELNS1_11target_archE910ELNS1_3gpuE8ELNS1_3repE0EEENS1_30default_config_static_selectorELNS0_4arch9wavefront6targetE0EEEvT1_.has_dyn_sized_stack, 0
	.set _ZN7rocprim17ROCPRIM_400000_NS6detail17trampoline_kernelINS0_14default_configENS1_25partition_config_selectorILNS1_17partition_subalgoE8EiNS0_10empty_typeEbEEZZNS1_14partition_implILS5_8ELb0ES3_jPKiPS6_PKS6_NS0_5tupleIJPiS6_EEENSE_IJSB_SB_EEENS0_18inequality_wrapperIN6hipcub16HIPCUB_304000_NS8EqualityEEEPlJS6_EEE10hipError_tPvRmT3_T4_T5_T6_T7_T9_mT8_P12ihipStream_tbDpT10_ENKUlT_T0_E_clISt17integral_constantIbLb1EES16_IbLb0EEEEDaS12_S13_EUlS12_E_NS1_11comp_targetILNS1_3genE4ELNS1_11target_archE910ELNS1_3gpuE8ELNS1_3repE0EEENS1_30default_config_static_selectorELNS0_4arch9wavefront6targetE0EEEvT1_.has_recursion, 0
	.set _ZN7rocprim17ROCPRIM_400000_NS6detail17trampoline_kernelINS0_14default_configENS1_25partition_config_selectorILNS1_17partition_subalgoE8EiNS0_10empty_typeEbEEZZNS1_14partition_implILS5_8ELb0ES3_jPKiPS6_PKS6_NS0_5tupleIJPiS6_EEENSE_IJSB_SB_EEENS0_18inequality_wrapperIN6hipcub16HIPCUB_304000_NS8EqualityEEEPlJS6_EEE10hipError_tPvRmT3_T4_T5_T6_T7_T9_mT8_P12ihipStream_tbDpT10_ENKUlT_T0_E_clISt17integral_constantIbLb1EES16_IbLb0EEEEDaS12_S13_EUlS12_E_NS1_11comp_targetILNS1_3genE4ELNS1_11target_archE910ELNS1_3gpuE8ELNS1_3repE0EEENS1_30default_config_static_selectorELNS0_4arch9wavefront6targetE0EEEvT1_.has_indirect_call, 0
	.section	.AMDGPU.csdata,"",@progbits
; Kernel info:
; codeLenInByte = 0
; TotalNumSgprs: 0
; NumVgprs: 0
; ScratchSize: 0
; MemoryBound: 0
; FloatMode: 240
; IeeeMode: 1
; LDSByteSize: 0 bytes/workgroup (compile time only)
; SGPRBlocks: 0
; VGPRBlocks: 0
; NumSGPRsForWavesPerEU: 1
; NumVGPRsForWavesPerEU: 1
; NamedBarCnt: 0
; Occupancy: 16
; WaveLimiterHint : 0
; COMPUTE_PGM_RSRC2:SCRATCH_EN: 0
; COMPUTE_PGM_RSRC2:USER_SGPR: 2
; COMPUTE_PGM_RSRC2:TRAP_HANDLER: 0
; COMPUTE_PGM_RSRC2:TGID_X_EN: 1
; COMPUTE_PGM_RSRC2:TGID_Y_EN: 0
; COMPUTE_PGM_RSRC2:TGID_Z_EN: 0
; COMPUTE_PGM_RSRC2:TIDIG_COMP_CNT: 0
	.section	.text._ZN7rocprim17ROCPRIM_400000_NS6detail17trampoline_kernelINS0_14default_configENS1_25partition_config_selectorILNS1_17partition_subalgoE8EiNS0_10empty_typeEbEEZZNS1_14partition_implILS5_8ELb0ES3_jPKiPS6_PKS6_NS0_5tupleIJPiS6_EEENSE_IJSB_SB_EEENS0_18inequality_wrapperIN6hipcub16HIPCUB_304000_NS8EqualityEEEPlJS6_EEE10hipError_tPvRmT3_T4_T5_T6_T7_T9_mT8_P12ihipStream_tbDpT10_ENKUlT_T0_E_clISt17integral_constantIbLb1EES16_IbLb0EEEEDaS12_S13_EUlS12_E_NS1_11comp_targetILNS1_3genE3ELNS1_11target_archE908ELNS1_3gpuE7ELNS1_3repE0EEENS1_30default_config_static_selectorELNS0_4arch9wavefront6targetE0EEEvT1_,"axG",@progbits,_ZN7rocprim17ROCPRIM_400000_NS6detail17trampoline_kernelINS0_14default_configENS1_25partition_config_selectorILNS1_17partition_subalgoE8EiNS0_10empty_typeEbEEZZNS1_14partition_implILS5_8ELb0ES3_jPKiPS6_PKS6_NS0_5tupleIJPiS6_EEENSE_IJSB_SB_EEENS0_18inequality_wrapperIN6hipcub16HIPCUB_304000_NS8EqualityEEEPlJS6_EEE10hipError_tPvRmT3_T4_T5_T6_T7_T9_mT8_P12ihipStream_tbDpT10_ENKUlT_T0_E_clISt17integral_constantIbLb1EES16_IbLb0EEEEDaS12_S13_EUlS12_E_NS1_11comp_targetILNS1_3genE3ELNS1_11target_archE908ELNS1_3gpuE7ELNS1_3repE0EEENS1_30default_config_static_selectorELNS0_4arch9wavefront6targetE0EEEvT1_,comdat
	.protected	_ZN7rocprim17ROCPRIM_400000_NS6detail17trampoline_kernelINS0_14default_configENS1_25partition_config_selectorILNS1_17partition_subalgoE8EiNS0_10empty_typeEbEEZZNS1_14partition_implILS5_8ELb0ES3_jPKiPS6_PKS6_NS0_5tupleIJPiS6_EEENSE_IJSB_SB_EEENS0_18inequality_wrapperIN6hipcub16HIPCUB_304000_NS8EqualityEEEPlJS6_EEE10hipError_tPvRmT3_T4_T5_T6_T7_T9_mT8_P12ihipStream_tbDpT10_ENKUlT_T0_E_clISt17integral_constantIbLb1EES16_IbLb0EEEEDaS12_S13_EUlS12_E_NS1_11comp_targetILNS1_3genE3ELNS1_11target_archE908ELNS1_3gpuE7ELNS1_3repE0EEENS1_30default_config_static_selectorELNS0_4arch9wavefront6targetE0EEEvT1_ ; -- Begin function _ZN7rocprim17ROCPRIM_400000_NS6detail17trampoline_kernelINS0_14default_configENS1_25partition_config_selectorILNS1_17partition_subalgoE8EiNS0_10empty_typeEbEEZZNS1_14partition_implILS5_8ELb0ES3_jPKiPS6_PKS6_NS0_5tupleIJPiS6_EEENSE_IJSB_SB_EEENS0_18inequality_wrapperIN6hipcub16HIPCUB_304000_NS8EqualityEEEPlJS6_EEE10hipError_tPvRmT3_T4_T5_T6_T7_T9_mT8_P12ihipStream_tbDpT10_ENKUlT_T0_E_clISt17integral_constantIbLb1EES16_IbLb0EEEEDaS12_S13_EUlS12_E_NS1_11comp_targetILNS1_3genE3ELNS1_11target_archE908ELNS1_3gpuE7ELNS1_3repE0EEENS1_30default_config_static_selectorELNS0_4arch9wavefront6targetE0EEEvT1_
	.globl	_ZN7rocprim17ROCPRIM_400000_NS6detail17trampoline_kernelINS0_14default_configENS1_25partition_config_selectorILNS1_17partition_subalgoE8EiNS0_10empty_typeEbEEZZNS1_14partition_implILS5_8ELb0ES3_jPKiPS6_PKS6_NS0_5tupleIJPiS6_EEENSE_IJSB_SB_EEENS0_18inequality_wrapperIN6hipcub16HIPCUB_304000_NS8EqualityEEEPlJS6_EEE10hipError_tPvRmT3_T4_T5_T6_T7_T9_mT8_P12ihipStream_tbDpT10_ENKUlT_T0_E_clISt17integral_constantIbLb1EES16_IbLb0EEEEDaS12_S13_EUlS12_E_NS1_11comp_targetILNS1_3genE3ELNS1_11target_archE908ELNS1_3gpuE7ELNS1_3repE0EEENS1_30default_config_static_selectorELNS0_4arch9wavefront6targetE0EEEvT1_
	.p2align	8
	.type	_ZN7rocprim17ROCPRIM_400000_NS6detail17trampoline_kernelINS0_14default_configENS1_25partition_config_selectorILNS1_17partition_subalgoE8EiNS0_10empty_typeEbEEZZNS1_14partition_implILS5_8ELb0ES3_jPKiPS6_PKS6_NS0_5tupleIJPiS6_EEENSE_IJSB_SB_EEENS0_18inequality_wrapperIN6hipcub16HIPCUB_304000_NS8EqualityEEEPlJS6_EEE10hipError_tPvRmT3_T4_T5_T6_T7_T9_mT8_P12ihipStream_tbDpT10_ENKUlT_T0_E_clISt17integral_constantIbLb1EES16_IbLb0EEEEDaS12_S13_EUlS12_E_NS1_11comp_targetILNS1_3genE3ELNS1_11target_archE908ELNS1_3gpuE7ELNS1_3repE0EEENS1_30default_config_static_selectorELNS0_4arch9wavefront6targetE0EEEvT1_,@function
_ZN7rocprim17ROCPRIM_400000_NS6detail17trampoline_kernelINS0_14default_configENS1_25partition_config_selectorILNS1_17partition_subalgoE8EiNS0_10empty_typeEbEEZZNS1_14partition_implILS5_8ELb0ES3_jPKiPS6_PKS6_NS0_5tupleIJPiS6_EEENSE_IJSB_SB_EEENS0_18inequality_wrapperIN6hipcub16HIPCUB_304000_NS8EqualityEEEPlJS6_EEE10hipError_tPvRmT3_T4_T5_T6_T7_T9_mT8_P12ihipStream_tbDpT10_ENKUlT_T0_E_clISt17integral_constantIbLb1EES16_IbLb0EEEEDaS12_S13_EUlS12_E_NS1_11comp_targetILNS1_3genE3ELNS1_11target_archE908ELNS1_3gpuE7ELNS1_3repE0EEENS1_30default_config_static_selectorELNS0_4arch9wavefront6targetE0EEEvT1_: ; @_ZN7rocprim17ROCPRIM_400000_NS6detail17trampoline_kernelINS0_14default_configENS1_25partition_config_selectorILNS1_17partition_subalgoE8EiNS0_10empty_typeEbEEZZNS1_14partition_implILS5_8ELb0ES3_jPKiPS6_PKS6_NS0_5tupleIJPiS6_EEENSE_IJSB_SB_EEENS0_18inequality_wrapperIN6hipcub16HIPCUB_304000_NS8EqualityEEEPlJS6_EEE10hipError_tPvRmT3_T4_T5_T6_T7_T9_mT8_P12ihipStream_tbDpT10_ENKUlT_T0_E_clISt17integral_constantIbLb1EES16_IbLb0EEEEDaS12_S13_EUlS12_E_NS1_11comp_targetILNS1_3genE3ELNS1_11target_archE908ELNS1_3gpuE7ELNS1_3repE0EEENS1_30default_config_static_selectorELNS0_4arch9wavefront6targetE0EEEvT1_
; %bb.0:
	.section	.rodata,"a",@progbits
	.p2align	6, 0x0
	.amdhsa_kernel _ZN7rocprim17ROCPRIM_400000_NS6detail17trampoline_kernelINS0_14default_configENS1_25partition_config_selectorILNS1_17partition_subalgoE8EiNS0_10empty_typeEbEEZZNS1_14partition_implILS5_8ELb0ES3_jPKiPS6_PKS6_NS0_5tupleIJPiS6_EEENSE_IJSB_SB_EEENS0_18inequality_wrapperIN6hipcub16HIPCUB_304000_NS8EqualityEEEPlJS6_EEE10hipError_tPvRmT3_T4_T5_T6_T7_T9_mT8_P12ihipStream_tbDpT10_ENKUlT_T0_E_clISt17integral_constantIbLb1EES16_IbLb0EEEEDaS12_S13_EUlS12_E_NS1_11comp_targetILNS1_3genE3ELNS1_11target_archE908ELNS1_3gpuE7ELNS1_3repE0EEENS1_30default_config_static_selectorELNS0_4arch9wavefront6targetE0EEEvT1_
		.amdhsa_group_segment_fixed_size 0
		.amdhsa_private_segment_fixed_size 0
		.amdhsa_kernarg_size 112
		.amdhsa_user_sgpr_count 2
		.amdhsa_user_sgpr_dispatch_ptr 0
		.amdhsa_user_sgpr_queue_ptr 0
		.amdhsa_user_sgpr_kernarg_segment_ptr 1
		.amdhsa_user_sgpr_dispatch_id 0
		.amdhsa_user_sgpr_kernarg_preload_length 0
		.amdhsa_user_sgpr_kernarg_preload_offset 0
		.amdhsa_user_sgpr_private_segment_size 0
		.amdhsa_wavefront_size32 1
		.amdhsa_uses_dynamic_stack 0
		.amdhsa_enable_private_segment 0
		.amdhsa_system_sgpr_workgroup_id_x 1
		.amdhsa_system_sgpr_workgroup_id_y 0
		.amdhsa_system_sgpr_workgroup_id_z 0
		.amdhsa_system_sgpr_workgroup_info 0
		.amdhsa_system_vgpr_workitem_id 0
		.amdhsa_next_free_vgpr 1
		.amdhsa_next_free_sgpr 1
		.amdhsa_named_barrier_count 0
		.amdhsa_reserve_vcc 0
		.amdhsa_float_round_mode_32 0
		.amdhsa_float_round_mode_16_64 0
		.amdhsa_float_denorm_mode_32 3
		.amdhsa_float_denorm_mode_16_64 3
		.amdhsa_fp16_overflow 0
		.amdhsa_memory_ordered 1
		.amdhsa_forward_progress 1
		.amdhsa_inst_pref_size 0
		.amdhsa_round_robin_scheduling 0
		.amdhsa_exception_fp_ieee_invalid_op 0
		.amdhsa_exception_fp_denorm_src 0
		.amdhsa_exception_fp_ieee_div_zero 0
		.amdhsa_exception_fp_ieee_overflow 0
		.amdhsa_exception_fp_ieee_underflow 0
		.amdhsa_exception_fp_ieee_inexact 0
		.amdhsa_exception_int_div_zero 0
	.end_amdhsa_kernel
	.section	.text._ZN7rocprim17ROCPRIM_400000_NS6detail17trampoline_kernelINS0_14default_configENS1_25partition_config_selectorILNS1_17partition_subalgoE8EiNS0_10empty_typeEbEEZZNS1_14partition_implILS5_8ELb0ES3_jPKiPS6_PKS6_NS0_5tupleIJPiS6_EEENSE_IJSB_SB_EEENS0_18inequality_wrapperIN6hipcub16HIPCUB_304000_NS8EqualityEEEPlJS6_EEE10hipError_tPvRmT3_T4_T5_T6_T7_T9_mT8_P12ihipStream_tbDpT10_ENKUlT_T0_E_clISt17integral_constantIbLb1EES16_IbLb0EEEEDaS12_S13_EUlS12_E_NS1_11comp_targetILNS1_3genE3ELNS1_11target_archE908ELNS1_3gpuE7ELNS1_3repE0EEENS1_30default_config_static_selectorELNS0_4arch9wavefront6targetE0EEEvT1_,"axG",@progbits,_ZN7rocprim17ROCPRIM_400000_NS6detail17trampoline_kernelINS0_14default_configENS1_25partition_config_selectorILNS1_17partition_subalgoE8EiNS0_10empty_typeEbEEZZNS1_14partition_implILS5_8ELb0ES3_jPKiPS6_PKS6_NS0_5tupleIJPiS6_EEENSE_IJSB_SB_EEENS0_18inequality_wrapperIN6hipcub16HIPCUB_304000_NS8EqualityEEEPlJS6_EEE10hipError_tPvRmT3_T4_T5_T6_T7_T9_mT8_P12ihipStream_tbDpT10_ENKUlT_T0_E_clISt17integral_constantIbLb1EES16_IbLb0EEEEDaS12_S13_EUlS12_E_NS1_11comp_targetILNS1_3genE3ELNS1_11target_archE908ELNS1_3gpuE7ELNS1_3repE0EEENS1_30default_config_static_selectorELNS0_4arch9wavefront6targetE0EEEvT1_,comdat
.Lfunc_end429:
	.size	_ZN7rocprim17ROCPRIM_400000_NS6detail17trampoline_kernelINS0_14default_configENS1_25partition_config_selectorILNS1_17partition_subalgoE8EiNS0_10empty_typeEbEEZZNS1_14partition_implILS5_8ELb0ES3_jPKiPS6_PKS6_NS0_5tupleIJPiS6_EEENSE_IJSB_SB_EEENS0_18inequality_wrapperIN6hipcub16HIPCUB_304000_NS8EqualityEEEPlJS6_EEE10hipError_tPvRmT3_T4_T5_T6_T7_T9_mT8_P12ihipStream_tbDpT10_ENKUlT_T0_E_clISt17integral_constantIbLb1EES16_IbLb0EEEEDaS12_S13_EUlS12_E_NS1_11comp_targetILNS1_3genE3ELNS1_11target_archE908ELNS1_3gpuE7ELNS1_3repE0EEENS1_30default_config_static_selectorELNS0_4arch9wavefront6targetE0EEEvT1_, .Lfunc_end429-_ZN7rocprim17ROCPRIM_400000_NS6detail17trampoline_kernelINS0_14default_configENS1_25partition_config_selectorILNS1_17partition_subalgoE8EiNS0_10empty_typeEbEEZZNS1_14partition_implILS5_8ELb0ES3_jPKiPS6_PKS6_NS0_5tupleIJPiS6_EEENSE_IJSB_SB_EEENS0_18inequality_wrapperIN6hipcub16HIPCUB_304000_NS8EqualityEEEPlJS6_EEE10hipError_tPvRmT3_T4_T5_T6_T7_T9_mT8_P12ihipStream_tbDpT10_ENKUlT_T0_E_clISt17integral_constantIbLb1EES16_IbLb0EEEEDaS12_S13_EUlS12_E_NS1_11comp_targetILNS1_3genE3ELNS1_11target_archE908ELNS1_3gpuE7ELNS1_3repE0EEENS1_30default_config_static_selectorELNS0_4arch9wavefront6targetE0EEEvT1_
                                        ; -- End function
	.set _ZN7rocprim17ROCPRIM_400000_NS6detail17trampoline_kernelINS0_14default_configENS1_25partition_config_selectorILNS1_17partition_subalgoE8EiNS0_10empty_typeEbEEZZNS1_14partition_implILS5_8ELb0ES3_jPKiPS6_PKS6_NS0_5tupleIJPiS6_EEENSE_IJSB_SB_EEENS0_18inequality_wrapperIN6hipcub16HIPCUB_304000_NS8EqualityEEEPlJS6_EEE10hipError_tPvRmT3_T4_T5_T6_T7_T9_mT8_P12ihipStream_tbDpT10_ENKUlT_T0_E_clISt17integral_constantIbLb1EES16_IbLb0EEEEDaS12_S13_EUlS12_E_NS1_11comp_targetILNS1_3genE3ELNS1_11target_archE908ELNS1_3gpuE7ELNS1_3repE0EEENS1_30default_config_static_selectorELNS0_4arch9wavefront6targetE0EEEvT1_.num_vgpr, 0
	.set _ZN7rocprim17ROCPRIM_400000_NS6detail17trampoline_kernelINS0_14default_configENS1_25partition_config_selectorILNS1_17partition_subalgoE8EiNS0_10empty_typeEbEEZZNS1_14partition_implILS5_8ELb0ES3_jPKiPS6_PKS6_NS0_5tupleIJPiS6_EEENSE_IJSB_SB_EEENS0_18inequality_wrapperIN6hipcub16HIPCUB_304000_NS8EqualityEEEPlJS6_EEE10hipError_tPvRmT3_T4_T5_T6_T7_T9_mT8_P12ihipStream_tbDpT10_ENKUlT_T0_E_clISt17integral_constantIbLb1EES16_IbLb0EEEEDaS12_S13_EUlS12_E_NS1_11comp_targetILNS1_3genE3ELNS1_11target_archE908ELNS1_3gpuE7ELNS1_3repE0EEENS1_30default_config_static_selectorELNS0_4arch9wavefront6targetE0EEEvT1_.num_agpr, 0
	.set _ZN7rocprim17ROCPRIM_400000_NS6detail17trampoline_kernelINS0_14default_configENS1_25partition_config_selectorILNS1_17partition_subalgoE8EiNS0_10empty_typeEbEEZZNS1_14partition_implILS5_8ELb0ES3_jPKiPS6_PKS6_NS0_5tupleIJPiS6_EEENSE_IJSB_SB_EEENS0_18inequality_wrapperIN6hipcub16HIPCUB_304000_NS8EqualityEEEPlJS6_EEE10hipError_tPvRmT3_T4_T5_T6_T7_T9_mT8_P12ihipStream_tbDpT10_ENKUlT_T0_E_clISt17integral_constantIbLb1EES16_IbLb0EEEEDaS12_S13_EUlS12_E_NS1_11comp_targetILNS1_3genE3ELNS1_11target_archE908ELNS1_3gpuE7ELNS1_3repE0EEENS1_30default_config_static_selectorELNS0_4arch9wavefront6targetE0EEEvT1_.numbered_sgpr, 0
	.set _ZN7rocprim17ROCPRIM_400000_NS6detail17trampoline_kernelINS0_14default_configENS1_25partition_config_selectorILNS1_17partition_subalgoE8EiNS0_10empty_typeEbEEZZNS1_14partition_implILS5_8ELb0ES3_jPKiPS6_PKS6_NS0_5tupleIJPiS6_EEENSE_IJSB_SB_EEENS0_18inequality_wrapperIN6hipcub16HIPCUB_304000_NS8EqualityEEEPlJS6_EEE10hipError_tPvRmT3_T4_T5_T6_T7_T9_mT8_P12ihipStream_tbDpT10_ENKUlT_T0_E_clISt17integral_constantIbLb1EES16_IbLb0EEEEDaS12_S13_EUlS12_E_NS1_11comp_targetILNS1_3genE3ELNS1_11target_archE908ELNS1_3gpuE7ELNS1_3repE0EEENS1_30default_config_static_selectorELNS0_4arch9wavefront6targetE0EEEvT1_.num_named_barrier, 0
	.set _ZN7rocprim17ROCPRIM_400000_NS6detail17trampoline_kernelINS0_14default_configENS1_25partition_config_selectorILNS1_17partition_subalgoE8EiNS0_10empty_typeEbEEZZNS1_14partition_implILS5_8ELb0ES3_jPKiPS6_PKS6_NS0_5tupleIJPiS6_EEENSE_IJSB_SB_EEENS0_18inequality_wrapperIN6hipcub16HIPCUB_304000_NS8EqualityEEEPlJS6_EEE10hipError_tPvRmT3_T4_T5_T6_T7_T9_mT8_P12ihipStream_tbDpT10_ENKUlT_T0_E_clISt17integral_constantIbLb1EES16_IbLb0EEEEDaS12_S13_EUlS12_E_NS1_11comp_targetILNS1_3genE3ELNS1_11target_archE908ELNS1_3gpuE7ELNS1_3repE0EEENS1_30default_config_static_selectorELNS0_4arch9wavefront6targetE0EEEvT1_.private_seg_size, 0
	.set _ZN7rocprim17ROCPRIM_400000_NS6detail17trampoline_kernelINS0_14default_configENS1_25partition_config_selectorILNS1_17partition_subalgoE8EiNS0_10empty_typeEbEEZZNS1_14partition_implILS5_8ELb0ES3_jPKiPS6_PKS6_NS0_5tupleIJPiS6_EEENSE_IJSB_SB_EEENS0_18inequality_wrapperIN6hipcub16HIPCUB_304000_NS8EqualityEEEPlJS6_EEE10hipError_tPvRmT3_T4_T5_T6_T7_T9_mT8_P12ihipStream_tbDpT10_ENKUlT_T0_E_clISt17integral_constantIbLb1EES16_IbLb0EEEEDaS12_S13_EUlS12_E_NS1_11comp_targetILNS1_3genE3ELNS1_11target_archE908ELNS1_3gpuE7ELNS1_3repE0EEENS1_30default_config_static_selectorELNS0_4arch9wavefront6targetE0EEEvT1_.uses_vcc, 0
	.set _ZN7rocprim17ROCPRIM_400000_NS6detail17trampoline_kernelINS0_14default_configENS1_25partition_config_selectorILNS1_17partition_subalgoE8EiNS0_10empty_typeEbEEZZNS1_14partition_implILS5_8ELb0ES3_jPKiPS6_PKS6_NS0_5tupleIJPiS6_EEENSE_IJSB_SB_EEENS0_18inequality_wrapperIN6hipcub16HIPCUB_304000_NS8EqualityEEEPlJS6_EEE10hipError_tPvRmT3_T4_T5_T6_T7_T9_mT8_P12ihipStream_tbDpT10_ENKUlT_T0_E_clISt17integral_constantIbLb1EES16_IbLb0EEEEDaS12_S13_EUlS12_E_NS1_11comp_targetILNS1_3genE3ELNS1_11target_archE908ELNS1_3gpuE7ELNS1_3repE0EEENS1_30default_config_static_selectorELNS0_4arch9wavefront6targetE0EEEvT1_.uses_flat_scratch, 0
	.set _ZN7rocprim17ROCPRIM_400000_NS6detail17trampoline_kernelINS0_14default_configENS1_25partition_config_selectorILNS1_17partition_subalgoE8EiNS0_10empty_typeEbEEZZNS1_14partition_implILS5_8ELb0ES3_jPKiPS6_PKS6_NS0_5tupleIJPiS6_EEENSE_IJSB_SB_EEENS0_18inequality_wrapperIN6hipcub16HIPCUB_304000_NS8EqualityEEEPlJS6_EEE10hipError_tPvRmT3_T4_T5_T6_T7_T9_mT8_P12ihipStream_tbDpT10_ENKUlT_T0_E_clISt17integral_constantIbLb1EES16_IbLb0EEEEDaS12_S13_EUlS12_E_NS1_11comp_targetILNS1_3genE3ELNS1_11target_archE908ELNS1_3gpuE7ELNS1_3repE0EEENS1_30default_config_static_selectorELNS0_4arch9wavefront6targetE0EEEvT1_.has_dyn_sized_stack, 0
	.set _ZN7rocprim17ROCPRIM_400000_NS6detail17trampoline_kernelINS0_14default_configENS1_25partition_config_selectorILNS1_17partition_subalgoE8EiNS0_10empty_typeEbEEZZNS1_14partition_implILS5_8ELb0ES3_jPKiPS6_PKS6_NS0_5tupleIJPiS6_EEENSE_IJSB_SB_EEENS0_18inequality_wrapperIN6hipcub16HIPCUB_304000_NS8EqualityEEEPlJS6_EEE10hipError_tPvRmT3_T4_T5_T6_T7_T9_mT8_P12ihipStream_tbDpT10_ENKUlT_T0_E_clISt17integral_constantIbLb1EES16_IbLb0EEEEDaS12_S13_EUlS12_E_NS1_11comp_targetILNS1_3genE3ELNS1_11target_archE908ELNS1_3gpuE7ELNS1_3repE0EEENS1_30default_config_static_selectorELNS0_4arch9wavefront6targetE0EEEvT1_.has_recursion, 0
	.set _ZN7rocprim17ROCPRIM_400000_NS6detail17trampoline_kernelINS0_14default_configENS1_25partition_config_selectorILNS1_17partition_subalgoE8EiNS0_10empty_typeEbEEZZNS1_14partition_implILS5_8ELb0ES3_jPKiPS6_PKS6_NS0_5tupleIJPiS6_EEENSE_IJSB_SB_EEENS0_18inequality_wrapperIN6hipcub16HIPCUB_304000_NS8EqualityEEEPlJS6_EEE10hipError_tPvRmT3_T4_T5_T6_T7_T9_mT8_P12ihipStream_tbDpT10_ENKUlT_T0_E_clISt17integral_constantIbLb1EES16_IbLb0EEEEDaS12_S13_EUlS12_E_NS1_11comp_targetILNS1_3genE3ELNS1_11target_archE908ELNS1_3gpuE7ELNS1_3repE0EEENS1_30default_config_static_selectorELNS0_4arch9wavefront6targetE0EEEvT1_.has_indirect_call, 0
	.section	.AMDGPU.csdata,"",@progbits
; Kernel info:
; codeLenInByte = 0
; TotalNumSgprs: 0
; NumVgprs: 0
; ScratchSize: 0
; MemoryBound: 0
; FloatMode: 240
; IeeeMode: 1
; LDSByteSize: 0 bytes/workgroup (compile time only)
; SGPRBlocks: 0
; VGPRBlocks: 0
; NumSGPRsForWavesPerEU: 1
; NumVGPRsForWavesPerEU: 1
; NamedBarCnt: 0
; Occupancy: 16
; WaveLimiterHint : 0
; COMPUTE_PGM_RSRC2:SCRATCH_EN: 0
; COMPUTE_PGM_RSRC2:USER_SGPR: 2
; COMPUTE_PGM_RSRC2:TRAP_HANDLER: 0
; COMPUTE_PGM_RSRC2:TGID_X_EN: 1
; COMPUTE_PGM_RSRC2:TGID_Y_EN: 0
; COMPUTE_PGM_RSRC2:TGID_Z_EN: 0
; COMPUTE_PGM_RSRC2:TIDIG_COMP_CNT: 0
	.section	.text._ZN7rocprim17ROCPRIM_400000_NS6detail17trampoline_kernelINS0_14default_configENS1_25partition_config_selectorILNS1_17partition_subalgoE8EiNS0_10empty_typeEbEEZZNS1_14partition_implILS5_8ELb0ES3_jPKiPS6_PKS6_NS0_5tupleIJPiS6_EEENSE_IJSB_SB_EEENS0_18inequality_wrapperIN6hipcub16HIPCUB_304000_NS8EqualityEEEPlJS6_EEE10hipError_tPvRmT3_T4_T5_T6_T7_T9_mT8_P12ihipStream_tbDpT10_ENKUlT_T0_E_clISt17integral_constantIbLb1EES16_IbLb0EEEEDaS12_S13_EUlS12_E_NS1_11comp_targetILNS1_3genE2ELNS1_11target_archE906ELNS1_3gpuE6ELNS1_3repE0EEENS1_30default_config_static_selectorELNS0_4arch9wavefront6targetE0EEEvT1_,"axG",@progbits,_ZN7rocprim17ROCPRIM_400000_NS6detail17trampoline_kernelINS0_14default_configENS1_25partition_config_selectorILNS1_17partition_subalgoE8EiNS0_10empty_typeEbEEZZNS1_14partition_implILS5_8ELb0ES3_jPKiPS6_PKS6_NS0_5tupleIJPiS6_EEENSE_IJSB_SB_EEENS0_18inequality_wrapperIN6hipcub16HIPCUB_304000_NS8EqualityEEEPlJS6_EEE10hipError_tPvRmT3_T4_T5_T6_T7_T9_mT8_P12ihipStream_tbDpT10_ENKUlT_T0_E_clISt17integral_constantIbLb1EES16_IbLb0EEEEDaS12_S13_EUlS12_E_NS1_11comp_targetILNS1_3genE2ELNS1_11target_archE906ELNS1_3gpuE6ELNS1_3repE0EEENS1_30default_config_static_selectorELNS0_4arch9wavefront6targetE0EEEvT1_,comdat
	.protected	_ZN7rocprim17ROCPRIM_400000_NS6detail17trampoline_kernelINS0_14default_configENS1_25partition_config_selectorILNS1_17partition_subalgoE8EiNS0_10empty_typeEbEEZZNS1_14partition_implILS5_8ELb0ES3_jPKiPS6_PKS6_NS0_5tupleIJPiS6_EEENSE_IJSB_SB_EEENS0_18inequality_wrapperIN6hipcub16HIPCUB_304000_NS8EqualityEEEPlJS6_EEE10hipError_tPvRmT3_T4_T5_T6_T7_T9_mT8_P12ihipStream_tbDpT10_ENKUlT_T0_E_clISt17integral_constantIbLb1EES16_IbLb0EEEEDaS12_S13_EUlS12_E_NS1_11comp_targetILNS1_3genE2ELNS1_11target_archE906ELNS1_3gpuE6ELNS1_3repE0EEENS1_30default_config_static_selectorELNS0_4arch9wavefront6targetE0EEEvT1_ ; -- Begin function _ZN7rocprim17ROCPRIM_400000_NS6detail17trampoline_kernelINS0_14default_configENS1_25partition_config_selectorILNS1_17partition_subalgoE8EiNS0_10empty_typeEbEEZZNS1_14partition_implILS5_8ELb0ES3_jPKiPS6_PKS6_NS0_5tupleIJPiS6_EEENSE_IJSB_SB_EEENS0_18inequality_wrapperIN6hipcub16HIPCUB_304000_NS8EqualityEEEPlJS6_EEE10hipError_tPvRmT3_T4_T5_T6_T7_T9_mT8_P12ihipStream_tbDpT10_ENKUlT_T0_E_clISt17integral_constantIbLb1EES16_IbLb0EEEEDaS12_S13_EUlS12_E_NS1_11comp_targetILNS1_3genE2ELNS1_11target_archE906ELNS1_3gpuE6ELNS1_3repE0EEENS1_30default_config_static_selectorELNS0_4arch9wavefront6targetE0EEEvT1_
	.globl	_ZN7rocprim17ROCPRIM_400000_NS6detail17trampoline_kernelINS0_14default_configENS1_25partition_config_selectorILNS1_17partition_subalgoE8EiNS0_10empty_typeEbEEZZNS1_14partition_implILS5_8ELb0ES3_jPKiPS6_PKS6_NS0_5tupleIJPiS6_EEENSE_IJSB_SB_EEENS0_18inequality_wrapperIN6hipcub16HIPCUB_304000_NS8EqualityEEEPlJS6_EEE10hipError_tPvRmT3_T4_T5_T6_T7_T9_mT8_P12ihipStream_tbDpT10_ENKUlT_T0_E_clISt17integral_constantIbLb1EES16_IbLb0EEEEDaS12_S13_EUlS12_E_NS1_11comp_targetILNS1_3genE2ELNS1_11target_archE906ELNS1_3gpuE6ELNS1_3repE0EEENS1_30default_config_static_selectorELNS0_4arch9wavefront6targetE0EEEvT1_
	.p2align	8
	.type	_ZN7rocprim17ROCPRIM_400000_NS6detail17trampoline_kernelINS0_14default_configENS1_25partition_config_selectorILNS1_17partition_subalgoE8EiNS0_10empty_typeEbEEZZNS1_14partition_implILS5_8ELb0ES3_jPKiPS6_PKS6_NS0_5tupleIJPiS6_EEENSE_IJSB_SB_EEENS0_18inequality_wrapperIN6hipcub16HIPCUB_304000_NS8EqualityEEEPlJS6_EEE10hipError_tPvRmT3_T4_T5_T6_T7_T9_mT8_P12ihipStream_tbDpT10_ENKUlT_T0_E_clISt17integral_constantIbLb1EES16_IbLb0EEEEDaS12_S13_EUlS12_E_NS1_11comp_targetILNS1_3genE2ELNS1_11target_archE906ELNS1_3gpuE6ELNS1_3repE0EEENS1_30default_config_static_selectorELNS0_4arch9wavefront6targetE0EEEvT1_,@function
_ZN7rocprim17ROCPRIM_400000_NS6detail17trampoline_kernelINS0_14default_configENS1_25partition_config_selectorILNS1_17partition_subalgoE8EiNS0_10empty_typeEbEEZZNS1_14partition_implILS5_8ELb0ES3_jPKiPS6_PKS6_NS0_5tupleIJPiS6_EEENSE_IJSB_SB_EEENS0_18inequality_wrapperIN6hipcub16HIPCUB_304000_NS8EqualityEEEPlJS6_EEE10hipError_tPvRmT3_T4_T5_T6_T7_T9_mT8_P12ihipStream_tbDpT10_ENKUlT_T0_E_clISt17integral_constantIbLb1EES16_IbLb0EEEEDaS12_S13_EUlS12_E_NS1_11comp_targetILNS1_3genE2ELNS1_11target_archE906ELNS1_3gpuE6ELNS1_3repE0EEENS1_30default_config_static_selectorELNS0_4arch9wavefront6targetE0EEEvT1_: ; @_ZN7rocprim17ROCPRIM_400000_NS6detail17trampoline_kernelINS0_14default_configENS1_25partition_config_selectorILNS1_17partition_subalgoE8EiNS0_10empty_typeEbEEZZNS1_14partition_implILS5_8ELb0ES3_jPKiPS6_PKS6_NS0_5tupleIJPiS6_EEENSE_IJSB_SB_EEENS0_18inequality_wrapperIN6hipcub16HIPCUB_304000_NS8EqualityEEEPlJS6_EEE10hipError_tPvRmT3_T4_T5_T6_T7_T9_mT8_P12ihipStream_tbDpT10_ENKUlT_T0_E_clISt17integral_constantIbLb1EES16_IbLb0EEEEDaS12_S13_EUlS12_E_NS1_11comp_targetILNS1_3genE2ELNS1_11target_archE906ELNS1_3gpuE6ELNS1_3repE0EEENS1_30default_config_static_selectorELNS0_4arch9wavefront6targetE0EEEvT1_
; %bb.0:
	.section	.rodata,"a",@progbits
	.p2align	6, 0x0
	.amdhsa_kernel _ZN7rocprim17ROCPRIM_400000_NS6detail17trampoline_kernelINS0_14default_configENS1_25partition_config_selectorILNS1_17partition_subalgoE8EiNS0_10empty_typeEbEEZZNS1_14partition_implILS5_8ELb0ES3_jPKiPS6_PKS6_NS0_5tupleIJPiS6_EEENSE_IJSB_SB_EEENS0_18inequality_wrapperIN6hipcub16HIPCUB_304000_NS8EqualityEEEPlJS6_EEE10hipError_tPvRmT3_T4_T5_T6_T7_T9_mT8_P12ihipStream_tbDpT10_ENKUlT_T0_E_clISt17integral_constantIbLb1EES16_IbLb0EEEEDaS12_S13_EUlS12_E_NS1_11comp_targetILNS1_3genE2ELNS1_11target_archE906ELNS1_3gpuE6ELNS1_3repE0EEENS1_30default_config_static_selectorELNS0_4arch9wavefront6targetE0EEEvT1_
		.amdhsa_group_segment_fixed_size 0
		.amdhsa_private_segment_fixed_size 0
		.amdhsa_kernarg_size 112
		.amdhsa_user_sgpr_count 2
		.amdhsa_user_sgpr_dispatch_ptr 0
		.amdhsa_user_sgpr_queue_ptr 0
		.amdhsa_user_sgpr_kernarg_segment_ptr 1
		.amdhsa_user_sgpr_dispatch_id 0
		.amdhsa_user_sgpr_kernarg_preload_length 0
		.amdhsa_user_sgpr_kernarg_preload_offset 0
		.amdhsa_user_sgpr_private_segment_size 0
		.amdhsa_wavefront_size32 1
		.amdhsa_uses_dynamic_stack 0
		.amdhsa_enable_private_segment 0
		.amdhsa_system_sgpr_workgroup_id_x 1
		.amdhsa_system_sgpr_workgroup_id_y 0
		.amdhsa_system_sgpr_workgroup_id_z 0
		.amdhsa_system_sgpr_workgroup_info 0
		.amdhsa_system_vgpr_workitem_id 0
		.amdhsa_next_free_vgpr 1
		.amdhsa_next_free_sgpr 1
		.amdhsa_named_barrier_count 0
		.amdhsa_reserve_vcc 0
		.amdhsa_float_round_mode_32 0
		.amdhsa_float_round_mode_16_64 0
		.amdhsa_float_denorm_mode_32 3
		.amdhsa_float_denorm_mode_16_64 3
		.amdhsa_fp16_overflow 0
		.amdhsa_memory_ordered 1
		.amdhsa_forward_progress 1
		.amdhsa_inst_pref_size 0
		.amdhsa_round_robin_scheduling 0
		.amdhsa_exception_fp_ieee_invalid_op 0
		.amdhsa_exception_fp_denorm_src 0
		.amdhsa_exception_fp_ieee_div_zero 0
		.amdhsa_exception_fp_ieee_overflow 0
		.amdhsa_exception_fp_ieee_underflow 0
		.amdhsa_exception_fp_ieee_inexact 0
		.amdhsa_exception_int_div_zero 0
	.end_amdhsa_kernel
	.section	.text._ZN7rocprim17ROCPRIM_400000_NS6detail17trampoline_kernelINS0_14default_configENS1_25partition_config_selectorILNS1_17partition_subalgoE8EiNS0_10empty_typeEbEEZZNS1_14partition_implILS5_8ELb0ES3_jPKiPS6_PKS6_NS0_5tupleIJPiS6_EEENSE_IJSB_SB_EEENS0_18inequality_wrapperIN6hipcub16HIPCUB_304000_NS8EqualityEEEPlJS6_EEE10hipError_tPvRmT3_T4_T5_T6_T7_T9_mT8_P12ihipStream_tbDpT10_ENKUlT_T0_E_clISt17integral_constantIbLb1EES16_IbLb0EEEEDaS12_S13_EUlS12_E_NS1_11comp_targetILNS1_3genE2ELNS1_11target_archE906ELNS1_3gpuE6ELNS1_3repE0EEENS1_30default_config_static_selectorELNS0_4arch9wavefront6targetE0EEEvT1_,"axG",@progbits,_ZN7rocprim17ROCPRIM_400000_NS6detail17trampoline_kernelINS0_14default_configENS1_25partition_config_selectorILNS1_17partition_subalgoE8EiNS0_10empty_typeEbEEZZNS1_14partition_implILS5_8ELb0ES3_jPKiPS6_PKS6_NS0_5tupleIJPiS6_EEENSE_IJSB_SB_EEENS0_18inequality_wrapperIN6hipcub16HIPCUB_304000_NS8EqualityEEEPlJS6_EEE10hipError_tPvRmT3_T4_T5_T6_T7_T9_mT8_P12ihipStream_tbDpT10_ENKUlT_T0_E_clISt17integral_constantIbLb1EES16_IbLb0EEEEDaS12_S13_EUlS12_E_NS1_11comp_targetILNS1_3genE2ELNS1_11target_archE906ELNS1_3gpuE6ELNS1_3repE0EEENS1_30default_config_static_selectorELNS0_4arch9wavefront6targetE0EEEvT1_,comdat
.Lfunc_end430:
	.size	_ZN7rocprim17ROCPRIM_400000_NS6detail17trampoline_kernelINS0_14default_configENS1_25partition_config_selectorILNS1_17partition_subalgoE8EiNS0_10empty_typeEbEEZZNS1_14partition_implILS5_8ELb0ES3_jPKiPS6_PKS6_NS0_5tupleIJPiS6_EEENSE_IJSB_SB_EEENS0_18inequality_wrapperIN6hipcub16HIPCUB_304000_NS8EqualityEEEPlJS6_EEE10hipError_tPvRmT3_T4_T5_T6_T7_T9_mT8_P12ihipStream_tbDpT10_ENKUlT_T0_E_clISt17integral_constantIbLb1EES16_IbLb0EEEEDaS12_S13_EUlS12_E_NS1_11comp_targetILNS1_3genE2ELNS1_11target_archE906ELNS1_3gpuE6ELNS1_3repE0EEENS1_30default_config_static_selectorELNS0_4arch9wavefront6targetE0EEEvT1_, .Lfunc_end430-_ZN7rocprim17ROCPRIM_400000_NS6detail17trampoline_kernelINS0_14default_configENS1_25partition_config_selectorILNS1_17partition_subalgoE8EiNS0_10empty_typeEbEEZZNS1_14partition_implILS5_8ELb0ES3_jPKiPS6_PKS6_NS0_5tupleIJPiS6_EEENSE_IJSB_SB_EEENS0_18inequality_wrapperIN6hipcub16HIPCUB_304000_NS8EqualityEEEPlJS6_EEE10hipError_tPvRmT3_T4_T5_T6_T7_T9_mT8_P12ihipStream_tbDpT10_ENKUlT_T0_E_clISt17integral_constantIbLb1EES16_IbLb0EEEEDaS12_S13_EUlS12_E_NS1_11comp_targetILNS1_3genE2ELNS1_11target_archE906ELNS1_3gpuE6ELNS1_3repE0EEENS1_30default_config_static_selectorELNS0_4arch9wavefront6targetE0EEEvT1_
                                        ; -- End function
	.set _ZN7rocprim17ROCPRIM_400000_NS6detail17trampoline_kernelINS0_14default_configENS1_25partition_config_selectorILNS1_17partition_subalgoE8EiNS0_10empty_typeEbEEZZNS1_14partition_implILS5_8ELb0ES3_jPKiPS6_PKS6_NS0_5tupleIJPiS6_EEENSE_IJSB_SB_EEENS0_18inequality_wrapperIN6hipcub16HIPCUB_304000_NS8EqualityEEEPlJS6_EEE10hipError_tPvRmT3_T4_T5_T6_T7_T9_mT8_P12ihipStream_tbDpT10_ENKUlT_T0_E_clISt17integral_constantIbLb1EES16_IbLb0EEEEDaS12_S13_EUlS12_E_NS1_11comp_targetILNS1_3genE2ELNS1_11target_archE906ELNS1_3gpuE6ELNS1_3repE0EEENS1_30default_config_static_selectorELNS0_4arch9wavefront6targetE0EEEvT1_.num_vgpr, 0
	.set _ZN7rocprim17ROCPRIM_400000_NS6detail17trampoline_kernelINS0_14default_configENS1_25partition_config_selectorILNS1_17partition_subalgoE8EiNS0_10empty_typeEbEEZZNS1_14partition_implILS5_8ELb0ES3_jPKiPS6_PKS6_NS0_5tupleIJPiS6_EEENSE_IJSB_SB_EEENS0_18inequality_wrapperIN6hipcub16HIPCUB_304000_NS8EqualityEEEPlJS6_EEE10hipError_tPvRmT3_T4_T5_T6_T7_T9_mT8_P12ihipStream_tbDpT10_ENKUlT_T0_E_clISt17integral_constantIbLb1EES16_IbLb0EEEEDaS12_S13_EUlS12_E_NS1_11comp_targetILNS1_3genE2ELNS1_11target_archE906ELNS1_3gpuE6ELNS1_3repE0EEENS1_30default_config_static_selectorELNS0_4arch9wavefront6targetE0EEEvT1_.num_agpr, 0
	.set _ZN7rocprim17ROCPRIM_400000_NS6detail17trampoline_kernelINS0_14default_configENS1_25partition_config_selectorILNS1_17partition_subalgoE8EiNS0_10empty_typeEbEEZZNS1_14partition_implILS5_8ELb0ES3_jPKiPS6_PKS6_NS0_5tupleIJPiS6_EEENSE_IJSB_SB_EEENS0_18inequality_wrapperIN6hipcub16HIPCUB_304000_NS8EqualityEEEPlJS6_EEE10hipError_tPvRmT3_T4_T5_T6_T7_T9_mT8_P12ihipStream_tbDpT10_ENKUlT_T0_E_clISt17integral_constantIbLb1EES16_IbLb0EEEEDaS12_S13_EUlS12_E_NS1_11comp_targetILNS1_3genE2ELNS1_11target_archE906ELNS1_3gpuE6ELNS1_3repE0EEENS1_30default_config_static_selectorELNS0_4arch9wavefront6targetE0EEEvT1_.numbered_sgpr, 0
	.set _ZN7rocprim17ROCPRIM_400000_NS6detail17trampoline_kernelINS0_14default_configENS1_25partition_config_selectorILNS1_17partition_subalgoE8EiNS0_10empty_typeEbEEZZNS1_14partition_implILS5_8ELb0ES3_jPKiPS6_PKS6_NS0_5tupleIJPiS6_EEENSE_IJSB_SB_EEENS0_18inequality_wrapperIN6hipcub16HIPCUB_304000_NS8EqualityEEEPlJS6_EEE10hipError_tPvRmT3_T4_T5_T6_T7_T9_mT8_P12ihipStream_tbDpT10_ENKUlT_T0_E_clISt17integral_constantIbLb1EES16_IbLb0EEEEDaS12_S13_EUlS12_E_NS1_11comp_targetILNS1_3genE2ELNS1_11target_archE906ELNS1_3gpuE6ELNS1_3repE0EEENS1_30default_config_static_selectorELNS0_4arch9wavefront6targetE0EEEvT1_.num_named_barrier, 0
	.set _ZN7rocprim17ROCPRIM_400000_NS6detail17trampoline_kernelINS0_14default_configENS1_25partition_config_selectorILNS1_17partition_subalgoE8EiNS0_10empty_typeEbEEZZNS1_14partition_implILS5_8ELb0ES3_jPKiPS6_PKS6_NS0_5tupleIJPiS6_EEENSE_IJSB_SB_EEENS0_18inequality_wrapperIN6hipcub16HIPCUB_304000_NS8EqualityEEEPlJS6_EEE10hipError_tPvRmT3_T4_T5_T6_T7_T9_mT8_P12ihipStream_tbDpT10_ENKUlT_T0_E_clISt17integral_constantIbLb1EES16_IbLb0EEEEDaS12_S13_EUlS12_E_NS1_11comp_targetILNS1_3genE2ELNS1_11target_archE906ELNS1_3gpuE6ELNS1_3repE0EEENS1_30default_config_static_selectorELNS0_4arch9wavefront6targetE0EEEvT1_.private_seg_size, 0
	.set _ZN7rocprim17ROCPRIM_400000_NS6detail17trampoline_kernelINS0_14default_configENS1_25partition_config_selectorILNS1_17partition_subalgoE8EiNS0_10empty_typeEbEEZZNS1_14partition_implILS5_8ELb0ES3_jPKiPS6_PKS6_NS0_5tupleIJPiS6_EEENSE_IJSB_SB_EEENS0_18inequality_wrapperIN6hipcub16HIPCUB_304000_NS8EqualityEEEPlJS6_EEE10hipError_tPvRmT3_T4_T5_T6_T7_T9_mT8_P12ihipStream_tbDpT10_ENKUlT_T0_E_clISt17integral_constantIbLb1EES16_IbLb0EEEEDaS12_S13_EUlS12_E_NS1_11comp_targetILNS1_3genE2ELNS1_11target_archE906ELNS1_3gpuE6ELNS1_3repE0EEENS1_30default_config_static_selectorELNS0_4arch9wavefront6targetE0EEEvT1_.uses_vcc, 0
	.set _ZN7rocprim17ROCPRIM_400000_NS6detail17trampoline_kernelINS0_14default_configENS1_25partition_config_selectorILNS1_17partition_subalgoE8EiNS0_10empty_typeEbEEZZNS1_14partition_implILS5_8ELb0ES3_jPKiPS6_PKS6_NS0_5tupleIJPiS6_EEENSE_IJSB_SB_EEENS0_18inequality_wrapperIN6hipcub16HIPCUB_304000_NS8EqualityEEEPlJS6_EEE10hipError_tPvRmT3_T4_T5_T6_T7_T9_mT8_P12ihipStream_tbDpT10_ENKUlT_T0_E_clISt17integral_constantIbLb1EES16_IbLb0EEEEDaS12_S13_EUlS12_E_NS1_11comp_targetILNS1_3genE2ELNS1_11target_archE906ELNS1_3gpuE6ELNS1_3repE0EEENS1_30default_config_static_selectorELNS0_4arch9wavefront6targetE0EEEvT1_.uses_flat_scratch, 0
	.set _ZN7rocprim17ROCPRIM_400000_NS6detail17trampoline_kernelINS0_14default_configENS1_25partition_config_selectorILNS1_17partition_subalgoE8EiNS0_10empty_typeEbEEZZNS1_14partition_implILS5_8ELb0ES3_jPKiPS6_PKS6_NS0_5tupleIJPiS6_EEENSE_IJSB_SB_EEENS0_18inequality_wrapperIN6hipcub16HIPCUB_304000_NS8EqualityEEEPlJS6_EEE10hipError_tPvRmT3_T4_T5_T6_T7_T9_mT8_P12ihipStream_tbDpT10_ENKUlT_T0_E_clISt17integral_constantIbLb1EES16_IbLb0EEEEDaS12_S13_EUlS12_E_NS1_11comp_targetILNS1_3genE2ELNS1_11target_archE906ELNS1_3gpuE6ELNS1_3repE0EEENS1_30default_config_static_selectorELNS0_4arch9wavefront6targetE0EEEvT1_.has_dyn_sized_stack, 0
	.set _ZN7rocprim17ROCPRIM_400000_NS6detail17trampoline_kernelINS0_14default_configENS1_25partition_config_selectorILNS1_17partition_subalgoE8EiNS0_10empty_typeEbEEZZNS1_14partition_implILS5_8ELb0ES3_jPKiPS6_PKS6_NS0_5tupleIJPiS6_EEENSE_IJSB_SB_EEENS0_18inequality_wrapperIN6hipcub16HIPCUB_304000_NS8EqualityEEEPlJS6_EEE10hipError_tPvRmT3_T4_T5_T6_T7_T9_mT8_P12ihipStream_tbDpT10_ENKUlT_T0_E_clISt17integral_constantIbLb1EES16_IbLb0EEEEDaS12_S13_EUlS12_E_NS1_11comp_targetILNS1_3genE2ELNS1_11target_archE906ELNS1_3gpuE6ELNS1_3repE0EEENS1_30default_config_static_selectorELNS0_4arch9wavefront6targetE0EEEvT1_.has_recursion, 0
	.set _ZN7rocprim17ROCPRIM_400000_NS6detail17trampoline_kernelINS0_14default_configENS1_25partition_config_selectorILNS1_17partition_subalgoE8EiNS0_10empty_typeEbEEZZNS1_14partition_implILS5_8ELb0ES3_jPKiPS6_PKS6_NS0_5tupleIJPiS6_EEENSE_IJSB_SB_EEENS0_18inequality_wrapperIN6hipcub16HIPCUB_304000_NS8EqualityEEEPlJS6_EEE10hipError_tPvRmT3_T4_T5_T6_T7_T9_mT8_P12ihipStream_tbDpT10_ENKUlT_T0_E_clISt17integral_constantIbLb1EES16_IbLb0EEEEDaS12_S13_EUlS12_E_NS1_11comp_targetILNS1_3genE2ELNS1_11target_archE906ELNS1_3gpuE6ELNS1_3repE0EEENS1_30default_config_static_selectorELNS0_4arch9wavefront6targetE0EEEvT1_.has_indirect_call, 0
	.section	.AMDGPU.csdata,"",@progbits
; Kernel info:
; codeLenInByte = 0
; TotalNumSgprs: 0
; NumVgprs: 0
; ScratchSize: 0
; MemoryBound: 0
; FloatMode: 240
; IeeeMode: 1
; LDSByteSize: 0 bytes/workgroup (compile time only)
; SGPRBlocks: 0
; VGPRBlocks: 0
; NumSGPRsForWavesPerEU: 1
; NumVGPRsForWavesPerEU: 1
; NamedBarCnt: 0
; Occupancy: 16
; WaveLimiterHint : 0
; COMPUTE_PGM_RSRC2:SCRATCH_EN: 0
; COMPUTE_PGM_RSRC2:USER_SGPR: 2
; COMPUTE_PGM_RSRC2:TRAP_HANDLER: 0
; COMPUTE_PGM_RSRC2:TGID_X_EN: 1
; COMPUTE_PGM_RSRC2:TGID_Y_EN: 0
; COMPUTE_PGM_RSRC2:TGID_Z_EN: 0
; COMPUTE_PGM_RSRC2:TIDIG_COMP_CNT: 0
	.section	.text._ZN7rocprim17ROCPRIM_400000_NS6detail17trampoline_kernelINS0_14default_configENS1_25partition_config_selectorILNS1_17partition_subalgoE8EiNS0_10empty_typeEbEEZZNS1_14partition_implILS5_8ELb0ES3_jPKiPS6_PKS6_NS0_5tupleIJPiS6_EEENSE_IJSB_SB_EEENS0_18inequality_wrapperIN6hipcub16HIPCUB_304000_NS8EqualityEEEPlJS6_EEE10hipError_tPvRmT3_T4_T5_T6_T7_T9_mT8_P12ihipStream_tbDpT10_ENKUlT_T0_E_clISt17integral_constantIbLb1EES16_IbLb0EEEEDaS12_S13_EUlS12_E_NS1_11comp_targetILNS1_3genE10ELNS1_11target_archE1200ELNS1_3gpuE4ELNS1_3repE0EEENS1_30default_config_static_selectorELNS0_4arch9wavefront6targetE0EEEvT1_,"axG",@progbits,_ZN7rocprim17ROCPRIM_400000_NS6detail17trampoline_kernelINS0_14default_configENS1_25partition_config_selectorILNS1_17partition_subalgoE8EiNS0_10empty_typeEbEEZZNS1_14partition_implILS5_8ELb0ES3_jPKiPS6_PKS6_NS0_5tupleIJPiS6_EEENSE_IJSB_SB_EEENS0_18inequality_wrapperIN6hipcub16HIPCUB_304000_NS8EqualityEEEPlJS6_EEE10hipError_tPvRmT3_T4_T5_T6_T7_T9_mT8_P12ihipStream_tbDpT10_ENKUlT_T0_E_clISt17integral_constantIbLb1EES16_IbLb0EEEEDaS12_S13_EUlS12_E_NS1_11comp_targetILNS1_3genE10ELNS1_11target_archE1200ELNS1_3gpuE4ELNS1_3repE0EEENS1_30default_config_static_selectorELNS0_4arch9wavefront6targetE0EEEvT1_,comdat
	.protected	_ZN7rocprim17ROCPRIM_400000_NS6detail17trampoline_kernelINS0_14default_configENS1_25partition_config_selectorILNS1_17partition_subalgoE8EiNS0_10empty_typeEbEEZZNS1_14partition_implILS5_8ELb0ES3_jPKiPS6_PKS6_NS0_5tupleIJPiS6_EEENSE_IJSB_SB_EEENS0_18inequality_wrapperIN6hipcub16HIPCUB_304000_NS8EqualityEEEPlJS6_EEE10hipError_tPvRmT3_T4_T5_T6_T7_T9_mT8_P12ihipStream_tbDpT10_ENKUlT_T0_E_clISt17integral_constantIbLb1EES16_IbLb0EEEEDaS12_S13_EUlS12_E_NS1_11comp_targetILNS1_3genE10ELNS1_11target_archE1200ELNS1_3gpuE4ELNS1_3repE0EEENS1_30default_config_static_selectorELNS0_4arch9wavefront6targetE0EEEvT1_ ; -- Begin function _ZN7rocprim17ROCPRIM_400000_NS6detail17trampoline_kernelINS0_14default_configENS1_25partition_config_selectorILNS1_17partition_subalgoE8EiNS0_10empty_typeEbEEZZNS1_14partition_implILS5_8ELb0ES3_jPKiPS6_PKS6_NS0_5tupleIJPiS6_EEENSE_IJSB_SB_EEENS0_18inequality_wrapperIN6hipcub16HIPCUB_304000_NS8EqualityEEEPlJS6_EEE10hipError_tPvRmT3_T4_T5_T6_T7_T9_mT8_P12ihipStream_tbDpT10_ENKUlT_T0_E_clISt17integral_constantIbLb1EES16_IbLb0EEEEDaS12_S13_EUlS12_E_NS1_11comp_targetILNS1_3genE10ELNS1_11target_archE1200ELNS1_3gpuE4ELNS1_3repE0EEENS1_30default_config_static_selectorELNS0_4arch9wavefront6targetE0EEEvT1_
	.globl	_ZN7rocprim17ROCPRIM_400000_NS6detail17trampoline_kernelINS0_14default_configENS1_25partition_config_selectorILNS1_17partition_subalgoE8EiNS0_10empty_typeEbEEZZNS1_14partition_implILS5_8ELb0ES3_jPKiPS6_PKS6_NS0_5tupleIJPiS6_EEENSE_IJSB_SB_EEENS0_18inequality_wrapperIN6hipcub16HIPCUB_304000_NS8EqualityEEEPlJS6_EEE10hipError_tPvRmT3_T4_T5_T6_T7_T9_mT8_P12ihipStream_tbDpT10_ENKUlT_T0_E_clISt17integral_constantIbLb1EES16_IbLb0EEEEDaS12_S13_EUlS12_E_NS1_11comp_targetILNS1_3genE10ELNS1_11target_archE1200ELNS1_3gpuE4ELNS1_3repE0EEENS1_30default_config_static_selectorELNS0_4arch9wavefront6targetE0EEEvT1_
	.p2align	8
	.type	_ZN7rocprim17ROCPRIM_400000_NS6detail17trampoline_kernelINS0_14default_configENS1_25partition_config_selectorILNS1_17partition_subalgoE8EiNS0_10empty_typeEbEEZZNS1_14partition_implILS5_8ELb0ES3_jPKiPS6_PKS6_NS0_5tupleIJPiS6_EEENSE_IJSB_SB_EEENS0_18inequality_wrapperIN6hipcub16HIPCUB_304000_NS8EqualityEEEPlJS6_EEE10hipError_tPvRmT3_T4_T5_T6_T7_T9_mT8_P12ihipStream_tbDpT10_ENKUlT_T0_E_clISt17integral_constantIbLb1EES16_IbLb0EEEEDaS12_S13_EUlS12_E_NS1_11comp_targetILNS1_3genE10ELNS1_11target_archE1200ELNS1_3gpuE4ELNS1_3repE0EEENS1_30default_config_static_selectorELNS0_4arch9wavefront6targetE0EEEvT1_,@function
_ZN7rocprim17ROCPRIM_400000_NS6detail17trampoline_kernelINS0_14default_configENS1_25partition_config_selectorILNS1_17partition_subalgoE8EiNS0_10empty_typeEbEEZZNS1_14partition_implILS5_8ELb0ES3_jPKiPS6_PKS6_NS0_5tupleIJPiS6_EEENSE_IJSB_SB_EEENS0_18inequality_wrapperIN6hipcub16HIPCUB_304000_NS8EqualityEEEPlJS6_EEE10hipError_tPvRmT3_T4_T5_T6_T7_T9_mT8_P12ihipStream_tbDpT10_ENKUlT_T0_E_clISt17integral_constantIbLb1EES16_IbLb0EEEEDaS12_S13_EUlS12_E_NS1_11comp_targetILNS1_3genE10ELNS1_11target_archE1200ELNS1_3gpuE4ELNS1_3repE0EEENS1_30default_config_static_selectorELNS0_4arch9wavefront6targetE0EEEvT1_: ; @_ZN7rocprim17ROCPRIM_400000_NS6detail17trampoline_kernelINS0_14default_configENS1_25partition_config_selectorILNS1_17partition_subalgoE8EiNS0_10empty_typeEbEEZZNS1_14partition_implILS5_8ELb0ES3_jPKiPS6_PKS6_NS0_5tupleIJPiS6_EEENSE_IJSB_SB_EEENS0_18inequality_wrapperIN6hipcub16HIPCUB_304000_NS8EqualityEEEPlJS6_EEE10hipError_tPvRmT3_T4_T5_T6_T7_T9_mT8_P12ihipStream_tbDpT10_ENKUlT_T0_E_clISt17integral_constantIbLb1EES16_IbLb0EEEEDaS12_S13_EUlS12_E_NS1_11comp_targetILNS1_3genE10ELNS1_11target_archE1200ELNS1_3gpuE4ELNS1_3repE0EEENS1_30default_config_static_selectorELNS0_4arch9wavefront6targetE0EEEvT1_
; %bb.0:
	.section	.rodata,"a",@progbits
	.p2align	6, 0x0
	.amdhsa_kernel _ZN7rocprim17ROCPRIM_400000_NS6detail17trampoline_kernelINS0_14default_configENS1_25partition_config_selectorILNS1_17partition_subalgoE8EiNS0_10empty_typeEbEEZZNS1_14partition_implILS5_8ELb0ES3_jPKiPS6_PKS6_NS0_5tupleIJPiS6_EEENSE_IJSB_SB_EEENS0_18inequality_wrapperIN6hipcub16HIPCUB_304000_NS8EqualityEEEPlJS6_EEE10hipError_tPvRmT3_T4_T5_T6_T7_T9_mT8_P12ihipStream_tbDpT10_ENKUlT_T0_E_clISt17integral_constantIbLb1EES16_IbLb0EEEEDaS12_S13_EUlS12_E_NS1_11comp_targetILNS1_3genE10ELNS1_11target_archE1200ELNS1_3gpuE4ELNS1_3repE0EEENS1_30default_config_static_selectorELNS0_4arch9wavefront6targetE0EEEvT1_
		.amdhsa_group_segment_fixed_size 0
		.amdhsa_private_segment_fixed_size 0
		.amdhsa_kernarg_size 112
		.amdhsa_user_sgpr_count 2
		.amdhsa_user_sgpr_dispatch_ptr 0
		.amdhsa_user_sgpr_queue_ptr 0
		.amdhsa_user_sgpr_kernarg_segment_ptr 1
		.amdhsa_user_sgpr_dispatch_id 0
		.amdhsa_user_sgpr_kernarg_preload_length 0
		.amdhsa_user_sgpr_kernarg_preload_offset 0
		.amdhsa_user_sgpr_private_segment_size 0
		.amdhsa_wavefront_size32 1
		.amdhsa_uses_dynamic_stack 0
		.amdhsa_enable_private_segment 0
		.amdhsa_system_sgpr_workgroup_id_x 1
		.amdhsa_system_sgpr_workgroup_id_y 0
		.amdhsa_system_sgpr_workgroup_id_z 0
		.amdhsa_system_sgpr_workgroup_info 0
		.amdhsa_system_vgpr_workitem_id 0
		.amdhsa_next_free_vgpr 1
		.amdhsa_next_free_sgpr 1
		.amdhsa_named_barrier_count 0
		.amdhsa_reserve_vcc 0
		.amdhsa_float_round_mode_32 0
		.amdhsa_float_round_mode_16_64 0
		.amdhsa_float_denorm_mode_32 3
		.amdhsa_float_denorm_mode_16_64 3
		.amdhsa_fp16_overflow 0
		.amdhsa_memory_ordered 1
		.amdhsa_forward_progress 1
		.amdhsa_inst_pref_size 0
		.amdhsa_round_robin_scheduling 0
		.amdhsa_exception_fp_ieee_invalid_op 0
		.amdhsa_exception_fp_denorm_src 0
		.amdhsa_exception_fp_ieee_div_zero 0
		.amdhsa_exception_fp_ieee_overflow 0
		.amdhsa_exception_fp_ieee_underflow 0
		.amdhsa_exception_fp_ieee_inexact 0
		.amdhsa_exception_int_div_zero 0
	.end_amdhsa_kernel
	.section	.text._ZN7rocprim17ROCPRIM_400000_NS6detail17trampoline_kernelINS0_14default_configENS1_25partition_config_selectorILNS1_17partition_subalgoE8EiNS0_10empty_typeEbEEZZNS1_14partition_implILS5_8ELb0ES3_jPKiPS6_PKS6_NS0_5tupleIJPiS6_EEENSE_IJSB_SB_EEENS0_18inequality_wrapperIN6hipcub16HIPCUB_304000_NS8EqualityEEEPlJS6_EEE10hipError_tPvRmT3_T4_T5_T6_T7_T9_mT8_P12ihipStream_tbDpT10_ENKUlT_T0_E_clISt17integral_constantIbLb1EES16_IbLb0EEEEDaS12_S13_EUlS12_E_NS1_11comp_targetILNS1_3genE10ELNS1_11target_archE1200ELNS1_3gpuE4ELNS1_3repE0EEENS1_30default_config_static_selectorELNS0_4arch9wavefront6targetE0EEEvT1_,"axG",@progbits,_ZN7rocprim17ROCPRIM_400000_NS6detail17trampoline_kernelINS0_14default_configENS1_25partition_config_selectorILNS1_17partition_subalgoE8EiNS0_10empty_typeEbEEZZNS1_14partition_implILS5_8ELb0ES3_jPKiPS6_PKS6_NS0_5tupleIJPiS6_EEENSE_IJSB_SB_EEENS0_18inequality_wrapperIN6hipcub16HIPCUB_304000_NS8EqualityEEEPlJS6_EEE10hipError_tPvRmT3_T4_T5_T6_T7_T9_mT8_P12ihipStream_tbDpT10_ENKUlT_T0_E_clISt17integral_constantIbLb1EES16_IbLb0EEEEDaS12_S13_EUlS12_E_NS1_11comp_targetILNS1_3genE10ELNS1_11target_archE1200ELNS1_3gpuE4ELNS1_3repE0EEENS1_30default_config_static_selectorELNS0_4arch9wavefront6targetE0EEEvT1_,comdat
.Lfunc_end431:
	.size	_ZN7rocprim17ROCPRIM_400000_NS6detail17trampoline_kernelINS0_14default_configENS1_25partition_config_selectorILNS1_17partition_subalgoE8EiNS0_10empty_typeEbEEZZNS1_14partition_implILS5_8ELb0ES3_jPKiPS6_PKS6_NS0_5tupleIJPiS6_EEENSE_IJSB_SB_EEENS0_18inequality_wrapperIN6hipcub16HIPCUB_304000_NS8EqualityEEEPlJS6_EEE10hipError_tPvRmT3_T4_T5_T6_T7_T9_mT8_P12ihipStream_tbDpT10_ENKUlT_T0_E_clISt17integral_constantIbLb1EES16_IbLb0EEEEDaS12_S13_EUlS12_E_NS1_11comp_targetILNS1_3genE10ELNS1_11target_archE1200ELNS1_3gpuE4ELNS1_3repE0EEENS1_30default_config_static_selectorELNS0_4arch9wavefront6targetE0EEEvT1_, .Lfunc_end431-_ZN7rocprim17ROCPRIM_400000_NS6detail17trampoline_kernelINS0_14default_configENS1_25partition_config_selectorILNS1_17partition_subalgoE8EiNS0_10empty_typeEbEEZZNS1_14partition_implILS5_8ELb0ES3_jPKiPS6_PKS6_NS0_5tupleIJPiS6_EEENSE_IJSB_SB_EEENS0_18inequality_wrapperIN6hipcub16HIPCUB_304000_NS8EqualityEEEPlJS6_EEE10hipError_tPvRmT3_T4_T5_T6_T7_T9_mT8_P12ihipStream_tbDpT10_ENKUlT_T0_E_clISt17integral_constantIbLb1EES16_IbLb0EEEEDaS12_S13_EUlS12_E_NS1_11comp_targetILNS1_3genE10ELNS1_11target_archE1200ELNS1_3gpuE4ELNS1_3repE0EEENS1_30default_config_static_selectorELNS0_4arch9wavefront6targetE0EEEvT1_
                                        ; -- End function
	.set _ZN7rocprim17ROCPRIM_400000_NS6detail17trampoline_kernelINS0_14default_configENS1_25partition_config_selectorILNS1_17partition_subalgoE8EiNS0_10empty_typeEbEEZZNS1_14partition_implILS5_8ELb0ES3_jPKiPS6_PKS6_NS0_5tupleIJPiS6_EEENSE_IJSB_SB_EEENS0_18inequality_wrapperIN6hipcub16HIPCUB_304000_NS8EqualityEEEPlJS6_EEE10hipError_tPvRmT3_T4_T5_T6_T7_T9_mT8_P12ihipStream_tbDpT10_ENKUlT_T0_E_clISt17integral_constantIbLb1EES16_IbLb0EEEEDaS12_S13_EUlS12_E_NS1_11comp_targetILNS1_3genE10ELNS1_11target_archE1200ELNS1_3gpuE4ELNS1_3repE0EEENS1_30default_config_static_selectorELNS0_4arch9wavefront6targetE0EEEvT1_.num_vgpr, 0
	.set _ZN7rocprim17ROCPRIM_400000_NS6detail17trampoline_kernelINS0_14default_configENS1_25partition_config_selectorILNS1_17partition_subalgoE8EiNS0_10empty_typeEbEEZZNS1_14partition_implILS5_8ELb0ES3_jPKiPS6_PKS6_NS0_5tupleIJPiS6_EEENSE_IJSB_SB_EEENS0_18inequality_wrapperIN6hipcub16HIPCUB_304000_NS8EqualityEEEPlJS6_EEE10hipError_tPvRmT3_T4_T5_T6_T7_T9_mT8_P12ihipStream_tbDpT10_ENKUlT_T0_E_clISt17integral_constantIbLb1EES16_IbLb0EEEEDaS12_S13_EUlS12_E_NS1_11comp_targetILNS1_3genE10ELNS1_11target_archE1200ELNS1_3gpuE4ELNS1_3repE0EEENS1_30default_config_static_selectorELNS0_4arch9wavefront6targetE0EEEvT1_.num_agpr, 0
	.set _ZN7rocprim17ROCPRIM_400000_NS6detail17trampoline_kernelINS0_14default_configENS1_25partition_config_selectorILNS1_17partition_subalgoE8EiNS0_10empty_typeEbEEZZNS1_14partition_implILS5_8ELb0ES3_jPKiPS6_PKS6_NS0_5tupleIJPiS6_EEENSE_IJSB_SB_EEENS0_18inequality_wrapperIN6hipcub16HIPCUB_304000_NS8EqualityEEEPlJS6_EEE10hipError_tPvRmT3_T4_T5_T6_T7_T9_mT8_P12ihipStream_tbDpT10_ENKUlT_T0_E_clISt17integral_constantIbLb1EES16_IbLb0EEEEDaS12_S13_EUlS12_E_NS1_11comp_targetILNS1_3genE10ELNS1_11target_archE1200ELNS1_3gpuE4ELNS1_3repE0EEENS1_30default_config_static_selectorELNS0_4arch9wavefront6targetE0EEEvT1_.numbered_sgpr, 0
	.set _ZN7rocprim17ROCPRIM_400000_NS6detail17trampoline_kernelINS0_14default_configENS1_25partition_config_selectorILNS1_17partition_subalgoE8EiNS0_10empty_typeEbEEZZNS1_14partition_implILS5_8ELb0ES3_jPKiPS6_PKS6_NS0_5tupleIJPiS6_EEENSE_IJSB_SB_EEENS0_18inequality_wrapperIN6hipcub16HIPCUB_304000_NS8EqualityEEEPlJS6_EEE10hipError_tPvRmT3_T4_T5_T6_T7_T9_mT8_P12ihipStream_tbDpT10_ENKUlT_T0_E_clISt17integral_constantIbLb1EES16_IbLb0EEEEDaS12_S13_EUlS12_E_NS1_11comp_targetILNS1_3genE10ELNS1_11target_archE1200ELNS1_3gpuE4ELNS1_3repE0EEENS1_30default_config_static_selectorELNS0_4arch9wavefront6targetE0EEEvT1_.num_named_barrier, 0
	.set _ZN7rocprim17ROCPRIM_400000_NS6detail17trampoline_kernelINS0_14default_configENS1_25partition_config_selectorILNS1_17partition_subalgoE8EiNS0_10empty_typeEbEEZZNS1_14partition_implILS5_8ELb0ES3_jPKiPS6_PKS6_NS0_5tupleIJPiS6_EEENSE_IJSB_SB_EEENS0_18inequality_wrapperIN6hipcub16HIPCUB_304000_NS8EqualityEEEPlJS6_EEE10hipError_tPvRmT3_T4_T5_T6_T7_T9_mT8_P12ihipStream_tbDpT10_ENKUlT_T0_E_clISt17integral_constantIbLb1EES16_IbLb0EEEEDaS12_S13_EUlS12_E_NS1_11comp_targetILNS1_3genE10ELNS1_11target_archE1200ELNS1_3gpuE4ELNS1_3repE0EEENS1_30default_config_static_selectorELNS0_4arch9wavefront6targetE0EEEvT1_.private_seg_size, 0
	.set _ZN7rocprim17ROCPRIM_400000_NS6detail17trampoline_kernelINS0_14default_configENS1_25partition_config_selectorILNS1_17partition_subalgoE8EiNS0_10empty_typeEbEEZZNS1_14partition_implILS5_8ELb0ES3_jPKiPS6_PKS6_NS0_5tupleIJPiS6_EEENSE_IJSB_SB_EEENS0_18inequality_wrapperIN6hipcub16HIPCUB_304000_NS8EqualityEEEPlJS6_EEE10hipError_tPvRmT3_T4_T5_T6_T7_T9_mT8_P12ihipStream_tbDpT10_ENKUlT_T0_E_clISt17integral_constantIbLb1EES16_IbLb0EEEEDaS12_S13_EUlS12_E_NS1_11comp_targetILNS1_3genE10ELNS1_11target_archE1200ELNS1_3gpuE4ELNS1_3repE0EEENS1_30default_config_static_selectorELNS0_4arch9wavefront6targetE0EEEvT1_.uses_vcc, 0
	.set _ZN7rocprim17ROCPRIM_400000_NS6detail17trampoline_kernelINS0_14default_configENS1_25partition_config_selectorILNS1_17partition_subalgoE8EiNS0_10empty_typeEbEEZZNS1_14partition_implILS5_8ELb0ES3_jPKiPS6_PKS6_NS0_5tupleIJPiS6_EEENSE_IJSB_SB_EEENS0_18inequality_wrapperIN6hipcub16HIPCUB_304000_NS8EqualityEEEPlJS6_EEE10hipError_tPvRmT3_T4_T5_T6_T7_T9_mT8_P12ihipStream_tbDpT10_ENKUlT_T0_E_clISt17integral_constantIbLb1EES16_IbLb0EEEEDaS12_S13_EUlS12_E_NS1_11comp_targetILNS1_3genE10ELNS1_11target_archE1200ELNS1_3gpuE4ELNS1_3repE0EEENS1_30default_config_static_selectorELNS0_4arch9wavefront6targetE0EEEvT1_.uses_flat_scratch, 0
	.set _ZN7rocprim17ROCPRIM_400000_NS6detail17trampoline_kernelINS0_14default_configENS1_25partition_config_selectorILNS1_17partition_subalgoE8EiNS0_10empty_typeEbEEZZNS1_14partition_implILS5_8ELb0ES3_jPKiPS6_PKS6_NS0_5tupleIJPiS6_EEENSE_IJSB_SB_EEENS0_18inequality_wrapperIN6hipcub16HIPCUB_304000_NS8EqualityEEEPlJS6_EEE10hipError_tPvRmT3_T4_T5_T6_T7_T9_mT8_P12ihipStream_tbDpT10_ENKUlT_T0_E_clISt17integral_constantIbLb1EES16_IbLb0EEEEDaS12_S13_EUlS12_E_NS1_11comp_targetILNS1_3genE10ELNS1_11target_archE1200ELNS1_3gpuE4ELNS1_3repE0EEENS1_30default_config_static_selectorELNS0_4arch9wavefront6targetE0EEEvT1_.has_dyn_sized_stack, 0
	.set _ZN7rocprim17ROCPRIM_400000_NS6detail17trampoline_kernelINS0_14default_configENS1_25partition_config_selectorILNS1_17partition_subalgoE8EiNS0_10empty_typeEbEEZZNS1_14partition_implILS5_8ELb0ES3_jPKiPS6_PKS6_NS0_5tupleIJPiS6_EEENSE_IJSB_SB_EEENS0_18inequality_wrapperIN6hipcub16HIPCUB_304000_NS8EqualityEEEPlJS6_EEE10hipError_tPvRmT3_T4_T5_T6_T7_T9_mT8_P12ihipStream_tbDpT10_ENKUlT_T0_E_clISt17integral_constantIbLb1EES16_IbLb0EEEEDaS12_S13_EUlS12_E_NS1_11comp_targetILNS1_3genE10ELNS1_11target_archE1200ELNS1_3gpuE4ELNS1_3repE0EEENS1_30default_config_static_selectorELNS0_4arch9wavefront6targetE0EEEvT1_.has_recursion, 0
	.set _ZN7rocprim17ROCPRIM_400000_NS6detail17trampoline_kernelINS0_14default_configENS1_25partition_config_selectorILNS1_17partition_subalgoE8EiNS0_10empty_typeEbEEZZNS1_14partition_implILS5_8ELb0ES3_jPKiPS6_PKS6_NS0_5tupleIJPiS6_EEENSE_IJSB_SB_EEENS0_18inequality_wrapperIN6hipcub16HIPCUB_304000_NS8EqualityEEEPlJS6_EEE10hipError_tPvRmT3_T4_T5_T6_T7_T9_mT8_P12ihipStream_tbDpT10_ENKUlT_T0_E_clISt17integral_constantIbLb1EES16_IbLb0EEEEDaS12_S13_EUlS12_E_NS1_11comp_targetILNS1_3genE10ELNS1_11target_archE1200ELNS1_3gpuE4ELNS1_3repE0EEENS1_30default_config_static_selectorELNS0_4arch9wavefront6targetE0EEEvT1_.has_indirect_call, 0
	.section	.AMDGPU.csdata,"",@progbits
; Kernel info:
; codeLenInByte = 0
; TotalNumSgprs: 0
; NumVgprs: 0
; ScratchSize: 0
; MemoryBound: 0
; FloatMode: 240
; IeeeMode: 1
; LDSByteSize: 0 bytes/workgroup (compile time only)
; SGPRBlocks: 0
; VGPRBlocks: 0
; NumSGPRsForWavesPerEU: 1
; NumVGPRsForWavesPerEU: 1
; NamedBarCnt: 0
; Occupancy: 16
; WaveLimiterHint : 0
; COMPUTE_PGM_RSRC2:SCRATCH_EN: 0
; COMPUTE_PGM_RSRC2:USER_SGPR: 2
; COMPUTE_PGM_RSRC2:TRAP_HANDLER: 0
; COMPUTE_PGM_RSRC2:TGID_X_EN: 1
; COMPUTE_PGM_RSRC2:TGID_Y_EN: 0
; COMPUTE_PGM_RSRC2:TGID_Z_EN: 0
; COMPUTE_PGM_RSRC2:TIDIG_COMP_CNT: 0
	.section	.text._ZN7rocprim17ROCPRIM_400000_NS6detail17trampoline_kernelINS0_14default_configENS1_25partition_config_selectorILNS1_17partition_subalgoE8EiNS0_10empty_typeEbEEZZNS1_14partition_implILS5_8ELb0ES3_jPKiPS6_PKS6_NS0_5tupleIJPiS6_EEENSE_IJSB_SB_EEENS0_18inequality_wrapperIN6hipcub16HIPCUB_304000_NS8EqualityEEEPlJS6_EEE10hipError_tPvRmT3_T4_T5_T6_T7_T9_mT8_P12ihipStream_tbDpT10_ENKUlT_T0_E_clISt17integral_constantIbLb1EES16_IbLb0EEEEDaS12_S13_EUlS12_E_NS1_11comp_targetILNS1_3genE9ELNS1_11target_archE1100ELNS1_3gpuE3ELNS1_3repE0EEENS1_30default_config_static_selectorELNS0_4arch9wavefront6targetE0EEEvT1_,"axG",@progbits,_ZN7rocprim17ROCPRIM_400000_NS6detail17trampoline_kernelINS0_14default_configENS1_25partition_config_selectorILNS1_17partition_subalgoE8EiNS0_10empty_typeEbEEZZNS1_14partition_implILS5_8ELb0ES3_jPKiPS6_PKS6_NS0_5tupleIJPiS6_EEENSE_IJSB_SB_EEENS0_18inequality_wrapperIN6hipcub16HIPCUB_304000_NS8EqualityEEEPlJS6_EEE10hipError_tPvRmT3_T4_T5_T6_T7_T9_mT8_P12ihipStream_tbDpT10_ENKUlT_T0_E_clISt17integral_constantIbLb1EES16_IbLb0EEEEDaS12_S13_EUlS12_E_NS1_11comp_targetILNS1_3genE9ELNS1_11target_archE1100ELNS1_3gpuE3ELNS1_3repE0EEENS1_30default_config_static_selectorELNS0_4arch9wavefront6targetE0EEEvT1_,comdat
	.protected	_ZN7rocprim17ROCPRIM_400000_NS6detail17trampoline_kernelINS0_14default_configENS1_25partition_config_selectorILNS1_17partition_subalgoE8EiNS0_10empty_typeEbEEZZNS1_14partition_implILS5_8ELb0ES3_jPKiPS6_PKS6_NS0_5tupleIJPiS6_EEENSE_IJSB_SB_EEENS0_18inequality_wrapperIN6hipcub16HIPCUB_304000_NS8EqualityEEEPlJS6_EEE10hipError_tPvRmT3_T4_T5_T6_T7_T9_mT8_P12ihipStream_tbDpT10_ENKUlT_T0_E_clISt17integral_constantIbLb1EES16_IbLb0EEEEDaS12_S13_EUlS12_E_NS1_11comp_targetILNS1_3genE9ELNS1_11target_archE1100ELNS1_3gpuE3ELNS1_3repE0EEENS1_30default_config_static_selectorELNS0_4arch9wavefront6targetE0EEEvT1_ ; -- Begin function _ZN7rocprim17ROCPRIM_400000_NS6detail17trampoline_kernelINS0_14default_configENS1_25partition_config_selectorILNS1_17partition_subalgoE8EiNS0_10empty_typeEbEEZZNS1_14partition_implILS5_8ELb0ES3_jPKiPS6_PKS6_NS0_5tupleIJPiS6_EEENSE_IJSB_SB_EEENS0_18inequality_wrapperIN6hipcub16HIPCUB_304000_NS8EqualityEEEPlJS6_EEE10hipError_tPvRmT3_T4_T5_T6_T7_T9_mT8_P12ihipStream_tbDpT10_ENKUlT_T0_E_clISt17integral_constantIbLb1EES16_IbLb0EEEEDaS12_S13_EUlS12_E_NS1_11comp_targetILNS1_3genE9ELNS1_11target_archE1100ELNS1_3gpuE3ELNS1_3repE0EEENS1_30default_config_static_selectorELNS0_4arch9wavefront6targetE0EEEvT1_
	.globl	_ZN7rocprim17ROCPRIM_400000_NS6detail17trampoline_kernelINS0_14default_configENS1_25partition_config_selectorILNS1_17partition_subalgoE8EiNS0_10empty_typeEbEEZZNS1_14partition_implILS5_8ELb0ES3_jPKiPS6_PKS6_NS0_5tupleIJPiS6_EEENSE_IJSB_SB_EEENS0_18inequality_wrapperIN6hipcub16HIPCUB_304000_NS8EqualityEEEPlJS6_EEE10hipError_tPvRmT3_T4_T5_T6_T7_T9_mT8_P12ihipStream_tbDpT10_ENKUlT_T0_E_clISt17integral_constantIbLb1EES16_IbLb0EEEEDaS12_S13_EUlS12_E_NS1_11comp_targetILNS1_3genE9ELNS1_11target_archE1100ELNS1_3gpuE3ELNS1_3repE0EEENS1_30default_config_static_selectorELNS0_4arch9wavefront6targetE0EEEvT1_
	.p2align	8
	.type	_ZN7rocprim17ROCPRIM_400000_NS6detail17trampoline_kernelINS0_14default_configENS1_25partition_config_selectorILNS1_17partition_subalgoE8EiNS0_10empty_typeEbEEZZNS1_14partition_implILS5_8ELb0ES3_jPKiPS6_PKS6_NS0_5tupleIJPiS6_EEENSE_IJSB_SB_EEENS0_18inequality_wrapperIN6hipcub16HIPCUB_304000_NS8EqualityEEEPlJS6_EEE10hipError_tPvRmT3_T4_T5_T6_T7_T9_mT8_P12ihipStream_tbDpT10_ENKUlT_T0_E_clISt17integral_constantIbLb1EES16_IbLb0EEEEDaS12_S13_EUlS12_E_NS1_11comp_targetILNS1_3genE9ELNS1_11target_archE1100ELNS1_3gpuE3ELNS1_3repE0EEENS1_30default_config_static_selectorELNS0_4arch9wavefront6targetE0EEEvT1_,@function
_ZN7rocprim17ROCPRIM_400000_NS6detail17trampoline_kernelINS0_14default_configENS1_25partition_config_selectorILNS1_17partition_subalgoE8EiNS0_10empty_typeEbEEZZNS1_14partition_implILS5_8ELb0ES3_jPKiPS6_PKS6_NS0_5tupleIJPiS6_EEENSE_IJSB_SB_EEENS0_18inequality_wrapperIN6hipcub16HIPCUB_304000_NS8EqualityEEEPlJS6_EEE10hipError_tPvRmT3_T4_T5_T6_T7_T9_mT8_P12ihipStream_tbDpT10_ENKUlT_T0_E_clISt17integral_constantIbLb1EES16_IbLb0EEEEDaS12_S13_EUlS12_E_NS1_11comp_targetILNS1_3genE9ELNS1_11target_archE1100ELNS1_3gpuE3ELNS1_3repE0EEENS1_30default_config_static_selectorELNS0_4arch9wavefront6targetE0EEEvT1_: ; @_ZN7rocprim17ROCPRIM_400000_NS6detail17trampoline_kernelINS0_14default_configENS1_25partition_config_selectorILNS1_17partition_subalgoE8EiNS0_10empty_typeEbEEZZNS1_14partition_implILS5_8ELb0ES3_jPKiPS6_PKS6_NS0_5tupleIJPiS6_EEENSE_IJSB_SB_EEENS0_18inequality_wrapperIN6hipcub16HIPCUB_304000_NS8EqualityEEEPlJS6_EEE10hipError_tPvRmT3_T4_T5_T6_T7_T9_mT8_P12ihipStream_tbDpT10_ENKUlT_T0_E_clISt17integral_constantIbLb1EES16_IbLb0EEEEDaS12_S13_EUlS12_E_NS1_11comp_targetILNS1_3genE9ELNS1_11target_archE1100ELNS1_3gpuE3ELNS1_3repE0EEENS1_30default_config_static_selectorELNS0_4arch9wavefront6targetE0EEEvT1_
; %bb.0:
	.section	.rodata,"a",@progbits
	.p2align	6, 0x0
	.amdhsa_kernel _ZN7rocprim17ROCPRIM_400000_NS6detail17trampoline_kernelINS0_14default_configENS1_25partition_config_selectorILNS1_17partition_subalgoE8EiNS0_10empty_typeEbEEZZNS1_14partition_implILS5_8ELb0ES3_jPKiPS6_PKS6_NS0_5tupleIJPiS6_EEENSE_IJSB_SB_EEENS0_18inequality_wrapperIN6hipcub16HIPCUB_304000_NS8EqualityEEEPlJS6_EEE10hipError_tPvRmT3_T4_T5_T6_T7_T9_mT8_P12ihipStream_tbDpT10_ENKUlT_T0_E_clISt17integral_constantIbLb1EES16_IbLb0EEEEDaS12_S13_EUlS12_E_NS1_11comp_targetILNS1_3genE9ELNS1_11target_archE1100ELNS1_3gpuE3ELNS1_3repE0EEENS1_30default_config_static_selectorELNS0_4arch9wavefront6targetE0EEEvT1_
		.amdhsa_group_segment_fixed_size 0
		.amdhsa_private_segment_fixed_size 0
		.amdhsa_kernarg_size 112
		.amdhsa_user_sgpr_count 2
		.amdhsa_user_sgpr_dispatch_ptr 0
		.amdhsa_user_sgpr_queue_ptr 0
		.amdhsa_user_sgpr_kernarg_segment_ptr 1
		.amdhsa_user_sgpr_dispatch_id 0
		.amdhsa_user_sgpr_kernarg_preload_length 0
		.amdhsa_user_sgpr_kernarg_preload_offset 0
		.amdhsa_user_sgpr_private_segment_size 0
		.amdhsa_wavefront_size32 1
		.amdhsa_uses_dynamic_stack 0
		.amdhsa_enable_private_segment 0
		.amdhsa_system_sgpr_workgroup_id_x 1
		.amdhsa_system_sgpr_workgroup_id_y 0
		.amdhsa_system_sgpr_workgroup_id_z 0
		.amdhsa_system_sgpr_workgroup_info 0
		.amdhsa_system_vgpr_workitem_id 0
		.amdhsa_next_free_vgpr 1
		.amdhsa_next_free_sgpr 1
		.amdhsa_named_barrier_count 0
		.amdhsa_reserve_vcc 0
		.amdhsa_float_round_mode_32 0
		.amdhsa_float_round_mode_16_64 0
		.amdhsa_float_denorm_mode_32 3
		.amdhsa_float_denorm_mode_16_64 3
		.amdhsa_fp16_overflow 0
		.amdhsa_memory_ordered 1
		.amdhsa_forward_progress 1
		.amdhsa_inst_pref_size 0
		.amdhsa_round_robin_scheduling 0
		.amdhsa_exception_fp_ieee_invalid_op 0
		.amdhsa_exception_fp_denorm_src 0
		.amdhsa_exception_fp_ieee_div_zero 0
		.amdhsa_exception_fp_ieee_overflow 0
		.amdhsa_exception_fp_ieee_underflow 0
		.amdhsa_exception_fp_ieee_inexact 0
		.amdhsa_exception_int_div_zero 0
	.end_amdhsa_kernel
	.section	.text._ZN7rocprim17ROCPRIM_400000_NS6detail17trampoline_kernelINS0_14default_configENS1_25partition_config_selectorILNS1_17partition_subalgoE8EiNS0_10empty_typeEbEEZZNS1_14partition_implILS5_8ELb0ES3_jPKiPS6_PKS6_NS0_5tupleIJPiS6_EEENSE_IJSB_SB_EEENS0_18inequality_wrapperIN6hipcub16HIPCUB_304000_NS8EqualityEEEPlJS6_EEE10hipError_tPvRmT3_T4_T5_T6_T7_T9_mT8_P12ihipStream_tbDpT10_ENKUlT_T0_E_clISt17integral_constantIbLb1EES16_IbLb0EEEEDaS12_S13_EUlS12_E_NS1_11comp_targetILNS1_3genE9ELNS1_11target_archE1100ELNS1_3gpuE3ELNS1_3repE0EEENS1_30default_config_static_selectorELNS0_4arch9wavefront6targetE0EEEvT1_,"axG",@progbits,_ZN7rocprim17ROCPRIM_400000_NS6detail17trampoline_kernelINS0_14default_configENS1_25partition_config_selectorILNS1_17partition_subalgoE8EiNS0_10empty_typeEbEEZZNS1_14partition_implILS5_8ELb0ES3_jPKiPS6_PKS6_NS0_5tupleIJPiS6_EEENSE_IJSB_SB_EEENS0_18inequality_wrapperIN6hipcub16HIPCUB_304000_NS8EqualityEEEPlJS6_EEE10hipError_tPvRmT3_T4_T5_T6_T7_T9_mT8_P12ihipStream_tbDpT10_ENKUlT_T0_E_clISt17integral_constantIbLb1EES16_IbLb0EEEEDaS12_S13_EUlS12_E_NS1_11comp_targetILNS1_3genE9ELNS1_11target_archE1100ELNS1_3gpuE3ELNS1_3repE0EEENS1_30default_config_static_selectorELNS0_4arch9wavefront6targetE0EEEvT1_,comdat
.Lfunc_end432:
	.size	_ZN7rocprim17ROCPRIM_400000_NS6detail17trampoline_kernelINS0_14default_configENS1_25partition_config_selectorILNS1_17partition_subalgoE8EiNS0_10empty_typeEbEEZZNS1_14partition_implILS5_8ELb0ES3_jPKiPS6_PKS6_NS0_5tupleIJPiS6_EEENSE_IJSB_SB_EEENS0_18inequality_wrapperIN6hipcub16HIPCUB_304000_NS8EqualityEEEPlJS6_EEE10hipError_tPvRmT3_T4_T5_T6_T7_T9_mT8_P12ihipStream_tbDpT10_ENKUlT_T0_E_clISt17integral_constantIbLb1EES16_IbLb0EEEEDaS12_S13_EUlS12_E_NS1_11comp_targetILNS1_3genE9ELNS1_11target_archE1100ELNS1_3gpuE3ELNS1_3repE0EEENS1_30default_config_static_selectorELNS0_4arch9wavefront6targetE0EEEvT1_, .Lfunc_end432-_ZN7rocprim17ROCPRIM_400000_NS6detail17trampoline_kernelINS0_14default_configENS1_25partition_config_selectorILNS1_17partition_subalgoE8EiNS0_10empty_typeEbEEZZNS1_14partition_implILS5_8ELb0ES3_jPKiPS6_PKS6_NS0_5tupleIJPiS6_EEENSE_IJSB_SB_EEENS0_18inequality_wrapperIN6hipcub16HIPCUB_304000_NS8EqualityEEEPlJS6_EEE10hipError_tPvRmT3_T4_T5_T6_T7_T9_mT8_P12ihipStream_tbDpT10_ENKUlT_T0_E_clISt17integral_constantIbLb1EES16_IbLb0EEEEDaS12_S13_EUlS12_E_NS1_11comp_targetILNS1_3genE9ELNS1_11target_archE1100ELNS1_3gpuE3ELNS1_3repE0EEENS1_30default_config_static_selectorELNS0_4arch9wavefront6targetE0EEEvT1_
                                        ; -- End function
	.set _ZN7rocprim17ROCPRIM_400000_NS6detail17trampoline_kernelINS0_14default_configENS1_25partition_config_selectorILNS1_17partition_subalgoE8EiNS0_10empty_typeEbEEZZNS1_14partition_implILS5_8ELb0ES3_jPKiPS6_PKS6_NS0_5tupleIJPiS6_EEENSE_IJSB_SB_EEENS0_18inequality_wrapperIN6hipcub16HIPCUB_304000_NS8EqualityEEEPlJS6_EEE10hipError_tPvRmT3_T4_T5_T6_T7_T9_mT8_P12ihipStream_tbDpT10_ENKUlT_T0_E_clISt17integral_constantIbLb1EES16_IbLb0EEEEDaS12_S13_EUlS12_E_NS1_11comp_targetILNS1_3genE9ELNS1_11target_archE1100ELNS1_3gpuE3ELNS1_3repE0EEENS1_30default_config_static_selectorELNS0_4arch9wavefront6targetE0EEEvT1_.num_vgpr, 0
	.set _ZN7rocprim17ROCPRIM_400000_NS6detail17trampoline_kernelINS0_14default_configENS1_25partition_config_selectorILNS1_17partition_subalgoE8EiNS0_10empty_typeEbEEZZNS1_14partition_implILS5_8ELb0ES3_jPKiPS6_PKS6_NS0_5tupleIJPiS6_EEENSE_IJSB_SB_EEENS0_18inequality_wrapperIN6hipcub16HIPCUB_304000_NS8EqualityEEEPlJS6_EEE10hipError_tPvRmT3_T4_T5_T6_T7_T9_mT8_P12ihipStream_tbDpT10_ENKUlT_T0_E_clISt17integral_constantIbLb1EES16_IbLb0EEEEDaS12_S13_EUlS12_E_NS1_11comp_targetILNS1_3genE9ELNS1_11target_archE1100ELNS1_3gpuE3ELNS1_3repE0EEENS1_30default_config_static_selectorELNS0_4arch9wavefront6targetE0EEEvT1_.num_agpr, 0
	.set _ZN7rocprim17ROCPRIM_400000_NS6detail17trampoline_kernelINS0_14default_configENS1_25partition_config_selectorILNS1_17partition_subalgoE8EiNS0_10empty_typeEbEEZZNS1_14partition_implILS5_8ELb0ES3_jPKiPS6_PKS6_NS0_5tupleIJPiS6_EEENSE_IJSB_SB_EEENS0_18inequality_wrapperIN6hipcub16HIPCUB_304000_NS8EqualityEEEPlJS6_EEE10hipError_tPvRmT3_T4_T5_T6_T7_T9_mT8_P12ihipStream_tbDpT10_ENKUlT_T0_E_clISt17integral_constantIbLb1EES16_IbLb0EEEEDaS12_S13_EUlS12_E_NS1_11comp_targetILNS1_3genE9ELNS1_11target_archE1100ELNS1_3gpuE3ELNS1_3repE0EEENS1_30default_config_static_selectorELNS0_4arch9wavefront6targetE0EEEvT1_.numbered_sgpr, 0
	.set _ZN7rocprim17ROCPRIM_400000_NS6detail17trampoline_kernelINS0_14default_configENS1_25partition_config_selectorILNS1_17partition_subalgoE8EiNS0_10empty_typeEbEEZZNS1_14partition_implILS5_8ELb0ES3_jPKiPS6_PKS6_NS0_5tupleIJPiS6_EEENSE_IJSB_SB_EEENS0_18inequality_wrapperIN6hipcub16HIPCUB_304000_NS8EqualityEEEPlJS6_EEE10hipError_tPvRmT3_T4_T5_T6_T7_T9_mT8_P12ihipStream_tbDpT10_ENKUlT_T0_E_clISt17integral_constantIbLb1EES16_IbLb0EEEEDaS12_S13_EUlS12_E_NS1_11comp_targetILNS1_3genE9ELNS1_11target_archE1100ELNS1_3gpuE3ELNS1_3repE0EEENS1_30default_config_static_selectorELNS0_4arch9wavefront6targetE0EEEvT1_.num_named_barrier, 0
	.set _ZN7rocprim17ROCPRIM_400000_NS6detail17trampoline_kernelINS0_14default_configENS1_25partition_config_selectorILNS1_17partition_subalgoE8EiNS0_10empty_typeEbEEZZNS1_14partition_implILS5_8ELb0ES3_jPKiPS6_PKS6_NS0_5tupleIJPiS6_EEENSE_IJSB_SB_EEENS0_18inequality_wrapperIN6hipcub16HIPCUB_304000_NS8EqualityEEEPlJS6_EEE10hipError_tPvRmT3_T4_T5_T6_T7_T9_mT8_P12ihipStream_tbDpT10_ENKUlT_T0_E_clISt17integral_constantIbLb1EES16_IbLb0EEEEDaS12_S13_EUlS12_E_NS1_11comp_targetILNS1_3genE9ELNS1_11target_archE1100ELNS1_3gpuE3ELNS1_3repE0EEENS1_30default_config_static_selectorELNS0_4arch9wavefront6targetE0EEEvT1_.private_seg_size, 0
	.set _ZN7rocprim17ROCPRIM_400000_NS6detail17trampoline_kernelINS0_14default_configENS1_25partition_config_selectorILNS1_17partition_subalgoE8EiNS0_10empty_typeEbEEZZNS1_14partition_implILS5_8ELb0ES3_jPKiPS6_PKS6_NS0_5tupleIJPiS6_EEENSE_IJSB_SB_EEENS0_18inequality_wrapperIN6hipcub16HIPCUB_304000_NS8EqualityEEEPlJS6_EEE10hipError_tPvRmT3_T4_T5_T6_T7_T9_mT8_P12ihipStream_tbDpT10_ENKUlT_T0_E_clISt17integral_constantIbLb1EES16_IbLb0EEEEDaS12_S13_EUlS12_E_NS1_11comp_targetILNS1_3genE9ELNS1_11target_archE1100ELNS1_3gpuE3ELNS1_3repE0EEENS1_30default_config_static_selectorELNS0_4arch9wavefront6targetE0EEEvT1_.uses_vcc, 0
	.set _ZN7rocprim17ROCPRIM_400000_NS6detail17trampoline_kernelINS0_14default_configENS1_25partition_config_selectorILNS1_17partition_subalgoE8EiNS0_10empty_typeEbEEZZNS1_14partition_implILS5_8ELb0ES3_jPKiPS6_PKS6_NS0_5tupleIJPiS6_EEENSE_IJSB_SB_EEENS0_18inequality_wrapperIN6hipcub16HIPCUB_304000_NS8EqualityEEEPlJS6_EEE10hipError_tPvRmT3_T4_T5_T6_T7_T9_mT8_P12ihipStream_tbDpT10_ENKUlT_T0_E_clISt17integral_constantIbLb1EES16_IbLb0EEEEDaS12_S13_EUlS12_E_NS1_11comp_targetILNS1_3genE9ELNS1_11target_archE1100ELNS1_3gpuE3ELNS1_3repE0EEENS1_30default_config_static_selectorELNS0_4arch9wavefront6targetE0EEEvT1_.uses_flat_scratch, 0
	.set _ZN7rocprim17ROCPRIM_400000_NS6detail17trampoline_kernelINS0_14default_configENS1_25partition_config_selectorILNS1_17partition_subalgoE8EiNS0_10empty_typeEbEEZZNS1_14partition_implILS5_8ELb0ES3_jPKiPS6_PKS6_NS0_5tupleIJPiS6_EEENSE_IJSB_SB_EEENS0_18inequality_wrapperIN6hipcub16HIPCUB_304000_NS8EqualityEEEPlJS6_EEE10hipError_tPvRmT3_T4_T5_T6_T7_T9_mT8_P12ihipStream_tbDpT10_ENKUlT_T0_E_clISt17integral_constantIbLb1EES16_IbLb0EEEEDaS12_S13_EUlS12_E_NS1_11comp_targetILNS1_3genE9ELNS1_11target_archE1100ELNS1_3gpuE3ELNS1_3repE0EEENS1_30default_config_static_selectorELNS0_4arch9wavefront6targetE0EEEvT1_.has_dyn_sized_stack, 0
	.set _ZN7rocprim17ROCPRIM_400000_NS6detail17trampoline_kernelINS0_14default_configENS1_25partition_config_selectorILNS1_17partition_subalgoE8EiNS0_10empty_typeEbEEZZNS1_14partition_implILS5_8ELb0ES3_jPKiPS6_PKS6_NS0_5tupleIJPiS6_EEENSE_IJSB_SB_EEENS0_18inequality_wrapperIN6hipcub16HIPCUB_304000_NS8EqualityEEEPlJS6_EEE10hipError_tPvRmT3_T4_T5_T6_T7_T9_mT8_P12ihipStream_tbDpT10_ENKUlT_T0_E_clISt17integral_constantIbLb1EES16_IbLb0EEEEDaS12_S13_EUlS12_E_NS1_11comp_targetILNS1_3genE9ELNS1_11target_archE1100ELNS1_3gpuE3ELNS1_3repE0EEENS1_30default_config_static_selectorELNS0_4arch9wavefront6targetE0EEEvT1_.has_recursion, 0
	.set _ZN7rocprim17ROCPRIM_400000_NS6detail17trampoline_kernelINS0_14default_configENS1_25partition_config_selectorILNS1_17partition_subalgoE8EiNS0_10empty_typeEbEEZZNS1_14partition_implILS5_8ELb0ES3_jPKiPS6_PKS6_NS0_5tupleIJPiS6_EEENSE_IJSB_SB_EEENS0_18inequality_wrapperIN6hipcub16HIPCUB_304000_NS8EqualityEEEPlJS6_EEE10hipError_tPvRmT3_T4_T5_T6_T7_T9_mT8_P12ihipStream_tbDpT10_ENKUlT_T0_E_clISt17integral_constantIbLb1EES16_IbLb0EEEEDaS12_S13_EUlS12_E_NS1_11comp_targetILNS1_3genE9ELNS1_11target_archE1100ELNS1_3gpuE3ELNS1_3repE0EEENS1_30default_config_static_selectorELNS0_4arch9wavefront6targetE0EEEvT1_.has_indirect_call, 0
	.section	.AMDGPU.csdata,"",@progbits
; Kernel info:
; codeLenInByte = 0
; TotalNumSgprs: 0
; NumVgprs: 0
; ScratchSize: 0
; MemoryBound: 0
; FloatMode: 240
; IeeeMode: 1
; LDSByteSize: 0 bytes/workgroup (compile time only)
; SGPRBlocks: 0
; VGPRBlocks: 0
; NumSGPRsForWavesPerEU: 1
; NumVGPRsForWavesPerEU: 1
; NamedBarCnt: 0
; Occupancy: 16
; WaveLimiterHint : 0
; COMPUTE_PGM_RSRC2:SCRATCH_EN: 0
; COMPUTE_PGM_RSRC2:USER_SGPR: 2
; COMPUTE_PGM_RSRC2:TRAP_HANDLER: 0
; COMPUTE_PGM_RSRC2:TGID_X_EN: 1
; COMPUTE_PGM_RSRC2:TGID_Y_EN: 0
; COMPUTE_PGM_RSRC2:TGID_Z_EN: 0
; COMPUTE_PGM_RSRC2:TIDIG_COMP_CNT: 0
	.section	.text._ZN7rocprim17ROCPRIM_400000_NS6detail17trampoline_kernelINS0_14default_configENS1_25partition_config_selectorILNS1_17partition_subalgoE8EiNS0_10empty_typeEbEEZZNS1_14partition_implILS5_8ELb0ES3_jPKiPS6_PKS6_NS0_5tupleIJPiS6_EEENSE_IJSB_SB_EEENS0_18inequality_wrapperIN6hipcub16HIPCUB_304000_NS8EqualityEEEPlJS6_EEE10hipError_tPvRmT3_T4_T5_T6_T7_T9_mT8_P12ihipStream_tbDpT10_ENKUlT_T0_E_clISt17integral_constantIbLb1EES16_IbLb0EEEEDaS12_S13_EUlS12_E_NS1_11comp_targetILNS1_3genE8ELNS1_11target_archE1030ELNS1_3gpuE2ELNS1_3repE0EEENS1_30default_config_static_selectorELNS0_4arch9wavefront6targetE0EEEvT1_,"axG",@progbits,_ZN7rocprim17ROCPRIM_400000_NS6detail17trampoline_kernelINS0_14default_configENS1_25partition_config_selectorILNS1_17partition_subalgoE8EiNS0_10empty_typeEbEEZZNS1_14partition_implILS5_8ELb0ES3_jPKiPS6_PKS6_NS0_5tupleIJPiS6_EEENSE_IJSB_SB_EEENS0_18inequality_wrapperIN6hipcub16HIPCUB_304000_NS8EqualityEEEPlJS6_EEE10hipError_tPvRmT3_T4_T5_T6_T7_T9_mT8_P12ihipStream_tbDpT10_ENKUlT_T0_E_clISt17integral_constantIbLb1EES16_IbLb0EEEEDaS12_S13_EUlS12_E_NS1_11comp_targetILNS1_3genE8ELNS1_11target_archE1030ELNS1_3gpuE2ELNS1_3repE0EEENS1_30default_config_static_selectorELNS0_4arch9wavefront6targetE0EEEvT1_,comdat
	.protected	_ZN7rocprim17ROCPRIM_400000_NS6detail17trampoline_kernelINS0_14default_configENS1_25partition_config_selectorILNS1_17partition_subalgoE8EiNS0_10empty_typeEbEEZZNS1_14partition_implILS5_8ELb0ES3_jPKiPS6_PKS6_NS0_5tupleIJPiS6_EEENSE_IJSB_SB_EEENS0_18inequality_wrapperIN6hipcub16HIPCUB_304000_NS8EqualityEEEPlJS6_EEE10hipError_tPvRmT3_T4_T5_T6_T7_T9_mT8_P12ihipStream_tbDpT10_ENKUlT_T0_E_clISt17integral_constantIbLb1EES16_IbLb0EEEEDaS12_S13_EUlS12_E_NS1_11comp_targetILNS1_3genE8ELNS1_11target_archE1030ELNS1_3gpuE2ELNS1_3repE0EEENS1_30default_config_static_selectorELNS0_4arch9wavefront6targetE0EEEvT1_ ; -- Begin function _ZN7rocprim17ROCPRIM_400000_NS6detail17trampoline_kernelINS0_14default_configENS1_25partition_config_selectorILNS1_17partition_subalgoE8EiNS0_10empty_typeEbEEZZNS1_14partition_implILS5_8ELb0ES3_jPKiPS6_PKS6_NS0_5tupleIJPiS6_EEENSE_IJSB_SB_EEENS0_18inequality_wrapperIN6hipcub16HIPCUB_304000_NS8EqualityEEEPlJS6_EEE10hipError_tPvRmT3_T4_T5_T6_T7_T9_mT8_P12ihipStream_tbDpT10_ENKUlT_T0_E_clISt17integral_constantIbLb1EES16_IbLb0EEEEDaS12_S13_EUlS12_E_NS1_11comp_targetILNS1_3genE8ELNS1_11target_archE1030ELNS1_3gpuE2ELNS1_3repE0EEENS1_30default_config_static_selectorELNS0_4arch9wavefront6targetE0EEEvT1_
	.globl	_ZN7rocprim17ROCPRIM_400000_NS6detail17trampoline_kernelINS0_14default_configENS1_25partition_config_selectorILNS1_17partition_subalgoE8EiNS0_10empty_typeEbEEZZNS1_14partition_implILS5_8ELb0ES3_jPKiPS6_PKS6_NS0_5tupleIJPiS6_EEENSE_IJSB_SB_EEENS0_18inequality_wrapperIN6hipcub16HIPCUB_304000_NS8EqualityEEEPlJS6_EEE10hipError_tPvRmT3_T4_T5_T6_T7_T9_mT8_P12ihipStream_tbDpT10_ENKUlT_T0_E_clISt17integral_constantIbLb1EES16_IbLb0EEEEDaS12_S13_EUlS12_E_NS1_11comp_targetILNS1_3genE8ELNS1_11target_archE1030ELNS1_3gpuE2ELNS1_3repE0EEENS1_30default_config_static_selectorELNS0_4arch9wavefront6targetE0EEEvT1_
	.p2align	8
	.type	_ZN7rocprim17ROCPRIM_400000_NS6detail17trampoline_kernelINS0_14default_configENS1_25partition_config_selectorILNS1_17partition_subalgoE8EiNS0_10empty_typeEbEEZZNS1_14partition_implILS5_8ELb0ES3_jPKiPS6_PKS6_NS0_5tupleIJPiS6_EEENSE_IJSB_SB_EEENS0_18inequality_wrapperIN6hipcub16HIPCUB_304000_NS8EqualityEEEPlJS6_EEE10hipError_tPvRmT3_T4_T5_T6_T7_T9_mT8_P12ihipStream_tbDpT10_ENKUlT_T0_E_clISt17integral_constantIbLb1EES16_IbLb0EEEEDaS12_S13_EUlS12_E_NS1_11comp_targetILNS1_3genE8ELNS1_11target_archE1030ELNS1_3gpuE2ELNS1_3repE0EEENS1_30default_config_static_selectorELNS0_4arch9wavefront6targetE0EEEvT1_,@function
_ZN7rocprim17ROCPRIM_400000_NS6detail17trampoline_kernelINS0_14default_configENS1_25partition_config_selectorILNS1_17partition_subalgoE8EiNS0_10empty_typeEbEEZZNS1_14partition_implILS5_8ELb0ES3_jPKiPS6_PKS6_NS0_5tupleIJPiS6_EEENSE_IJSB_SB_EEENS0_18inequality_wrapperIN6hipcub16HIPCUB_304000_NS8EqualityEEEPlJS6_EEE10hipError_tPvRmT3_T4_T5_T6_T7_T9_mT8_P12ihipStream_tbDpT10_ENKUlT_T0_E_clISt17integral_constantIbLb1EES16_IbLb0EEEEDaS12_S13_EUlS12_E_NS1_11comp_targetILNS1_3genE8ELNS1_11target_archE1030ELNS1_3gpuE2ELNS1_3repE0EEENS1_30default_config_static_selectorELNS0_4arch9wavefront6targetE0EEEvT1_: ; @_ZN7rocprim17ROCPRIM_400000_NS6detail17trampoline_kernelINS0_14default_configENS1_25partition_config_selectorILNS1_17partition_subalgoE8EiNS0_10empty_typeEbEEZZNS1_14partition_implILS5_8ELb0ES3_jPKiPS6_PKS6_NS0_5tupleIJPiS6_EEENSE_IJSB_SB_EEENS0_18inequality_wrapperIN6hipcub16HIPCUB_304000_NS8EqualityEEEPlJS6_EEE10hipError_tPvRmT3_T4_T5_T6_T7_T9_mT8_P12ihipStream_tbDpT10_ENKUlT_T0_E_clISt17integral_constantIbLb1EES16_IbLb0EEEEDaS12_S13_EUlS12_E_NS1_11comp_targetILNS1_3genE8ELNS1_11target_archE1030ELNS1_3gpuE2ELNS1_3repE0EEENS1_30default_config_static_selectorELNS0_4arch9wavefront6targetE0EEEvT1_
; %bb.0:
	.section	.rodata,"a",@progbits
	.p2align	6, 0x0
	.amdhsa_kernel _ZN7rocprim17ROCPRIM_400000_NS6detail17trampoline_kernelINS0_14default_configENS1_25partition_config_selectorILNS1_17partition_subalgoE8EiNS0_10empty_typeEbEEZZNS1_14partition_implILS5_8ELb0ES3_jPKiPS6_PKS6_NS0_5tupleIJPiS6_EEENSE_IJSB_SB_EEENS0_18inequality_wrapperIN6hipcub16HIPCUB_304000_NS8EqualityEEEPlJS6_EEE10hipError_tPvRmT3_T4_T5_T6_T7_T9_mT8_P12ihipStream_tbDpT10_ENKUlT_T0_E_clISt17integral_constantIbLb1EES16_IbLb0EEEEDaS12_S13_EUlS12_E_NS1_11comp_targetILNS1_3genE8ELNS1_11target_archE1030ELNS1_3gpuE2ELNS1_3repE0EEENS1_30default_config_static_selectorELNS0_4arch9wavefront6targetE0EEEvT1_
		.amdhsa_group_segment_fixed_size 0
		.amdhsa_private_segment_fixed_size 0
		.amdhsa_kernarg_size 112
		.amdhsa_user_sgpr_count 2
		.amdhsa_user_sgpr_dispatch_ptr 0
		.amdhsa_user_sgpr_queue_ptr 0
		.amdhsa_user_sgpr_kernarg_segment_ptr 1
		.amdhsa_user_sgpr_dispatch_id 0
		.amdhsa_user_sgpr_kernarg_preload_length 0
		.amdhsa_user_sgpr_kernarg_preload_offset 0
		.amdhsa_user_sgpr_private_segment_size 0
		.amdhsa_wavefront_size32 1
		.amdhsa_uses_dynamic_stack 0
		.amdhsa_enable_private_segment 0
		.amdhsa_system_sgpr_workgroup_id_x 1
		.amdhsa_system_sgpr_workgroup_id_y 0
		.amdhsa_system_sgpr_workgroup_id_z 0
		.amdhsa_system_sgpr_workgroup_info 0
		.amdhsa_system_vgpr_workitem_id 0
		.amdhsa_next_free_vgpr 1
		.amdhsa_next_free_sgpr 1
		.amdhsa_named_barrier_count 0
		.amdhsa_reserve_vcc 0
		.amdhsa_float_round_mode_32 0
		.amdhsa_float_round_mode_16_64 0
		.amdhsa_float_denorm_mode_32 3
		.amdhsa_float_denorm_mode_16_64 3
		.amdhsa_fp16_overflow 0
		.amdhsa_memory_ordered 1
		.amdhsa_forward_progress 1
		.amdhsa_inst_pref_size 0
		.amdhsa_round_robin_scheduling 0
		.amdhsa_exception_fp_ieee_invalid_op 0
		.amdhsa_exception_fp_denorm_src 0
		.amdhsa_exception_fp_ieee_div_zero 0
		.amdhsa_exception_fp_ieee_overflow 0
		.amdhsa_exception_fp_ieee_underflow 0
		.amdhsa_exception_fp_ieee_inexact 0
		.amdhsa_exception_int_div_zero 0
	.end_amdhsa_kernel
	.section	.text._ZN7rocprim17ROCPRIM_400000_NS6detail17trampoline_kernelINS0_14default_configENS1_25partition_config_selectorILNS1_17partition_subalgoE8EiNS0_10empty_typeEbEEZZNS1_14partition_implILS5_8ELb0ES3_jPKiPS6_PKS6_NS0_5tupleIJPiS6_EEENSE_IJSB_SB_EEENS0_18inequality_wrapperIN6hipcub16HIPCUB_304000_NS8EqualityEEEPlJS6_EEE10hipError_tPvRmT3_T4_T5_T6_T7_T9_mT8_P12ihipStream_tbDpT10_ENKUlT_T0_E_clISt17integral_constantIbLb1EES16_IbLb0EEEEDaS12_S13_EUlS12_E_NS1_11comp_targetILNS1_3genE8ELNS1_11target_archE1030ELNS1_3gpuE2ELNS1_3repE0EEENS1_30default_config_static_selectorELNS0_4arch9wavefront6targetE0EEEvT1_,"axG",@progbits,_ZN7rocprim17ROCPRIM_400000_NS6detail17trampoline_kernelINS0_14default_configENS1_25partition_config_selectorILNS1_17partition_subalgoE8EiNS0_10empty_typeEbEEZZNS1_14partition_implILS5_8ELb0ES3_jPKiPS6_PKS6_NS0_5tupleIJPiS6_EEENSE_IJSB_SB_EEENS0_18inequality_wrapperIN6hipcub16HIPCUB_304000_NS8EqualityEEEPlJS6_EEE10hipError_tPvRmT3_T4_T5_T6_T7_T9_mT8_P12ihipStream_tbDpT10_ENKUlT_T0_E_clISt17integral_constantIbLb1EES16_IbLb0EEEEDaS12_S13_EUlS12_E_NS1_11comp_targetILNS1_3genE8ELNS1_11target_archE1030ELNS1_3gpuE2ELNS1_3repE0EEENS1_30default_config_static_selectorELNS0_4arch9wavefront6targetE0EEEvT1_,comdat
.Lfunc_end433:
	.size	_ZN7rocprim17ROCPRIM_400000_NS6detail17trampoline_kernelINS0_14default_configENS1_25partition_config_selectorILNS1_17partition_subalgoE8EiNS0_10empty_typeEbEEZZNS1_14partition_implILS5_8ELb0ES3_jPKiPS6_PKS6_NS0_5tupleIJPiS6_EEENSE_IJSB_SB_EEENS0_18inequality_wrapperIN6hipcub16HIPCUB_304000_NS8EqualityEEEPlJS6_EEE10hipError_tPvRmT3_T4_T5_T6_T7_T9_mT8_P12ihipStream_tbDpT10_ENKUlT_T0_E_clISt17integral_constantIbLb1EES16_IbLb0EEEEDaS12_S13_EUlS12_E_NS1_11comp_targetILNS1_3genE8ELNS1_11target_archE1030ELNS1_3gpuE2ELNS1_3repE0EEENS1_30default_config_static_selectorELNS0_4arch9wavefront6targetE0EEEvT1_, .Lfunc_end433-_ZN7rocprim17ROCPRIM_400000_NS6detail17trampoline_kernelINS0_14default_configENS1_25partition_config_selectorILNS1_17partition_subalgoE8EiNS0_10empty_typeEbEEZZNS1_14partition_implILS5_8ELb0ES3_jPKiPS6_PKS6_NS0_5tupleIJPiS6_EEENSE_IJSB_SB_EEENS0_18inequality_wrapperIN6hipcub16HIPCUB_304000_NS8EqualityEEEPlJS6_EEE10hipError_tPvRmT3_T4_T5_T6_T7_T9_mT8_P12ihipStream_tbDpT10_ENKUlT_T0_E_clISt17integral_constantIbLb1EES16_IbLb0EEEEDaS12_S13_EUlS12_E_NS1_11comp_targetILNS1_3genE8ELNS1_11target_archE1030ELNS1_3gpuE2ELNS1_3repE0EEENS1_30default_config_static_selectorELNS0_4arch9wavefront6targetE0EEEvT1_
                                        ; -- End function
	.set _ZN7rocprim17ROCPRIM_400000_NS6detail17trampoline_kernelINS0_14default_configENS1_25partition_config_selectorILNS1_17partition_subalgoE8EiNS0_10empty_typeEbEEZZNS1_14partition_implILS5_8ELb0ES3_jPKiPS6_PKS6_NS0_5tupleIJPiS6_EEENSE_IJSB_SB_EEENS0_18inequality_wrapperIN6hipcub16HIPCUB_304000_NS8EqualityEEEPlJS6_EEE10hipError_tPvRmT3_T4_T5_T6_T7_T9_mT8_P12ihipStream_tbDpT10_ENKUlT_T0_E_clISt17integral_constantIbLb1EES16_IbLb0EEEEDaS12_S13_EUlS12_E_NS1_11comp_targetILNS1_3genE8ELNS1_11target_archE1030ELNS1_3gpuE2ELNS1_3repE0EEENS1_30default_config_static_selectorELNS0_4arch9wavefront6targetE0EEEvT1_.num_vgpr, 0
	.set _ZN7rocprim17ROCPRIM_400000_NS6detail17trampoline_kernelINS0_14default_configENS1_25partition_config_selectorILNS1_17partition_subalgoE8EiNS0_10empty_typeEbEEZZNS1_14partition_implILS5_8ELb0ES3_jPKiPS6_PKS6_NS0_5tupleIJPiS6_EEENSE_IJSB_SB_EEENS0_18inequality_wrapperIN6hipcub16HIPCUB_304000_NS8EqualityEEEPlJS6_EEE10hipError_tPvRmT3_T4_T5_T6_T7_T9_mT8_P12ihipStream_tbDpT10_ENKUlT_T0_E_clISt17integral_constantIbLb1EES16_IbLb0EEEEDaS12_S13_EUlS12_E_NS1_11comp_targetILNS1_3genE8ELNS1_11target_archE1030ELNS1_3gpuE2ELNS1_3repE0EEENS1_30default_config_static_selectorELNS0_4arch9wavefront6targetE0EEEvT1_.num_agpr, 0
	.set _ZN7rocprim17ROCPRIM_400000_NS6detail17trampoline_kernelINS0_14default_configENS1_25partition_config_selectorILNS1_17partition_subalgoE8EiNS0_10empty_typeEbEEZZNS1_14partition_implILS5_8ELb0ES3_jPKiPS6_PKS6_NS0_5tupleIJPiS6_EEENSE_IJSB_SB_EEENS0_18inequality_wrapperIN6hipcub16HIPCUB_304000_NS8EqualityEEEPlJS6_EEE10hipError_tPvRmT3_T4_T5_T6_T7_T9_mT8_P12ihipStream_tbDpT10_ENKUlT_T0_E_clISt17integral_constantIbLb1EES16_IbLb0EEEEDaS12_S13_EUlS12_E_NS1_11comp_targetILNS1_3genE8ELNS1_11target_archE1030ELNS1_3gpuE2ELNS1_3repE0EEENS1_30default_config_static_selectorELNS0_4arch9wavefront6targetE0EEEvT1_.numbered_sgpr, 0
	.set _ZN7rocprim17ROCPRIM_400000_NS6detail17trampoline_kernelINS0_14default_configENS1_25partition_config_selectorILNS1_17partition_subalgoE8EiNS0_10empty_typeEbEEZZNS1_14partition_implILS5_8ELb0ES3_jPKiPS6_PKS6_NS0_5tupleIJPiS6_EEENSE_IJSB_SB_EEENS0_18inequality_wrapperIN6hipcub16HIPCUB_304000_NS8EqualityEEEPlJS6_EEE10hipError_tPvRmT3_T4_T5_T6_T7_T9_mT8_P12ihipStream_tbDpT10_ENKUlT_T0_E_clISt17integral_constantIbLb1EES16_IbLb0EEEEDaS12_S13_EUlS12_E_NS1_11comp_targetILNS1_3genE8ELNS1_11target_archE1030ELNS1_3gpuE2ELNS1_3repE0EEENS1_30default_config_static_selectorELNS0_4arch9wavefront6targetE0EEEvT1_.num_named_barrier, 0
	.set _ZN7rocprim17ROCPRIM_400000_NS6detail17trampoline_kernelINS0_14default_configENS1_25partition_config_selectorILNS1_17partition_subalgoE8EiNS0_10empty_typeEbEEZZNS1_14partition_implILS5_8ELb0ES3_jPKiPS6_PKS6_NS0_5tupleIJPiS6_EEENSE_IJSB_SB_EEENS0_18inequality_wrapperIN6hipcub16HIPCUB_304000_NS8EqualityEEEPlJS6_EEE10hipError_tPvRmT3_T4_T5_T6_T7_T9_mT8_P12ihipStream_tbDpT10_ENKUlT_T0_E_clISt17integral_constantIbLb1EES16_IbLb0EEEEDaS12_S13_EUlS12_E_NS1_11comp_targetILNS1_3genE8ELNS1_11target_archE1030ELNS1_3gpuE2ELNS1_3repE0EEENS1_30default_config_static_selectorELNS0_4arch9wavefront6targetE0EEEvT1_.private_seg_size, 0
	.set _ZN7rocprim17ROCPRIM_400000_NS6detail17trampoline_kernelINS0_14default_configENS1_25partition_config_selectorILNS1_17partition_subalgoE8EiNS0_10empty_typeEbEEZZNS1_14partition_implILS5_8ELb0ES3_jPKiPS6_PKS6_NS0_5tupleIJPiS6_EEENSE_IJSB_SB_EEENS0_18inequality_wrapperIN6hipcub16HIPCUB_304000_NS8EqualityEEEPlJS6_EEE10hipError_tPvRmT3_T4_T5_T6_T7_T9_mT8_P12ihipStream_tbDpT10_ENKUlT_T0_E_clISt17integral_constantIbLb1EES16_IbLb0EEEEDaS12_S13_EUlS12_E_NS1_11comp_targetILNS1_3genE8ELNS1_11target_archE1030ELNS1_3gpuE2ELNS1_3repE0EEENS1_30default_config_static_selectorELNS0_4arch9wavefront6targetE0EEEvT1_.uses_vcc, 0
	.set _ZN7rocprim17ROCPRIM_400000_NS6detail17trampoline_kernelINS0_14default_configENS1_25partition_config_selectorILNS1_17partition_subalgoE8EiNS0_10empty_typeEbEEZZNS1_14partition_implILS5_8ELb0ES3_jPKiPS6_PKS6_NS0_5tupleIJPiS6_EEENSE_IJSB_SB_EEENS0_18inequality_wrapperIN6hipcub16HIPCUB_304000_NS8EqualityEEEPlJS6_EEE10hipError_tPvRmT3_T4_T5_T6_T7_T9_mT8_P12ihipStream_tbDpT10_ENKUlT_T0_E_clISt17integral_constantIbLb1EES16_IbLb0EEEEDaS12_S13_EUlS12_E_NS1_11comp_targetILNS1_3genE8ELNS1_11target_archE1030ELNS1_3gpuE2ELNS1_3repE0EEENS1_30default_config_static_selectorELNS0_4arch9wavefront6targetE0EEEvT1_.uses_flat_scratch, 0
	.set _ZN7rocprim17ROCPRIM_400000_NS6detail17trampoline_kernelINS0_14default_configENS1_25partition_config_selectorILNS1_17partition_subalgoE8EiNS0_10empty_typeEbEEZZNS1_14partition_implILS5_8ELb0ES3_jPKiPS6_PKS6_NS0_5tupleIJPiS6_EEENSE_IJSB_SB_EEENS0_18inequality_wrapperIN6hipcub16HIPCUB_304000_NS8EqualityEEEPlJS6_EEE10hipError_tPvRmT3_T4_T5_T6_T7_T9_mT8_P12ihipStream_tbDpT10_ENKUlT_T0_E_clISt17integral_constantIbLb1EES16_IbLb0EEEEDaS12_S13_EUlS12_E_NS1_11comp_targetILNS1_3genE8ELNS1_11target_archE1030ELNS1_3gpuE2ELNS1_3repE0EEENS1_30default_config_static_selectorELNS0_4arch9wavefront6targetE0EEEvT1_.has_dyn_sized_stack, 0
	.set _ZN7rocprim17ROCPRIM_400000_NS6detail17trampoline_kernelINS0_14default_configENS1_25partition_config_selectorILNS1_17partition_subalgoE8EiNS0_10empty_typeEbEEZZNS1_14partition_implILS5_8ELb0ES3_jPKiPS6_PKS6_NS0_5tupleIJPiS6_EEENSE_IJSB_SB_EEENS0_18inequality_wrapperIN6hipcub16HIPCUB_304000_NS8EqualityEEEPlJS6_EEE10hipError_tPvRmT3_T4_T5_T6_T7_T9_mT8_P12ihipStream_tbDpT10_ENKUlT_T0_E_clISt17integral_constantIbLb1EES16_IbLb0EEEEDaS12_S13_EUlS12_E_NS1_11comp_targetILNS1_3genE8ELNS1_11target_archE1030ELNS1_3gpuE2ELNS1_3repE0EEENS1_30default_config_static_selectorELNS0_4arch9wavefront6targetE0EEEvT1_.has_recursion, 0
	.set _ZN7rocprim17ROCPRIM_400000_NS6detail17trampoline_kernelINS0_14default_configENS1_25partition_config_selectorILNS1_17partition_subalgoE8EiNS0_10empty_typeEbEEZZNS1_14partition_implILS5_8ELb0ES3_jPKiPS6_PKS6_NS0_5tupleIJPiS6_EEENSE_IJSB_SB_EEENS0_18inequality_wrapperIN6hipcub16HIPCUB_304000_NS8EqualityEEEPlJS6_EEE10hipError_tPvRmT3_T4_T5_T6_T7_T9_mT8_P12ihipStream_tbDpT10_ENKUlT_T0_E_clISt17integral_constantIbLb1EES16_IbLb0EEEEDaS12_S13_EUlS12_E_NS1_11comp_targetILNS1_3genE8ELNS1_11target_archE1030ELNS1_3gpuE2ELNS1_3repE0EEENS1_30default_config_static_selectorELNS0_4arch9wavefront6targetE0EEEvT1_.has_indirect_call, 0
	.section	.AMDGPU.csdata,"",@progbits
; Kernel info:
; codeLenInByte = 0
; TotalNumSgprs: 0
; NumVgprs: 0
; ScratchSize: 0
; MemoryBound: 0
; FloatMode: 240
; IeeeMode: 1
; LDSByteSize: 0 bytes/workgroup (compile time only)
; SGPRBlocks: 0
; VGPRBlocks: 0
; NumSGPRsForWavesPerEU: 1
; NumVGPRsForWavesPerEU: 1
; NamedBarCnt: 0
; Occupancy: 16
; WaveLimiterHint : 0
; COMPUTE_PGM_RSRC2:SCRATCH_EN: 0
; COMPUTE_PGM_RSRC2:USER_SGPR: 2
; COMPUTE_PGM_RSRC2:TRAP_HANDLER: 0
; COMPUTE_PGM_RSRC2:TGID_X_EN: 1
; COMPUTE_PGM_RSRC2:TGID_Y_EN: 0
; COMPUTE_PGM_RSRC2:TGID_Z_EN: 0
; COMPUTE_PGM_RSRC2:TIDIG_COMP_CNT: 0
	.section	.text._ZN7rocprim17ROCPRIM_400000_NS6detail17trampoline_kernelINS0_14default_configENS1_25partition_config_selectorILNS1_17partition_subalgoE8EiNS0_10empty_typeEbEEZZNS1_14partition_implILS5_8ELb0ES3_jPKiPS6_PKS6_NS0_5tupleIJPiS6_EEENSE_IJSB_SB_EEENS0_18inequality_wrapperIN6hipcub16HIPCUB_304000_NS8EqualityEEEPlJS6_EEE10hipError_tPvRmT3_T4_T5_T6_T7_T9_mT8_P12ihipStream_tbDpT10_ENKUlT_T0_E_clISt17integral_constantIbLb0EES16_IbLb1EEEEDaS12_S13_EUlS12_E_NS1_11comp_targetILNS1_3genE0ELNS1_11target_archE4294967295ELNS1_3gpuE0ELNS1_3repE0EEENS1_30default_config_static_selectorELNS0_4arch9wavefront6targetE0EEEvT1_,"axG",@progbits,_ZN7rocprim17ROCPRIM_400000_NS6detail17trampoline_kernelINS0_14default_configENS1_25partition_config_selectorILNS1_17partition_subalgoE8EiNS0_10empty_typeEbEEZZNS1_14partition_implILS5_8ELb0ES3_jPKiPS6_PKS6_NS0_5tupleIJPiS6_EEENSE_IJSB_SB_EEENS0_18inequality_wrapperIN6hipcub16HIPCUB_304000_NS8EqualityEEEPlJS6_EEE10hipError_tPvRmT3_T4_T5_T6_T7_T9_mT8_P12ihipStream_tbDpT10_ENKUlT_T0_E_clISt17integral_constantIbLb0EES16_IbLb1EEEEDaS12_S13_EUlS12_E_NS1_11comp_targetILNS1_3genE0ELNS1_11target_archE4294967295ELNS1_3gpuE0ELNS1_3repE0EEENS1_30default_config_static_selectorELNS0_4arch9wavefront6targetE0EEEvT1_,comdat
	.protected	_ZN7rocprim17ROCPRIM_400000_NS6detail17trampoline_kernelINS0_14default_configENS1_25partition_config_selectorILNS1_17partition_subalgoE8EiNS0_10empty_typeEbEEZZNS1_14partition_implILS5_8ELb0ES3_jPKiPS6_PKS6_NS0_5tupleIJPiS6_EEENSE_IJSB_SB_EEENS0_18inequality_wrapperIN6hipcub16HIPCUB_304000_NS8EqualityEEEPlJS6_EEE10hipError_tPvRmT3_T4_T5_T6_T7_T9_mT8_P12ihipStream_tbDpT10_ENKUlT_T0_E_clISt17integral_constantIbLb0EES16_IbLb1EEEEDaS12_S13_EUlS12_E_NS1_11comp_targetILNS1_3genE0ELNS1_11target_archE4294967295ELNS1_3gpuE0ELNS1_3repE0EEENS1_30default_config_static_selectorELNS0_4arch9wavefront6targetE0EEEvT1_ ; -- Begin function _ZN7rocprim17ROCPRIM_400000_NS6detail17trampoline_kernelINS0_14default_configENS1_25partition_config_selectorILNS1_17partition_subalgoE8EiNS0_10empty_typeEbEEZZNS1_14partition_implILS5_8ELb0ES3_jPKiPS6_PKS6_NS0_5tupleIJPiS6_EEENSE_IJSB_SB_EEENS0_18inequality_wrapperIN6hipcub16HIPCUB_304000_NS8EqualityEEEPlJS6_EEE10hipError_tPvRmT3_T4_T5_T6_T7_T9_mT8_P12ihipStream_tbDpT10_ENKUlT_T0_E_clISt17integral_constantIbLb0EES16_IbLb1EEEEDaS12_S13_EUlS12_E_NS1_11comp_targetILNS1_3genE0ELNS1_11target_archE4294967295ELNS1_3gpuE0ELNS1_3repE0EEENS1_30default_config_static_selectorELNS0_4arch9wavefront6targetE0EEEvT1_
	.globl	_ZN7rocprim17ROCPRIM_400000_NS6detail17trampoline_kernelINS0_14default_configENS1_25partition_config_selectorILNS1_17partition_subalgoE8EiNS0_10empty_typeEbEEZZNS1_14partition_implILS5_8ELb0ES3_jPKiPS6_PKS6_NS0_5tupleIJPiS6_EEENSE_IJSB_SB_EEENS0_18inequality_wrapperIN6hipcub16HIPCUB_304000_NS8EqualityEEEPlJS6_EEE10hipError_tPvRmT3_T4_T5_T6_T7_T9_mT8_P12ihipStream_tbDpT10_ENKUlT_T0_E_clISt17integral_constantIbLb0EES16_IbLb1EEEEDaS12_S13_EUlS12_E_NS1_11comp_targetILNS1_3genE0ELNS1_11target_archE4294967295ELNS1_3gpuE0ELNS1_3repE0EEENS1_30default_config_static_selectorELNS0_4arch9wavefront6targetE0EEEvT1_
	.p2align	8
	.type	_ZN7rocprim17ROCPRIM_400000_NS6detail17trampoline_kernelINS0_14default_configENS1_25partition_config_selectorILNS1_17partition_subalgoE8EiNS0_10empty_typeEbEEZZNS1_14partition_implILS5_8ELb0ES3_jPKiPS6_PKS6_NS0_5tupleIJPiS6_EEENSE_IJSB_SB_EEENS0_18inequality_wrapperIN6hipcub16HIPCUB_304000_NS8EqualityEEEPlJS6_EEE10hipError_tPvRmT3_T4_T5_T6_T7_T9_mT8_P12ihipStream_tbDpT10_ENKUlT_T0_E_clISt17integral_constantIbLb0EES16_IbLb1EEEEDaS12_S13_EUlS12_E_NS1_11comp_targetILNS1_3genE0ELNS1_11target_archE4294967295ELNS1_3gpuE0ELNS1_3repE0EEENS1_30default_config_static_selectorELNS0_4arch9wavefront6targetE0EEEvT1_,@function
_ZN7rocprim17ROCPRIM_400000_NS6detail17trampoline_kernelINS0_14default_configENS1_25partition_config_selectorILNS1_17partition_subalgoE8EiNS0_10empty_typeEbEEZZNS1_14partition_implILS5_8ELb0ES3_jPKiPS6_PKS6_NS0_5tupleIJPiS6_EEENSE_IJSB_SB_EEENS0_18inequality_wrapperIN6hipcub16HIPCUB_304000_NS8EqualityEEEPlJS6_EEE10hipError_tPvRmT3_T4_T5_T6_T7_T9_mT8_P12ihipStream_tbDpT10_ENKUlT_T0_E_clISt17integral_constantIbLb0EES16_IbLb1EEEEDaS12_S13_EUlS12_E_NS1_11comp_targetILNS1_3genE0ELNS1_11target_archE4294967295ELNS1_3gpuE0ELNS1_3repE0EEENS1_30default_config_static_selectorELNS0_4arch9wavefront6targetE0EEEvT1_: ; @_ZN7rocprim17ROCPRIM_400000_NS6detail17trampoline_kernelINS0_14default_configENS1_25partition_config_selectorILNS1_17partition_subalgoE8EiNS0_10empty_typeEbEEZZNS1_14partition_implILS5_8ELb0ES3_jPKiPS6_PKS6_NS0_5tupleIJPiS6_EEENSE_IJSB_SB_EEENS0_18inequality_wrapperIN6hipcub16HIPCUB_304000_NS8EqualityEEEPlJS6_EEE10hipError_tPvRmT3_T4_T5_T6_T7_T9_mT8_P12ihipStream_tbDpT10_ENKUlT_T0_E_clISt17integral_constantIbLb0EES16_IbLb1EEEEDaS12_S13_EUlS12_E_NS1_11comp_targetILNS1_3genE0ELNS1_11target_archE4294967295ELNS1_3gpuE0ELNS1_3repE0EEENS1_30default_config_static_selectorELNS0_4arch9wavefront6targetE0EEEvT1_
; %bb.0:
	s_clause 0x2
	s_load_b128 s[20:23], s[0:1], 0x40
	s_load_b64 s[8:9], s[0:1], 0x50
	s_load_b64 s[26:27], s[0:1], 0x60
	v_cmp_ne_u32_e64 s3, 0, v0
	v_cmp_eq_u32_e64 s2, 0, v0
	s_and_saveexec_b32 s4, s2
	s_cbranch_execz .LBB434_4
; %bb.1:
	s_mov_b32 s6, exec_lo
	s_mov_b32 s5, exec_lo
	v_mbcnt_lo_u32_b32 v1, s6, 0
                                        ; implicit-def: $vgpr2
	s_delay_alu instid0(VALU_DEP_1)
	v_cmpx_eq_u32_e32 0, v1
	s_cbranch_execz .LBB434_3
; %bb.2:
	s_load_b64 s[10:11], s[0:1], 0x70
	s_bcnt1_i32_b32 s6, s6
	s_delay_alu instid0(SALU_CYCLE_1)
	v_dual_mov_b32 v2, 0 :: v_dual_mov_b32 v3, s6
	s_wait_xcnt 0x0
	s_wait_kmcnt 0x0
	global_atomic_add_u32 v2, v2, v3, s[10:11] th:TH_ATOMIC_RETURN scope:SCOPE_DEV
.LBB434_3:
	s_wait_xcnt 0x0
	s_or_b32 exec_lo, exec_lo, s5
	s_wait_loadcnt 0x0
	v_readfirstlane_b32 s5, v2
	s_delay_alu instid0(VALU_DEP_1)
	v_dual_mov_b32 v2, 0 :: v_dual_add_nc_u32 v1, s5, v1
	ds_store_b32 v2, v1
.LBB434_4:
	s_or_b32 exec_lo, exec_lo, s4
	v_mov_b32_e32 v3, 0
	s_clause 0x2
	s_load_b128 s[4:7], s[0:1], 0x8
	s_load_b64 s[24:25], s[0:1], 0x28
	s_load_b32 s10, s[0:1], 0x68
	s_wait_dscnt 0x0
	s_barrier_signal -1
	s_barrier_wait -1
	ds_load_b32 v1, v3
	s_wait_dscnt 0x0
	s_barrier_signal -1
	s_barrier_wait -1
	s_wait_kmcnt 0x0
	global_load_b64 v[14:15], v3, s[22:23]
	s_mov_b32 s13, 0
	s_lshl_b64 s[0:1], s[6:7], 2
	s_mul_i32 s12, s10, 0x1600
	s_add_co_i32 s14, s10, -1
	s_add_nc_u64 s[10:11], s[6:7], s[12:13]
	s_add_co_i32 s12, s12, s6
	v_cmp_le_u64_e64 s9, s[8:9], s[10:11]
	v_mul_lo_u32 v2, 0x1600, v1
	v_readfirstlane_b32 s28, v1
	s_sub_co_i32 s29, s8, s12
	s_add_nc_u64 s[0:1], s[4:5], s[0:1]
	s_cmp_eq_u32 s28, s14
	s_wait_xcnt 0x0
	s_cselect_b32 s22, -1, 0
	s_delay_alu instid0(SALU_CYCLE_1) | instskip(SKIP_2) | instid1(SALU_CYCLE_1)
	s_and_b32 s30, s9, s22
	v_lshlrev_b64_e32 v[2:3], 2, v[2:3]
	s_xor_b32 s23, s30, -1
	s_and_b32 vcc_lo, exec_lo, s23
	s_delay_alu instid0(VALU_DEP_1)
	v_add_nc_u64_e32 v[26:27], s[0:1], v[2:3]
	s_mov_b32 s0, -1
	s_cbranch_vccz .LBB434_6
; %bb.5:
	s_delay_alu instid0(VALU_DEP_1) | instskip(NEXT) | instid1(VALU_DEP_2)
	v_readfirstlane_b32 s0, v26
	v_readfirstlane_b32 s1, v27
	v_lshlrev_b32_e32 v12, 2, v0
	s_clause 0xa
	global_load_b32 v1, v0, s[0:1] scale_offset
	global_load_b32 v2, v0, s[0:1] offset:2048 scale_offset
	global_load_b32 v3, v0, s[0:1] offset:4096 scale_offset
	global_load_b32 v4, v0, s[0:1] offset:6144 scale_offset
	global_load_b32 v5, v0, s[0:1] offset:8192 scale_offset
	global_load_b32 v6, v0, s[0:1] offset:10240 scale_offset
	global_load_b32 v7, v0, s[0:1] offset:12288 scale_offset
	global_load_b32 v8, v0, s[0:1] offset:14336 scale_offset
	global_load_b32 v9, v0, s[0:1] offset:16384 scale_offset
	global_load_b32 v10, v0, s[0:1] offset:18432 scale_offset
	global_load_b32 v11, v0, s[0:1] offset:20480 scale_offset
	s_wait_xcnt 0x0
	s_mov_b32 s0, 0
	s_wait_loadcnt 0x9
	ds_store_2addr_stride64_b32 v12, v1, v2 offset1:8
	s_wait_loadcnt 0x7
	ds_store_2addr_stride64_b32 v12, v3, v4 offset0:16 offset1:24
	s_wait_loadcnt 0x5
	ds_store_2addr_stride64_b32 v12, v5, v6 offset0:32 offset1:40
	;; [unrolled: 2-line block ×4, first 2 shown]
	s_wait_loadcnt 0x0
	ds_store_b32 v12, v11 offset:20480
	s_wait_dscnt 0x0
	s_barrier_signal -1
	s_barrier_wait -1
.LBB434_6:
	s_and_not1_b32 vcc_lo, exec_lo, s0
	s_addk_co_i32 s29, 0x1600
	s_cbranch_vccnz .LBB434_30
; %bb.7:
	v_mov_b32_e32 v2, 0
	s_mov_b32 s0, exec_lo
	s_delay_alu instid0(VALU_DEP_1)
	v_dual_mov_b32 v3, v2 :: v_dual_mov_b32 v4, v2
	v_dual_mov_b32 v5, v2 :: v_dual_mov_b32 v6, v2
	;; [unrolled: 1-line block ×5, first 2 shown]
	v_cmpx_gt_u32_e64 s29, v0
	s_cbranch_execz .LBB434_9
; %bb.8:
	v_readfirstlane_b32 s4, v26
	v_readfirstlane_b32 s5, v27
	v_dual_mov_b32 v29, v2 :: v_dual_mov_b32 v30, v2
	v_dual_mov_b32 v31, v2 :: v_dual_mov_b32 v32, v2
	global_load_b32 v28, v0, s[4:5] scale_offset
	v_dual_mov_b32 v33, v2 :: v_dual_mov_b32 v34, v2
	v_dual_mov_b32 v35, v2 :: v_dual_mov_b32 v36, v2
	;; [unrolled: 1-line block ×3, first 2 shown]
	s_wait_loadcnt 0x0
	v_dual_mov_b32 v2, v28 :: v_dual_mov_b32 v3, v29
	v_dual_mov_b32 v4, v30 :: v_dual_mov_b32 v5, v31
	;; [unrolled: 1-line block ×5, first 2 shown]
	v_mov_b32_e32 v12, v38
.LBB434_9:
	s_or_b32 exec_lo, exec_lo, s0
	v_or_b32_e32 v1, 0x200, v0
	s_mov_b32 s0, exec_lo
	s_delay_alu instid0(VALU_DEP_1)
	v_cmpx_gt_u32_e64 s29, v1
	s_cbranch_execz .LBB434_11
; %bb.10:
	v_readfirstlane_b32 s4, v26
	v_readfirstlane_b32 s5, v27
	global_load_b32 v3, v0, s[4:5] offset:2048 scale_offset
.LBB434_11:
	s_wait_xcnt 0x0
	s_or_b32 exec_lo, exec_lo, s0
	v_or_b32_e32 v1, 0x400, v0
	s_mov_b32 s0, exec_lo
	s_delay_alu instid0(VALU_DEP_1)
	v_cmpx_gt_u32_e64 s29, v1
	s_cbranch_execz .LBB434_13
; %bb.12:
	v_readfirstlane_b32 s4, v26
	v_readfirstlane_b32 s5, v27
	global_load_b32 v4, v0, s[4:5] offset:4096 scale_offset
.LBB434_13:
	s_wait_xcnt 0x0
	;; [unrolled: 12-line block ×10, first 2 shown]
	s_or_b32 exec_lo, exec_lo, s0
	v_lshlrev_b32_e32 v1, 2, v0
	s_wait_loadcnt 0x0
	ds_store_2addr_stride64_b32 v1, v2, v3 offset1:8
	ds_store_2addr_stride64_b32 v1, v4, v5 offset0:16 offset1:24
	ds_store_2addr_stride64_b32 v1, v6, v7 offset0:32 offset1:40
	;; [unrolled: 1-line block ×4, first 2 shown]
	ds_store_b32 v1, v12 offset:20480
	s_wait_dscnt 0x0
	s_barrier_signal -1
	s_barrier_wait -1
.LBB434_30:
	v_mul_u32_u24_e32 v6, 11, v0
	s_wait_loadcnt 0x0
	s_cmp_lg_u32 s28, 0
	s_mov_b32 s18, 0
	s_cselect_b32 s31, -1, 0
	v_lshlrev_b32_e32 v1, 2, v6
	s_cmp_lg_u64 s[6:7], 0
	ds_load_2addr_b32 v[22:23], v1 offset0:2 offset1:3
	ds_load_2addr_b32 v[24:25], v1 offset1:1
	ds_load_2addr_b32 v[12:13], v1 offset0:3 offset1:4
	ds_load_2addr_b32 v[2:3], v1 offset0:1 offset1:2
	;; [unrolled: 1-line block ×5, first 2 shown]
	s_cselect_b32 s0, -1, 0
	s_wait_dscnt 0x0
	s_or_b32 s0, s0, s31
	s_barrier_signal -1
	s_and_b32 vcc_lo, exec_lo, s0
	s_barrier_wait -1
	s_cbranch_vccz .LBB434_35
; %bb.31:
	global_load_b32 v10, v[26:27], off offset:-4
	v_lshlrev_b32_e32 v11, 2, v0
	s_and_b32 vcc_lo, exec_lo, s23
	ds_store_b32 v11, v17
	s_cbranch_vccz .LBB434_37
; %bb.32:
	s_wait_loadcnt 0x0
	v_mov_b32_e32 v4, v10
	s_wait_dscnt 0x0
	s_barrier_signal -1
	s_barrier_wait -1
	s_and_saveexec_b32 s0, s3
; %bb.33:
	v_add_nc_u32_e32 v4, -4, v11
	ds_load_b32 v4, v4
; %bb.34:
	s_or_b32 exec_lo, exec_lo, s0
	v_cmp_ne_u32_e32 vcc_lo, v23, v22
	s_wait_dscnt 0x0
	v_cmp_ne_u32_e64 s0, v4, v24
	v_cndmask_b32_e64 v5, 0, 1, vcc_lo
	v_cmp_ne_u32_e32 vcc_lo, v20, v13
	s_delay_alu instid0(VALU_DEP_2) | instskip(SKIP_2) | instid1(VALU_DEP_2)
	v_lshlrev_b16 v5, 8, v5
	v_cndmask_b32_e64 v7, 0, 1, vcc_lo
	v_cmp_ne_u32_e32 vcc_lo, v25, v24
	v_lshlrev_b16 v7, 8, v7
	v_cndmask_b32_e64 v8, 0, 1, vcc_lo
	v_cmp_ne_u32_e32 vcc_lo, v18, v21
	s_delay_alu instid0(VALU_DEP_3) | instskip(NEXT) | instid1(VALU_DEP_3)
	v_dual_lshrrev_b32 v5, 8, v5 :: v_dual_lshrrev_b32 v26, 8, v7
	v_lshlrev_b16 v8, 8, v8
	v_cndmask_b32_e64 v9, 0, 1, vcc_lo
	v_cmp_ne_u32_e32 vcc_lo, v16, v17
	s_delay_alu instid0(VALU_DEP_4) | instskip(SKIP_1) | instid1(VALU_DEP_4)
	v_lshlrev_b16 v5, 8, v5
	v_lshlrev_b16 v26, 8, v26
	;; [unrolled: 1-line block ×3, first 2 shown]
	v_cndmask_b32_e64 v7, 0, 1, vcc_lo
	v_cmp_ne_u32_e32 vcc_lo, v25, v22
	s_delay_alu instid0(VALU_DEP_2) | instskip(SKIP_2) | instid1(VALU_DEP_2)
	v_lshlrev_b16 v30, 8, v7
	v_cndmask_b32_e64 v27, 0, 1, vcc_lo
	v_cmp_ne_u32_e32 vcc_lo, v23, v13
	v_dual_lshrrev_b32 v8, 8, v8 :: v_dual_bitop2_b32 v5, v27, v5 bitop3:0x54
	v_cndmask_b32_e64 v28, 0, 1, vcc_lo
	v_cmp_ne_u32_e32 vcc_lo, v20, v21
	s_delay_alu instid0(VALU_DEP_3) | instskip(NEXT) | instid1(VALU_DEP_3)
	v_lshlrev_b16 v8, 8, v8
	v_dual_lshlrev_b32 v5, 16, v5 :: v_dual_bitop2_b32 v26, v28, v26 bitop3:0x54
	v_cndmask_b32_e64 v29, 0, 1, vcc_lo
	v_cmp_ne_u32_e32 vcc_lo, v16, v19
	s_delay_alu instid0(VALU_DEP_4) | instskip(NEXT) | instid1(VALU_DEP_4)
	v_and_b32_e32 v28, 0xffff, v8
	v_and_b32_e32 v26, 0xffff, v26
	s_delay_alu instid0(VALU_DEP_4) | instskip(SKIP_3) | instid1(VALU_DEP_3)
	v_or_b32_e32 v9, v29, v9
	v_cndmask_b32_e64 v27, 0, 1, vcc_lo
	v_cmp_ne_u32_e32 vcc_lo, v18, v19
	v_or_b32_e32 v4, v28, v5
	v_dual_lshlrev_b32 v29, 16, v9 :: v_dual_bitop2_b32 v9, v27, v30 bitop3:0x54
	v_cndmask_b32_e64 v8, 0, 1, vcc_lo
	s_delay_alu instid0(VALU_DEP_2)
	v_or_b32_e32 v5, v26, v29
	s_branch .LBB434_41
.LBB434_35:
                                        ; implicit-def: $sgpr0
                                        ; implicit-def: $vgpr7
                                        ; implicit-def: $vgpr9
                                        ; implicit-def: $vgpr8
                                        ; implicit-def: $vgpr5
	s_branch .LBB434_42
.LBB434_36:
                                        ; implicit-def: $vgpr26
                                        ; implicit-def: $vgpr42
                                        ; implicit-def: $vgpr40
                                        ; implicit-def: $vgpr28
                                        ; implicit-def: $vgpr41
                                        ; implicit-def: $vgpr39
                                        ; implicit-def: $vgpr38
                                        ; implicit-def: $vgpr33
                                        ; implicit-def: $vgpr29
                                        ; implicit-def: $vgpr1
	s_branch .LBB434_50
.LBB434_37:
                                        ; implicit-def: $sgpr0
                                        ; implicit-def: $vgpr7
                                        ; implicit-def: $vgpr9
                                        ; implicit-def: $vgpr8
                                        ; implicit-def: $vgpr5
	s_cbranch_execz .LBB434_41
; %bb.38:
	s_wait_loadcnt_dscnt 0x0
	s_barrier_signal -1
	s_barrier_wait -1
	s_and_saveexec_b32 s0, s3
; %bb.39:
	v_add_nc_u32_e32 v4, -4, v11
	ds_load_b32 v10, v4
; %bb.40:
	s_or_b32 exec_lo, exec_lo, s0
	v_dual_add_nc_u32 v4, 10, v6 :: v_dual_add_nc_u32 v5, 9, v6
	v_add_nc_u32_e32 v7, 8, v6
	v_cmp_ne_u32_e64 s11, v20, v13
	v_cmp_ne_u32_e64 s17, v23, v22
	s_delay_alu instid0(VALU_DEP_4)
	v_cmp_gt_u32_e64 s0, s29, v4
	v_add_nc_u32_e32 v4, 7, v6
	v_cmp_gt_u32_e64 s1, s29, v5
	v_add_nc_u32_e32 v5, 5, v6
	;; [unrolled: 2-line block ×6, first 2 shown]
	v_cmp_gt_u32_e64 s13, s29, v4
	s_and_b32 s9, s9, s11
	v_cmp_gt_u32_e64 s14, s29, v5
	v_cmp_ne_u32_e64 s15, v25, v24
	v_add_nc_u32_e32 v4, 2, v6
	s_and_b32 s13, s13, s17
	v_cmp_gt_u32_e64 s16, s29, v7
	v_cndmask_b32_e64 v5, 0, 1, s13
	v_cndmask_b32_e64 v7, 0, 1, s9
	v_cmp_ne_u32_e32 vcc_lo, v16, v17
	v_cmp_ne_u32_e64 s8, v18, v21
	s_and_b32 s14, s14, s15
	v_cmp_gt_u32_e64 s19, s29, v4
	v_cmp_ne_u32_e64 s13, v25, v22
	v_lshlrev_b16 v5, 8, v5
	v_lshlrev_b16 v7, 8, v7
	v_cndmask_b32_e64 v4, 0, 1, s14
	v_cmp_ne_u32_e64 s18, v23, v13
	s_and_b32 s0, s0, vcc_lo
	v_cmp_ne_u32_e64 s12, v20, v21
	s_and_b32 s6, s6, s8
	v_dual_lshrrev_b32 v5, 8, v5 :: v_dual_lshrrev_b32 v11, 8, v7
	v_cndmask_b32_e64 v7, 0, 1, s0
	s_and_b32 s0, s19, s13
	v_lshlrev_b16 v4, 8, v4
	v_cndmask_b32_e64 v9, 0, 1, s6
	v_cndmask_b32_e64 v26, 0, 1, s0
	s_and_b32 s0, s16, s18
	v_lshlrev_b16 v5, 8, v5
	v_cndmask_b32_e64 v27, 0, 1, s0
	s_and_b32 s0, s10, s12
	v_lshlrev_b16 v9, 8, v9
	s_delay_alu instid0(VALU_DEP_3) | instskip(SKIP_3) | instid1(VALU_DEP_4)
	v_dual_lshrrev_b32 v4, 8, v4 :: v_dual_bitop2_b32 v5, v26, v5 bitop3:0x54
	v_lshlrev_b16 v11, 8, v11
	v_cndmask_b32_e64 v28, 0, 1, s0
	v_cmp_ne_u32_e64 s4, v16, v19
	v_lshlrev_b16 v4, 8, v4
	v_cmp_ne_u32_e64 s7, v18, v19
	v_dual_lshlrev_b32 v5, 16, v5 :: v_dual_bitop2_b32 v11, v27, v11 bitop3:0x54
	v_or_b32_e32 v9, v28, v9
	s_and_b32 s0, s1, s4
	v_lshlrev_b16 v29, 8, v7
	v_cndmask_b32_e64 v26, 0, 1, s0
	v_and_b32_e32 v4, 0xffff, v4
	v_and_b32_e32 v11, 0xffff, v11
	v_lshlrev_b32_e32 v27, 16, v9
	s_and_b32 s5, s5, s7
	v_cmp_gt_u32_e32 vcc_lo, s29, v6
	s_wait_dscnt 0x0
	v_cmp_ne_u32_e64 s0, v10, v24
	v_cndmask_b32_e64 v8, 0, 1, s5
	v_or_b32_e32 v9, v26, v29
	v_or_b32_e32 v4, v4, v5
	;; [unrolled: 1-line block ×3, first 2 shown]
	s_and_b32 s0, vcc_lo, s0
.LBB434_41:
	s_mov_b32 s18, -1
	s_cbranch_execnz .LBB434_36
.LBB434_42:
	s_wait_loadcnt 0x0
	v_mad_i32_i24 v10, 0xffffffd8, v0, v1
	v_cmp_ne_u32_e64 s0, v16, v17
	v_cmp_ne_u32_e64 s1, v18, v19
	;; [unrolled: 1-line block ×4, first 2 shown]
	s_and_b32 vcc_lo, exec_lo, s23
	ds_store_b32 v10, v17
	s_cbranch_vccz .LBB434_46
; %bb.43:
	v_cmp_ne_u32_e32 vcc_lo, v25, v22
	v_cndmask_b32_e64 v27, 0, 1, s5
	v_cndmask_b32_e64 v39, 0, 1, s4
	;; [unrolled: 1-line block ×4, first 2 shown]
	v_cndmask_b32_e64 v40, 0, 1, vcc_lo
	v_cmp_ne_u32_e32 vcc_lo, v25, v24
	v_lshlrev_b16 v29, 8, v27
	v_lshlrev_b16 v31, 8, v39
	;; [unrolled: 1-line block ×4, first 2 shown]
	v_cndmask_b32_e64 v11, 0, 1, vcc_lo
	v_cmp_ne_u32_e32 vcc_lo, v23, v22
	v_lshlrev_b16 v36, 8, v1
	v_mov_b32_e32 v26, 1
	s_wait_dscnt 0x0
	s_barrier_signal -1
	v_cndmask_b32_e64 v30, 0, 1, vcc_lo
	v_cmp_ne_u32_e32 vcc_lo, v20, v13
	s_barrier_wait -1
                                        ; implicit-def: $sgpr0
                                        ; implicit-def: $vgpr7
                                        ; implicit-def: $vgpr9
                                        ; implicit-def: $vgpr8
                                        ; implicit-def: $vgpr5
	v_cndmask_b32_e64 v32, 0, 1, vcc_lo
	v_cmp_ne_u32_e32 vcc_lo, v18, v21
	v_cndmask_b32_e64 v35, 0, 1, vcc_lo
	v_cmp_ne_u32_e32 vcc_lo, v16, v19
	v_cndmask_b32_e64 v37, 0, 1, vcc_lo
	s_and_saveexec_b32 s1, s3
	s_delay_alu instid0(SALU_CYCLE_1)
	s_xor_b32 s1, exec_lo, s1
	s_cbranch_execz .LBB434_45
; %bb.44:
	s_delay_alu instid0(VALU_DEP_1) | instskip(SKIP_3) | instid1(VALU_DEP_4)
	v_lshlrev_b16 v5, 8, v37
	v_lshlrev_b16 v4, 8, v32
	;; [unrolled: 1-line block ×4, first 2 shown]
	v_dual_add_nc_u32 v9, -4, v10 :: v_dual_lshrrev_b32 v5, 8, v5
	s_delay_alu instid0(VALU_DEP_3)
	v_dual_lshrrev_b32 v4, 8, v4 :: v_dual_lshrrev_b32 v7, 8, v7
	v_lshlrev_b16 v38, 8, v35
	ds_load_b32 v9, v9
	v_lshlrev_b16 v5, 8, v5
	v_lshrrev_b32_e32 v8, 8, v8
	v_lshlrev_b16 v7, 8, v7
	v_lshlrev_b16 v4, 8, v4
	s_or_b32 s18, s18, exec_lo
	v_or_b32_e32 v5, v33, v5
	v_lshlrev_b16 v8, 8, v8
	s_delay_alu instid0(VALU_DEP_2) | instskip(NEXT) | instid1(VALU_DEP_2)
	v_and_b32_e32 v5, 0xffff, v5
	v_or_b32_e32 v8, 1, v8
	s_delay_alu instid0(VALU_DEP_1) | instskip(NEXT) | instid1(VALU_DEP_3)
	v_and_b32_e32 v41, 0xffff, v8
	v_lshl_or_b32 v8, v1, 16, v5
	v_or_b32_e32 v7, v40, v7
	s_wait_dscnt 0x0
	v_cmp_ne_u32_e64 s0, v9, v24
	s_delay_alu instid0(VALU_DEP_3) | instskip(NEXT) | instid1(VALU_DEP_3)
	v_dual_lshrrev_b32 v9, 8, v8 :: v_dual_bitop2_b32 v38, v39, v38 bitop3:0x54
	v_dual_lshlrev_b32 v7, 16, v7 :: v_dual_bitop2_b32 v4, v27, v4 bitop3:0x54
	s_delay_alu instid0(VALU_DEP_2) | instskip(NEXT) | instid1(VALU_DEP_2)
	v_lshlrev_b32_e32 v38, 16, v38
	v_and_b32_e32 v4, 0xffff, v4
	s_delay_alu instid0(VALU_DEP_1) | instskip(NEXT) | instid1(VALU_DEP_4)
	v_or_b32_e32 v5, v4, v38
	v_dual_lshrrev_b32 v7, 16, v8 :: v_dual_bitop2_b32 v4, v41, v7 bitop3:0x54
.LBB434_45:
	s_or_b32 exec_lo, exec_lo, s1
	v_or_b32_e32 v42, v11, v28
	v_or_b32_e32 v28, v30, v29
	;; [unrolled: 1-line block ×5, first 2 shown]
	s_branch .LBB434_50
.LBB434_46:
                                        ; implicit-def: $sgpr0
                                        ; implicit-def: $vgpr7
                                        ; implicit-def: $vgpr9
                                        ; implicit-def: $vgpr8
                                        ; implicit-def: $vgpr5
                                        ; implicit-def: $vgpr26
                                        ; implicit-def: $vgpr42
                                        ; implicit-def: $vgpr40
                                        ; implicit-def: $vgpr28
                                        ; implicit-def: $vgpr41
                                        ; implicit-def: $vgpr39
                                        ; implicit-def: $vgpr38
                                        ; implicit-def: $vgpr33
                                        ; implicit-def: $vgpr29
                                        ; implicit-def: $vgpr1
	s_cbranch_execz .LBB434_50
; %bb.47:
	v_dual_add_nc_u32 v1, 10, v6 :: v_dual_add_nc_u32 v4, 9, v6
	v_add_nc_u32_e32 v5, 6, v6
	v_cmp_ne_u32_e64 s13, v23, v13
	v_cmp_ne_u32_e64 s11, v18, v19
	s_delay_alu instid0(VALU_DEP_4) | instskip(SKIP_4) | instid1(VALU_DEP_4)
	v_cmp_gt_u32_e64 s0, s29, v1
	v_add_nc_u32_e32 v1, 5, v6
	v_cmp_gt_u32_e64 s1, s29, v4
	v_dual_add_nc_u32 v4, 8, v6 :: v_dual_add_nc_u32 v7, 7, v6
	v_cmp_gt_u32_e64 s5, s29, v5
	v_cmp_gt_u32_e64 s6, s29, v1
	v_dual_add_nc_u32 v1, 4, v6 :: v_dual_add_nc_u32 v5, 3, v6
	s_delay_alu instid0(VALU_DEP_4) | instskip(SKIP_2) | instid1(VALU_DEP_4)
	v_cmp_gt_u32_e64 s7, s29, v4
	v_add_nc_u32_e32 v4, 2, v6
	v_cmp_ne_u32_e64 s9, v20, v21
	v_cmp_gt_u32_e64 s14, s29, v1
	v_cmp_gt_u32_e64 s8, s29, v7
	v_cmp_ne_u32_e64 s12, v21, v18
	v_add_nc_u32_e32 v1, 1, v6
	v_cmp_ne_u32_e64 s15, v25, v3
	s_and_b32 s13, s14, s13
	v_cmp_gt_u32_e64 s17, s29, v4
	v_cndmask_b32_e64 v4, 0, 1, s13
	v_cmp_ne_u32_e64 s13, v22, v12
	v_cmp_gt_u32_e64 s14, s29, v5
	s_and_b32 s7, s7, s11
	s_and_b32 s5, s5, s9
	v_cndmask_b32_e64 v35, 0, 1, s7
	s_and_b32 s15, s17, s15
	s_and_b32 s7, s14, s13
	v_cndmask_b32_e64 v36, 0, 1, s5
	s_and_b32 s5, s8, s12
	v_cndmask_b32_e64 v33, 0, 1, s15
	v_lshlrev_b16 v3, 8, v4
	v_cndmask_b32_e64 v39, 0, 1, s7
	v_lshlrev_b16 v5, 8, v35
	v_cndmask_b32_e64 v37, 0, 1, s5
	v_cmp_ne_u32_e32 vcc_lo, v16, v17
	v_cmp_ne_u32_e64 s16, v24, v2
	v_lshlrev_b16 v2, 8, v33
	v_cmp_ne_u32_e64 s10, v13, v20
	v_or_b32_e32 v38, v37, v5
	v_or_b32_e32 v28, v39, v3
	v_lshlrev_b16 v3, 8, v36
	v_cmp_ne_u32_e64 s4, v19, v16
	v_cmp_gt_u32_e64 s5, s29, v1
	s_and_b32 s0, s0, vcc_lo
	v_and_b32_e32 v5, 0xffff, v2
	v_dual_lshlrev_b32 v27, 16, v38 :: v_dual_lshlrev_b32 v11, 16, v28
	v_and_b32_e32 v7, 0xffff, v3
	v_cndmask_b32_e64 v1, 0, 1, s0
	s_and_b32 s0, s6, s10
	s_and_b32 s5, s5, s16
	v_cndmask_b32_e64 v29, 0, 1, s0
	s_and_b32 s0, s1, s4
	v_cndmask_b32_e64 v12, 0, 1, s5
	v_dual_mov_b32 v26, 1 :: v_dual_bitop2_b32 v30, v5, v11 bitop3:0x54
	v_or_b32_e32 v31, v7, v27
	v_lshlrev_b16 v32, 8, v1
	v_cndmask_b32_e64 v34, 0, 1, s0
	s_wait_dscnt 0x0
	s_barrier_signal -1
	s_barrier_wait -1
                                        ; implicit-def: $sgpr0
                                        ; implicit-def: $vgpr7
                                        ; implicit-def: $vgpr9
                                        ; implicit-def: $vgpr8
                                        ; implicit-def: $vgpr5
	s_and_saveexec_b32 s1, s3
	s_cbranch_execz .LBB434_49
; %bb.48:
	v_lshlrev_b16 v5, 8, v34
	v_lshlrev_b16 v7, 8, v29
	;; [unrolled: 1-line block ×3, first 2 shown]
	v_add_nc_u32_e32 v9, -4, v10
	v_lshlrev_b16 v10, 8, v12
	s_delay_alu instid0(VALU_DEP_4) | instskip(NEXT) | instid1(VALU_DEP_4)
	v_dual_lshrrev_b32 v5, 8, v5 :: v_dual_lshrrev_b32 v7, 8, v7
	v_lshrrev_b32_e32 v8, 8, v8
	ds_load_b32 v9, v9
	v_lshlrev_b16 v37, 8, v37
	v_lshlrev_b16 v5, 8, v5
	v_lshrrev_b32_e32 v10, 8, v10
	v_lshlrev_b16 v7, 8, v7
	v_lshlrev_b16 v8, 8, v8
	v_cmp_gt_u32_e32 vcc_lo, s29, v6
	v_or_b32_e32 v5, v35, v5
	v_lshlrev_b16 v10, 8, v10
	v_or_b32_e32 v4, v4, v7
	v_or_b32_e32 v7, v33, v8
	;; [unrolled: 1-line block ×3, first 2 shown]
	v_and_b32_e32 v5, 0xffff, v5
	v_or_b32_e32 v8, 1, v10
	s_or_b32 s18, s18, exec_lo
	v_lshlrev_b32_e32 v7, 16, v7
	v_lshlrev_b32_e32 v10, 16, v35
	s_delay_alu instid0(VALU_DEP_3) | instskip(SKIP_3) | instid1(VALU_DEP_2)
	v_and_b32_e32 v33, 0xffff, v8
	v_lshl_or_b32 v8, v1, 16, v5
	s_wait_dscnt 0x0
	v_cmp_ne_u32_e64 s0, v9, v24
	v_lshrrev_b32_e32 v9, 8, v8
	v_and_b32_e32 v4, 0xffff, v4
	s_and_b32 s0, vcc_lo, s0
	s_delay_alu instid0(VALU_DEP_1)
	v_or_b32_e32 v5, v4, v10
	v_dual_lshrrev_b32 v7, 16, v8 :: v_dual_bitop2_b32 v4, v33, v7 bitop3:0x54
.LBB434_49:
	s_or_b32 exec_lo, exec_lo, s1
	v_dual_lshrrev_b32 v33, 24, v27 :: v_dual_bitop2_b32 v42, v12, v2 bitop3:0x54
	v_dual_lshrrev_b32 v40, 8, v30 :: v_dual_bitop2_b32 v41, v29, v3 bitop3:0x54
	;; [unrolled: 1-line block ×3, first 2 shown]
	v_lshrrev_b32_e32 v39, 8, v31
.LBB434_50:
	s_wait_xcnt 0x0
	s_and_saveexec_b32 s1, s18
	s_cbranch_execz .LBB434_52
; %bb.51:
	v_lshrrev_b64 v[28:29], 24, v[4:5]
	v_dual_lshrrev_b32 v41, 8, v5 :: v_dual_lshrrev_b32 v39, 16, v5
	v_dual_lshrrev_b32 v38, 24, v5 :: v_dual_lshrrev_b32 v40, 16, v4
	v_dual_mov_b32 v27, v5 :: v_dual_lshrrev_b32 v42, 8, v4
	v_cndmask_b32_e64 v26, 0, 1, s0
	v_dual_mov_b32 v33, v8 :: v_dual_mov_b32 v29, v9
	v_mov_b32_e32 v1, v7
.LBB434_52:
	s_or_b32 exec_lo, exec_lo, s1
	s_delay_alu instid0(SALU_CYCLE_1)
	s_and_not1_b32 vcc_lo, exec_lo, s30
	s_cbranch_vccnz .LBB434_56
; %bb.53:
	v_perm_b32 v2, v26, v42, 0xc0c0004
	v_perm_b32 v3, v40, v28, 0xc0c0004
	v_cmp_gt_u32_e32 vcc_lo, s29, v6
	v_dual_add_nc_u32 v4, 1, v6 :: v_dual_add_nc_u32 v5, 2, v6
	v_perm_b32 v7, v27, v41, 0xc0c0004
	s_delay_alu instid0(VALU_DEP_4) | instskip(SKIP_2) | instid1(VALU_DEP_3)
	v_lshl_or_b32 v2, v3, 16, v2
	v_and_b32_e32 v1, 0xff, v1
	v_perm_b32 v9, v33, v29, 0xc0c0004
	v_cndmask_b32_e32 v3, 0, v2, vcc_lo
	v_cmp_gt_u32_e32 vcc_lo, s29, v4
	v_perm_b32 v4, v39, v38, 0xc0c0004
	s_delay_alu instid0(VALU_DEP_1) | instskip(NEXT) | instid1(VALU_DEP_4)
	v_dual_lshlrev_b32 v1, 16, v1 :: v_dual_lshlrev_b32 v4, 16, v4
	v_and_b32_e32 v3, 0xff, v3
	s_delay_alu instid0(VALU_DEP_2) | instskip(NEXT) | instid1(VALU_DEP_3)
	v_or_b32_e32 v9, v9, v1
	v_or_b32_e32 v8, v7, v4
	v_bitop3_b32 v4, v7, 0xffffff00, v4 bitop3:0xc8
	s_delay_alu instid0(VALU_DEP_4) | instskip(SKIP_2) | instid1(VALU_DEP_3)
	v_cndmask_b32_e32 v3, v3, v2, vcc_lo
	v_cmp_gt_u32_e32 vcc_lo, s29, v5
	v_dual_add_nc_u32 v5, 4, v6 :: v_dual_add_nc_u32 v7, 3, v6
	v_and_b32_e32 v3, 0xffff, v3
	s_delay_alu instid0(VALU_DEP_2) | instskip(SKIP_1) | instid1(VALU_DEP_3)
	v_cmp_gt_u32_e64 s0, s29, v7
	v_lshlrev_b16 v7, 8, v29
	v_cndmask_b32_e32 v3, v3, v2, vcc_lo
	v_cmp_gt_u32_e32 vcc_lo, s29, v5
	v_add_nc_u32_e32 v5, 5, v6
	s_delay_alu instid0(VALU_DEP_3) | instskip(SKIP_1) | instid1(VALU_DEP_1)
	v_and_b32_e32 v3, 0xffffff, v3
	v_cndmask_b32_e32 v4, v4, v8, vcc_lo
	v_and_b32_e32 v4, 0xffff00ff, v4
	s_delay_alu instid0(VALU_DEP_3) | instskip(NEXT) | instid1(VALU_DEP_1)
	v_cndmask_b32_e64 v3, v3, v2, s0
	v_cndmask_b32_e32 v3, v3, v2, vcc_lo
	v_cmp_gt_u32_e32 vcc_lo, s29, v5
	v_and_b32_e32 v5, 0xffff, v7
	v_dual_cndmask_b32 v4, v4, v8 :: v_dual_add_nc_u32 v7, 8, v6
	s_delay_alu instid0(VALU_DEP_2) | instskip(SKIP_1) | instid1(VALU_DEP_3)
	v_dual_add_nc_u32 v5, 6, v6 :: v_dual_bitop2_b32 v1, v5, v1 bitop3:0x54
	v_cndmask_b32_e32 v3, v3, v2, vcc_lo
	v_cmp_gt_u32_e32 vcc_lo, s29, v7
	s_delay_alu instid0(VALU_DEP_4) | instskip(SKIP_4) | instid1(VALU_DEP_3)
	v_and_b32_e32 v4, 0xff00ffff, v4
	v_add_nc_u32_e32 v7, 9, v6
	v_cmp_gt_u32_e64 s0, s29, v5
	s_wait_loadcnt 0x0
	v_dual_cndmask_b32 v1, v1, v9 :: v_dual_add_nc_u32 v10, 7, v6
	v_cmp_gt_u32_e64 s1, s29, v7
	s_delay_alu instid0(VALU_DEP_3) | instskip(NEXT) | instid1(VALU_DEP_3)
	v_cndmask_b32_e64 v4, v4, v8, s0
	v_cmp_gt_u32_e64 s3, s29, v10
	s_delay_alu instid0(VALU_DEP_4) | instskip(NEXT) | instid1(VALU_DEP_3)
	v_and_b32_e32 v1, 0xffff00ff, v1
	v_and_b32_e32 v4, 0xffffff, v4
	s_delay_alu instid0(VALU_DEP_2) | instskip(SKIP_1) | instid1(SALU_CYCLE_1)
	v_cndmask_b32_e64 v33, v1, v9, s1
	s_or_b32 s1, s1, vcc_lo
	s_or_b32 vcc_lo, s1, s3
	s_delay_alu instid0(VALU_DEP_2) | instskip(SKIP_2) | instid1(VALU_DEP_2)
	v_cndmask_b32_e32 v27, v4, v8, vcc_lo
	s_or_b32 vcc_lo, vcc_lo, s0
	v_dual_cndmask_b32 v26, v3, v2 :: v_dual_lshrrev_b32 v1, 16, v33
	v_dual_add_nc_u32 v2, 10, v6 :: v_dual_lshrrev_b32 v39, 16, v27
	v_dual_lshrrev_b32 v38, 24, v27 :: v_dual_lshrrev_b32 v41, 8, v27
	s_delay_alu instid0(VALU_DEP_3)
	v_lshrrev_b64 v[28:29], 24, v[26:27]
	v_dual_lshrrev_b32 v40, 16, v26 :: v_dual_lshrrev_b32 v42, 8, v26
	v_lshrrev_b32_e32 v29, 8, v33
	s_mov_b32 s0, exec_lo
	v_cmpx_le_u32_e64 s29, v2
; %bb.54:
	v_mov_b32_e32 v1, 0
; %bb.55:
	s_or_b32 exec_lo, exec_lo, s0
.LBB434_56:
	v_and_b32_e32 v34, 0xff, v26
	v_and_b32_e32 v35, 0xff, v42
	;; [unrolled: 1-line block ×7, first 2 shown]
	v_add3_u32 v2, v35, v34, v36
	v_and_b32_e32 v46, 0xff, v38
	v_mbcnt_lo_u32_b32 v49, -1, 0
	v_and_b32_e32 v47, 0xff, v33
	v_and_b32_e32 v48, 0xff, v29
	v_add3_u32 v2, v2, v37, v43
	v_and_b32_e32 v4, 0xff, v1
	v_dual_lshrrev_b32 v50, 5, v0 :: v_dual_bitop2_b32 v3, 15, v49 bitop3:0x40
	v_or_b32_e32 v5, 31, v0
	s_delay_alu instid0(VALU_DEP_4) | instskip(SKIP_1) | instid1(VALU_DEP_4)
	v_add3_u32 v2, v2, v44, v45
	v_and_b32_e32 v6, 16, v49
	v_cmp_eq_u32_e64 s4, 0, v3
	v_cmp_lt_u32_e64 s3, 1, v3
	v_cmp_lt_u32_e64 s1, 3, v3
	v_add3_u32 v2, v2, v46, v47
	v_cmp_lt_u32_e64 s0, 7, v3
	v_cmp_eq_u32_e64 s6, 0, v6
	v_cmp_eq_u32_e64 s5, v0, v5
	s_and_b32 vcc_lo, exec_lo, s31
	v_add3_u32 v51, v2, v48, v4
	s_mov_b32 s7, -1
	s_wait_loadcnt_dscnt 0x0
	s_barrier_signal -1
	s_barrier_wait -1
	s_cbranch_vccz .LBB434_78
; %bb.57:
	v_mov_b32_dpp v2, v51 row_shr:1 row_mask:0xf bank_mask:0xf
	s_delay_alu instid0(VALU_DEP_1) | instskip(NEXT) | instid1(VALU_DEP_1)
	v_cndmask_b32_e64 v2, v2, 0, s4
	v_add_nc_u32_e32 v2, v2, v51
	s_delay_alu instid0(VALU_DEP_1) | instskip(NEXT) | instid1(VALU_DEP_1)
	v_mov_b32_dpp v3, v2 row_shr:2 row_mask:0xf bank_mask:0xf
	v_cndmask_b32_e64 v3, 0, v3, s3
	s_delay_alu instid0(VALU_DEP_1) | instskip(NEXT) | instid1(VALU_DEP_1)
	v_add_nc_u32_e32 v2, v2, v3
	v_mov_b32_dpp v3, v2 row_shr:4 row_mask:0xf bank_mask:0xf
	s_delay_alu instid0(VALU_DEP_1) | instskip(NEXT) | instid1(VALU_DEP_1)
	v_cndmask_b32_e64 v3, 0, v3, s1
	v_add_nc_u32_e32 v2, v2, v3
	s_delay_alu instid0(VALU_DEP_1) | instskip(NEXT) | instid1(VALU_DEP_1)
	v_mov_b32_dpp v3, v2 row_shr:8 row_mask:0xf bank_mask:0xf
	v_cndmask_b32_e64 v3, 0, v3, s0
	s_delay_alu instid0(VALU_DEP_1) | instskip(SKIP_3) | instid1(VALU_DEP_1)
	v_add_nc_u32_e32 v2, v2, v3
	ds_swizzle_b32 v3, v2 offset:swizzle(BROADCAST,32,15)
	s_wait_dscnt 0x0
	v_cndmask_b32_e64 v3, v3, 0, s6
	v_add_nc_u32_e32 v2, v2, v3
	s_and_saveexec_b32 s7, s5
; %bb.58:
	v_lshlrev_b32_e32 v3, 2, v50
	ds_store_b32 v3, v2
; %bb.59:
	s_or_b32 exec_lo, exec_lo, s7
	s_delay_alu instid0(SALU_CYCLE_1)
	s_mov_b32 s7, exec_lo
	s_wait_dscnt 0x0
	s_barrier_signal -1
	s_barrier_wait -1
	v_cmpx_gt_u32_e32 16, v0
	s_cbranch_execz .LBB434_61
; %bb.60:
	v_lshlrev_b32_e32 v3, 2, v0
	ds_load_b32 v4, v3
	s_wait_dscnt 0x0
	v_mov_b32_dpp v5, v4 row_shr:1 row_mask:0xf bank_mask:0xf
	s_delay_alu instid0(VALU_DEP_1) | instskip(NEXT) | instid1(VALU_DEP_1)
	v_cndmask_b32_e64 v5, v5, 0, s4
	v_add_nc_u32_e32 v4, v5, v4
	s_delay_alu instid0(VALU_DEP_1) | instskip(NEXT) | instid1(VALU_DEP_1)
	v_mov_b32_dpp v5, v4 row_shr:2 row_mask:0xf bank_mask:0xf
	v_cndmask_b32_e64 v5, 0, v5, s3
	s_delay_alu instid0(VALU_DEP_1) | instskip(NEXT) | instid1(VALU_DEP_1)
	v_add_nc_u32_e32 v4, v4, v5
	v_mov_b32_dpp v5, v4 row_shr:4 row_mask:0xf bank_mask:0xf
	s_delay_alu instid0(VALU_DEP_1) | instskip(NEXT) | instid1(VALU_DEP_1)
	v_cndmask_b32_e64 v5, 0, v5, s1
	v_add_nc_u32_e32 v4, v4, v5
	s_delay_alu instid0(VALU_DEP_1) | instskip(NEXT) | instid1(VALU_DEP_1)
	v_mov_b32_dpp v5, v4 row_shr:8 row_mask:0xf bank_mask:0xf
	v_cndmask_b32_e64 v5, 0, v5, s0
	s_delay_alu instid0(VALU_DEP_1)
	v_add_nc_u32_e32 v4, v4, v5
	ds_store_b32 v3, v4
.LBB434_61:
	s_or_b32 exec_lo, exec_lo, s7
	s_delay_alu instid0(SALU_CYCLE_1)
	s_mov_b32 s8, exec_lo
	v_cmp_gt_u32_e32 vcc_lo, 32, v0
	s_wait_dscnt 0x0
	s_barrier_signal -1
	s_barrier_wait -1
                                        ; implicit-def: $vgpr10
	v_cmpx_lt_u32_e32 31, v0
	s_cbranch_execz .LBB434_63
; %bb.62:
	v_lshl_add_u32 v3, v50, 2, -4
	ds_load_b32 v10, v3
	s_wait_dscnt 0x0
	v_add_nc_u32_e32 v2, v10, v2
.LBB434_63:
	s_or_b32 exec_lo, exec_lo, s8
	v_sub_co_u32 v3, s7, v49, 1
	s_delay_alu instid0(VALU_DEP_1) | instskip(NEXT) | instid1(VALU_DEP_1)
	v_cmp_gt_i32_e64 s8, 0, v3
	v_cndmask_b32_e64 v3, v3, v49, s8
	s_delay_alu instid0(VALU_DEP_1)
	v_lshlrev_b32_e32 v3, 2, v3
	ds_bpermute_b32 v11, v3, v2
	s_and_saveexec_b32 s8, vcc_lo
	s_cbranch_execz .LBB434_83
; %bb.64:
	v_mov_b32_e32 v9, 0
	ds_load_b32 v2, v9 offset:60
	s_and_saveexec_b32 s9, s7
	s_cbranch_execz .LBB434_66
; %bb.65:
	s_add_co_i32 s10, s28, 32
	s_delay_alu instid0(SALU_CYCLE_1)
	v_dual_mov_b32 v3, 1 :: v_dual_mov_b32 v4, s10
	s_wait_dscnt 0x0
	global_store_b64 v4, v[2:3], s[26:27] scale_offset scope:SCOPE_DEV
.LBB434_66:
	s_wait_xcnt 0x0
	s_or_b32 exec_lo, exec_lo, s9
	v_xad_u32 v4, v49, -1, s28
	s_mov_b32 s10, 0
	s_mov_b32 s9, exec_lo
	s_delay_alu instid0(VALU_DEP_1) | instskip(SKIP_4) | instid1(VALU_DEP_1)
	v_add_nc_u32_e32 v8, 32, v4
	global_load_b64 v[6:7], v8, s[26:27] scale_offset scope:SCOPE_DEV
	s_wait_loadcnt 0x0
	v_and_b32_e32 v3, 0xff, v7
	s_wait_xcnt 0x0
	v_cmpx_eq_u16_e32 0, v3
	s_cbranch_execz .LBB434_70
; %bb.67:
	v_lshl_add_u64 v[8:9], v[8:9], 3, s[26:27]
.LBB434_68:                             ; =>This Inner Loop Header: Depth=1
	global_load_b64 v[6:7], v[8:9], off scope:SCOPE_DEV
	s_wait_loadcnt 0x0
	v_and_b32_e32 v3, 0xff, v7
	s_delay_alu instid0(VALU_DEP_1)
	v_cmp_ne_u16_e32 vcc_lo, 0, v3
	s_or_b32 s10, vcc_lo, s10
	s_wait_xcnt 0x0
	s_and_not1_b32 exec_lo, exec_lo, s10
	s_cbranch_execnz .LBB434_68
; %bb.69:
	s_or_b32 exec_lo, exec_lo, s10
.LBB434_70:
	s_delay_alu instid0(SALU_CYCLE_1)
	s_or_b32 exec_lo, exec_lo, s9
	v_cmp_ne_u32_e32 vcc_lo, 31, v49
	v_lshlrev_b32_e64 v30, v49, -1
	v_lshl_or_b32 v56, v49, 2, 64
	v_dual_add_nc_u32 v32, 2, v49 :: v_dual_add_nc_u32 v53, 4, v49
	v_add_co_ci_u32_e64 v3, null, 0, v49, vcc_lo
	v_dual_add_nc_u32 v55, 8, v49 :: v_dual_add_nc_u32 v57, 16, v49
	s_delay_alu instid0(VALU_DEP_2)
	v_lshlrev_b32_e32 v12, 2, v3
	v_and_b32_e32 v3, 0xff, v7
	ds_bpermute_b32 v5, v12, v6
	v_cmp_eq_u16_e32 vcc_lo, 2, v3
	v_and_or_b32 v3, vcc_lo, v30, 0x80000000
	v_cmp_gt_u32_e32 vcc_lo, 30, v49
	s_delay_alu instid0(VALU_DEP_2) | instskip(SKIP_1) | instid1(VALU_DEP_2)
	v_ctz_i32_b32_e32 v3, v3
	v_cndmask_b32_e64 v8, 0, 2, vcc_lo
	v_cmp_lt_u32_e32 vcc_lo, v49, v3
	s_delay_alu instid0(VALU_DEP_2) | instskip(SKIP_3) | instid1(VALU_DEP_2)
	v_add_lshl_u32 v31, v8, v49, 2
	s_wait_dscnt 0x0
	v_cndmask_b32_e32 v5, 0, v5, vcc_lo
	v_cmp_gt_u32_e32 vcc_lo, 28, v49
	v_add_nc_u32_e32 v5, v5, v6
	v_cndmask_b32_e64 v8, 0, 4, vcc_lo
	v_cmp_le_u32_e32 vcc_lo, v32, v3
	ds_bpermute_b32 v6, v31, v5
	v_add_lshl_u32 v52, v8, v49, 2
	s_wait_dscnt 0x0
	v_cndmask_b32_e32 v6, 0, v6, vcc_lo
	v_cmp_gt_u32_e32 vcc_lo, 24, v49
	v_cndmask_b32_e64 v8, 0, 8, vcc_lo
	v_cmp_le_u32_e32 vcc_lo, v53, v3
	s_delay_alu instid0(VALU_DEP_4) | instskip(NEXT) | instid1(VALU_DEP_3)
	v_add_nc_u32_e32 v5, v5, v6
	v_add_lshl_u32 v54, v8, v49, 2
	ds_bpermute_b32 v6, v52, v5
	s_wait_dscnt 0x0
	v_cndmask_b32_e32 v6, 0, v6, vcc_lo
	v_cmp_le_u32_e32 vcc_lo, v55, v3
	s_delay_alu instid0(VALU_DEP_2) | instskip(SKIP_4) | instid1(VALU_DEP_2)
	v_add_nc_u32_e32 v5, v5, v6
	ds_bpermute_b32 v6, v54, v5
	s_wait_dscnt 0x0
	v_cndmask_b32_e32 v6, 0, v6, vcc_lo
	v_cmp_le_u32_e32 vcc_lo, v57, v3
	v_add_nc_u32_e32 v5, v5, v6
	ds_bpermute_b32 v6, v56, v5
	s_wait_dscnt 0x0
	v_cndmask_b32_e32 v3, 0, v6, vcc_lo
	s_delay_alu instid0(VALU_DEP_1)
	v_dual_mov_b32 v5, 0 :: v_dual_add_nc_u32 v6, v5, v3
	s_branch .LBB434_73
.LBB434_71:                             ;   in Loop: Header=BB434_73 Depth=1
	s_or_b32 exec_lo, exec_lo, s9
	v_and_b32_e32 v8, 0xff, v7
	ds_bpermute_b32 v9, v12, v6
	v_subrev_nc_u32_e32 v4, 32, v4
	s_mov_b32 s9, 0
	v_cmp_eq_u16_e32 vcc_lo, 2, v8
	v_and_or_b32 v8, vcc_lo, v30, 0x80000000
	s_delay_alu instid0(VALU_DEP_1) | instskip(NEXT) | instid1(VALU_DEP_1)
	v_ctz_i32_b32_e32 v8, v8
	v_cmp_lt_u32_e32 vcc_lo, v49, v8
	s_wait_dscnt 0x0
	v_cndmask_b32_e32 v9, 0, v9, vcc_lo
	v_cmp_le_u32_e32 vcc_lo, v32, v8
	s_delay_alu instid0(VALU_DEP_2) | instskip(SKIP_4) | instid1(VALU_DEP_2)
	v_add_nc_u32_e32 v6, v9, v6
	ds_bpermute_b32 v9, v31, v6
	s_wait_dscnt 0x0
	v_cndmask_b32_e32 v9, 0, v9, vcc_lo
	v_cmp_le_u32_e32 vcc_lo, v53, v8
	v_add_nc_u32_e32 v6, v6, v9
	ds_bpermute_b32 v9, v52, v6
	s_wait_dscnt 0x0
	v_cndmask_b32_e32 v9, 0, v9, vcc_lo
	v_cmp_le_u32_e32 vcc_lo, v55, v8
	s_delay_alu instid0(VALU_DEP_2) | instskip(SKIP_4) | instid1(VALU_DEP_2)
	v_add_nc_u32_e32 v6, v6, v9
	ds_bpermute_b32 v9, v54, v6
	s_wait_dscnt 0x0
	v_cndmask_b32_e32 v9, 0, v9, vcc_lo
	v_cmp_le_u32_e32 vcc_lo, v57, v8
	v_add_nc_u32_e32 v6, v6, v9
	ds_bpermute_b32 v9, v56, v6
	s_wait_dscnt 0x0
	v_cndmask_b32_e32 v8, 0, v9, vcc_lo
	s_delay_alu instid0(VALU_DEP_1)
	v_add3_u32 v6, v8, v3, v6
.LBB434_72:                             ;   in Loop: Header=BB434_73 Depth=1
	s_and_b32 vcc_lo, exec_lo, s9
	s_cbranch_vccnz .LBB434_79
.LBB434_73:                             ; =>This Loop Header: Depth=1
                                        ;     Child Loop BB434_76 Depth 2
	v_and_b32_e32 v3, 0xff, v7
	s_mov_b32 s9, -1
                                        ; implicit-def: $vgpr7
	s_delay_alu instid0(VALU_DEP_1)
	v_cmp_ne_u16_e32 vcc_lo, 2, v3
	v_mov_b32_e32 v3, v6
                                        ; implicit-def: $vgpr6
	s_cmp_lg_u32 vcc_lo, exec_lo
	s_cbranch_scc1 .LBB434_72
; %bb.74:                               ;   in Loop: Header=BB434_73 Depth=1
	global_load_b64 v[6:7], v4, s[26:27] scale_offset scope:SCOPE_DEV
	s_mov_b32 s9, exec_lo
	s_wait_loadcnt 0x0
	v_and_b32_e32 v8, 0xff, v7
	s_wait_xcnt 0x0
	s_delay_alu instid0(VALU_DEP_1)
	v_cmpx_eq_u16_e32 0, v8
	s_cbranch_execz .LBB434_71
; %bb.75:                               ;   in Loop: Header=BB434_73 Depth=1
	v_lshl_add_u64 v[8:9], v[4:5], 3, s[26:27]
	s_mov_b32 s10, 0
.LBB434_76:                             ;   Parent Loop BB434_73 Depth=1
                                        ; =>  This Inner Loop Header: Depth=2
	global_load_b64 v[6:7], v[8:9], off scope:SCOPE_DEV
	s_wait_loadcnt 0x0
	v_and_b32_e32 v58, 0xff, v7
	s_delay_alu instid0(VALU_DEP_1)
	v_cmp_ne_u16_e32 vcc_lo, 0, v58
	s_or_b32 s10, vcc_lo, s10
	s_wait_xcnt 0x0
	s_and_not1_b32 exec_lo, exec_lo, s10
	s_cbranch_execnz .LBB434_76
; %bb.77:                               ;   in Loop: Header=BB434_73 Depth=1
	s_or_b32 exec_lo, exec_lo, s10
	s_branch .LBB434_71
.LBB434_78:
                                        ; implicit-def: $vgpr32
                                        ; implicit-def: $vgpr30
                                        ; implicit-def: $vgpr2_vgpr3_vgpr4_vgpr5_vgpr6_vgpr7_vgpr8_vgpr9_vgpr10_vgpr11_vgpr12
	s_and_b32 vcc_lo, exec_lo, s7
	s_cbranch_vccnz .LBB434_84
	s_branch .LBB434_93
.LBB434_79:
	s_and_saveexec_b32 s9, s7
	s_cbranch_execz .LBB434_81
; %bb.80:
	s_add_co_i32 s10, s28, 32
	v_dual_mov_b32 v5, 2 :: v_dual_add_nc_u32 v4, v3, v2
	v_dual_mov_b32 v6, s10 :: v_dual_mov_b32 v7, 0
	global_store_b64 v6, v[4:5], s[26:27] scale_offset scope:SCOPE_DEV
	ds_store_b64 v7, v[2:3] offset:22528
.LBB434_81:
	s_wait_xcnt 0x0
	s_or_b32 exec_lo, exec_lo, s9
	s_delay_alu instid0(SALU_CYCLE_1)
	s_and_b32 exec_lo, exec_lo, s2
; %bb.82:
	v_mov_b32_e32 v2, 0
	ds_store_b32 v2, v3 offset:60
.LBB434_83:
	s_or_b32 exec_lo, exec_lo, s8
	s_wait_dscnt 0x0
	v_dual_mov_b32 v9, 0 :: v_dual_cndmask_b32 v3, v11, v10, s7
	s_wait_storecnt 0x0
	s_barrier_signal -1
	s_barrier_wait -1
	ds_load_b32 v2, v9 offset:60
	v_cndmask_b32_e64 v3, v3, 0, s2
	s_wait_dscnt 0x0
	s_barrier_signal -1
	s_barrier_wait -1
	ds_load_b64 v[30:31], v9 offset:22528
	v_add_nc_u32_e32 v2, v2, v3
	s_wait_dscnt 0x0
	s_delay_alu instid0(VALU_DEP_1) | instskip(NEXT) | instid1(VALU_DEP_1)
	v_dual_mov_b32 v32, v31 :: v_dual_add_nc_u32 v3, v2, v34
	v_add_nc_u32_e32 v4, v3, v35
	s_delay_alu instid0(VALU_DEP_1) | instskip(NEXT) | instid1(VALU_DEP_1)
	v_add_nc_u32_e32 v5, v4, v36
	v_add_nc_u32_e32 v6, v5, v37
	s_delay_alu instid0(VALU_DEP_1) | instskip(NEXT) | instid1(VALU_DEP_1)
	v_add_nc_u32_e32 v7, v6, v43
	;; [unrolled: 3-line block ×4, first 2 shown]
	v_add_nc_u32_e32 v12, v11, v48
	s_branch .LBB434_93
.LBB434_84:
	v_mov_b32_dpp v2, v51 row_shr:1 row_mask:0xf bank_mask:0xf
	s_delay_alu instid0(VALU_DEP_1) | instskip(NEXT) | instid1(VALU_DEP_1)
	v_cndmask_b32_e64 v2, v2, 0, s4
	v_add_nc_u32_e32 v2, v2, v51
	s_delay_alu instid0(VALU_DEP_1) | instskip(NEXT) | instid1(VALU_DEP_1)
	v_mov_b32_dpp v3, v2 row_shr:2 row_mask:0xf bank_mask:0xf
	v_cndmask_b32_e64 v3, 0, v3, s3
	s_delay_alu instid0(VALU_DEP_1) | instskip(NEXT) | instid1(VALU_DEP_1)
	v_add_nc_u32_e32 v2, v2, v3
	v_mov_b32_dpp v3, v2 row_shr:4 row_mask:0xf bank_mask:0xf
	s_delay_alu instid0(VALU_DEP_1) | instskip(NEXT) | instid1(VALU_DEP_1)
	v_cndmask_b32_e64 v3, 0, v3, s1
	v_add_nc_u32_e32 v2, v2, v3
	s_delay_alu instid0(VALU_DEP_1) | instskip(NEXT) | instid1(VALU_DEP_1)
	v_mov_b32_dpp v3, v2 row_shr:8 row_mask:0xf bank_mask:0xf
	v_cndmask_b32_e64 v3, 0, v3, s0
	s_delay_alu instid0(VALU_DEP_1) | instskip(SKIP_3) | instid1(VALU_DEP_1)
	v_add_nc_u32_e32 v2, v2, v3
	ds_swizzle_b32 v3, v2 offset:swizzle(BROADCAST,32,15)
	s_wait_dscnt 0x0
	v_cndmask_b32_e64 v3, v3, 0, s6
	v_add_nc_u32_e32 v2, v2, v3
	s_and_saveexec_b32 s6, s5
; %bb.85:
	v_lshlrev_b32_e32 v3, 2, v50
	ds_store_b32 v3, v2
; %bb.86:
	s_or_b32 exec_lo, exec_lo, s6
	s_delay_alu instid0(SALU_CYCLE_1)
	s_mov_b32 s5, exec_lo
	s_wait_dscnt 0x0
	s_barrier_signal -1
	s_barrier_wait -1
	v_cmpx_gt_u32_e32 16, v0
	s_cbranch_execz .LBB434_88
; %bb.87:
	v_lshlrev_b32_e32 v3, 2, v0
	ds_load_b32 v4, v3
	s_wait_dscnt 0x0
	v_mov_b32_dpp v5, v4 row_shr:1 row_mask:0xf bank_mask:0xf
	s_delay_alu instid0(VALU_DEP_1) | instskip(NEXT) | instid1(VALU_DEP_1)
	v_cndmask_b32_e64 v5, v5, 0, s4
	v_add_nc_u32_e32 v4, v5, v4
	s_delay_alu instid0(VALU_DEP_1) | instskip(NEXT) | instid1(VALU_DEP_1)
	v_mov_b32_dpp v5, v4 row_shr:2 row_mask:0xf bank_mask:0xf
	v_cndmask_b32_e64 v5, 0, v5, s3
	s_delay_alu instid0(VALU_DEP_1) | instskip(NEXT) | instid1(VALU_DEP_1)
	v_add_nc_u32_e32 v4, v4, v5
	v_mov_b32_dpp v5, v4 row_shr:4 row_mask:0xf bank_mask:0xf
	s_delay_alu instid0(VALU_DEP_1) | instskip(NEXT) | instid1(VALU_DEP_1)
	v_cndmask_b32_e64 v5, 0, v5, s1
	v_add_nc_u32_e32 v4, v4, v5
	s_delay_alu instid0(VALU_DEP_1) | instskip(NEXT) | instid1(VALU_DEP_1)
	v_mov_b32_dpp v5, v4 row_shr:8 row_mask:0xf bank_mask:0xf
	v_cndmask_b32_e64 v5, 0, v5, s0
	s_delay_alu instid0(VALU_DEP_1)
	v_add_nc_u32_e32 v4, v4, v5
	ds_store_b32 v3, v4
.LBB434_88:
	s_or_b32 exec_lo, exec_lo, s5
	v_dual_mov_b32 v4, 0 :: v_dual_mov_b32 v3, 0
	s_mov_b32 s0, exec_lo
	s_wait_dscnt 0x0
	s_barrier_signal -1
	s_barrier_wait -1
	v_cmpx_lt_u32_e32 31, v0
; %bb.89:
	v_lshl_add_u32 v3, v50, 2, -4
	ds_load_b32 v3, v3
; %bb.90:
	s_or_b32 exec_lo, exec_lo, s0
	v_sub_co_u32 v5, vcc_lo, v49, 1
	ds_load_b32 v30, v4 offset:60
	s_wait_dscnt 0x1
	v_add_nc_u32_e32 v2, v3, v2
	v_cmp_gt_i32_e64 s0, 0, v5
	s_delay_alu instid0(VALU_DEP_1) | instskip(NEXT) | instid1(VALU_DEP_1)
	v_cndmask_b32_e64 v5, v5, v49, s0
	v_lshlrev_b32_e32 v5, 2, v5
	ds_bpermute_b32 v2, v5, v2
	s_and_saveexec_b32 s0, s2
	s_cbranch_execz .LBB434_92
; %bb.91:
	v_dual_mov_b32 v4, 0 :: v_dual_mov_b32 v31, 2
	s_wait_dscnt 0x1
	global_store_b64 v4, v[30:31], s[26:27] offset:256 scope:SCOPE_DEV
.LBB434_92:
	s_wait_xcnt 0x0
	s_or_b32 exec_lo, exec_lo, s0
	s_wait_dscnt 0x0
	v_cndmask_b32_e32 v2, v2, v3, vcc_lo
	s_wait_storecnt 0x0
	s_barrier_signal -1
	s_barrier_wait -1
	s_delay_alu instid0(VALU_DEP_1) | instskip(NEXT) | instid1(VALU_DEP_1)
	v_cndmask_b32_e64 v2, v2, 0, s2
	v_dual_mov_b32 v32, 0 :: v_dual_add_nc_u32 v3, v2, v34
	s_delay_alu instid0(VALU_DEP_1) | instskip(NEXT) | instid1(VALU_DEP_1)
	v_add_nc_u32_e32 v4, v3, v35
	v_add_nc_u32_e32 v5, v4, v36
	s_delay_alu instid0(VALU_DEP_1) | instskip(NEXT) | instid1(VALU_DEP_1)
	v_add_nc_u32_e32 v6, v5, v37
	v_add_nc_u32_e32 v7, v6, v43
	;; [unrolled: 3-line block ×4, first 2 shown]
	s_delay_alu instid0(VALU_DEP_1)
	v_add_nc_u32_e32 v12, v11, v48
.LBB434_93:
	v_and_b32_e32 v26, 1, v26
	v_cmp_gt_u32_e32 vcc_lo, 0x201, v30
	v_lshlrev_b64_e32 v[34:35], 2, v[14:15]
	s_mov_b32 s1, -1
	s_delay_alu instid0(VALU_DEP_3)
	v_cmp_eq_u32_e64 s0, 1, v26
	s_cbranch_vccnz .LBB434_97
; %bb.94:
	s_and_b32 vcc_lo, exec_lo, s1
	s_cbranch_vccnz .LBB434_120
.LBB434_95:
	s_and_b32 s0, s2, s22
	s_delay_alu instid0(SALU_CYCLE_1)
	s_and_saveexec_b32 s1, s0
	s_cbranch_execnz .LBB434_155
.LBB434_96:
	s_endpgm
.LBB434_97:
	v_add_nc_u32_e32 v31, v32, v30
	v_add_nc_u64_e32 v[36:37], s[24:25], v[34:35]
	s_delay_alu instid0(VALU_DEP_2) | instskip(SKIP_1) | instid1(SALU_CYCLE_1)
	v_cmp_lt_u32_e32 vcc_lo, v2, v31
	s_or_b32 s1, s23, vcc_lo
	s_and_b32 s1, s1, s0
	s_delay_alu instid0(SALU_CYCLE_1)
	s_and_saveexec_b32 s0, s1
	s_cbranch_execz .LBB434_99
; %bb.98:
	s_delay_alu instid0(VALU_DEP_2)
	v_readfirstlane_b32 s4, v36
	v_readfirstlane_b32 s5, v37
	global_store_b32 v2, v24, s[4:5] scale_offset
.LBB434_99:
	s_wait_xcnt 0x0
	s_or_b32 exec_lo, exec_lo, s0
	v_and_b32_e32 v43, 1, v42
	v_cmp_lt_u32_e32 vcc_lo, v3, v31
	s_delay_alu instid0(VALU_DEP_2) | instskip(SKIP_1) | instid1(SALU_CYCLE_1)
	v_cmp_eq_u32_e64 s0, 1, v43
	s_or_b32 s1, s23, vcc_lo
	s_and_b32 s1, s1, s0
	s_delay_alu instid0(SALU_CYCLE_1)
	s_and_saveexec_b32 s0, s1
	s_cbranch_execz .LBB434_101
; %bb.100:
	v_readfirstlane_b32 s4, v36
	v_readfirstlane_b32 s5, v37
	global_store_b32 v3, v25, s[4:5] scale_offset
.LBB434_101:
	s_wait_xcnt 0x0
	s_or_b32 exec_lo, exec_lo, s0
	v_and_b32_e32 v43, 1, v40
	v_cmp_lt_u32_e32 vcc_lo, v4, v31
	s_delay_alu instid0(VALU_DEP_2) | instskip(SKIP_1) | instid1(SALU_CYCLE_1)
	v_cmp_eq_u32_e64 s0, 1, v43
	s_or_b32 s1, s23, vcc_lo
	s_and_b32 s1, s1, s0
	s_delay_alu instid0(SALU_CYCLE_1)
	s_and_saveexec_b32 s0, s1
	s_cbranch_execz .LBB434_103
; %bb.102:
	v_readfirstlane_b32 s4, v36
	v_readfirstlane_b32 s5, v37
	global_store_b32 v4, v22, s[4:5] scale_offset
.LBB434_103:
	;; [unrolled: 16-line block ×10, first 2 shown]
	s_wait_xcnt 0x0
	s_or_b32 exec_lo, exec_lo, s0
	s_branch .LBB434_95
.LBB434_120:
	s_mov_b32 s0, exec_lo
	v_cmpx_eq_u32_e32 1, v26
; %bb.121:
	v_sub_nc_u32_e32 v2, v2, v32
	s_delay_alu instid0(VALU_DEP_1)
	v_lshlrev_b32_e32 v2, 2, v2
	ds_store_b32 v2, v24
; %bb.122:
	s_or_b32 exec_lo, exec_lo, s0
	v_and_b32_e32 v2, 1, v42
	s_mov_b32 s0, exec_lo
	s_delay_alu instid0(VALU_DEP_1)
	v_cmpx_eq_u32_e32 1, v2
; %bb.123:
	v_sub_nc_u32_e32 v2, v3, v32
	s_delay_alu instid0(VALU_DEP_1)
	v_lshlrev_b32_e32 v2, 2, v2
	ds_store_b32 v2, v25
; %bb.124:
	s_or_b32 exec_lo, exec_lo, s0
	v_and_b32_e32 v2, 1, v40
	s_mov_b32 s0, exec_lo
	s_delay_alu instid0(VALU_DEP_1)
	v_cmpx_eq_u32_e32 1, v2
; %bb.125:
	v_sub_nc_u32_e32 v2, v4, v32
	s_delay_alu instid0(VALU_DEP_1)
	v_lshlrev_b32_e32 v2, 2, v2
	ds_store_b32 v2, v22
; %bb.126:
	s_or_b32 exec_lo, exec_lo, s0
	v_and_b32_e32 v2, 1, v28
	s_mov_b32 s0, exec_lo
	s_delay_alu instid0(VALU_DEP_1)
	v_cmpx_eq_u32_e32 1, v2
; %bb.127:
	v_sub_nc_u32_e32 v2, v5, v32
	s_delay_alu instid0(VALU_DEP_1)
	v_lshlrev_b32_e32 v2, 2, v2
	ds_store_b32 v2, v23
; %bb.128:
	s_or_b32 exec_lo, exec_lo, s0
	v_and_b32_e32 v2, 1, v27
	s_mov_b32 s0, exec_lo
	s_delay_alu instid0(VALU_DEP_1)
	v_cmpx_eq_u32_e32 1, v2
; %bb.129:
	v_sub_nc_u32_e32 v2, v6, v32
	s_delay_alu instid0(VALU_DEP_1)
	v_lshlrev_b32_e32 v2, 2, v2
	ds_store_b32 v2, v13
; %bb.130:
	s_or_b32 exec_lo, exec_lo, s0
	v_and_b32_e32 v2, 1, v41
	s_mov_b32 s0, exec_lo
	s_delay_alu instid0(VALU_DEP_1)
	v_cmpx_eq_u32_e32 1, v2
; %bb.131:
	v_sub_nc_u32_e32 v2, v7, v32
	s_delay_alu instid0(VALU_DEP_1)
	v_lshlrev_b32_e32 v2, 2, v2
	ds_store_b32 v2, v20
; %bb.132:
	s_or_b32 exec_lo, exec_lo, s0
	v_and_b32_e32 v2, 1, v39
	s_mov_b32 s0, exec_lo
	s_delay_alu instid0(VALU_DEP_1)
	v_cmpx_eq_u32_e32 1, v2
; %bb.133:
	v_sub_nc_u32_e32 v2, v8, v32
	s_delay_alu instid0(VALU_DEP_1)
	v_lshlrev_b32_e32 v2, 2, v2
	ds_store_b32 v2, v21
; %bb.134:
	s_or_b32 exec_lo, exec_lo, s0
	v_and_b32_e32 v2, 1, v38
	s_mov_b32 s0, exec_lo
	s_delay_alu instid0(VALU_DEP_1)
	v_cmpx_eq_u32_e32 1, v2
; %bb.135:
	v_sub_nc_u32_e32 v2, v9, v32
	s_delay_alu instid0(VALU_DEP_1)
	v_lshlrev_b32_e32 v2, 2, v2
	ds_store_b32 v2, v18
; %bb.136:
	s_or_b32 exec_lo, exec_lo, s0
	v_and_b32_e32 v2, 1, v33
	s_mov_b32 s0, exec_lo
	s_delay_alu instid0(VALU_DEP_1)
	v_cmpx_eq_u32_e32 1, v2
; %bb.137:
	v_sub_nc_u32_e32 v2, v10, v32
	s_delay_alu instid0(VALU_DEP_1)
	v_lshlrev_b32_e32 v2, 2, v2
	ds_store_b32 v2, v19
; %bb.138:
	s_or_b32 exec_lo, exec_lo, s0
	v_and_b32_e32 v2, 1, v29
	s_mov_b32 s0, exec_lo
	s_delay_alu instid0(VALU_DEP_1)
	v_cmpx_eq_u32_e32 1, v2
; %bb.139:
	v_sub_nc_u32_e32 v2, v11, v32
	s_delay_alu instid0(VALU_DEP_1)
	v_lshlrev_b32_e32 v2, 2, v2
	ds_store_b32 v2, v16
; %bb.140:
	s_or_b32 exec_lo, exec_lo, s0
	v_and_b32_e32 v1, 1, v1
	s_mov_b32 s0, exec_lo
	s_delay_alu instid0(VALU_DEP_1)
	v_cmpx_eq_u32_e32 1, v1
; %bb.141:
	v_sub_nc_u32_e32 v1, v12, v32
	s_delay_alu instid0(VALU_DEP_1)
	v_lshlrev_b32_e32 v1, 2, v1
	ds_store_b32 v1, v17
; %bb.142:
	s_or_b32 exec_lo, exec_lo, s0
	v_or_b32_e32 v1, 0x200, v0
	v_mov_b32_e32 v33, 0
	s_mov_b32 s1, -1
	s_mov_b32 s0, exec_lo
	s_wait_storecnt_dscnt 0x0
	v_max_u32_e32 v2, v30, v1
	s_barrier_signal -1
	s_barrier_wait -1
	s_delay_alu instid0(VALU_DEP_1) | instskip(SKIP_1) | instid1(VALU_DEP_2)
	v_xad_u32 v4, v0, -1, v2
	v_lshlrev_b64_e32 v[2:3], 2, v[32:33]
	v_cmpx_lt_u32_e32 0x1ff, v4
	s_cbranch_execz .LBB434_151
; %bb.143:
	v_lshrrev_b32_e32 v10, 9, v4
	v_add_nc_u64_e32 v[4:5], s[24:25], v[34:35]
	s_delay_alu instid0(VALU_DEP_2) | instskip(NEXT) | instid1(VALU_DEP_2)
	v_dual_lshlrev_b32 v11, 2, v0 :: v_dual_add_nc_u32 v6, -1, v10
	v_add_nc_u64_e32 v[4:5], v[4:5], v[2:3]
	s_delay_alu instid0(VALU_DEP_2) | instskip(SKIP_1) | instid1(VALU_DEP_2)
	v_lshrrev_b32_e32 v7, 1, v6
	v_cmp_lt_u32_e32 vcc_lo, 13, v6
	v_add_nc_u32_e32 v12, 1, v7
	v_mov_b64_e32 v[6:7], v[0:1]
	s_and_saveexec_b32 s1, vcc_lo
	s_cbranch_execz .LBB434_147
; %bb.144:
	v_mov_b64_e32 v[6:7], v[0:1]
	v_dual_mov_b32 v9, 0 :: v_dual_bitop2_b32 v13, -8, v12 bitop3:0x40
	v_mov_b32_e32 v16, v11
	s_mov_b32 s3, 0
	s_mov_b32 s4, 0
.LBB434_145:                            ; =>This Inner Loop Header: Depth=1
	s_delay_alu instid0(VALU_DEP_2)
	v_dual_mov_b32 v8, v6 :: v_dual_mov_b32 v21, v9
	ds_load_2addr_stride64_b32 v[18:19], v16 offset1:8
	v_add_nc_u32_e32 v13, -8, v13
	ds_load_2addr_stride64_b32 v[22:23], v16 offset0:16 offset1:24
	v_lshl_add_u64 v[54:55], v[8:9], 2, v[4:5]
	v_mov_b32_e32 v8, v7
	ds_load_2addr_stride64_b32 v[26:27], v16 offset0:32 offset1:40
	ds_load_2addr_stride64_b32 v[36:37], v16 offset0:48 offset1:56
	v_dual_mov_b32 v25, v9 :: v_dual_add_nc_u32 v20, 0x400, v7
	v_lshl_add_u64 v[56:57], v[8:9], 2, v[4:5]
	v_add_nc_u32_e32 v8, 0x400, v6
	ds_load_2addr_stride64_b32 v[40:41], v16 offset0:64 offset1:72
	v_lshl_add_u64 v[20:21], v[20:21], 2, v[4:5]
	ds_load_2addr_stride64_b32 v[44:45], v16 offset0:80 offset1:88
	ds_load_2addr_stride64_b32 v[48:49], v16 offset0:96 offset1:104
	v_lshl_add_u64 v[58:59], v[8:9], 2, v[4:5]
	v_add_nc_u32_e32 v8, 0x800, v6
	ds_load_2addr_stride64_b32 v[52:53], v16 offset0:112 offset1:120
	s_wait_dscnt 0x7
	s_clause 0x1
	global_store_b32 v[54:55], v18, off
	global_store_b32 v[56:57], v19, off
	s_wait_dscnt 0x6
	s_clause 0x1
	global_store_b32 v[58:59], v22, off
	global_store_b32 v[20:21], v23, off
	v_lshl_add_u64 v[60:61], v[8:9], 2, v[4:5]
	v_add_nc_u32_e32 v8, 0xc00, v6
	v_dual_mov_b32 v29, v9 :: v_dual_add_nc_u32 v24, 0x800, v7
	v_dual_mov_b32 v39, v9 :: v_dual_add_nc_u32 v28, 0xc00, v7
	s_wait_xcnt 0x2
	s_delay_alu instid0(VALU_DEP_3)
	v_lshl_add_u64 v[18:19], v[8:9], 2, v[4:5]
	v_add_nc_u32_e32 v8, 0x1000, v6
	v_lshl_add_u64 v[24:25], v[24:25], 2, v[4:5]
	v_dual_mov_b32 v43, v9 :: v_dual_add_nc_u32 v38, 0x1000, v7
	v_lshl_add_u64 v[28:29], v[28:29], 2, v[4:5]
	s_wait_xcnt 0x0
	v_lshl_add_u64 v[20:21], v[8:9], 2, v[4:5]
	v_add_nc_u32_e32 v8, 0x1400, v6
	s_wait_dscnt 0x5
	s_clause 0x1
	global_store_b32 v[60:61], v26, off
	global_store_b32 v[24:25], v27, off
	s_wait_dscnt 0x4
	global_store_b32 v[18:19], v36, off
	v_dual_mov_b32 v47, v9 :: v_dual_add_nc_u32 v42, 0x1400, v7
	s_wait_xcnt 0x0
	v_lshl_add_u64 v[18:19], v[8:9], 2, v[4:5]
	v_add_nc_u32_e32 v8, 0x1800, v6
	v_dual_mov_b32 v51, v9 :: v_dual_add_nc_u32 v46, 0x1800, v7
	v_lshl_add_u64 v[38:39], v[38:39], 2, v[4:5]
	global_store_b32 v[28:29], v37, off
	s_wait_dscnt 0x3
	global_store_b32 v[20:21], v40, off
	s_wait_xcnt 0x0
	v_lshl_add_u64 v[20:21], v[8:9], 2, v[4:5]
	v_add_nc_u32_e32 v8, 0x1c00, v6
	s_add_co_i32 s4, s4, 16
	s_delay_alu instid0(SALU_CYCLE_1)
	v_dual_mov_b32 v33, s4 :: v_dual_add_nc_u32 v50, 0x1c00, v7
	v_cmp_eq_u32_e32 vcc_lo, 0, v13
	v_lshl_add_u64 v[42:43], v[42:43], 2, v[4:5]
	v_add_nc_u32_e32 v16, 0x8000, v16
	v_add_nc_u32_e32 v7, 0x2000, v7
	;; [unrolled: 1-line block ×3, first 2 shown]
	v_lshl_add_u64 v[46:47], v[46:47], 2, v[4:5]
	global_store_b32 v[38:39], v41, off
	s_wait_dscnt 0x2
	s_clause 0x1
	global_store_b32 v[18:19], v44, off
	global_store_b32 v[42:43], v45, off
	s_wait_xcnt 0x1
	v_lshl_add_u64 v[18:19], v[8:9], 2, v[4:5]
	v_lshl_add_u64 v[50:51], v[50:51], 2, v[4:5]
	s_or_b32 s3, vcc_lo, s3
	s_wait_dscnt 0x1
	s_clause 0x1
	global_store_b32 v[20:21], v48, off
	global_store_b32 v[46:47], v49, off
	s_wait_dscnt 0x0
	s_clause 0x1
	global_store_b32 v[18:19], v52, off
	global_store_b32 v[50:51], v53, off
	s_wait_xcnt 0x0
	s_and_not1_b32 exec_lo, exec_lo, s3
	s_cbranch_execnz .LBB434_145
; %bb.146:
	s_or_b32 exec_lo, exec_lo, s3
.LBB434_147:
	s_delay_alu instid0(SALU_CYCLE_1) | instskip(SKIP_3) | instid1(VALU_DEP_1)
	s_or_b32 exec_lo, exec_lo, s1
	v_and_b32_e32 v1, 7, v12
	s_mov_b32 s3, 0
	s_mov_b32 s1, exec_lo
	v_cmpx_ne_u32_e32 0, v1
	s_cbranch_execz .LBB434_150
; %bb.148:
	v_lshl_or_b32 v11, v33, 11, v11
	v_mov_b32_e32 v9, 0
.LBB434_149:                            ; =>This Inner Loop Header: Depth=1
	ds_load_2addr_stride64_b32 v[12:13], v11 offset1:8
	v_dual_mov_b32 v8, v6 :: v_dual_add_nc_u32 v1, -1, v1
	v_add_nc_u32_e32 v6, 0x400, v6
	v_add_nc_u32_e32 v11, 0x1000, v11
	s_delay_alu instid0(VALU_DEP_3) | instskip(SKIP_3) | instid1(VALU_DEP_3)
	v_lshl_add_u64 v[16:17], v[8:9], 2, v[4:5]
	v_mov_b32_e32 v8, v7
	v_cmp_eq_u32_e32 vcc_lo, 0, v1
	v_add_nc_u32_e32 v7, 0x400, v7
	v_lshl_add_u64 v[18:19], v[8:9], 2, v[4:5]
	s_or_b32 s3, vcc_lo, s3
	s_wait_dscnt 0x0
	s_clause 0x1
	global_store_b32 v[16:17], v12, off
	global_store_b32 v[18:19], v13, off
	s_wait_xcnt 0x0
	s_and_not1_b32 exec_lo, exec_lo, s3
	s_cbranch_execnz .LBB434_149
.LBB434_150:
	s_or_b32 exec_lo, exec_lo, s1
	v_add_nc_u32_e32 v1, 1, v10
	s_delay_alu instid0(VALU_DEP_1) | instskip(NEXT) | instid1(VALU_DEP_1)
	v_and_b32_e32 v4, 0xfffffe, v1
	v_cmp_ne_u32_e32 vcc_lo, v1, v4
	v_lshl_or_b32 v0, v4, 9, v0
	s_or_not1_b32 s1, vcc_lo, exec_lo
.LBB434_151:
	s_or_b32 exec_lo, exec_lo, s0
	s_and_saveexec_b32 s0, s1
	s_cbranch_execz .LBB434_154
; %bb.152:
	s_delay_alu instid0(VALU_DEP_2) | instskip(SKIP_2) | instid1(VALU_DEP_2)
	v_add_nc_u64_e32 v[2:3], v[34:35], v[2:3]
	v_dual_mov_b32 v1, 0 :: v_dual_lshlrev_b32 v4, 2, v0
	s_mov_b32 s1, 0
	v_add_nc_u64_e32 v[2:3], s[24:25], v[2:3]
	s_delay_alu instid0(VALU_DEP_1)
	v_lshl_add_u64 v[2:3], v[0:1], 2, v[2:3]
.LBB434_153:                            ; =>This Inner Loop Header: Depth=1
	ds_load_b32 v1, v4
	v_add_nc_u32_e32 v0, 0x200, v0
	v_add_nc_u32_e32 v4, 0x800, v4
	s_delay_alu instid0(VALU_DEP_2)
	v_cmp_ge_u32_e32 vcc_lo, v0, v30
	s_or_b32 s1, vcc_lo, s1
	s_wait_dscnt 0x0
	global_store_b32 v[2:3], v1, off
	s_wait_xcnt 0x0
	v_add_nc_u64_e32 v[2:3], 0x800, v[2:3]
	s_and_not1_b32 exec_lo, exec_lo, s1
	s_cbranch_execnz .LBB434_153
.LBB434_154:
	s_or_b32 exec_lo, exec_lo, s0
	s_and_b32 s0, s2, s22
	s_delay_alu instid0(SALU_CYCLE_1)
	s_and_saveexec_b32 s1, s0
	s_cbranch_execz .LBB434_96
.LBB434_155:
	v_mov_b32_e32 v31, 0
	s_delay_alu instid0(VALU_DEP_1) | instskip(SKIP_1) | instid1(VALU_DEP_1)
	v_add_nc_u64_e32 v[0:1], v[14:15], v[30:31]
	v_mov_b32_e32 v33, v31
	v_add_nc_u64_e32 v[0:1], v[0:1], v[32:33]
	global_store_b64 v31, v[0:1], s[20:21]
	s_endpgm
	.section	.rodata,"a",@progbits
	.p2align	6, 0x0
	.amdhsa_kernel _ZN7rocprim17ROCPRIM_400000_NS6detail17trampoline_kernelINS0_14default_configENS1_25partition_config_selectorILNS1_17partition_subalgoE8EiNS0_10empty_typeEbEEZZNS1_14partition_implILS5_8ELb0ES3_jPKiPS6_PKS6_NS0_5tupleIJPiS6_EEENSE_IJSB_SB_EEENS0_18inequality_wrapperIN6hipcub16HIPCUB_304000_NS8EqualityEEEPlJS6_EEE10hipError_tPvRmT3_T4_T5_T6_T7_T9_mT8_P12ihipStream_tbDpT10_ENKUlT_T0_E_clISt17integral_constantIbLb0EES16_IbLb1EEEEDaS12_S13_EUlS12_E_NS1_11comp_targetILNS1_3genE0ELNS1_11target_archE4294967295ELNS1_3gpuE0ELNS1_3repE0EEENS1_30default_config_static_selectorELNS0_4arch9wavefront6targetE0EEEvT1_
		.amdhsa_group_segment_fixed_size 22536
		.amdhsa_private_segment_fixed_size 0
		.amdhsa_kernarg_size 128
		.amdhsa_user_sgpr_count 2
		.amdhsa_user_sgpr_dispatch_ptr 0
		.amdhsa_user_sgpr_queue_ptr 0
		.amdhsa_user_sgpr_kernarg_segment_ptr 1
		.amdhsa_user_sgpr_dispatch_id 0
		.amdhsa_user_sgpr_kernarg_preload_length 0
		.amdhsa_user_sgpr_kernarg_preload_offset 0
		.amdhsa_user_sgpr_private_segment_size 0
		.amdhsa_wavefront_size32 1
		.amdhsa_uses_dynamic_stack 0
		.amdhsa_enable_private_segment 0
		.amdhsa_system_sgpr_workgroup_id_x 1
		.amdhsa_system_sgpr_workgroup_id_y 0
		.amdhsa_system_sgpr_workgroup_id_z 0
		.amdhsa_system_sgpr_workgroup_info 0
		.amdhsa_system_vgpr_workitem_id 0
		.amdhsa_next_free_vgpr 62
		.amdhsa_next_free_sgpr 32
		.amdhsa_named_barrier_count 0
		.amdhsa_reserve_vcc 1
		.amdhsa_float_round_mode_32 0
		.amdhsa_float_round_mode_16_64 0
		.amdhsa_float_denorm_mode_32 3
		.amdhsa_float_denorm_mode_16_64 3
		.amdhsa_fp16_overflow 0
		.amdhsa_memory_ordered 1
		.amdhsa_forward_progress 1
		.amdhsa_inst_pref_size 70
		.amdhsa_round_robin_scheduling 0
		.amdhsa_exception_fp_ieee_invalid_op 0
		.amdhsa_exception_fp_denorm_src 0
		.amdhsa_exception_fp_ieee_div_zero 0
		.amdhsa_exception_fp_ieee_overflow 0
		.amdhsa_exception_fp_ieee_underflow 0
		.amdhsa_exception_fp_ieee_inexact 0
		.amdhsa_exception_int_div_zero 0
	.end_amdhsa_kernel
	.section	.text._ZN7rocprim17ROCPRIM_400000_NS6detail17trampoline_kernelINS0_14default_configENS1_25partition_config_selectorILNS1_17partition_subalgoE8EiNS0_10empty_typeEbEEZZNS1_14partition_implILS5_8ELb0ES3_jPKiPS6_PKS6_NS0_5tupleIJPiS6_EEENSE_IJSB_SB_EEENS0_18inequality_wrapperIN6hipcub16HIPCUB_304000_NS8EqualityEEEPlJS6_EEE10hipError_tPvRmT3_T4_T5_T6_T7_T9_mT8_P12ihipStream_tbDpT10_ENKUlT_T0_E_clISt17integral_constantIbLb0EES16_IbLb1EEEEDaS12_S13_EUlS12_E_NS1_11comp_targetILNS1_3genE0ELNS1_11target_archE4294967295ELNS1_3gpuE0ELNS1_3repE0EEENS1_30default_config_static_selectorELNS0_4arch9wavefront6targetE0EEEvT1_,"axG",@progbits,_ZN7rocprim17ROCPRIM_400000_NS6detail17trampoline_kernelINS0_14default_configENS1_25partition_config_selectorILNS1_17partition_subalgoE8EiNS0_10empty_typeEbEEZZNS1_14partition_implILS5_8ELb0ES3_jPKiPS6_PKS6_NS0_5tupleIJPiS6_EEENSE_IJSB_SB_EEENS0_18inequality_wrapperIN6hipcub16HIPCUB_304000_NS8EqualityEEEPlJS6_EEE10hipError_tPvRmT3_T4_T5_T6_T7_T9_mT8_P12ihipStream_tbDpT10_ENKUlT_T0_E_clISt17integral_constantIbLb0EES16_IbLb1EEEEDaS12_S13_EUlS12_E_NS1_11comp_targetILNS1_3genE0ELNS1_11target_archE4294967295ELNS1_3gpuE0ELNS1_3repE0EEENS1_30default_config_static_selectorELNS0_4arch9wavefront6targetE0EEEvT1_,comdat
.Lfunc_end434:
	.size	_ZN7rocprim17ROCPRIM_400000_NS6detail17trampoline_kernelINS0_14default_configENS1_25partition_config_selectorILNS1_17partition_subalgoE8EiNS0_10empty_typeEbEEZZNS1_14partition_implILS5_8ELb0ES3_jPKiPS6_PKS6_NS0_5tupleIJPiS6_EEENSE_IJSB_SB_EEENS0_18inequality_wrapperIN6hipcub16HIPCUB_304000_NS8EqualityEEEPlJS6_EEE10hipError_tPvRmT3_T4_T5_T6_T7_T9_mT8_P12ihipStream_tbDpT10_ENKUlT_T0_E_clISt17integral_constantIbLb0EES16_IbLb1EEEEDaS12_S13_EUlS12_E_NS1_11comp_targetILNS1_3genE0ELNS1_11target_archE4294967295ELNS1_3gpuE0ELNS1_3repE0EEENS1_30default_config_static_selectorELNS0_4arch9wavefront6targetE0EEEvT1_, .Lfunc_end434-_ZN7rocprim17ROCPRIM_400000_NS6detail17trampoline_kernelINS0_14default_configENS1_25partition_config_selectorILNS1_17partition_subalgoE8EiNS0_10empty_typeEbEEZZNS1_14partition_implILS5_8ELb0ES3_jPKiPS6_PKS6_NS0_5tupleIJPiS6_EEENSE_IJSB_SB_EEENS0_18inequality_wrapperIN6hipcub16HIPCUB_304000_NS8EqualityEEEPlJS6_EEE10hipError_tPvRmT3_T4_T5_T6_T7_T9_mT8_P12ihipStream_tbDpT10_ENKUlT_T0_E_clISt17integral_constantIbLb0EES16_IbLb1EEEEDaS12_S13_EUlS12_E_NS1_11comp_targetILNS1_3genE0ELNS1_11target_archE4294967295ELNS1_3gpuE0ELNS1_3repE0EEENS1_30default_config_static_selectorELNS0_4arch9wavefront6targetE0EEEvT1_
                                        ; -- End function
	.set _ZN7rocprim17ROCPRIM_400000_NS6detail17trampoline_kernelINS0_14default_configENS1_25partition_config_selectorILNS1_17partition_subalgoE8EiNS0_10empty_typeEbEEZZNS1_14partition_implILS5_8ELb0ES3_jPKiPS6_PKS6_NS0_5tupleIJPiS6_EEENSE_IJSB_SB_EEENS0_18inequality_wrapperIN6hipcub16HIPCUB_304000_NS8EqualityEEEPlJS6_EEE10hipError_tPvRmT3_T4_T5_T6_T7_T9_mT8_P12ihipStream_tbDpT10_ENKUlT_T0_E_clISt17integral_constantIbLb0EES16_IbLb1EEEEDaS12_S13_EUlS12_E_NS1_11comp_targetILNS1_3genE0ELNS1_11target_archE4294967295ELNS1_3gpuE0ELNS1_3repE0EEENS1_30default_config_static_selectorELNS0_4arch9wavefront6targetE0EEEvT1_.num_vgpr, 62
	.set _ZN7rocprim17ROCPRIM_400000_NS6detail17trampoline_kernelINS0_14default_configENS1_25partition_config_selectorILNS1_17partition_subalgoE8EiNS0_10empty_typeEbEEZZNS1_14partition_implILS5_8ELb0ES3_jPKiPS6_PKS6_NS0_5tupleIJPiS6_EEENSE_IJSB_SB_EEENS0_18inequality_wrapperIN6hipcub16HIPCUB_304000_NS8EqualityEEEPlJS6_EEE10hipError_tPvRmT3_T4_T5_T6_T7_T9_mT8_P12ihipStream_tbDpT10_ENKUlT_T0_E_clISt17integral_constantIbLb0EES16_IbLb1EEEEDaS12_S13_EUlS12_E_NS1_11comp_targetILNS1_3genE0ELNS1_11target_archE4294967295ELNS1_3gpuE0ELNS1_3repE0EEENS1_30default_config_static_selectorELNS0_4arch9wavefront6targetE0EEEvT1_.num_agpr, 0
	.set _ZN7rocprim17ROCPRIM_400000_NS6detail17trampoline_kernelINS0_14default_configENS1_25partition_config_selectorILNS1_17partition_subalgoE8EiNS0_10empty_typeEbEEZZNS1_14partition_implILS5_8ELb0ES3_jPKiPS6_PKS6_NS0_5tupleIJPiS6_EEENSE_IJSB_SB_EEENS0_18inequality_wrapperIN6hipcub16HIPCUB_304000_NS8EqualityEEEPlJS6_EEE10hipError_tPvRmT3_T4_T5_T6_T7_T9_mT8_P12ihipStream_tbDpT10_ENKUlT_T0_E_clISt17integral_constantIbLb0EES16_IbLb1EEEEDaS12_S13_EUlS12_E_NS1_11comp_targetILNS1_3genE0ELNS1_11target_archE4294967295ELNS1_3gpuE0ELNS1_3repE0EEENS1_30default_config_static_selectorELNS0_4arch9wavefront6targetE0EEEvT1_.numbered_sgpr, 32
	.set _ZN7rocprim17ROCPRIM_400000_NS6detail17trampoline_kernelINS0_14default_configENS1_25partition_config_selectorILNS1_17partition_subalgoE8EiNS0_10empty_typeEbEEZZNS1_14partition_implILS5_8ELb0ES3_jPKiPS6_PKS6_NS0_5tupleIJPiS6_EEENSE_IJSB_SB_EEENS0_18inequality_wrapperIN6hipcub16HIPCUB_304000_NS8EqualityEEEPlJS6_EEE10hipError_tPvRmT3_T4_T5_T6_T7_T9_mT8_P12ihipStream_tbDpT10_ENKUlT_T0_E_clISt17integral_constantIbLb0EES16_IbLb1EEEEDaS12_S13_EUlS12_E_NS1_11comp_targetILNS1_3genE0ELNS1_11target_archE4294967295ELNS1_3gpuE0ELNS1_3repE0EEENS1_30default_config_static_selectorELNS0_4arch9wavefront6targetE0EEEvT1_.num_named_barrier, 0
	.set _ZN7rocprim17ROCPRIM_400000_NS6detail17trampoline_kernelINS0_14default_configENS1_25partition_config_selectorILNS1_17partition_subalgoE8EiNS0_10empty_typeEbEEZZNS1_14partition_implILS5_8ELb0ES3_jPKiPS6_PKS6_NS0_5tupleIJPiS6_EEENSE_IJSB_SB_EEENS0_18inequality_wrapperIN6hipcub16HIPCUB_304000_NS8EqualityEEEPlJS6_EEE10hipError_tPvRmT3_T4_T5_T6_T7_T9_mT8_P12ihipStream_tbDpT10_ENKUlT_T0_E_clISt17integral_constantIbLb0EES16_IbLb1EEEEDaS12_S13_EUlS12_E_NS1_11comp_targetILNS1_3genE0ELNS1_11target_archE4294967295ELNS1_3gpuE0ELNS1_3repE0EEENS1_30default_config_static_selectorELNS0_4arch9wavefront6targetE0EEEvT1_.private_seg_size, 0
	.set _ZN7rocprim17ROCPRIM_400000_NS6detail17trampoline_kernelINS0_14default_configENS1_25partition_config_selectorILNS1_17partition_subalgoE8EiNS0_10empty_typeEbEEZZNS1_14partition_implILS5_8ELb0ES3_jPKiPS6_PKS6_NS0_5tupleIJPiS6_EEENSE_IJSB_SB_EEENS0_18inequality_wrapperIN6hipcub16HIPCUB_304000_NS8EqualityEEEPlJS6_EEE10hipError_tPvRmT3_T4_T5_T6_T7_T9_mT8_P12ihipStream_tbDpT10_ENKUlT_T0_E_clISt17integral_constantIbLb0EES16_IbLb1EEEEDaS12_S13_EUlS12_E_NS1_11comp_targetILNS1_3genE0ELNS1_11target_archE4294967295ELNS1_3gpuE0ELNS1_3repE0EEENS1_30default_config_static_selectorELNS0_4arch9wavefront6targetE0EEEvT1_.uses_vcc, 1
	.set _ZN7rocprim17ROCPRIM_400000_NS6detail17trampoline_kernelINS0_14default_configENS1_25partition_config_selectorILNS1_17partition_subalgoE8EiNS0_10empty_typeEbEEZZNS1_14partition_implILS5_8ELb0ES3_jPKiPS6_PKS6_NS0_5tupleIJPiS6_EEENSE_IJSB_SB_EEENS0_18inequality_wrapperIN6hipcub16HIPCUB_304000_NS8EqualityEEEPlJS6_EEE10hipError_tPvRmT3_T4_T5_T6_T7_T9_mT8_P12ihipStream_tbDpT10_ENKUlT_T0_E_clISt17integral_constantIbLb0EES16_IbLb1EEEEDaS12_S13_EUlS12_E_NS1_11comp_targetILNS1_3genE0ELNS1_11target_archE4294967295ELNS1_3gpuE0ELNS1_3repE0EEENS1_30default_config_static_selectorELNS0_4arch9wavefront6targetE0EEEvT1_.uses_flat_scratch, 0
	.set _ZN7rocprim17ROCPRIM_400000_NS6detail17trampoline_kernelINS0_14default_configENS1_25partition_config_selectorILNS1_17partition_subalgoE8EiNS0_10empty_typeEbEEZZNS1_14partition_implILS5_8ELb0ES3_jPKiPS6_PKS6_NS0_5tupleIJPiS6_EEENSE_IJSB_SB_EEENS0_18inequality_wrapperIN6hipcub16HIPCUB_304000_NS8EqualityEEEPlJS6_EEE10hipError_tPvRmT3_T4_T5_T6_T7_T9_mT8_P12ihipStream_tbDpT10_ENKUlT_T0_E_clISt17integral_constantIbLb0EES16_IbLb1EEEEDaS12_S13_EUlS12_E_NS1_11comp_targetILNS1_3genE0ELNS1_11target_archE4294967295ELNS1_3gpuE0ELNS1_3repE0EEENS1_30default_config_static_selectorELNS0_4arch9wavefront6targetE0EEEvT1_.has_dyn_sized_stack, 0
	.set _ZN7rocprim17ROCPRIM_400000_NS6detail17trampoline_kernelINS0_14default_configENS1_25partition_config_selectorILNS1_17partition_subalgoE8EiNS0_10empty_typeEbEEZZNS1_14partition_implILS5_8ELb0ES3_jPKiPS6_PKS6_NS0_5tupleIJPiS6_EEENSE_IJSB_SB_EEENS0_18inequality_wrapperIN6hipcub16HIPCUB_304000_NS8EqualityEEEPlJS6_EEE10hipError_tPvRmT3_T4_T5_T6_T7_T9_mT8_P12ihipStream_tbDpT10_ENKUlT_T0_E_clISt17integral_constantIbLb0EES16_IbLb1EEEEDaS12_S13_EUlS12_E_NS1_11comp_targetILNS1_3genE0ELNS1_11target_archE4294967295ELNS1_3gpuE0ELNS1_3repE0EEENS1_30default_config_static_selectorELNS0_4arch9wavefront6targetE0EEEvT1_.has_recursion, 0
	.set _ZN7rocprim17ROCPRIM_400000_NS6detail17trampoline_kernelINS0_14default_configENS1_25partition_config_selectorILNS1_17partition_subalgoE8EiNS0_10empty_typeEbEEZZNS1_14partition_implILS5_8ELb0ES3_jPKiPS6_PKS6_NS0_5tupleIJPiS6_EEENSE_IJSB_SB_EEENS0_18inequality_wrapperIN6hipcub16HIPCUB_304000_NS8EqualityEEEPlJS6_EEE10hipError_tPvRmT3_T4_T5_T6_T7_T9_mT8_P12ihipStream_tbDpT10_ENKUlT_T0_E_clISt17integral_constantIbLb0EES16_IbLb1EEEEDaS12_S13_EUlS12_E_NS1_11comp_targetILNS1_3genE0ELNS1_11target_archE4294967295ELNS1_3gpuE0ELNS1_3repE0EEENS1_30default_config_static_selectorELNS0_4arch9wavefront6targetE0EEEvT1_.has_indirect_call, 0
	.section	.AMDGPU.csdata,"",@progbits
; Kernel info:
; codeLenInByte = 8944
; TotalNumSgprs: 34
; NumVgprs: 62
; ScratchSize: 0
; MemoryBound: 0
; FloatMode: 240
; IeeeMode: 1
; LDSByteSize: 22536 bytes/workgroup (compile time only)
; SGPRBlocks: 0
; VGPRBlocks: 3
; NumSGPRsForWavesPerEU: 34
; NumVGPRsForWavesPerEU: 62
; NamedBarCnt: 0
; Occupancy: 16
; WaveLimiterHint : 1
; COMPUTE_PGM_RSRC2:SCRATCH_EN: 0
; COMPUTE_PGM_RSRC2:USER_SGPR: 2
; COMPUTE_PGM_RSRC2:TRAP_HANDLER: 0
; COMPUTE_PGM_RSRC2:TGID_X_EN: 1
; COMPUTE_PGM_RSRC2:TGID_Y_EN: 0
; COMPUTE_PGM_RSRC2:TGID_Z_EN: 0
; COMPUTE_PGM_RSRC2:TIDIG_COMP_CNT: 0
	.section	.text._ZN7rocprim17ROCPRIM_400000_NS6detail17trampoline_kernelINS0_14default_configENS1_25partition_config_selectorILNS1_17partition_subalgoE8EiNS0_10empty_typeEbEEZZNS1_14partition_implILS5_8ELb0ES3_jPKiPS6_PKS6_NS0_5tupleIJPiS6_EEENSE_IJSB_SB_EEENS0_18inequality_wrapperIN6hipcub16HIPCUB_304000_NS8EqualityEEEPlJS6_EEE10hipError_tPvRmT3_T4_T5_T6_T7_T9_mT8_P12ihipStream_tbDpT10_ENKUlT_T0_E_clISt17integral_constantIbLb0EES16_IbLb1EEEEDaS12_S13_EUlS12_E_NS1_11comp_targetILNS1_3genE5ELNS1_11target_archE942ELNS1_3gpuE9ELNS1_3repE0EEENS1_30default_config_static_selectorELNS0_4arch9wavefront6targetE0EEEvT1_,"axG",@progbits,_ZN7rocprim17ROCPRIM_400000_NS6detail17trampoline_kernelINS0_14default_configENS1_25partition_config_selectorILNS1_17partition_subalgoE8EiNS0_10empty_typeEbEEZZNS1_14partition_implILS5_8ELb0ES3_jPKiPS6_PKS6_NS0_5tupleIJPiS6_EEENSE_IJSB_SB_EEENS0_18inequality_wrapperIN6hipcub16HIPCUB_304000_NS8EqualityEEEPlJS6_EEE10hipError_tPvRmT3_T4_T5_T6_T7_T9_mT8_P12ihipStream_tbDpT10_ENKUlT_T0_E_clISt17integral_constantIbLb0EES16_IbLb1EEEEDaS12_S13_EUlS12_E_NS1_11comp_targetILNS1_3genE5ELNS1_11target_archE942ELNS1_3gpuE9ELNS1_3repE0EEENS1_30default_config_static_selectorELNS0_4arch9wavefront6targetE0EEEvT1_,comdat
	.protected	_ZN7rocprim17ROCPRIM_400000_NS6detail17trampoline_kernelINS0_14default_configENS1_25partition_config_selectorILNS1_17partition_subalgoE8EiNS0_10empty_typeEbEEZZNS1_14partition_implILS5_8ELb0ES3_jPKiPS6_PKS6_NS0_5tupleIJPiS6_EEENSE_IJSB_SB_EEENS0_18inequality_wrapperIN6hipcub16HIPCUB_304000_NS8EqualityEEEPlJS6_EEE10hipError_tPvRmT3_T4_T5_T6_T7_T9_mT8_P12ihipStream_tbDpT10_ENKUlT_T0_E_clISt17integral_constantIbLb0EES16_IbLb1EEEEDaS12_S13_EUlS12_E_NS1_11comp_targetILNS1_3genE5ELNS1_11target_archE942ELNS1_3gpuE9ELNS1_3repE0EEENS1_30default_config_static_selectorELNS0_4arch9wavefront6targetE0EEEvT1_ ; -- Begin function _ZN7rocprim17ROCPRIM_400000_NS6detail17trampoline_kernelINS0_14default_configENS1_25partition_config_selectorILNS1_17partition_subalgoE8EiNS0_10empty_typeEbEEZZNS1_14partition_implILS5_8ELb0ES3_jPKiPS6_PKS6_NS0_5tupleIJPiS6_EEENSE_IJSB_SB_EEENS0_18inequality_wrapperIN6hipcub16HIPCUB_304000_NS8EqualityEEEPlJS6_EEE10hipError_tPvRmT3_T4_T5_T6_T7_T9_mT8_P12ihipStream_tbDpT10_ENKUlT_T0_E_clISt17integral_constantIbLb0EES16_IbLb1EEEEDaS12_S13_EUlS12_E_NS1_11comp_targetILNS1_3genE5ELNS1_11target_archE942ELNS1_3gpuE9ELNS1_3repE0EEENS1_30default_config_static_selectorELNS0_4arch9wavefront6targetE0EEEvT1_
	.globl	_ZN7rocprim17ROCPRIM_400000_NS6detail17trampoline_kernelINS0_14default_configENS1_25partition_config_selectorILNS1_17partition_subalgoE8EiNS0_10empty_typeEbEEZZNS1_14partition_implILS5_8ELb0ES3_jPKiPS6_PKS6_NS0_5tupleIJPiS6_EEENSE_IJSB_SB_EEENS0_18inequality_wrapperIN6hipcub16HIPCUB_304000_NS8EqualityEEEPlJS6_EEE10hipError_tPvRmT3_T4_T5_T6_T7_T9_mT8_P12ihipStream_tbDpT10_ENKUlT_T0_E_clISt17integral_constantIbLb0EES16_IbLb1EEEEDaS12_S13_EUlS12_E_NS1_11comp_targetILNS1_3genE5ELNS1_11target_archE942ELNS1_3gpuE9ELNS1_3repE0EEENS1_30default_config_static_selectorELNS0_4arch9wavefront6targetE0EEEvT1_
	.p2align	8
	.type	_ZN7rocprim17ROCPRIM_400000_NS6detail17trampoline_kernelINS0_14default_configENS1_25partition_config_selectorILNS1_17partition_subalgoE8EiNS0_10empty_typeEbEEZZNS1_14partition_implILS5_8ELb0ES3_jPKiPS6_PKS6_NS0_5tupleIJPiS6_EEENSE_IJSB_SB_EEENS0_18inequality_wrapperIN6hipcub16HIPCUB_304000_NS8EqualityEEEPlJS6_EEE10hipError_tPvRmT3_T4_T5_T6_T7_T9_mT8_P12ihipStream_tbDpT10_ENKUlT_T0_E_clISt17integral_constantIbLb0EES16_IbLb1EEEEDaS12_S13_EUlS12_E_NS1_11comp_targetILNS1_3genE5ELNS1_11target_archE942ELNS1_3gpuE9ELNS1_3repE0EEENS1_30default_config_static_selectorELNS0_4arch9wavefront6targetE0EEEvT1_,@function
_ZN7rocprim17ROCPRIM_400000_NS6detail17trampoline_kernelINS0_14default_configENS1_25partition_config_selectorILNS1_17partition_subalgoE8EiNS0_10empty_typeEbEEZZNS1_14partition_implILS5_8ELb0ES3_jPKiPS6_PKS6_NS0_5tupleIJPiS6_EEENSE_IJSB_SB_EEENS0_18inequality_wrapperIN6hipcub16HIPCUB_304000_NS8EqualityEEEPlJS6_EEE10hipError_tPvRmT3_T4_T5_T6_T7_T9_mT8_P12ihipStream_tbDpT10_ENKUlT_T0_E_clISt17integral_constantIbLb0EES16_IbLb1EEEEDaS12_S13_EUlS12_E_NS1_11comp_targetILNS1_3genE5ELNS1_11target_archE942ELNS1_3gpuE9ELNS1_3repE0EEENS1_30default_config_static_selectorELNS0_4arch9wavefront6targetE0EEEvT1_: ; @_ZN7rocprim17ROCPRIM_400000_NS6detail17trampoline_kernelINS0_14default_configENS1_25partition_config_selectorILNS1_17partition_subalgoE8EiNS0_10empty_typeEbEEZZNS1_14partition_implILS5_8ELb0ES3_jPKiPS6_PKS6_NS0_5tupleIJPiS6_EEENSE_IJSB_SB_EEENS0_18inequality_wrapperIN6hipcub16HIPCUB_304000_NS8EqualityEEEPlJS6_EEE10hipError_tPvRmT3_T4_T5_T6_T7_T9_mT8_P12ihipStream_tbDpT10_ENKUlT_T0_E_clISt17integral_constantIbLb0EES16_IbLb1EEEEDaS12_S13_EUlS12_E_NS1_11comp_targetILNS1_3genE5ELNS1_11target_archE942ELNS1_3gpuE9ELNS1_3repE0EEENS1_30default_config_static_selectorELNS0_4arch9wavefront6targetE0EEEvT1_
; %bb.0:
	.section	.rodata,"a",@progbits
	.p2align	6, 0x0
	.amdhsa_kernel _ZN7rocprim17ROCPRIM_400000_NS6detail17trampoline_kernelINS0_14default_configENS1_25partition_config_selectorILNS1_17partition_subalgoE8EiNS0_10empty_typeEbEEZZNS1_14partition_implILS5_8ELb0ES3_jPKiPS6_PKS6_NS0_5tupleIJPiS6_EEENSE_IJSB_SB_EEENS0_18inequality_wrapperIN6hipcub16HIPCUB_304000_NS8EqualityEEEPlJS6_EEE10hipError_tPvRmT3_T4_T5_T6_T7_T9_mT8_P12ihipStream_tbDpT10_ENKUlT_T0_E_clISt17integral_constantIbLb0EES16_IbLb1EEEEDaS12_S13_EUlS12_E_NS1_11comp_targetILNS1_3genE5ELNS1_11target_archE942ELNS1_3gpuE9ELNS1_3repE0EEENS1_30default_config_static_selectorELNS0_4arch9wavefront6targetE0EEEvT1_
		.amdhsa_group_segment_fixed_size 0
		.amdhsa_private_segment_fixed_size 0
		.amdhsa_kernarg_size 128
		.amdhsa_user_sgpr_count 2
		.amdhsa_user_sgpr_dispatch_ptr 0
		.amdhsa_user_sgpr_queue_ptr 0
		.amdhsa_user_sgpr_kernarg_segment_ptr 1
		.amdhsa_user_sgpr_dispatch_id 0
		.amdhsa_user_sgpr_kernarg_preload_length 0
		.amdhsa_user_sgpr_kernarg_preload_offset 0
		.amdhsa_user_sgpr_private_segment_size 0
		.amdhsa_wavefront_size32 1
		.amdhsa_uses_dynamic_stack 0
		.amdhsa_enable_private_segment 0
		.amdhsa_system_sgpr_workgroup_id_x 1
		.amdhsa_system_sgpr_workgroup_id_y 0
		.amdhsa_system_sgpr_workgroup_id_z 0
		.amdhsa_system_sgpr_workgroup_info 0
		.amdhsa_system_vgpr_workitem_id 0
		.amdhsa_next_free_vgpr 1
		.amdhsa_next_free_sgpr 1
		.amdhsa_named_barrier_count 0
		.amdhsa_reserve_vcc 0
		.amdhsa_float_round_mode_32 0
		.amdhsa_float_round_mode_16_64 0
		.amdhsa_float_denorm_mode_32 3
		.amdhsa_float_denorm_mode_16_64 3
		.amdhsa_fp16_overflow 0
		.amdhsa_memory_ordered 1
		.amdhsa_forward_progress 1
		.amdhsa_inst_pref_size 0
		.amdhsa_round_robin_scheduling 0
		.amdhsa_exception_fp_ieee_invalid_op 0
		.amdhsa_exception_fp_denorm_src 0
		.amdhsa_exception_fp_ieee_div_zero 0
		.amdhsa_exception_fp_ieee_overflow 0
		.amdhsa_exception_fp_ieee_underflow 0
		.amdhsa_exception_fp_ieee_inexact 0
		.amdhsa_exception_int_div_zero 0
	.end_amdhsa_kernel
	.section	.text._ZN7rocprim17ROCPRIM_400000_NS6detail17trampoline_kernelINS0_14default_configENS1_25partition_config_selectorILNS1_17partition_subalgoE8EiNS0_10empty_typeEbEEZZNS1_14partition_implILS5_8ELb0ES3_jPKiPS6_PKS6_NS0_5tupleIJPiS6_EEENSE_IJSB_SB_EEENS0_18inequality_wrapperIN6hipcub16HIPCUB_304000_NS8EqualityEEEPlJS6_EEE10hipError_tPvRmT3_T4_T5_T6_T7_T9_mT8_P12ihipStream_tbDpT10_ENKUlT_T0_E_clISt17integral_constantIbLb0EES16_IbLb1EEEEDaS12_S13_EUlS12_E_NS1_11comp_targetILNS1_3genE5ELNS1_11target_archE942ELNS1_3gpuE9ELNS1_3repE0EEENS1_30default_config_static_selectorELNS0_4arch9wavefront6targetE0EEEvT1_,"axG",@progbits,_ZN7rocprim17ROCPRIM_400000_NS6detail17trampoline_kernelINS0_14default_configENS1_25partition_config_selectorILNS1_17partition_subalgoE8EiNS0_10empty_typeEbEEZZNS1_14partition_implILS5_8ELb0ES3_jPKiPS6_PKS6_NS0_5tupleIJPiS6_EEENSE_IJSB_SB_EEENS0_18inequality_wrapperIN6hipcub16HIPCUB_304000_NS8EqualityEEEPlJS6_EEE10hipError_tPvRmT3_T4_T5_T6_T7_T9_mT8_P12ihipStream_tbDpT10_ENKUlT_T0_E_clISt17integral_constantIbLb0EES16_IbLb1EEEEDaS12_S13_EUlS12_E_NS1_11comp_targetILNS1_3genE5ELNS1_11target_archE942ELNS1_3gpuE9ELNS1_3repE0EEENS1_30default_config_static_selectorELNS0_4arch9wavefront6targetE0EEEvT1_,comdat
.Lfunc_end435:
	.size	_ZN7rocprim17ROCPRIM_400000_NS6detail17trampoline_kernelINS0_14default_configENS1_25partition_config_selectorILNS1_17partition_subalgoE8EiNS0_10empty_typeEbEEZZNS1_14partition_implILS5_8ELb0ES3_jPKiPS6_PKS6_NS0_5tupleIJPiS6_EEENSE_IJSB_SB_EEENS0_18inequality_wrapperIN6hipcub16HIPCUB_304000_NS8EqualityEEEPlJS6_EEE10hipError_tPvRmT3_T4_T5_T6_T7_T9_mT8_P12ihipStream_tbDpT10_ENKUlT_T0_E_clISt17integral_constantIbLb0EES16_IbLb1EEEEDaS12_S13_EUlS12_E_NS1_11comp_targetILNS1_3genE5ELNS1_11target_archE942ELNS1_3gpuE9ELNS1_3repE0EEENS1_30default_config_static_selectorELNS0_4arch9wavefront6targetE0EEEvT1_, .Lfunc_end435-_ZN7rocprim17ROCPRIM_400000_NS6detail17trampoline_kernelINS0_14default_configENS1_25partition_config_selectorILNS1_17partition_subalgoE8EiNS0_10empty_typeEbEEZZNS1_14partition_implILS5_8ELb0ES3_jPKiPS6_PKS6_NS0_5tupleIJPiS6_EEENSE_IJSB_SB_EEENS0_18inequality_wrapperIN6hipcub16HIPCUB_304000_NS8EqualityEEEPlJS6_EEE10hipError_tPvRmT3_T4_T5_T6_T7_T9_mT8_P12ihipStream_tbDpT10_ENKUlT_T0_E_clISt17integral_constantIbLb0EES16_IbLb1EEEEDaS12_S13_EUlS12_E_NS1_11comp_targetILNS1_3genE5ELNS1_11target_archE942ELNS1_3gpuE9ELNS1_3repE0EEENS1_30default_config_static_selectorELNS0_4arch9wavefront6targetE0EEEvT1_
                                        ; -- End function
	.set _ZN7rocprim17ROCPRIM_400000_NS6detail17trampoline_kernelINS0_14default_configENS1_25partition_config_selectorILNS1_17partition_subalgoE8EiNS0_10empty_typeEbEEZZNS1_14partition_implILS5_8ELb0ES3_jPKiPS6_PKS6_NS0_5tupleIJPiS6_EEENSE_IJSB_SB_EEENS0_18inequality_wrapperIN6hipcub16HIPCUB_304000_NS8EqualityEEEPlJS6_EEE10hipError_tPvRmT3_T4_T5_T6_T7_T9_mT8_P12ihipStream_tbDpT10_ENKUlT_T0_E_clISt17integral_constantIbLb0EES16_IbLb1EEEEDaS12_S13_EUlS12_E_NS1_11comp_targetILNS1_3genE5ELNS1_11target_archE942ELNS1_3gpuE9ELNS1_3repE0EEENS1_30default_config_static_selectorELNS0_4arch9wavefront6targetE0EEEvT1_.num_vgpr, 0
	.set _ZN7rocprim17ROCPRIM_400000_NS6detail17trampoline_kernelINS0_14default_configENS1_25partition_config_selectorILNS1_17partition_subalgoE8EiNS0_10empty_typeEbEEZZNS1_14partition_implILS5_8ELb0ES3_jPKiPS6_PKS6_NS0_5tupleIJPiS6_EEENSE_IJSB_SB_EEENS0_18inequality_wrapperIN6hipcub16HIPCUB_304000_NS8EqualityEEEPlJS6_EEE10hipError_tPvRmT3_T4_T5_T6_T7_T9_mT8_P12ihipStream_tbDpT10_ENKUlT_T0_E_clISt17integral_constantIbLb0EES16_IbLb1EEEEDaS12_S13_EUlS12_E_NS1_11comp_targetILNS1_3genE5ELNS1_11target_archE942ELNS1_3gpuE9ELNS1_3repE0EEENS1_30default_config_static_selectorELNS0_4arch9wavefront6targetE0EEEvT1_.num_agpr, 0
	.set _ZN7rocprim17ROCPRIM_400000_NS6detail17trampoline_kernelINS0_14default_configENS1_25partition_config_selectorILNS1_17partition_subalgoE8EiNS0_10empty_typeEbEEZZNS1_14partition_implILS5_8ELb0ES3_jPKiPS6_PKS6_NS0_5tupleIJPiS6_EEENSE_IJSB_SB_EEENS0_18inequality_wrapperIN6hipcub16HIPCUB_304000_NS8EqualityEEEPlJS6_EEE10hipError_tPvRmT3_T4_T5_T6_T7_T9_mT8_P12ihipStream_tbDpT10_ENKUlT_T0_E_clISt17integral_constantIbLb0EES16_IbLb1EEEEDaS12_S13_EUlS12_E_NS1_11comp_targetILNS1_3genE5ELNS1_11target_archE942ELNS1_3gpuE9ELNS1_3repE0EEENS1_30default_config_static_selectorELNS0_4arch9wavefront6targetE0EEEvT1_.numbered_sgpr, 0
	.set _ZN7rocprim17ROCPRIM_400000_NS6detail17trampoline_kernelINS0_14default_configENS1_25partition_config_selectorILNS1_17partition_subalgoE8EiNS0_10empty_typeEbEEZZNS1_14partition_implILS5_8ELb0ES3_jPKiPS6_PKS6_NS0_5tupleIJPiS6_EEENSE_IJSB_SB_EEENS0_18inequality_wrapperIN6hipcub16HIPCUB_304000_NS8EqualityEEEPlJS6_EEE10hipError_tPvRmT3_T4_T5_T6_T7_T9_mT8_P12ihipStream_tbDpT10_ENKUlT_T0_E_clISt17integral_constantIbLb0EES16_IbLb1EEEEDaS12_S13_EUlS12_E_NS1_11comp_targetILNS1_3genE5ELNS1_11target_archE942ELNS1_3gpuE9ELNS1_3repE0EEENS1_30default_config_static_selectorELNS0_4arch9wavefront6targetE0EEEvT1_.num_named_barrier, 0
	.set _ZN7rocprim17ROCPRIM_400000_NS6detail17trampoline_kernelINS0_14default_configENS1_25partition_config_selectorILNS1_17partition_subalgoE8EiNS0_10empty_typeEbEEZZNS1_14partition_implILS5_8ELb0ES3_jPKiPS6_PKS6_NS0_5tupleIJPiS6_EEENSE_IJSB_SB_EEENS0_18inequality_wrapperIN6hipcub16HIPCUB_304000_NS8EqualityEEEPlJS6_EEE10hipError_tPvRmT3_T4_T5_T6_T7_T9_mT8_P12ihipStream_tbDpT10_ENKUlT_T0_E_clISt17integral_constantIbLb0EES16_IbLb1EEEEDaS12_S13_EUlS12_E_NS1_11comp_targetILNS1_3genE5ELNS1_11target_archE942ELNS1_3gpuE9ELNS1_3repE0EEENS1_30default_config_static_selectorELNS0_4arch9wavefront6targetE0EEEvT1_.private_seg_size, 0
	.set _ZN7rocprim17ROCPRIM_400000_NS6detail17trampoline_kernelINS0_14default_configENS1_25partition_config_selectorILNS1_17partition_subalgoE8EiNS0_10empty_typeEbEEZZNS1_14partition_implILS5_8ELb0ES3_jPKiPS6_PKS6_NS0_5tupleIJPiS6_EEENSE_IJSB_SB_EEENS0_18inequality_wrapperIN6hipcub16HIPCUB_304000_NS8EqualityEEEPlJS6_EEE10hipError_tPvRmT3_T4_T5_T6_T7_T9_mT8_P12ihipStream_tbDpT10_ENKUlT_T0_E_clISt17integral_constantIbLb0EES16_IbLb1EEEEDaS12_S13_EUlS12_E_NS1_11comp_targetILNS1_3genE5ELNS1_11target_archE942ELNS1_3gpuE9ELNS1_3repE0EEENS1_30default_config_static_selectorELNS0_4arch9wavefront6targetE0EEEvT1_.uses_vcc, 0
	.set _ZN7rocprim17ROCPRIM_400000_NS6detail17trampoline_kernelINS0_14default_configENS1_25partition_config_selectorILNS1_17partition_subalgoE8EiNS0_10empty_typeEbEEZZNS1_14partition_implILS5_8ELb0ES3_jPKiPS6_PKS6_NS0_5tupleIJPiS6_EEENSE_IJSB_SB_EEENS0_18inequality_wrapperIN6hipcub16HIPCUB_304000_NS8EqualityEEEPlJS6_EEE10hipError_tPvRmT3_T4_T5_T6_T7_T9_mT8_P12ihipStream_tbDpT10_ENKUlT_T0_E_clISt17integral_constantIbLb0EES16_IbLb1EEEEDaS12_S13_EUlS12_E_NS1_11comp_targetILNS1_3genE5ELNS1_11target_archE942ELNS1_3gpuE9ELNS1_3repE0EEENS1_30default_config_static_selectorELNS0_4arch9wavefront6targetE0EEEvT1_.uses_flat_scratch, 0
	.set _ZN7rocprim17ROCPRIM_400000_NS6detail17trampoline_kernelINS0_14default_configENS1_25partition_config_selectorILNS1_17partition_subalgoE8EiNS0_10empty_typeEbEEZZNS1_14partition_implILS5_8ELb0ES3_jPKiPS6_PKS6_NS0_5tupleIJPiS6_EEENSE_IJSB_SB_EEENS0_18inequality_wrapperIN6hipcub16HIPCUB_304000_NS8EqualityEEEPlJS6_EEE10hipError_tPvRmT3_T4_T5_T6_T7_T9_mT8_P12ihipStream_tbDpT10_ENKUlT_T0_E_clISt17integral_constantIbLb0EES16_IbLb1EEEEDaS12_S13_EUlS12_E_NS1_11comp_targetILNS1_3genE5ELNS1_11target_archE942ELNS1_3gpuE9ELNS1_3repE0EEENS1_30default_config_static_selectorELNS0_4arch9wavefront6targetE0EEEvT1_.has_dyn_sized_stack, 0
	.set _ZN7rocprim17ROCPRIM_400000_NS6detail17trampoline_kernelINS0_14default_configENS1_25partition_config_selectorILNS1_17partition_subalgoE8EiNS0_10empty_typeEbEEZZNS1_14partition_implILS5_8ELb0ES3_jPKiPS6_PKS6_NS0_5tupleIJPiS6_EEENSE_IJSB_SB_EEENS0_18inequality_wrapperIN6hipcub16HIPCUB_304000_NS8EqualityEEEPlJS6_EEE10hipError_tPvRmT3_T4_T5_T6_T7_T9_mT8_P12ihipStream_tbDpT10_ENKUlT_T0_E_clISt17integral_constantIbLb0EES16_IbLb1EEEEDaS12_S13_EUlS12_E_NS1_11comp_targetILNS1_3genE5ELNS1_11target_archE942ELNS1_3gpuE9ELNS1_3repE0EEENS1_30default_config_static_selectorELNS0_4arch9wavefront6targetE0EEEvT1_.has_recursion, 0
	.set _ZN7rocprim17ROCPRIM_400000_NS6detail17trampoline_kernelINS0_14default_configENS1_25partition_config_selectorILNS1_17partition_subalgoE8EiNS0_10empty_typeEbEEZZNS1_14partition_implILS5_8ELb0ES3_jPKiPS6_PKS6_NS0_5tupleIJPiS6_EEENSE_IJSB_SB_EEENS0_18inequality_wrapperIN6hipcub16HIPCUB_304000_NS8EqualityEEEPlJS6_EEE10hipError_tPvRmT3_T4_T5_T6_T7_T9_mT8_P12ihipStream_tbDpT10_ENKUlT_T0_E_clISt17integral_constantIbLb0EES16_IbLb1EEEEDaS12_S13_EUlS12_E_NS1_11comp_targetILNS1_3genE5ELNS1_11target_archE942ELNS1_3gpuE9ELNS1_3repE0EEENS1_30default_config_static_selectorELNS0_4arch9wavefront6targetE0EEEvT1_.has_indirect_call, 0
	.section	.AMDGPU.csdata,"",@progbits
; Kernel info:
; codeLenInByte = 0
; TotalNumSgprs: 0
; NumVgprs: 0
; ScratchSize: 0
; MemoryBound: 0
; FloatMode: 240
; IeeeMode: 1
; LDSByteSize: 0 bytes/workgroup (compile time only)
; SGPRBlocks: 0
; VGPRBlocks: 0
; NumSGPRsForWavesPerEU: 1
; NumVGPRsForWavesPerEU: 1
; NamedBarCnt: 0
; Occupancy: 16
; WaveLimiterHint : 0
; COMPUTE_PGM_RSRC2:SCRATCH_EN: 0
; COMPUTE_PGM_RSRC2:USER_SGPR: 2
; COMPUTE_PGM_RSRC2:TRAP_HANDLER: 0
; COMPUTE_PGM_RSRC2:TGID_X_EN: 1
; COMPUTE_PGM_RSRC2:TGID_Y_EN: 0
; COMPUTE_PGM_RSRC2:TGID_Z_EN: 0
; COMPUTE_PGM_RSRC2:TIDIG_COMP_CNT: 0
	.section	.text._ZN7rocprim17ROCPRIM_400000_NS6detail17trampoline_kernelINS0_14default_configENS1_25partition_config_selectorILNS1_17partition_subalgoE8EiNS0_10empty_typeEbEEZZNS1_14partition_implILS5_8ELb0ES3_jPKiPS6_PKS6_NS0_5tupleIJPiS6_EEENSE_IJSB_SB_EEENS0_18inequality_wrapperIN6hipcub16HIPCUB_304000_NS8EqualityEEEPlJS6_EEE10hipError_tPvRmT3_T4_T5_T6_T7_T9_mT8_P12ihipStream_tbDpT10_ENKUlT_T0_E_clISt17integral_constantIbLb0EES16_IbLb1EEEEDaS12_S13_EUlS12_E_NS1_11comp_targetILNS1_3genE4ELNS1_11target_archE910ELNS1_3gpuE8ELNS1_3repE0EEENS1_30default_config_static_selectorELNS0_4arch9wavefront6targetE0EEEvT1_,"axG",@progbits,_ZN7rocprim17ROCPRIM_400000_NS6detail17trampoline_kernelINS0_14default_configENS1_25partition_config_selectorILNS1_17partition_subalgoE8EiNS0_10empty_typeEbEEZZNS1_14partition_implILS5_8ELb0ES3_jPKiPS6_PKS6_NS0_5tupleIJPiS6_EEENSE_IJSB_SB_EEENS0_18inequality_wrapperIN6hipcub16HIPCUB_304000_NS8EqualityEEEPlJS6_EEE10hipError_tPvRmT3_T4_T5_T6_T7_T9_mT8_P12ihipStream_tbDpT10_ENKUlT_T0_E_clISt17integral_constantIbLb0EES16_IbLb1EEEEDaS12_S13_EUlS12_E_NS1_11comp_targetILNS1_3genE4ELNS1_11target_archE910ELNS1_3gpuE8ELNS1_3repE0EEENS1_30default_config_static_selectorELNS0_4arch9wavefront6targetE0EEEvT1_,comdat
	.protected	_ZN7rocprim17ROCPRIM_400000_NS6detail17trampoline_kernelINS0_14default_configENS1_25partition_config_selectorILNS1_17partition_subalgoE8EiNS0_10empty_typeEbEEZZNS1_14partition_implILS5_8ELb0ES3_jPKiPS6_PKS6_NS0_5tupleIJPiS6_EEENSE_IJSB_SB_EEENS0_18inequality_wrapperIN6hipcub16HIPCUB_304000_NS8EqualityEEEPlJS6_EEE10hipError_tPvRmT3_T4_T5_T6_T7_T9_mT8_P12ihipStream_tbDpT10_ENKUlT_T0_E_clISt17integral_constantIbLb0EES16_IbLb1EEEEDaS12_S13_EUlS12_E_NS1_11comp_targetILNS1_3genE4ELNS1_11target_archE910ELNS1_3gpuE8ELNS1_3repE0EEENS1_30default_config_static_selectorELNS0_4arch9wavefront6targetE0EEEvT1_ ; -- Begin function _ZN7rocprim17ROCPRIM_400000_NS6detail17trampoline_kernelINS0_14default_configENS1_25partition_config_selectorILNS1_17partition_subalgoE8EiNS0_10empty_typeEbEEZZNS1_14partition_implILS5_8ELb0ES3_jPKiPS6_PKS6_NS0_5tupleIJPiS6_EEENSE_IJSB_SB_EEENS0_18inequality_wrapperIN6hipcub16HIPCUB_304000_NS8EqualityEEEPlJS6_EEE10hipError_tPvRmT3_T4_T5_T6_T7_T9_mT8_P12ihipStream_tbDpT10_ENKUlT_T0_E_clISt17integral_constantIbLb0EES16_IbLb1EEEEDaS12_S13_EUlS12_E_NS1_11comp_targetILNS1_3genE4ELNS1_11target_archE910ELNS1_3gpuE8ELNS1_3repE0EEENS1_30default_config_static_selectorELNS0_4arch9wavefront6targetE0EEEvT1_
	.globl	_ZN7rocprim17ROCPRIM_400000_NS6detail17trampoline_kernelINS0_14default_configENS1_25partition_config_selectorILNS1_17partition_subalgoE8EiNS0_10empty_typeEbEEZZNS1_14partition_implILS5_8ELb0ES3_jPKiPS6_PKS6_NS0_5tupleIJPiS6_EEENSE_IJSB_SB_EEENS0_18inequality_wrapperIN6hipcub16HIPCUB_304000_NS8EqualityEEEPlJS6_EEE10hipError_tPvRmT3_T4_T5_T6_T7_T9_mT8_P12ihipStream_tbDpT10_ENKUlT_T0_E_clISt17integral_constantIbLb0EES16_IbLb1EEEEDaS12_S13_EUlS12_E_NS1_11comp_targetILNS1_3genE4ELNS1_11target_archE910ELNS1_3gpuE8ELNS1_3repE0EEENS1_30default_config_static_selectorELNS0_4arch9wavefront6targetE0EEEvT1_
	.p2align	8
	.type	_ZN7rocprim17ROCPRIM_400000_NS6detail17trampoline_kernelINS0_14default_configENS1_25partition_config_selectorILNS1_17partition_subalgoE8EiNS0_10empty_typeEbEEZZNS1_14partition_implILS5_8ELb0ES3_jPKiPS6_PKS6_NS0_5tupleIJPiS6_EEENSE_IJSB_SB_EEENS0_18inequality_wrapperIN6hipcub16HIPCUB_304000_NS8EqualityEEEPlJS6_EEE10hipError_tPvRmT3_T4_T5_T6_T7_T9_mT8_P12ihipStream_tbDpT10_ENKUlT_T0_E_clISt17integral_constantIbLb0EES16_IbLb1EEEEDaS12_S13_EUlS12_E_NS1_11comp_targetILNS1_3genE4ELNS1_11target_archE910ELNS1_3gpuE8ELNS1_3repE0EEENS1_30default_config_static_selectorELNS0_4arch9wavefront6targetE0EEEvT1_,@function
_ZN7rocprim17ROCPRIM_400000_NS6detail17trampoline_kernelINS0_14default_configENS1_25partition_config_selectorILNS1_17partition_subalgoE8EiNS0_10empty_typeEbEEZZNS1_14partition_implILS5_8ELb0ES3_jPKiPS6_PKS6_NS0_5tupleIJPiS6_EEENSE_IJSB_SB_EEENS0_18inequality_wrapperIN6hipcub16HIPCUB_304000_NS8EqualityEEEPlJS6_EEE10hipError_tPvRmT3_T4_T5_T6_T7_T9_mT8_P12ihipStream_tbDpT10_ENKUlT_T0_E_clISt17integral_constantIbLb0EES16_IbLb1EEEEDaS12_S13_EUlS12_E_NS1_11comp_targetILNS1_3genE4ELNS1_11target_archE910ELNS1_3gpuE8ELNS1_3repE0EEENS1_30default_config_static_selectorELNS0_4arch9wavefront6targetE0EEEvT1_: ; @_ZN7rocprim17ROCPRIM_400000_NS6detail17trampoline_kernelINS0_14default_configENS1_25partition_config_selectorILNS1_17partition_subalgoE8EiNS0_10empty_typeEbEEZZNS1_14partition_implILS5_8ELb0ES3_jPKiPS6_PKS6_NS0_5tupleIJPiS6_EEENSE_IJSB_SB_EEENS0_18inequality_wrapperIN6hipcub16HIPCUB_304000_NS8EqualityEEEPlJS6_EEE10hipError_tPvRmT3_T4_T5_T6_T7_T9_mT8_P12ihipStream_tbDpT10_ENKUlT_T0_E_clISt17integral_constantIbLb0EES16_IbLb1EEEEDaS12_S13_EUlS12_E_NS1_11comp_targetILNS1_3genE4ELNS1_11target_archE910ELNS1_3gpuE8ELNS1_3repE0EEENS1_30default_config_static_selectorELNS0_4arch9wavefront6targetE0EEEvT1_
; %bb.0:
	.section	.rodata,"a",@progbits
	.p2align	6, 0x0
	.amdhsa_kernel _ZN7rocprim17ROCPRIM_400000_NS6detail17trampoline_kernelINS0_14default_configENS1_25partition_config_selectorILNS1_17partition_subalgoE8EiNS0_10empty_typeEbEEZZNS1_14partition_implILS5_8ELb0ES3_jPKiPS6_PKS6_NS0_5tupleIJPiS6_EEENSE_IJSB_SB_EEENS0_18inequality_wrapperIN6hipcub16HIPCUB_304000_NS8EqualityEEEPlJS6_EEE10hipError_tPvRmT3_T4_T5_T6_T7_T9_mT8_P12ihipStream_tbDpT10_ENKUlT_T0_E_clISt17integral_constantIbLb0EES16_IbLb1EEEEDaS12_S13_EUlS12_E_NS1_11comp_targetILNS1_3genE4ELNS1_11target_archE910ELNS1_3gpuE8ELNS1_3repE0EEENS1_30default_config_static_selectorELNS0_4arch9wavefront6targetE0EEEvT1_
		.amdhsa_group_segment_fixed_size 0
		.amdhsa_private_segment_fixed_size 0
		.amdhsa_kernarg_size 128
		.amdhsa_user_sgpr_count 2
		.amdhsa_user_sgpr_dispatch_ptr 0
		.amdhsa_user_sgpr_queue_ptr 0
		.amdhsa_user_sgpr_kernarg_segment_ptr 1
		.amdhsa_user_sgpr_dispatch_id 0
		.amdhsa_user_sgpr_kernarg_preload_length 0
		.amdhsa_user_sgpr_kernarg_preload_offset 0
		.amdhsa_user_sgpr_private_segment_size 0
		.amdhsa_wavefront_size32 1
		.amdhsa_uses_dynamic_stack 0
		.amdhsa_enable_private_segment 0
		.amdhsa_system_sgpr_workgroup_id_x 1
		.amdhsa_system_sgpr_workgroup_id_y 0
		.amdhsa_system_sgpr_workgroup_id_z 0
		.amdhsa_system_sgpr_workgroup_info 0
		.amdhsa_system_vgpr_workitem_id 0
		.amdhsa_next_free_vgpr 1
		.amdhsa_next_free_sgpr 1
		.amdhsa_named_barrier_count 0
		.amdhsa_reserve_vcc 0
		.amdhsa_float_round_mode_32 0
		.amdhsa_float_round_mode_16_64 0
		.amdhsa_float_denorm_mode_32 3
		.amdhsa_float_denorm_mode_16_64 3
		.amdhsa_fp16_overflow 0
		.amdhsa_memory_ordered 1
		.amdhsa_forward_progress 1
		.amdhsa_inst_pref_size 0
		.amdhsa_round_robin_scheduling 0
		.amdhsa_exception_fp_ieee_invalid_op 0
		.amdhsa_exception_fp_denorm_src 0
		.amdhsa_exception_fp_ieee_div_zero 0
		.amdhsa_exception_fp_ieee_overflow 0
		.amdhsa_exception_fp_ieee_underflow 0
		.amdhsa_exception_fp_ieee_inexact 0
		.amdhsa_exception_int_div_zero 0
	.end_amdhsa_kernel
	.section	.text._ZN7rocprim17ROCPRIM_400000_NS6detail17trampoline_kernelINS0_14default_configENS1_25partition_config_selectorILNS1_17partition_subalgoE8EiNS0_10empty_typeEbEEZZNS1_14partition_implILS5_8ELb0ES3_jPKiPS6_PKS6_NS0_5tupleIJPiS6_EEENSE_IJSB_SB_EEENS0_18inequality_wrapperIN6hipcub16HIPCUB_304000_NS8EqualityEEEPlJS6_EEE10hipError_tPvRmT3_T4_T5_T6_T7_T9_mT8_P12ihipStream_tbDpT10_ENKUlT_T0_E_clISt17integral_constantIbLb0EES16_IbLb1EEEEDaS12_S13_EUlS12_E_NS1_11comp_targetILNS1_3genE4ELNS1_11target_archE910ELNS1_3gpuE8ELNS1_3repE0EEENS1_30default_config_static_selectorELNS0_4arch9wavefront6targetE0EEEvT1_,"axG",@progbits,_ZN7rocprim17ROCPRIM_400000_NS6detail17trampoline_kernelINS0_14default_configENS1_25partition_config_selectorILNS1_17partition_subalgoE8EiNS0_10empty_typeEbEEZZNS1_14partition_implILS5_8ELb0ES3_jPKiPS6_PKS6_NS0_5tupleIJPiS6_EEENSE_IJSB_SB_EEENS0_18inequality_wrapperIN6hipcub16HIPCUB_304000_NS8EqualityEEEPlJS6_EEE10hipError_tPvRmT3_T4_T5_T6_T7_T9_mT8_P12ihipStream_tbDpT10_ENKUlT_T0_E_clISt17integral_constantIbLb0EES16_IbLb1EEEEDaS12_S13_EUlS12_E_NS1_11comp_targetILNS1_3genE4ELNS1_11target_archE910ELNS1_3gpuE8ELNS1_3repE0EEENS1_30default_config_static_selectorELNS0_4arch9wavefront6targetE0EEEvT1_,comdat
.Lfunc_end436:
	.size	_ZN7rocprim17ROCPRIM_400000_NS6detail17trampoline_kernelINS0_14default_configENS1_25partition_config_selectorILNS1_17partition_subalgoE8EiNS0_10empty_typeEbEEZZNS1_14partition_implILS5_8ELb0ES3_jPKiPS6_PKS6_NS0_5tupleIJPiS6_EEENSE_IJSB_SB_EEENS0_18inequality_wrapperIN6hipcub16HIPCUB_304000_NS8EqualityEEEPlJS6_EEE10hipError_tPvRmT3_T4_T5_T6_T7_T9_mT8_P12ihipStream_tbDpT10_ENKUlT_T0_E_clISt17integral_constantIbLb0EES16_IbLb1EEEEDaS12_S13_EUlS12_E_NS1_11comp_targetILNS1_3genE4ELNS1_11target_archE910ELNS1_3gpuE8ELNS1_3repE0EEENS1_30default_config_static_selectorELNS0_4arch9wavefront6targetE0EEEvT1_, .Lfunc_end436-_ZN7rocprim17ROCPRIM_400000_NS6detail17trampoline_kernelINS0_14default_configENS1_25partition_config_selectorILNS1_17partition_subalgoE8EiNS0_10empty_typeEbEEZZNS1_14partition_implILS5_8ELb0ES3_jPKiPS6_PKS6_NS0_5tupleIJPiS6_EEENSE_IJSB_SB_EEENS0_18inequality_wrapperIN6hipcub16HIPCUB_304000_NS8EqualityEEEPlJS6_EEE10hipError_tPvRmT3_T4_T5_T6_T7_T9_mT8_P12ihipStream_tbDpT10_ENKUlT_T0_E_clISt17integral_constantIbLb0EES16_IbLb1EEEEDaS12_S13_EUlS12_E_NS1_11comp_targetILNS1_3genE4ELNS1_11target_archE910ELNS1_3gpuE8ELNS1_3repE0EEENS1_30default_config_static_selectorELNS0_4arch9wavefront6targetE0EEEvT1_
                                        ; -- End function
	.set _ZN7rocprim17ROCPRIM_400000_NS6detail17trampoline_kernelINS0_14default_configENS1_25partition_config_selectorILNS1_17partition_subalgoE8EiNS0_10empty_typeEbEEZZNS1_14partition_implILS5_8ELb0ES3_jPKiPS6_PKS6_NS0_5tupleIJPiS6_EEENSE_IJSB_SB_EEENS0_18inequality_wrapperIN6hipcub16HIPCUB_304000_NS8EqualityEEEPlJS6_EEE10hipError_tPvRmT3_T4_T5_T6_T7_T9_mT8_P12ihipStream_tbDpT10_ENKUlT_T0_E_clISt17integral_constantIbLb0EES16_IbLb1EEEEDaS12_S13_EUlS12_E_NS1_11comp_targetILNS1_3genE4ELNS1_11target_archE910ELNS1_3gpuE8ELNS1_3repE0EEENS1_30default_config_static_selectorELNS0_4arch9wavefront6targetE0EEEvT1_.num_vgpr, 0
	.set _ZN7rocprim17ROCPRIM_400000_NS6detail17trampoline_kernelINS0_14default_configENS1_25partition_config_selectorILNS1_17partition_subalgoE8EiNS0_10empty_typeEbEEZZNS1_14partition_implILS5_8ELb0ES3_jPKiPS6_PKS6_NS0_5tupleIJPiS6_EEENSE_IJSB_SB_EEENS0_18inequality_wrapperIN6hipcub16HIPCUB_304000_NS8EqualityEEEPlJS6_EEE10hipError_tPvRmT3_T4_T5_T6_T7_T9_mT8_P12ihipStream_tbDpT10_ENKUlT_T0_E_clISt17integral_constantIbLb0EES16_IbLb1EEEEDaS12_S13_EUlS12_E_NS1_11comp_targetILNS1_3genE4ELNS1_11target_archE910ELNS1_3gpuE8ELNS1_3repE0EEENS1_30default_config_static_selectorELNS0_4arch9wavefront6targetE0EEEvT1_.num_agpr, 0
	.set _ZN7rocprim17ROCPRIM_400000_NS6detail17trampoline_kernelINS0_14default_configENS1_25partition_config_selectorILNS1_17partition_subalgoE8EiNS0_10empty_typeEbEEZZNS1_14partition_implILS5_8ELb0ES3_jPKiPS6_PKS6_NS0_5tupleIJPiS6_EEENSE_IJSB_SB_EEENS0_18inequality_wrapperIN6hipcub16HIPCUB_304000_NS8EqualityEEEPlJS6_EEE10hipError_tPvRmT3_T4_T5_T6_T7_T9_mT8_P12ihipStream_tbDpT10_ENKUlT_T0_E_clISt17integral_constantIbLb0EES16_IbLb1EEEEDaS12_S13_EUlS12_E_NS1_11comp_targetILNS1_3genE4ELNS1_11target_archE910ELNS1_3gpuE8ELNS1_3repE0EEENS1_30default_config_static_selectorELNS0_4arch9wavefront6targetE0EEEvT1_.numbered_sgpr, 0
	.set _ZN7rocprim17ROCPRIM_400000_NS6detail17trampoline_kernelINS0_14default_configENS1_25partition_config_selectorILNS1_17partition_subalgoE8EiNS0_10empty_typeEbEEZZNS1_14partition_implILS5_8ELb0ES3_jPKiPS6_PKS6_NS0_5tupleIJPiS6_EEENSE_IJSB_SB_EEENS0_18inequality_wrapperIN6hipcub16HIPCUB_304000_NS8EqualityEEEPlJS6_EEE10hipError_tPvRmT3_T4_T5_T6_T7_T9_mT8_P12ihipStream_tbDpT10_ENKUlT_T0_E_clISt17integral_constantIbLb0EES16_IbLb1EEEEDaS12_S13_EUlS12_E_NS1_11comp_targetILNS1_3genE4ELNS1_11target_archE910ELNS1_3gpuE8ELNS1_3repE0EEENS1_30default_config_static_selectorELNS0_4arch9wavefront6targetE0EEEvT1_.num_named_barrier, 0
	.set _ZN7rocprim17ROCPRIM_400000_NS6detail17trampoline_kernelINS0_14default_configENS1_25partition_config_selectorILNS1_17partition_subalgoE8EiNS0_10empty_typeEbEEZZNS1_14partition_implILS5_8ELb0ES3_jPKiPS6_PKS6_NS0_5tupleIJPiS6_EEENSE_IJSB_SB_EEENS0_18inequality_wrapperIN6hipcub16HIPCUB_304000_NS8EqualityEEEPlJS6_EEE10hipError_tPvRmT3_T4_T5_T6_T7_T9_mT8_P12ihipStream_tbDpT10_ENKUlT_T0_E_clISt17integral_constantIbLb0EES16_IbLb1EEEEDaS12_S13_EUlS12_E_NS1_11comp_targetILNS1_3genE4ELNS1_11target_archE910ELNS1_3gpuE8ELNS1_3repE0EEENS1_30default_config_static_selectorELNS0_4arch9wavefront6targetE0EEEvT1_.private_seg_size, 0
	.set _ZN7rocprim17ROCPRIM_400000_NS6detail17trampoline_kernelINS0_14default_configENS1_25partition_config_selectorILNS1_17partition_subalgoE8EiNS0_10empty_typeEbEEZZNS1_14partition_implILS5_8ELb0ES3_jPKiPS6_PKS6_NS0_5tupleIJPiS6_EEENSE_IJSB_SB_EEENS0_18inequality_wrapperIN6hipcub16HIPCUB_304000_NS8EqualityEEEPlJS6_EEE10hipError_tPvRmT3_T4_T5_T6_T7_T9_mT8_P12ihipStream_tbDpT10_ENKUlT_T0_E_clISt17integral_constantIbLb0EES16_IbLb1EEEEDaS12_S13_EUlS12_E_NS1_11comp_targetILNS1_3genE4ELNS1_11target_archE910ELNS1_3gpuE8ELNS1_3repE0EEENS1_30default_config_static_selectorELNS0_4arch9wavefront6targetE0EEEvT1_.uses_vcc, 0
	.set _ZN7rocprim17ROCPRIM_400000_NS6detail17trampoline_kernelINS0_14default_configENS1_25partition_config_selectorILNS1_17partition_subalgoE8EiNS0_10empty_typeEbEEZZNS1_14partition_implILS5_8ELb0ES3_jPKiPS6_PKS6_NS0_5tupleIJPiS6_EEENSE_IJSB_SB_EEENS0_18inequality_wrapperIN6hipcub16HIPCUB_304000_NS8EqualityEEEPlJS6_EEE10hipError_tPvRmT3_T4_T5_T6_T7_T9_mT8_P12ihipStream_tbDpT10_ENKUlT_T0_E_clISt17integral_constantIbLb0EES16_IbLb1EEEEDaS12_S13_EUlS12_E_NS1_11comp_targetILNS1_3genE4ELNS1_11target_archE910ELNS1_3gpuE8ELNS1_3repE0EEENS1_30default_config_static_selectorELNS0_4arch9wavefront6targetE0EEEvT1_.uses_flat_scratch, 0
	.set _ZN7rocprim17ROCPRIM_400000_NS6detail17trampoline_kernelINS0_14default_configENS1_25partition_config_selectorILNS1_17partition_subalgoE8EiNS0_10empty_typeEbEEZZNS1_14partition_implILS5_8ELb0ES3_jPKiPS6_PKS6_NS0_5tupleIJPiS6_EEENSE_IJSB_SB_EEENS0_18inequality_wrapperIN6hipcub16HIPCUB_304000_NS8EqualityEEEPlJS6_EEE10hipError_tPvRmT3_T4_T5_T6_T7_T9_mT8_P12ihipStream_tbDpT10_ENKUlT_T0_E_clISt17integral_constantIbLb0EES16_IbLb1EEEEDaS12_S13_EUlS12_E_NS1_11comp_targetILNS1_3genE4ELNS1_11target_archE910ELNS1_3gpuE8ELNS1_3repE0EEENS1_30default_config_static_selectorELNS0_4arch9wavefront6targetE0EEEvT1_.has_dyn_sized_stack, 0
	.set _ZN7rocprim17ROCPRIM_400000_NS6detail17trampoline_kernelINS0_14default_configENS1_25partition_config_selectorILNS1_17partition_subalgoE8EiNS0_10empty_typeEbEEZZNS1_14partition_implILS5_8ELb0ES3_jPKiPS6_PKS6_NS0_5tupleIJPiS6_EEENSE_IJSB_SB_EEENS0_18inequality_wrapperIN6hipcub16HIPCUB_304000_NS8EqualityEEEPlJS6_EEE10hipError_tPvRmT3_T4_T5_T6_T7_T9_mT8_P12ihipStream_tbDpT10_ENKUlT_T0_E_clISt17integral_constantIbLb0EES16_IbLb1EEEEDaS12_S13_EUlS12_E_NS1_11comp_targetILNS1_3genE4ELNS1_11target_archE910ELNS1_3gpuE8ELNS1_3repE0EEENS1_30default_config_static_selectorELNS0_4arch9wavefront6targetE0EEEvT1_.has_recursion, 0
	.set _ZN7rocprim17ROCPRIM_400000_NS6detail17trampoline_kernelINS0_14default_configENS1_25partition_config_selectorILNS1_17partition_subalgoE8EiNS0_10empty_typeEbEEZZNS1_14partition_implILS5_8ELb0ES3_jPKiPS6_PKS6_NS0_5tupleIJPiS6_EEENSE_IJSB_SB_EEENS0_18inequality_wrapperIN6hipcub16HIPCUB_304000_NS8EqualityEEEPlJS6_EEE10hipError_tPvRmT3_T4_T5_T6_T7_T9_mT8_P12ihipStream_tbDpT10_ENKUlT_T0_E_clISt17integral_constantIbLb0EES16_IbLb1EEEEDaS12_S13_EUlS12_E_NS1_11comp_targetILNS1_3genE4ELNS1_11target_archE910ELNS1_3gpuE8ELNS1_3repE0EEENS1_30default_config_static_selectorELNS0_4arch9wavefront6targetE0EEEvT1_.has_indirect_call, 0
	.section	.AMDGPU.csdata,"",@progbits
; Kernel info:
; codeLenInByte = 0
; TotalNumSgprs: 0
; NumVgprs: 0
; ScratchSize: 0
; MemoryBound: 0
; FloatMode: 240
; IeeeMode: 1
; LDSByteSize: 0 bytes/workgroup (compile time only)
; SGPRBlocks: 0
; VGPRBlocks: 0
; NumSGPRsForWavesPerEU: 1
; NumVGPRsForWavesPerEU: 1
; NamedBarCnt: 0
; Occupancy: 16
; WaveLimiterHint : 0
; COMPUTE_PGM_RSRC2:SCRATCH_EN: 0
; COMPUTE_PGM_RSRC2:USER_SGPR: 2
; COMPUTE_PGM_RSRC2:TRAP_HANDLER: 0
; COMPUTE_PGM_RSRC2:TGID_X_EN: 1
; COMPUTE_PGM_RSRC2:TGID_Y_EN: 0
; COMPUTE_PGM_RSRC2:TGID_Z_EN: 0
; COMPUTE_PGM_RSRC2:TIDIG_COMP_CNT: 0
	.section	.text._ZN7rocprim17ROCPRIM_400000_NS6detail17trampoline_kernelINS0_14default_configENS1_25partition_config_selectorILNS1_17partition_subalgoE8EiNS0_10empty_typeEbEEZZNS1_14partition_implILS5_8ELb0ES3_jPKiPS6_PKS6_NS0_5tupleIJPiS6_EEENSE_IJSB_SB_EEENS0_18inequality_wrapperIN6hipcub16HIPCUB_304000_NS8EqualityEEEPlJS6_EEE10hipError_tPvRmT3_T4_T5_T6_T7_T9_mT8_P12ihipStream_tbDpT10_ENKUlT_T0_E_clISt17integral_constantIbLb0EES16_IbLb1EEEEDaS12_S13_EUlS12_E_NS1_11comp_targetILNS1_3genE3ELNS1_11target_archE908ELNS1_3gpuE7ELNS1_3repE0EEENS1_30default_config_static_selectorELNS0_4arch9wavefront6targetE0EEEvT1_,"axG",@progbits,_ZN7rocprim17ROCPRIM_400000_NS6detail17trampoline_kernelINS0_14default_configENS1_25partition_config_selectorILNS1_17partition_subalgoE8EiNS0_10empty_typeEbEEZZNS1_14partition_implILS5_8ELb0ES3_jPKiPS6_PKS6_NS0_5tupleIJPiS6_EEENSE_IJSB_SB_EEENS0_18inequality_wrapperIN6hipcub16HIPCUB_304000_NS8EqualityEEEPlJS6_EEE10hipError_tPvRmT3_T4_T5_T6_T7_T9_mT8_P12ihipStream_tbDpT10_ENKUlT_T0_E_clISt17integral_constantIbLb0EES16_IbLb1EEEEDaS12_S13_EUlS12_E_NS1_11comp_targetILNS1_3genE3ELNS1_11target_archE908ELNS1_3gpuE7ELNS1_3repE0EEENS1_30default_config_static_selectorELNS0_4arch9wavefront6targetE0EEEvT1_,comdat
	.protected	_ZN7rocprim17ROCPRIM_400000_NS6detail17trampoline_kernelINS0_14default_configENS1_25partition_config_selectorILNS1_17partition_subalgoE8EiNS0_10empty_typeEbEEZZNS1_14partition_implILS5_8ELb0ES3_jPKiPS6_PKS6_NS0_5tupleIJPiS6_EEENSE_IJSB_SB_EEENS0_18inequality_wrapperIN6hipcub16HIPCUB_304000_NS8EqualityEEEPlJS6_EEE10hipError_tPvRmT3_T4_T5_T6_T7_T9_mT8_P12ihipStream_tbDpT10_ENKUlT_T0_E_clISt17integral_constantIbLb0EES16_IbLb1EEEEDaS12_S13_EUlS12_E_NS1_11comp_targetILNS1_3genE3ELNS1_11target_archE908ELNS1_3gpuE7ELNS1_3repE0EEENS1_30default_config_static_selectorELNS0_4arch9wavefront6targetE0EEEvT1_ ; -- Begin function _ZN7rocprim17ROCPRIM_400000_NS6detail17trampoline_kernelINS0_14default_configENS1_25partition_config_selectorILNS1_17partition_subalgoE8EiNS0_10empty_typeEbEEZZNS1_14partition_implILS5_8ELb0ES3_jPKiPS6_PKS6_NS0_5tupleIJPiS6_EEENSE_IJSB_SB_EEENS0_18inequality_wrapperIN6hipcub16HIPCUB_304000_NS8EqualityEEEPlJS6_EEE10hipError_tPvRmT3_T4_T5_T6_T7_T9_mT8_P12ihipStream_tbDpT10_ENKUlT_T0_E_clISt17integral_constantIbLb0EES16_IbLb1EEEEDaS12_S13_EUlS12_E_NS1_11comp_targetILNS1_3genE3ELNS1_11target_archE908ELNS1_3gpuE7ELNS1_3repE0EEENS1_30default_config_static_selectorELNS0_4arch9wavefront6targetE0EEEvT1_
	.globl	_ZN7rocprim17ROCPRIM_400000_NS6detail17trampoline_kernelINS0_14default_configENS1_25partition_config_selectorILNS1_17partition_subalgoE8EiNS0_10empty_typeEbEEZZNS1_14partition_implILS5_8ELb0ES3_jPKiPS6_PKS6_NS0_5tupleIJPiS6_EEENSE_IJSB_SB_EEENS0_18inequality_wrapperIN6hipcub16HIPCUB_304000_NS8EqualityEEEPlJS6_EEE10hipError_tPvRmT3_T4_T5_T6_T7_T9_mT8_P12ihipStream_tbDpT10_ENKUlT_T0_E_clISt17integral_constantIbLb0EES16_IbLb1EEEEDaS12_S13_EUlS12_E_NS1_11comp_targetILNS1_3genE3ELNS1_11target_archE908ELNS1_3gpuE7ELNS1_3repE0EEENS1_30default_config_static_selectorELNS0_4arch9wavefront6targetE0EEEvT1_
	.p2align	8
	.type	_ZN7rocprim17ROCPRIM_400000_NS6detail17trampoline_kernelINS0_14default_configENS1_25partition_config_selectorILNS1_17partition_subalgoE8EiNS0_10empty_typeEbEEZZNS1_14partition_implILS5_8ELb0ES3_jPKiPS6_PKS6_NS0_5tupleIJPiS6_EEENSE_IJSB_SB_EEENS0_18inequality_wrapperIN6hipcub16HIPCUB_304000_NS8EqualityEEEPlJS6_EEE10hipError_tPvRmT3_T4_T5_T6_T7_T9_mT8_P12ihipStream_tbDpT10_ENKUlT_T0_E_clISt17integral_constantIbLb0EES16_IbLb1EEEEDaS12_S13_EUlS12_E_NS1_11comp_targetILNS1_3genE3ELNS1_11target_archE908ELNS1_3gpuE7ELNS1_3repE0EEENS1_30default_config_static_selectorELNS0_4arch9wavefront6targetE0EEEvT1_,@function
_ZN7rocprim17ROCPRIM_400000_NS6detail17trampoline_kernelINS0_14default_configENS1_25partition_config_selectorILNS1_17partition_subalgoE8EiNS0_10empty_typeEbEEZZNS1_14partition_implILS5_8ELb0ES3_jPKiPS6_PKS6_NS0_5tupleIJPiS6_EEENSE_IJSB_SB_EEENS0_18inequality_wrapperIN6hipcub16HIPCUB_304000_NS8EqualityEEEPlJS6_EEE10hipError_tPvRmT3_T4_T5_T6_T7_T9_mT8_P12ihipStream_tbDpT10_ENKUlT_T0_E_clISt17integral_constantIbLb0EES16_IbLb1EEEEDaS12_S13_EUlS12_E_NS1_11comp_targetILNS1_3genE3ELNS1_11target_archE908ELNS1_3gpuE7ELNS1_3repE0EEENS1_30default_config_static_selectorELNS0_4arch9wavefront6targetE0EEEvT1_: ; @_ZN7rocprim17ROCPRIM_400000_NS6detail17trampoline_kernelINS0_14default_configENS1_25partition_config_selectorILNS1_17partition_subalgoE8EiNS0_10empty_typeEbEEZZNS1_14partition_implILS5_8ELb0ES3_jPKiPS6_PKS6_NS0_5tupleIJPiS6_EEENSE_IJSB_SB_EEENS0_18inequality_wrapperIN6hipcub16HIPCUB_304000_NS8EqualityEEEPlJS6_EEE10hipError_tPvRmT3_T4_T5_T6_T7_T9_mT8_P12ihipStream_tbDpT10_ENKUlT_T0_E_clISt17integral_constantIbLb0EES16_IbLb1EEEEDaS12_S13_EUlS12_E_NS1_11comp_targetILNS1_3genE3ELNS1_11target_archE908ELNS1_3gpuE7ELNS1_3repE0EEENS1_30default_config_static_selectorELNS0_4arch9wavefront6targetE0EEEvT1_
; %bb.0:
	.section	.rodata,"a",@progbits
	.p2align	6, 0x0
	.amdhsa_kernel _ZN7rocprim17ROCPRIM_400000_NS6detail17trampoline_kernelINS0_14default_configENS1_25partition_config_selectorILNS1_17partition_subalgoE8EiNS0_10empty_typeEbEEZZNS1_14partition_implILS5_8ELb0ES3_jPKiPS6_PKS6_NS0_5tupleIJPiS6_EEENSE_IJSB_SB_EEENS0_18inequality_wrapperIN6hipcub16HIPCUB_304000_NS8EqualityEEEPlJS6_EEE10hipError_tPvRmT3_T4_T5_T6_T7_T9_mT8_P12ihipStream_tbDpT10_ENKUlT_T0_E_clISt17integral_constantIbLb0EES16_IbLb1EEEEDaS12_S13_EUlS12_E_NS1_11comp_targetILNS1_3genE3ELNS1_11target_archE908ELNS1_3gpuE7ELNS1_3repE0EEENS1_30default_config_static_selectorELNS0_4arch9wavefront6targetE0EEEvT1_
		.amdhsa_group_segment_fixed_size 0
		.amdhsa_private_segment_fixed_size 0
		.amdhsa_kernarg_size 128
		.amdhsa_user_sgpr_count 2
		.amdhsa_user_sgpr_dispatch_ptr 0
		.amdhsa_user_sgpr_queue_ptr 0
		.amdhsa_user_sgpr_kernarg_segment_ptr 1
		.amdhsa_user_sgpr_dispatch_id 0
		.amdhsa_user_sgpr_kernarg_preload_length 0
		.amdhsa_user_sgpr_kernarg_preload_offset 0
		.amdhsa_user_sgpr_private_segment_size 0
		.amdhsa_wavefront_size32 1
		.amdhsa_uses_dynamic_stack 0
		.amdhsa_enable_private_segment 0
		.amdhsa_system_sgpr_workgroup_id_x 1
		.amdhsa_system_sgpr_workgroup_id_y 0
		.amdhsa_system_sgpr_workgroup_id_z 0
		.amdhsa_system_sgpr_workgroup_info 0
		.amdhsa_system_vgpr_workitem_id 0
		.amdhsa_next_free_vgpr 1
		.amdhsa_next_free_sgpr 1
		.amdhsa_named_barrier_count 0
		.amdhsa_reserve_vcc 0
		.amdhsa_float_round_mode_32 0
		.amdhsa_float_round_mode_16_64 0
		.amdhsa_float_denorm_mode_32 3
		.amdhsa_float_denorm_mode_16_64 3
		.amdhsa_fp16_overflow 0
		.amdhsa_memory_ordered 1
		.amdhsa_forward_progress 1
		.amdhsa_inst_pref_size 0
		.amdhsa_round_robin_scheduling 0
		.amdhsa_exception_fp_ieee_invalid_op 0
		.amdhsa_exception_fp_denorm_src 0
		.amdhsa_exception_fp_ieee_div_zero 0
		.amdhsa_exception_fp_ieee_overflow 0
		.amdhsa_exception_fp_ieee_underflow 0
		.amdhsa_exception_fp_ieee_inexact 0
		.amdhsa_exception_int_div_zero 0
	.end_amdhsa_kernel
	.section	.text._ZN7rocprim17ROCPRIM_400000_NS6detail17trampoline_kernelINS0_14default_configENS1_25partition_config_selectorILNS1_17partition_subalgoE8EiNS0_10empty_typeEbEEZZNS1_14partition_implILS5_8ELb0ES3_jPKiPS6_PKS6_NS0_5tupleIJPiS6_EEENSE_IJSB_SB_EEENS0_18inequality_wrapperIN6hipcub16HIPCUB_304000_NS8EqualityEEEPlJS6_EEE10hipError_tPvRmT3_T4_T5_T6_T7_T9_mT8_P12ihipStream_tbDpT10_ENKUlT_T0_E_clISt17integral_constantIbLb0EES16_IbLb1EEEEDaS12_S13_EUlS12_E_NS1_11comp_targetILNS1_3genE3ELNS1_11target_archE908ELNS1_3gpuE7ELNS1_3repE0EEENS1_30default_config_static_selectorELNS0_4arch9wavefront6targetE0EEEvT1_,"axG",@progbits,_ZN7rocprim17ROCPRIM_400000_NS6detail17trampoline_kernelINS0_14default_configENS1_25partition_config_selectorILNS1_17partition_subalgoE8EiNS0_10empty_typeEbEEZZNS1_14partition_implILS5_8ELb0ES3_jPKiPS6_PKS6_NS0_5tupleIJPiS6_EEENSE_IJSB_SB_EEENS0_18inequality_wrapperIN6hipcub16HIPCUB_304000_NS8EqualityEEEPlJS6_EEE10hipError_tPvRmT3_T4_T5_T6_T7_T9_mT8_P12ihipStream_tbDpT10_ENKUlT_T0_E_clISt17integral_constantIbLb0EES16_IbLb1EEEEDaS12_S13_EUlS12_E_NS1_11comp_targetILNS1_3genE3ELNS1_11target_archE908ELNS1_3gpuE7ELNS1_3repE0EEENS1_30default_config_static_selectorELNS0_4arch9wavefront6targetE0EEEvT1_,comdat
.Lfunc_end437:
	.size	_ZN7rocprim17ROCPRIM_400000_NS6detail17trampoline_kernelINS0_14default_configENS1_25partition_config_selectorILNS1_17partition_subalgoE8EiNS0_10empty_typeEbEEZZNS1_14partition_implILS5_8ELb0ES3_jPKiPS6_PKS6_NS0_5tupleIJPiS6_EEENSE_IJSB_SB_EEENS0_18inequality_wrapperIN6hipcub16HIPCUB_304000_NS8EqualityEEEPlJS6_EEE10hipError_tPvRmT3_T4_T5_T6_T7_T9_mT8_P12ihipStream_tbDpT10_ENKUlT_T0_E_clISt17integral_constantIbLb0EES16_IbLb1EEEEDaS12_S13_EUlS12_E_NS1_11comp_targetILNS1_3genE3ELNS1_11target_archE908ELNS1_3gpuE7ELNS1_3repE0EEENS1_30default_config_static_selectorELNS0_4arch9wavefront6targetE0EEEvT1_, .Lfunc_end437-_ZN7rocprim17ROCPRIM_400000_NS6detail17trampoline_kernelINS0_14default_configENS1_25partition_config_selectorILNS1_17partition_subalgoE8EiNS0_10empty_typeEbEEZZNS1_14partition_implILS5_8ELb0ES3_jPKiPS6_PKS6_NS0_5tupleIJPiS6_EEENSE_IJSB_SB_EEENS0_18inequality_wrapperIN6hipcub16HIPCUB_304000_NS8EqualityEEEPlJS6_EEE10hipError_tPvRmT3_T4_T5_T6_T7_T9_mT8_P12ihipStream_tbDpT10_ENKUlT_T0_E_clISt17integral_constantIbLb0EES16_IbLb1EEEEDaS12_S13_EUlS12_E_NS1_11comp_targetILNS1_3genE3ELNS1_11target_archE908ELNS1_3gpuE7ELNS1_3repE0EEENS1_30default_config_static_selectorELNS0_4arch9wavefront6targetE0EEEvT1_
                                        ; -- End function
	.set _ZN7rocprim17ROCPRIM_400000_NS6detail17trampoline_kernelINS0_14default_configENS1_25partition_config_selectorILNS1_17partition_subalgoE8EiNS0_10empty_typeEbEEZZNS1_14partition_implILS5_8ELb0ES3_jPKiPS6_PKS6_NS0_5tupleIJPiS6_EEENSE_IJSB_SB_EEENS0_18inequality_wrapperIN6hipcub16HIPCUB_304000_NS8EqualityEEEPlJS6_EEE10hipError_tPvRmT3_T4_T5_T6_T7_T9_mT8_P12ihipStream_tbDpT10_ENKUlT_T0_E_clISt17integral_constantIbLb0EES16_IbLb1EEEEDaS12_S13_EUlS12_E_NS1_11comp_targetILNS1_3genE3ELNS1_11target_archE908ELNS1_3gpuE7ELNS1_3repE0EEENS1_30default_config_static_selectorELNS0_4arch9wavefront6targetE0EEEvT1_.num_vgpr, 0
	.set _ZN7rocprim17ROCPRIM_400000_NS6detail17trampoline_kernelINS0_14default_configENS1_25partition_config_selectorILNS1_17partition_subalgoE8EiNS0_10empty_typeEbEEZZNS1_14partition_implILS5_8ELb0ES3_jPKiPS6_PKS6_NS0_5tupleIJPiS6_EEENSE_IJSB_SB_EEENS0_18inequality_wrapperIN6hipcub16HIPCUB_304000_NS8EqualityEEEPlJS6_EEE10hipError_tPvRmT3_T4_T5_T6_T7_T9_mT8_P12ihipStream_tbDpT10_ENKUlT_T0_E_clISt17integral_constantIbLb0EES16_IbLb1EEEEDaS12_S13_EUlS12_E_NS1_11comp_targetILNS1_3genE3ELNS1_11target_archE908ELNS1_3gpuE7ELNS1_3repE0EEENS1_30default_config_static_selectorELNS0_4arch9wavefront6targetE0EEEvT1_.num_agpr, 0
	.set _ZN7rocprim17ROCPRIM_400000_NS6detail17trampoline_kernelINS0_14default_configENS1_25partition_config_selectorILNS1_17partition_subalgoE8EiNS0_10empty_typeEbEEZZNS1_14partition_implILS5_8ELb0ES3_jPKiPS6_PKS6_NS0_5tupleIJPiS6_EEENSE_IJSB_SB_EEENS0_18inequality_wrapperIN6hipcub16HIPCUB_304000_NS8EqualityEEEPlJS6_EEE10hipError_tPvRmT3_T4_T5_T6_T7_T9_mT8_P12ihipStream_tbDpT10_ENKUlT_T0_E_clISt17integral_constantIbLb0EES16_IbLb1EEEEDaS12_S13_EUlS12_E_NS1_11comp_targetILNS1_3genE3ELNS1_11target_archE908ELNS1_3gpuE7ELNS1_3repE0EEENS1_30default_config_static_selectorELNS0_4arch9wavefront6targetE0EEEvT1_.numbered_sgpr, 0
	.set _ZN7rocprim17ROCPRIM_400000_NS6detail17trampoline_kernelINS0_14default_configENS1_25partition_config_selectorILNS1_17partition_subalgoE8EiNS0_10empty_typeEbEEZZNS1_14partition_implILS5_8ELb0ES3_jPKiPS6_PKS6_NS0_5tupleIJPiS6_EEENSE_IJSB_SB_EEENS0_18inequality_wrapperIN6hipcub16HIPCUB_304000_NS8EqualityEEEPlJS6_EEE10hipError_tPvRmT3_T4_T5_T6_T7_T9_mT8_P12ihipStream_tbDpT10_ENKUlT_T0_E_clISt17integral_constantIbLb0EES16_IbLb1EEEEDaS12_S13_EUlS12_E_NS1_11comp_targetILNS1_3genE3ELNS1_11target_archE908ELNS1_3gpuE7ELNS1_3repE0EEENS1_30default_config_static_selectorELNS0_4arch9wavefront6targetE0EEEvT1_.num_named_barrier, 0
	.set _ZN7rocprim17ROCPRIM_400000_NS6detail17trampoline_kernelINS0_14default_configENS1_25partition_config_selectorILNS1_17partition_subalgoE8EiNS0_10empty_typeEbEEZZNS1_14partition_implILS5_8ELb0ES3_jPKiPS6_PKS6_NS0_5tupleIJPiS6_EEENSE_IJSB_SB_EEENS0_18inequality_wrapperIN6hipcub16HIPCUB_304000_NS8EqualityEEEPlJS6_EEE10hipError_tPvRmT3_T4_T5_T6_T7_T9_mT8_P12ihipStream_tbDpT10_ENKUlT_T0_E_clISt17integral_constantIbLb0EES16_IbLb1EEEEDaS12_S13_EUlS12_E_NS1_11comp_targetILNS1_3genE3ELNS1_11target_archE908ELNS1_3gpuE7ELNS1_3repE0EEENS1_30default_config_static_selectorELNS0_4arch9wavefront6targetE0EEEvT1_.private_seg_size, 0
	.set _ZN7rocprim17ROCPRIM_400000_NS6detail17trampoline_kernelINS0_14default_configENS1_25partition_config_selectorILNS1_17partition_subalgoE8EiNS0_10empty_typeEbEEZZNS1_14partition_implILS5_8ELb0ES3_jPKiPS6_PKS6_NS0_5tupleIJPiS6_EEENSE_IJSB_SB_EEENS0_18inequality_wrapperIN6hipcub16HIPCUB_304000_NS8EqualityEEEPlJS6_EEE10hipError_tPvRmT3_T4_T5_T6_T7_T9_mT8_P12ihipStream_tbDpT10_ENKUlT_T0_E_clISt17integral_constantIbLb0EES16_IbLb1EEEEDaS12_S13_EUlS12_E_NS1_11comp_targetILNS1_3genE3ELNS1_11target_archE908ELNS1_3gpuE7ELNS1_3repE0EEENS1_30default_config_static_selectorELNS0_4arch9wavefront6targetE0EEEvT1_.uses_vcc, 0
	.set _ZN7rocprim17ROCPRIM_400000_NS6detail17trampoline_kernelINS0_14default_configENS1_25partition_config_selectorILNS1_17partition_subalgoE8EiNS0_10empty_typeEbEEZZNS1_14partition_implILS5_8ELb0ES3_jPKiPS6_PKS6_NS0_5tupleIJPiS6_EEENSE_IJSB_SB_EEENS0_18inequality_wrapperIN6hipcub16HIPCUB_304000_NS8EqualityEEEPlJS6_EEE10hipError_tPvRmT3_T4_T5_T6_T7_T9_mT8_P12ihipStream_tbDpT10_ENKUlT_T0_E_clISt17integral_constantIbLb0EES16_IbLb1EEEEDaS12_S13_EUlS12_E_NS1_11comp_targetILNS1_3genE3ELNS1_11target_archE908ELNS1_3gpuE7ELNS1_3repE0EEENS1_30default_config_static_selectorELNS0_4arch9wavefront6targetE0EEEvT1_.uses_flat_scratch, 0
	.set _ZN7rocprim17ROCPRIM_400000_NS6detail17trampoline_kernelINS0_14default_configENS1_25partition_config_selectorILNS1_17partition_subalgoE8EiNS0_10empty_typeEbEEZZNS1_14partition_implILS5_8ELb0ES3_jPKiPS6_PKS6_NS0_5tupleIJPiS6_EEENSE_IJSB_SB_EEENS0_18inequality_wrapperIN6hipcub16HIPCUB_304000_NS8EqualityEEEPlJS6_EEE10hipError_tPvRmT3_T4_T5_T6_T7_T9_mT8_P12ihipStream_tbDpT10_ENKUlT_T0_E_clISt17integral_constantIbLb0EES16_IbLb1EEEEDaS12_S13_EUlS12_E_NS1_11comp_targetILNS1_3genE3ELNS1_11target_archE908ELNS1_3gpuE7ELNS1_3repE0EEENS1_30default_config_static_selectorELNS0_4arch9wavefront6targetE0EEEvT1_.has_dyn_sized_stack, 0
	.set _ZN7rocprim17ROCPRIM_400000_NS6detail17trampoline_kernelINS0_14default_configENS1_25partition_config_selectorILNS1_17partition_subalgoE8EiNS0_10empty_typeEbEEZZNS1_14partition_implILS5_8ELb0ES3_jPKiPS6_PKS6_NS0_5tupleIJPiS6_EEENSE_IJSB_SB_EEENS0_18inequality_wrapperIN6hipcub16HIPCUB_304000_NS8EqualityEEEPlJS6_EEE10hipError_tPvRmT3_T4_T5_T6_T7_T9_mT8_P12ihipStream_tbDpT10_ENKUlT_T0_E_clISt17integral_constantIbLb0EES16_IbLb1EEEEDaS12_S13_EUlS12_E_NS1_11comp_targetILNS1_3genE3ELNS1_11target_archE908ELNS1_3gpuE7ELNS1_3repE0EEENS1_30default_config_static_selectorELNS0_4arch9wavefront6targetE0EEEvT1_.has_recursion, 0
	.set _ZN7rocprim17ROCPRIM_400000_NS6detail17trampoline_kernelINS0_14default_configENS1_25partition_config_selectorILNS1_17partition_subalgoE8EiNS0_10empty_typeEbEEZZNS1_14partition_implILS5_8ELb0ES3_jPKiPS6_PKS6_NS0_5tupleIJPiS6_EEENSE_IJSB_SB_EEENS0_18inequality_wrapperIN6hipcub16HIPCUB_304000_NS8EqualityEEEPlJS6_EEE10hipError_tPvRmT3_T4_T5_T6_T7_T9_mT8_P12ihipStream_tbDpT10_ENKUlT_T0_E_clISt17integral_constantIbLb0EES16_IbLb1EEEEDaS12_S13_EUlS12_E_NS1_11comp_targetILNS1_3genE3ELNS1_11target_archE908ELNS1_3gpuE7ELNS1_3repE0EEENS1_30default_config_static_selectorELNS0_4arch9wavefront6targetE0EEEvT1_.has_indirect_call, 0
	.section	.AMDGPU.csdata,"",@progbits
; Kernel info:
; codeLenInByte = 0
; TotalNumSgprs: 0
; NumVgprs: 0
; ScratchSize: 0
; MemoryBound: 0
; FloatMode: 240
; IeeeMode: 1
; LDSByteSize: 0 bytes/workgroup (compile time only)
; SGPRBlocks: 0
; VGPRBlocks: 0
; NumSGPRsForWavesPerEU: 1
; NumVGPRsForWavesPerEU: 1
; NamedBarCnt: 0
; Occupancy: 16
; WaveLimiterHint : 0
; COMPUTE_PGM_RSRC2:SCRATCH_EN: 0
; COMPUTE_PGM_RSRC2:USER_SGPR: 2
; COMPUTE_PGM_RSRC2:TRAP_HANDLER: 0
; COMPUTE_PGM_RSRC2:TGID_X_EN: 1
; COMPUTE_PGM_RSRC2:TGID_Y_EN: 0
; COMPUTE_PGM_RSRC2:TGID_Z_EN: 0
; COMPUTE_PGM_RSRC2:TIDIG_COMP_CNT: 0
	.section	.text._ZN7rocprim17ROCPRIM_400000_NS6detail17trampoline_kernelINS0_14default_configENS1_25partition_config_selectorILNS1_17partition_subalgoE8EiNS0_10empty_typeEbEEZZNS1_14partition_implILS5_8ELb0ES3_jPKiPS6_PKS6_NS0_5tupleIJPiS6_EEENSE_IJSB_SB_EEENS0_18inequality_wrapperIN6hipcub16HIPCUB_304000_NS8EqualityEEEPlJS6_EEE10hipError_tPvRmT3_T4_T5_T6_T7_T9_mT8_P12ihipStream_tbDpT10_ENKUlT_T0_E_clISt17integral_constantIbLb0EES16_IbLb1EEEEDaS12_S13_EUlS12_E_NS1_11comp_targetILNS1_3genE2ELNS1_11target_archE906ELNS1_3gpuE6ELNS1_3repE0EEENS1_30default_config_static_selectorELNS0_4arch9wavefront6targetE0EEEvT1_,"axG",@progbits,_ZN7rocprim17ROCPRIM_400000_NS6detail17trampoline_kernelINS0_14default_configENS1_25partition_config_selectorILNS1_17partition_subalgoE8EiNS0_10empty_typeEbEEZZNS1_14partition_implILS5_8ELb0ES3_jPKiPS6_PKS6_NS0_5tupleIJPiS6_EEENSE_IJSB_SB_EEENS0_18inequality_wrapperIN6hipcub16HIPCUB_304000_NS8EqualityEEEPlJS6_EEE10hipError_tPvRmT3_T4_T5_T6_T7_T9_mT8_P12ihipStream_tbDpT10_ENKUlT_T0_E_clISt17integral_constantIbLb0EES16_IbLb1EEEEDaS12_S13_EUlS12_E_NS1_11comp_targetILNS1_3genE2ELNS1_11target_archE906ELNS1_3gpuE6ELNS1_3repE0EEENS1_30default_config_static_selectorELNS0_4arch9wavefront6targetE0EEEvT1_,comdat
	.protected	_ZN7rocprim17ROCPRIM_400000_NS6detail17trampoline_kernelINS0_14default_configENS1_25partition_config_selectorILNS1_17partition_subalgoE8EiNS0_10empty_typeEbEEZZNS1_14partition_implILS5_8ELb0ES3_jPKiPS6_PKS6_NS0_5tupleIJPiS6_EEENSE_IJSB_SB_EEENS0_18inequality_wrapperIN6hipcub16HIPCUB_304000_NS8EqualityEEEPlJS6_EEE10hipError_tPvRmT3_T4_T5_T6_T7_T9_mT8_P12ihipStream_tbDpT10_ENKUlT_T0_E_clISt17integral_constantIbLb0EES16_IbLb1EEEEDaS12_S13_EUlS12_E_NS1_11comp_targetILNS1_3genE2ELNS1_11target_archE906ELNS1_3gpuE6ELNS1_3repE0EEENS1_30default_config_static_selectorELNS0_4arch9wavefront6targetE0EEEvT1_ ; -- Begin function _ZN7rocprim17ROCPRIM_400000_NS6detail17trampoline_kernelINS0_14default_configENS1_25partition_config_selectorILNS1_17partition_subalgoE8EiNS0_10empty_typeEbEEZZNS1_14partition_implILS5_8ELb0ES3_jPKiPS6_PKS6_NS0_5tupleIJPiS6_EEENSE_IJSB_SB_EEENS0_18inequality_wrapperIN6hipcub16HIPCUB_304000_NS8EqualityEEEPlJS6_EEE10hipError_tPvRmT3_T4_T5_T6_T7_T9_mT8_P12ihipStream_tbDpT10_ENKUlT_T0_E_clISt17integral_constantIbLb0EES16_IbLb1EEEEDaS12_S13_EUlS12_E_NS1_11comp_targetILNS1_3genE2ELNS1_11target_archE906ELNS1_3gpuE6ELNS1_3repE0EEENS1_30default_config_static_selectorELNS0_4arch9wavefront6targetE0EEEvT1_
	.globl	_ZN7rocprim17ROCPRIM_400000_NS6detail17trampoline_kernelINS0_14default_configENS1_25partition_config_selectorILNS1_17partition_subalgoE8EiNS0_10empty_typeEbEEZZNS1_14partition_implILS5_8ELb0ES3_jPKiPS6_PKS6_NS0_5tupleIJPiS6_EEENSE_IJSB_SB_EEENS0_18inequality_wrapperIN6hipcub16HIPCUB_304000_NS8EqualityEEEPlJS6_EEE10hipError_tPvRmT3_T4_T5_T6_T7_T9_mT8_P12ihipStream_tbDpT10_ENKUlT_T0_E_clISt17integral_constantIbLb0EES16_IbLb1EEEEDaS12_S13_EUlS12_E_NS1_11comp_targetILNS1_3genE2ELNS1_11target_archE906ELNS1_3gpuE6ELNS1_3repE0EEENS1_30default_config_static_selectorELNS0_4arch9wavefront6targetE0EEEvT1_
	.p2align	8
	.type	_ZN7rocprim17ROCPRIM_400000_NS6detail17trampoline_kernelINS0_14default_configENS1_25partition_config_selectorILNS1_17partition_subalgoE8EiNS0_10empty_typeEbEEZZNS1_14partition_implILS5_8ELb0ES3_jPKiPS6_PKS6_NS0_5tupleIJPiS6_EEENSE_IJSB_SB_EEENS0_18inequality_wrapperIN6hipcub16HIPCUB_304000_NS8EqualityEEEPlJS6_EEE10hipError_tPvRmT3_T4_T5_T6_T7_T9_mT8_P12ihipStream_tbDpT10_ENKUlT_T0_E_clISt17integral_constantIbLb0EES16_IbLb1EEEEDaS12_S13_EUlS12_E_NS1_11comp_targetILNS1_3genE2ELNS1_11target_archE906ELNS1_3gpuE6ELNS1_3repE0EEENS1_30default_config_static_selectorELNS0_4arch9wavefront6targetE0EEEvT1_,@function
_ZN7rocprim17ROCPRIM_400000_NS6detail17trampoline_kernelINS0_14default_configENS1_25partition_config_selectorILNS1_17partition_subalgoE8EiNS0_10empty_typeEbEEZZNS1_14partition_implILS5_8ELb0ES3_jPKiPS6_PKS6_NS0_5tupleIJPiS6_EEENSE_IJSB_SB_EEENS0_18inequality_wrapperIN6hipcub16HIPCUB_304000_NS8EqualityEEEPlJS6_EEE10hipError_tPvRmT3_T4_T5_T6_T7_T9_mT8_P12ihipStream_tbDpT10_ENKUlT_T0_E_clISt17integral_constantIbLb0EES16_IbLb1EEEEDaS12_S13_EUlS12_E_NS1_11comp_targetILNS1_3genE2ELNS1_11target_archE906ELNS1_3gpuE6ELNS1_3repE0EEENS1_30default_config_static_selectorELNS0_4arch9wavefront6targetE0EEEvT1_: ; @_ZN7rocprim17ROCPRIM_400000_NS6detail17trampoline_kernelINS0_14default_configENS1_25partition_config_selectorILNS1_17partition_subalgoE8EiNS0_10empty_typeEbEEZZNS1_14partition_implILS5_8ELb0ES3_jPKiPS6_PKS6_NS0_5tupleIJPiS6_EEENSE_IJSB_SB_EEENS0_18inequality_wrapperIN6hipcub16HIPCUB_304000_NS8EqualityEEEPlJS6_EEE10hipError_tPvRmT3_T4_T5_T6_T7_T9_mT8_P12ihipStream_tbDpT10_ENKUlT_T0_E_clISt17integral_constantIbLb0EES16_IbLb1EEEEDaS12_S13_EUlS12_E_NS1_11comp_targetILNS1_3genE2ELNS1_11target_archE906ELNS1_3gpuE6ELNS1_3repE0EEENS1_30default_config_static_selectorELNS0_4arch9wavefront6targetE0EEEvT1_
; %bb.0:
	.section	.rodata,"a",@progbits
	.p2align	6, 0x0
	.amdhsa_kernel _ZN7rocprim17ROCPRIM_400000_NS6detail17trampoline_kernelINS0_14default_configENS1_25partition_config_selectorILNS1_17partition_subalgoE8EiNS0_10empty_typeEbEEZZNS1_14partition_implILS5_8ELb0ES3_jPKiPS6_PKS6_NS0_5tupleIJPiS6_EEENSE_IJSB_SB_EEENS0_18inequality_wrapperIN6hipcub16HIPCUB_304000_NS8EqualityEEEPlJS6_EEE10hipError_tPvRmT3_T4_T5_T6_T7_T9_mT8_P12ihipStream_tbDpT10_ENKUlT_T0_E_clISt17integral_constantIbLb0EES16_IbLb1EEEEDaS12_S13_EUlS12_E_NS1_11comp_targetILNS1_3genE2ELNS1_11target_archE906ELNS1_3gpuE6ELNS1_3repE0EEENS1_30default_config_static_selectorELNS0_4arch9wavefront6targetE0EEEvT1_
		.amdhsa_group_segment_fixed_size 0
		.amdhsa_private_segment_fixed_size 0
		.amdhsa_kernarg_size 128
		.amdhsa_user_sgpr_count 2
		.amdhsa_user_sgpr_dispatch_ptr 0
		.amdhsa_user_sgpr_queue_ptr 0
		.amdhsa_user_sgpr_kernarg_segment_ptr 1
		.amdhsa_user_sgpr_dispatch_id 0
		.amdhsa_user_sgpr_kernarg_preload_length 0
		.amdhsa_user_sgpr_kernarg_preload_offset 0
		.amdhsa_user_sgpr_private_segment_size 0
		.amdhsa_wavefront_size32 1
		.amdhsa_uses_dynamic_stack 0
		.amdhsa_enable_private_segment 0
		.amdhsa_system_sgpr_workgroup_id_x 1
		.amdhsa_system_sgpr_workgroup_id_y 0
		.amdhsa_system_sgpr_workgroup_id_z 0
		.amdhsa_system_sgpr_workgroup_info 0
		.amdhsa_system_vgpr_workitem_id 0
		.amdhsa_next_free_vgpr 1
		.amdhsa_next_free_sgpr 1
		.amdhsa_named_barrier_count 0
		.amdhsa_reserve_vcc 0
		.amdhsa_float_round_mode_32 0
		.amdhsa_float_round_mode_16_64 0
		.amdhsa_float_denorm_mode_32 3
		.amdhsa_float_denorm_mode_16_64 3
		.amdhsa_fp16_overflow 0
		.amdhsa_memory_ordered 1
		.amdhsa_forward_progress 1
		.amdhsa_inst_pref_size 0
		.amdhsa_round_robin_scheduling 0
		.amdhsa_exception_fp_ieee_invalid_op 0
		.amdhsa_exception_fp_denorm_src 0
		.amdhsa_exception_fp_ieee_div_zero 0
		.amdhsa_exception_fp_ieee_overflow 0
		.amdhsa_exception_fp_ieee_underflow 0
		.amdhsa_exception_fp_ieee_inexact 0
		.amdhsa_exception_int_div_zero 0
	.end_amdhsa_kernel
	.section	.text._ZN7rocprim17ROCPRIM_400000_NS6detail17trampoline_kernelINS0_14default_configENS1_25partition_config_selectorILNS1_17partition_subalgoE8EiNS0_10empty_typeEbEEZZNS1_14partition_implILS5_8ELb0ES3_jPKiPS6_PKS6_NS0_5tupleIJPiS6_EEENSE_IJSB_SB_EEENS0_18inequality_wrapperIN6hipcub16HIPCUB_304000_NS8EqualityEEEPlJS6_EEE10hipError_tPvRmT3_T4_T5_T6_T7_T9_mT8_P12ihipStream_tbDpT10_ENKUlT_T0_E_clISt17integral_constantIbLb0EES16_IbLb1EEEEDaS12_S13_EUlS12_E_NS1_11comp_targetILNS1_3genE2ELNS1_11target_archE906ELNS1_3gpuE6ELNS1_3repE0EEENS1_30default_config_static_selectorELNS0_4arch9wavefront6targetE0EEEvT1_,"axG",@progbits,_ZN7rocprim17ROCPRIM_400000_NS6detail17trampoline_kernelINS0_14default_configENS1_25partition_config_selectorILNS1_17partition_subalgoE8EiNS0_10empty_typeEbEEZZNS1_14partition_implILS5_8ELb0ES3_jPKiPS6_PKS6_NS0_5tupleIJPiS6_EEENSE_IJSB_SB_EEENS0_18inequality_wrapperIN6hipcub16HIPCUB_304000_NS8EqualityEEEPlJS6_EEE10hipError_tPvRmT3_T4_T5_T6_T7_T9_mT8_P12ihipStream_tbDpT10_ENKUlT_T0_E_clISt17integral_constantIbLb0EES16_IbLb1EEEEDaS12_S13_EUlS12_E_NS1_11comp_targetILNS1_3genE2ELNS1_11target_archE906ELNS1_3gpuE6ELNS1_3repE0EEENS1_30default_config_static_selectorELNS0_4arch9wavefront6targetE0EEEvT1_,comdat
.Lfunc_end438:
	.size	_ZN7rocprim17ROCPRIM_400000_NS6detail17trampoline_kernelINS0_14default_configENS1_25partition_config_selectorILNS1_17partition_subalgoE8EiNS0_10empty_typeEbEEZZNS1_14partition_implILS5_8ELb0ES3_jPKiPS6_PKS6_NS0_5tupleIJPiS6_EEENSE_IJSB_SB_EEENS0_18inequality_wrapperIN6hipcub16HIPCUB_304000_NS8EqualityEEEPlJS6_EEE10hipError_tPvRmT3_T4_T5_T6_T7_T9_mT8_P12ihipStream_tbDpT10_ENKUlT_T0_E_clISt17integral_constantIbLb0EES16_IbLb1EEEEDaS12_S13_EUlS12_E_NS1_11comp_targetILNS1_3genE2ELNS1_11target_archE906ELNS1_3gpuE6ELNS1_3repE0EEENS1_30default_config_static_selectorELNS0_4arch9wavefront6targetE0EEEvT1_, .Lfunc_end438-_ZN7rocprim17ROCPRIM_400000_NS6detail17trampoline_kernelINS0_14default_configENS1_25partition_config_selectorILNS1_17partition_subalgoE8EiNS0_10empty_typeEbEEZZNS1_14partition_implILS5_8ELb0ES3_jPKiPS6_PKS6_NS0_5tupleIJPiS6_EEENSE_IJSB_SB_EEENS0_18inequality_wrapperIN6hipcub16HIPCUB_304000_NS8EqualityEEEPlJS6_EEE10hipError_tPvRmT3_T4_T5_T6_T7_T9_mT8_P12ihipStream_tbDpT10_ENKUlT_T0_E_clISt17integral_constantIbLb0EES16_IbLb1EEEEDaS12_S13_EUlS12_E_NS1_11comp_targetILNS1_3genE2ELNS1_11target_archE906ELNS1_3gpuE6ELNS1_3repE0EEENS1_30default_config_static_selectorELNS0_4arch9wavefront6targetE0EEEvT1_
                                        ; -- End function
	.set _ZN7rocprim17ROCPRIM_400000_NS6detail17trampoline_kernelINS0_14default_configENS1_25partition_config_selectorILNS1_17partition_subalgoE8EiNS0_10empty_typeEbEEZZNS1_14partition_implILS5_8ELb0ES3_jPKiPS6_PKS6_NS0_5tupleIJPiS6_EEENSE_IJSB_SB_EEENS0_18inequality_wrapperIN6hipcub16HIPCUB_304000_NS8EqualityEEEPlJS6_EEE10hipError_tPvRmT3_T4_T5_T6_T7_T9_mT8_P12ihipStream_tbDpT10_ENKUlT_T0_E_clISt17integral_constantIbLb0EES16_IbLb1EEEEDaS12_S13_EUlS12_E_NS1_11comp_targetILNS1_3genE2ELNS1_11target_archE906ELNS1_3gpuE6ELNS1_3repE0EEENS1_30default_config_static_selectorELNS0_4arch9wavefront6targetE0EEEvT1_.num_vgpr, 0
	.set _ZN7rocprim17ROCPRIM_400000_NS6detail17trampoline_kernelINS0_14default_configENS1_25partition_config_selectorILNS1_17partition_subalgoE8EiNS0_10empty_typeEbEEZZNS1_14partition_implILS5_8ELb0ES3_jPKiPS6_PKS6_NS0_5tupleIJPiS6_EEENSE_IJSB_SB_EEENS0_18inequality_wrapperIN6hipcub16HIPCUB_304000_NS8EqualityEEEPlJS6_EEE10hipError_tPvRmT3_T4_T5_T6_T7_T9_mT8_P12ihipStream_tbDpT10_ENKUlT_T0_E_clISt17integral_constantIbLb0EES16_IbLb1EEEEDaS12_S13_EUlS12_E_NS1_11comp_targetILNS1_3genE2ELNS1_11target_archE906ELNS1_3gpuE6ELNS1_3repE0EEENS1_30default_config_static_selectorELNS0_4arch9wavefront6targetE0EEEvT1_.num_agpr, 0
	.set _ZN7rocprim17ROCPRIM_400000_NS6detail17trampoline_kernelINS0_14default_configENS1_25partition_config_selectorILNS1_17partition_subalgoE8EiNS0_10empty_typeEbEEZZNS1_14partition_implILS5_8ELb0ES3_jPKiPS6_PKS6_NS0_5tupleIJPiS6_EEENSE_IJSB_SB_EEENS0_18inequality_wrapperIN6hipcub16HIPCUB_304000_NS8EqualityEEEPlJS6_EEE10hipError_tPvRmT3_T4_T5_T6_T7_T9_mT8_P12ihipStream_tbDpT10_ENKUlT_T0_E_clISt17integral_constantIbLb0EES16_IbLb1EEEEDaS12_S13_EUlS12_E_NS1_11comp_targetILNS1_3genE2ELNS1_11target_archE906ELNS1_3gpuE6ELNS1_3repE0EEENS1_30default_config_static_selectorELNS0_4arch9wavefront6targetE0EEEvT1_.numbered_sgpr, 0
	.set _ZN7rocprim17ROCPRIM_400000_NS6detail17trampoline_kernelINS0_14default_configENS1_25partition_config_selectorILNS1_17partition_subalgoE8EiNS0_10empty_typeEbEEZZNS1_14partition_implILS5_8ELb0ES3_jPKiPS6_PKS6_NS0_5tupleIJPiS6_EEENSE_IJSB_SB_EEENS0_18inequality_wrapperIN6hipcub16HIPCUB_304000_NS8EqualityEEEPlJS6_EEE10hipError_tPvRmT3_T4_T5_T6_T7_T9_mT8_P12ihipStream_tbDpT10_ENKUlT_T0_E_clISt17integral_constantIbLb0EES16_IbLb1EEEEDaS12_S13_EUlS12_E_NS1_11comp_targetILNS1_3genE2ELNS1_11target_archE906ELNS1_3gpuE6ELNS1_3repE0EEENS1_30default_config_static_selectorELNS0_4arch9wavefront6targetE0EEEvT1_.num_named_barrier, 0
	.set _ZN7rocprim17ROCPRIM_400000_NS6detail17trampoline_kernelINS0_14default_configENS1_25partition_config_selectorILNS1_17partition_subalgoE8EiNS0_10empty_typeEbEEZZNS1_14partition_implILS5_8ELb0ES3_jPKiPS6_PKS6_NS0_5tupleIJPiS6_EEENSE_IJSB_SB_EEENS0_18inequality_wrapperIN6hipcub16HIPCUB_304000_NS8EqualityEEEPlJS6_EEE10hipError_tPvRmT3_T4_T5_T6_T7_T9_mT8_P12ihipStream_tbDpT10_ENKUlT_T0_E_clISt17integral_constantIbLb0EES16_IbLb1EEEEDaS12_S13_EUlS12_E_NS1_11comp_targetILNS1_3genE2ELNS1_11target_archE906ELNS1_3gpuE6ELNS1_3repE0EEENS1_30default_config_static_selectorELNS0_4arch9wavefront6targetE0EEEvT1_.private_seg_size, 0
	.set _ZN7rocprim17ROCPRIM_400000_NS6detail17trampoline_kernelINS0_14default_configENS1_25partition_config_selectorILNS1_17partition_subalgoE8EiNS0_10empty_typeEbEEZZNS1_14partition_implILS5_8ELb0ES3_jPKiPS6_PKS6_NS0_5tupleIJPiS6_EEENSE_IJSB_SB_EEENS0_18inequality_wrapperIN6hipcub16HIPCUB_304000_NS8EqualityEEEPlJS6_EEE10hipError_tPvRmT3_T4_T5_T6_T7_T9_mT8_P12ihipStream_tbDpT10_ENKUlT_T0_E_clISt17integral_constantIbLb0EES16_IbLb1EEEEDaS12_S13_EUlS12_E_NS1_11comp_targetILNS1_3genE2ELNS1_11target_archE906ELNS1_3gpuE6ELNS1_3repE0EEENS1_30default_config_static_selectorELNS0_4arch9wavefront6targetE0EEEvT1_.uses_vcc, 0
	.set _ZN7rocprim17ROCPRIM_400000_NS6detail17trampoline_kernelINS0_14default_configENS1_25partition_config_selectorILNS1_17partition_subalgoE8EiNS0_10empty_typeEbEEZZNS1_14partition_implILS5_8ELb0ES3_jPKiPS6_PKS6_NS0_5tupleIJPiS6_EEENSE_IJSB_SB_EEENS0_18inequality_wrapperIN6hipcub16HIPCUB_304000_NS8EqualityEEEPlJS6_EEE10hipError_tPvRmT3_T4_T5_T6_T7_T9_mT8_P12ihipStream_tbDpT10_ENKUlT_T0_E_clISt17integral_constantIbLb0EES16_IbLb1EEEEDaS12_S13_EUlS12_E_NS1_11comp_targetILNS1_3genE2ELNS1_11target_archE906ELNS1_3gpuE6ELNS1_3repE0EEENS1_30default_config_static_selectorELNS0_4arch9wavefront6targetE0EEEvT1_.uses_flat_scratch, 0
	.set _ZN7rocprim17ROCPRIM_400000_NS6detail17trampoline_kernelINS0_14default_configENS1_25partition_config_selectorILNS1_17partition_subalgoE8EiNS0_10empty_typeEbEEZZNS1_14partition_implILS5_8ELb0ES3_jPKiPS6_PKS6_NS0_5tupleIJPiS6_EEENSE_IJSB_SB_EEENS0_18inequality_wrapperIN6hipcub16HIPCUB_304000_NS8EqualityEEEPlJS6_EEE10hipError_tPvRmT3_T4_T5_T6_T7_T9_mT8_P12ihipStream_tbDpT10_ENKUlT_T0_E_clISt17integral_constantIbLb0EES16_IbLb1EEEEDaS12_S13_EUlS12_E_NS1_11comp_targetILNS1_3genE2ELNS1_11target_archE906ELNS1_3gpuE6ELNS1_3repE0EEENS1_30default_config_static_selectorELNS0_4arch9wavefront6targetE0EEEvT1_.has_dyn_sized_stack, 0
	.set _ZN7rocprim17ROCPRIM_400000_NS6detail17trampoline_kernelINS0_14default_configENS1_25partition_config_selectorILNS1_17partition_subalgoE8EiNS0_10empty_typeEbEEZZNS1_14partition_implILS5_8ELb0ES3_jPKiPS6_PKS6_NS0_5tupleIJPiS6_EEENSE_IJSB_SB_EEENS0_18inequality_wrapperIN6hipcub16HIPCUB_304000_NS8EqualityEEEPlJS6_EEE10hipError_tPvRmT3_T4_T5_T6_T7_T9_mT8_P12ihipStream_tbDpT10_ENKUlT_T0_E_clISt17integral_constantIbLb0EES16_IbLb1EEEEDaS12_S13_EUlS12_E_NS1_11comp_targetILNS1_3genE2ELNS1_11target_archE906ELNS1_3gpuE6ELNS1_3repE0EEENS1_30default_config_static_selectorELNS0_4arch9wavefront6targetE0EEEvT1_.has_recursion, 0
	.set _ZN7rocprim17ROCPRIM_400000_NS6detail17trampoline_kernelINS0_14default_configENS1_25partition_config_selectorILNS1_17partition_subalgoE8EiNS0_10empty_typeEbEEZZNS1_14partition_implILS5_8ELb0ES3_jPKiPS6_PKS6_NS0_5tupleIJPiS6_EEENSE_IJSB_SB_EEENS0_18inequality_wrapperIN6hipcub16HIPCUB_304000_NS8EqualityEEEPlJS6_EEE10hipError_tPvRmT3_T4_T5_T6_T7_T9_mT8_P12ihipStream_tbDpT10_ENKUlT_T0_E_clISt17integral_constantIbLb0EES16_IbLb1EEEEDaS12_S13_EUlS12_E_NS1_11comp_targetILNS1_3genE2ELNS1_11target_archE906ELNS1_3gpuE6ELNS1_3repE0EEENS1_30default_config_static_selectorELNS0_4arch9wavefront6targetE0EEEvT1_.has_indirect_call, 0
	.section	.AMDGPU.csdata,"",@progbits
; Kernel info:
; codeLenInByte = 0
; TotalNumSgprs: 0
; NumVgprs: 0
; ScratchSize: 0
; MemoryBound: 0
; FloatMode: 240
; IeeeMode: 1
; LDSByteSize: 0 bytes/workgroup (compile time only)
; SGPRBlocks: 0
; VGPRBlocks: 0
; NumSGPRsForWavesPerEU: 1
; NumVGPRsForWavesPerEU: 1
; NamedBarCnt: 0
; Occupancy: 16
; WaveLimiterHint : 0
; COMPUTE_PGM_RSRC2:SCRATCH_EN: 0
; COMPUTE_PGM_RSRC2:USER_SGPR: 2
; COMPUTE_PGM_RSRC2:TRAP_HANDLER: 0
; COMPUTE_PGM_RSRC2:TGID_X_EN: 1
; COMPUTE_PGM_RSRC2:TGID_Y_EN: 0
; COMPUTE_PGM_RSRC2:TGID_Z_EN: 0
; COMPUTE_PGM_RSRC2:TIDIG_COMP_CNT: 0
	.section	.text._ZN7rocprim17ROCPRIM_400000_NS6detail17trampoline_kernelINS0_14default_configENS1_25partition_config_selectorILNS1_17partition_subalgoE8EiNS0_10empty_typeEbEEZZNS1_14partition_implILS5_8ELb0ES3_jPKiPS6_PKS6_NS0_5tupleIJPiS6_EEENSE_IJSB_SB_EEENS0_18inequality_wrapperIN6hipcub16HIPCUB_304000_NS8EqualityEEEPlJS6_EEE10hipError_tPvRmT3_T4_T5_T6_T7_T9_mT8_P12ihipStream_tbDpT10_ENKUlT_T0_E_clISt17integral_constantIbLb0EES16_IbLb1EEEEDaS12_S13_EUlS12_E_NS1_11comp_targetILNS1_3genE10ELNS1_11target_archE1200ELNS1_3gpuE4ELNS1_3repE0EEENS1_30default_config_static_selectorELNS0_4arch9wavefront6targetE0EEEvT1_,"axG",@progbits,_ZN7rocprim17ROCPRIM_400000_NS6detail17trampoline_kernelINS0_14default_configENS1_25partition_config_selectorILNS1_17partition_subalgoE8EiNS0_10empty_typeEbEEZZNS1_14partition_implILS5_8ELb0ES3_jPKiPS6_PKS6_NS0_5tupleIJPiS6_EEENSE_IJSB_SB_EEENS0_18inequality_wrapperIN6hipcub16HIPCUB_304000_NS8EqualityEEEPlJS6_EEE10hipError_tPvRmT3_T4_T5_T6_T7_T9_mT8_P12ihipStream_tbDpT10_ENKUlT_T0_E_clISt17integral_constantIbLb0EES16_IbLb1EEEEDaS12_S13_EUlS12_E_NS1_11comp_targetILNS1_3genE10ELNS1_11target_archE1200ELNS1_3gpuE4ELNS1_3repE0EEENS1_30default_config_static_selectorELNS0_4arch9wavefront6targetE0EEEvT1_,comdat
	.protected	_ZN7rocprim17ROCPRIM_400000_NS6detail17trampoline_kernelINS0_14default_configENS1_25partition_config_selectorILNS1_17partition_subalgoE8EiNS0_10empty_typeEbEEZZNS1_14partition_implILS5_8ELb0ES3_jPKiPS6_PKS6_NS0_5tupleIJPiS6_EEENSE_IJSB_SB_EEENS0_18inequality_wrapperIN6hipcub16HIPCUB_304000_NS8EqualityEEEPlJS6_EEE10hipError_tPvRmT3_T4_T5_T6_T7_T9_mT8_P12ihipStream_tbDpT10_ENKUlT_T0_E_clISt17integral_constantIbLb0EES16_IbLb1EEEEDaS12_S13_EUlS12_E_NS1_11comp_targetILNS1_3genE10ELNS1_11target_archE1200ELNS1_3gpuE4ELNS1_3repE0EEENS1_30default_config_static_selectorELNS0_4arch9wavefront6targetE0EEEvT1_ ; -- Begin function _ZN7rocprim17ROCPRIM_400000_NS6detail17trampoline_kernelINS0_14default_configENS1_25partition_config_selectorILNS1_17partition_subalgoE8EiNS0_10empty_typeEbEEZZNS1_14partition_implILS5_8ELb0ES3_jPKiPS6_PKS6_NS0_5tupleIJPiS6_EEENSE_IJSB_SB_EEENS0_18inequality_wrapperIN6hipcub16HIPCUB_304000_NS8EqualityEEEPlJS6_EEE10hipError_tPvRmT3_T4_T5_T6_T7_T9_mT8_P12ihipStream_tbDpT10_ENKUlT_T0_E_clISt17integral_constantIbLb0EES16_IbLb1EEEEDaS12_S13_EUlS12_E_NS1_11comp_targetILNS1_3genE10ELNS1_11target_archE1200ELNS1_3gpuE4ELNS1_3repE0EEENS1_30default_config_static_selectorELNS0_4arch9wavefront6targetE0EEEvT1_
	.globl	_ZN7rocprim17ROCPRIM_400000_NS6detail17trampoline_kernelINS0_14default_configENS1_25partition_config_selectorILNS1_17partition_subalgoE8EiNS0_10empty_typeEbEEZZNS1_14partition_implILS5_8ELb0ES3_jPKiPS6_PKS6_NS0_5tupleIJPiS6_EEENSE_IJSB_SB_EEENS0_18inequality_wrapperIN6hipcub16HIPCUB_304000_NS8EqualityEEEPlJS6_EEE10hipError_tPvRmT3_T4_T5_T6_T7_T9_mT8_P12ihipStream_tbDpT10_ENKUlT_T0_E_clISt17integral_constantIbLb0EES16_IbLb1EEEEDaS12_S13_EUlS12_E_NS1_11comp_targetILNS1_3genE10ELNS1_11target_archE1200ELNS1_3gpuE4ELNS1_3repE0EEENS1_30default_config_static_selectorELNS0_4arch9wavefront6targetE0EEEvT1_
	.p2align	8
	.type	_ZN7rocprim17ROCPRIM_400000_NS6detail17trampoline_kernelINS0_14default_configENS1_25partition_config_selectorILNS1_17partition_subalgoE8EiNS0_10empty_typeEbEEZZNS1_14partition_implILS5_8ELb0ES3_jPKiPS6_PKS6_NS0_5tupleIJPiS6_EEENSE_IJSB_SB_EEENS0_18inequality_wrapperIN6hipcub16HIPCUB_304000_NS8EqualityEEEPlJS6_EEE10hipError_tPvRmT3_T4_T5_T6_T7_T9_mT8_P12ihipStream_tbDpT10_ENKUlT_T0_E_clISt17integral_constantIbLb0EES16_IbLb1EEEEDaS12_S13_EUlS12_E_NS1_11comp_targetILNS1_3genE10ELNS1_11target_archE1200ELNS1_3gpuE4ELNS1_3repE0EEENS1_30default_config_static_selectorELNS0_4arch9wavefront6targetE0EEEvT1_,@function
_ZN7rocprim17ROCPRIM_400000_NS6detail17trampoline_kernelINS0_14default_configENS1_25partition_config_selectorILNS1_17partition_subalgoE8EiNS0_10empty_typeEbEEZZNS1_14partition_implILS5_8ELb0ES3_jPKiPS6_PKS6_NS0_5tupleIJPiS6_EEENSE_IJSB_SB_EEENS0_18inequality_wrapperIN6hipcub16HIPCUB_304000_NS8EqualityEEEPlJS6_EEE10hipError_tPvRmT3_T4_T5_T6_T7_T9_mT8_P12ihipStream_tbDpT10_ENKUlT_T0_E_clISt17integral_constantIbLb0EES16_IbLb1EEEEDaS12_S13_EUlS12_E_NS1_11comp_targetILNS1_3genE10ELNS1_11target_archE1200ELNS1_3gpuE4ELNS1_3repE0EEENS1_30default_config_static_selectorELNS0_4arch9wavefront6targetE0EEEvT1_: ; @_ZN7rocprim17ROCPRIM_400000_NS6detail17trampoline_kernelINS0_14default_configENS1_25partition_config_selectorILNS1_17partition_subalgoE8EiNS0_10empty_typeEbEEZZNS1_14partition_implILS5_8ELb0ES3_jPKiPS6_PKS6_NS0_5tupleIJPiS6_EEENSE_IJSB_SB_EEENS0_18inequality_wrapperIN6hipcub16HIPCUB_304000_NS8EqualityEEEPlJS6_EEE10hipError_tPvRmT3_T4_T5_T6_T7_T9_mT8_P12ihipStream_tbDpT10_ENKUlT_T0_E_clISt17integral_constantIbLb0EES16_IbLb1EEEEDaS12_S13_EUlS12_E_NS1_11comp_targetILNS1_3genE10ELNS1_11target_archE1200ELNS1_3gpuE4ELNS1_3repE0EEENS1_30default_config_static_selectorELNS0_4arch9wavefront6targetE0EEEvT1_
; %bb.0:
	.section	.rodata,"a",@progbits
	.p2align	6, 0x0
	.amdhsa_kernel _ZN7rocprim17ROCPRIM_400000_NS6detail17trampoline_kernelINS0_14default_configENS1_25partition_config_selectorILNS1_17partition_subalgoE8EiNS0_10empty_typeEbEEZZNS1_14partition_implILS5_8ELb0ES3_jPKiPS6_PKS6_NS0_5tupleIJPiS6_EEENSE_IJSB_SB_EEENS0_18inequality_wrapperIN6hipcub16HIPCUB_304000_NS8EqualityEEEPlJS6_EEE10hipError_tPvRmT3_T4_T5_T6_T7_T9_mT8_P12ihipStream_tbDpT10_ENKUlT_T0_E_clISt17integral_constantIbLb0EES16_IbLb1EEEEDaS12_S13_EUlS12_E_NS1_11comp_targetILNS1_3genE10ELNS1_11target_archE1200ELNS1_3gpuE4ELNS1_3repE0EEENS1_30default_config_static_selectorELNS0_4arch9wavefront6targetE0EEEvT1_
		.amdhsa_group_segment_fixed_size 0
		.amdhsa_private_segment_fixed_size 0
		.amdhsa_kernarg_size 128
		.amdhsa_user_sgpr_count 2
		.amdhsa_user_sgpr_dispatch_ptr 0
		.amdhsa_user_sgpr_queue_ptr 0
		.amdhsa_user_sgpr_kernarg_segment_ptr 1
		.amdhsa_user_sgpr_dispatch_id 0
		.amdhsa_user_sgpr_kernarg_preload_length 0
		.amdhsa_user_sgpr_kernarg_preload_offset 0
		.amdhsa_user_sgpr_private_segment_size 0
		.amdhsa_wavefront_size32 1
		.amdhsa_uses_dynamic_stack 0
		.amdhsa_enable_private_segment 0
		.amdhsa_system_sgpr_workgroup_id_x 1
		.amdhsa_system_sgpr_workgroup_id_y 0
		.amdhsa_system_sgpr_workgroup_id_z 0
		.amdhsa_system_sgpr_workgroup_info 0
		.amdhsa_system_vgpr_workitem_id 0
		.amdhsa_next_free_vgpr 1
		.amdhsa_next_free_sgpr 1
		.amdhsa_named_barrier_count 0
		.amdhsa_reserve_vcc 0
		.amdhsa_float_round_mode_32 0
		.amdhsa_float_round_mode_16_64 0
		.amdhsa_float_denorm_mode_32 3
		.amdhsa_float_denorm_mode_16_64 3
		.amdhsa_fp16_overflow 0
		.amdhsa_memory_ordered 1
		.amdhsa_forward_progress 1
		.amdhsa_inst_pref_size 0
		.amdhsa_round_robin_scheduling 0
		.amdhsa_exception_fp_ieee_invalid_op 0
		.amdhsa_exception_fp_denorm_src 0
		.amdhsa_exception_fp_ieee_div_zero 0
		.amdhsa_exception_fp_ieee_overflow 0
		.amdhsa_exception_fp_ieee_underflow 0
		.amdhsa_exception_fp_ieee_inexact 0
		.amdhsa_exception_int_div_zero 0
	.end_amdhsa_kernel
	.section	.text._ZN7rocprim17ROCPRIM_400000_NS6detail17trampoline_kernelINS0_14default_configENS1_25partition_config_selectorILNS1_17partition_subalgoE8EiNS0_10empty_typeEbEEZZNS1_14partition_implILS5_8ELb0ES3_jPKiPS6_PKS6_NS0_5tupleIJPiS6_EEENSE_IJSB_SB_EEENS0_18inequality_wrapperIN6hipcub16HIPCUB_304000_NS8EqualityEEEPlJS6_EEE10hipError_tPvRmT3_T4_T5_T6_T7_T9_mT8_P12ihipStream_tbDpT10_ENKUlT_T0_E_clISt17integral_constantIbLb0EES16_IbLb1EEEEDaS12_S13_EUlS12_E_NS1_11comp_targetILNS1_3genE10ELNS1_11target_archE1200ELNS1_3gpuE4ELNS1_3repE0EEENS1_30default_config_static_selectorELNS0_4arch9wavefront6targetE0EEEvT1_,"axG",@progbits,_ZN7rocprim17ROCPRIM_400000_NS6detail17trampoline_kernelINS0_14default_configENS1_25partition_config_selectorILNS1_17partition_subalgoE8EiNS0_10empty_typeEbEEZZNS1_14partition_implILS5_8ELb0ES3_jPKiPS6_PKS6_NS0_5tupleIJPiS6_EEENSE_IJSB_SB_EEENS0_18inequality_wrapperIN6hipcub16HIPCUB_304000_NS8EqualityEEEPlJS6_EEE10hipError_tPvRmT3_T4_T5_T6_T7_T9_mT8_P12ihipStream_tbDpT10_ENKUlT_T0_E_clISt17integral_constantIbLb0EES16_IbLb1EEEEDaS12_S13_EUlS12_E_NS1_11comp_targetILNS1_3genE10ELNS1_11target_archE1200ELNS1_3gpuE4ELNS1_3repE0EEENS1_30default_config_static_selectorELNS0_4arch9wavefront6targetE0EEEvT1_,comdat
.Lfunc_end439:
	.size	_ZN7rocprim17ROCPRIM_400000_NS6detail17trampoline_kernelINS0_14default_configENS1_25partition_config_selectorILNS1_17partition_subalgoE8EiNS0_10empty_typeEbEEZZNS1_14partition_implILS5_8ELb0ES3_jPKiPS6_PKS6_NS0_5tupleIJPiS6_EEENSE_IJSB_SB_EEENS0_18inequality_wrapperIN6hipcub16HIPCUB_304000_NS8EqualityEEEPlJS6_EEE10hipError_tPvRmT3_T4_T5_T6_T7_T9_mT8_P12ihipStream_tbDpT10_ENKUlT_T0_E_clISt17integral_constantIbLb0EES16_IbLb1EEEEDaS12_S13_EUlS12_E_NS1_11comp_targetILNS1_3genE10ELNS1_11target_archE1200ELNS1_3gpuE4ELNS1_3repE0EEENS1_30default_config_static_selectorELNS0_4arch9wavefront6targetE0EEEvT1_, .Lfunc_end439-_ZN7rocprim17ROCPRIM_400000_NS6detail17trampoline_kernelINS0_14default_configENS1_25partition_config_selectorILNS1_17partition_subalgoE8EiNS0_10empty_typeEbEEZZNS1_14partition_implILS5_8ELb0ES3_jPKiPS6_PKS6_NS0_5tupleIJPiS6_EEENSE_IJSB_SB_EEENS0_18inequality_wrapperIN6hipcub16HIPCUB_304000_NS8EqualityEEEPlJS6_EEE10hipError_tPvRmT3_T4_T5_T6_T7_T9_mT8_P12ihipStream_tbDpT10_ENKUlT_T0_E_clISt17integral_constantIbLb0EES16_IbLb1EEEEDaS12_S13_EUlS12_E_NS1_11comp_targetILNS1_3genE10ELNS1_11target_archE1200ELNS1_3gpuE4ELNS1_3repE0EEENS1_30default_config_static_selectorELNS0_4arch9wavefront6targetE0EEEvT1_
                                        ; -- End function
	.set _ZN7rocprim17ROCPRIM_400000_NS6detail17trampoline_kernelINS0_14default_configENS1_25partition_config_selectorILNS1_17partition_subalgoE8EiNS0_10empty_typeEbEEZZNS1_14partition_implILS5_8ELb0ES3_jPKiPS6_PKS6_NS0_5tupleIJPiS6_EEENSE_IJSB_SB_EEENS0_18inequality_wrapperIN6hipcub16HIPCUB_304000_NS8EqualityEEEPlJS6_EEE10hipError_tPvRmT3_T4_T5_T6_T7_T9_mT8_P12ihipStream_tbDpT10_ENKUlT_T0_E_clISt17integral_constantIbLb0EES16_IbLb1EEEEDaS12_S13_EUlS12_E_NS1_11comp_targetILNS1_3genE10ELNS1_11target_archE1200ELNS1_3gpuE4ELNS1_3repE0EEENS1_30default_config_static_selectorELNS0_4arch9wavefront6targetE0EEEvT1_.num_vgpr, 0
	.set _ZN7rocprim17ROCPRIM_400000_NS6detail17trampoline_kernelINS0_14default_configENS1_25partition_config_selectorILNS1_17partition_subalgoE8EiNS0_10empty_typeEbEEZZNS1_14partition_implILS5_8ELb0ES3_jPKiPS6_PKS6_NS0_5tupleIJPiS6_EEENSE_IJSB_SB_EEENS0_18inequality_wrapperIN6hipcub16HIPCUB_304000_NS8EqualityEEEPlJS6_EEE10hipError_tPvRmT3_T4_T5_T6_T7_T9_mT8_P12ihipStream_tbDpT10_ENKUlT_T0_E_clISt17integral_constantIbLb0EES16_IbLb1EEEEDaS12_S13_EUlS12_E_NS1_11comp_targetILNS1_3genE10ELNS1_11target_archE1200ELNS1_3gpuE4ELNS1_3repE0EEENS1_30default_config_static_selectorELNS0_4arch9wavefront6targetE0EEEvT1_.num_agpr, 0
	.set _ZN7rocprim17ROCPRIM_400000_NS6detail17trampoline_kernelINS0_14default_configENS1_25partition_config_selectorILNS1_17partition_subalgoE8EiNS0_10empty_typeEbEEZZNS1_14partition_implILS5_8ELb0ES3_jPKiPS6_PKS6_NS0_5tupleIJPiS6_EEENSE_IJSB_SB_EEENS0_18inequality_wrapperIN6hipcub16HIPCUB_304000_NS8EqualityEEEPlJS6_EEE10hipError_tPvRmT3_T4_T5_T6_T7_T9_mT8_P12ihipStream_tbDpT10_ENKUlT_T0_E_clISt17integral_constantIbLb0EES16_IbLb1EEEEDaS12_S13_EUlS12_E_NS1_11comp_targetILNS1_3genE10ELNS1_11target_archE1200ELNS1_3gpuE4ELNS1_3repE0EEENS1_30default_config_static_selectorELNS0_4arch9wavefront6targetE0EEEvT1_.numbered_sgpr, 0
	.set _ZN7rocprim17ROCPRIM_400000_NS6detail17trampoline_kernelINS0_14default_configENS1_25partition_config_selectorILNS1_17partition_subalgoE8EiNS0_10empty_typeEbEEZZNS1_14partition_implILS5_8ELb0ES3_jPKiPS6_PKS6_NS0_5tupleIJPiS6_EEENSE_IJSB_SB_EEENS0_18inequality_wrapperIN6hipcub16HIPCUB_304000_NS8EqualityEEEPlJS6_EEE10hipError_tPvRmT3_T4_T5_T6_T7_T9_mT8_P12ihipStream_tbDpT10_ENKUlT_T0_E_clISt17integral_constantIbLb0EES16_IbLb1EEEEDaS12_S13_EUlS12_E_NS1_11comp_targetILNS1_3genE10ELNS1_11target_archE1200ELNS1_3gpuE4ELNS1_3repE0EEENS1_30default_config_static_selectorELNS0_4arch9wavefront6targetE0EEEvT1_.num_named_barrier, 0
	.set _ZN7rocprim17ROCPRIM_400000_NS6detail17trampoline_kernelINS0_14default_configENS1_25partition_config_selectorILNS1_17partition_subalgoE8EiNS0_10empty_typeEbEEZZNS1_14partition_implILS5_8ELb0ES3_jPKiPS6_PKS6_NS0_5tupleIJPiS6_EEENSE_IJSB_SB_EEENS0_18inequality_wrapperIN6hipcub16HIPCUB_304000_NS8EqualityEEEPlJS6_EEE10hipError_tPvRmT3_T4_T5_T6_T7_T9_mT8_P12ihipStream_tbDpT10_ENKUlT_T0_E_clISt17integral_constantIbLb0EES16_IbLb1EEEEDaS12_S13_EUlS12_E_NS1_11comp_targetILNS1_3genE10ELNS1_11target_archE1200ELNS1_3gpuE4ELNS1_3repE0EEENS1_30default_config_static_selectorELNS0_4arch9wavefront6targetE0EEEvT1_.private_seg_size, 0
	.set _ZN7rocprim17ROCPRIM_400000_NS6detail17trampoline_kernelINS0_14default_configENS1_25partition_config_selectorILNS1_17partition_subalgoE8EiNS0_10empty_typeEbEEZZNS1_14partition_implILS5_8ELb0ES3_jPKiPS6_PKS6_NS0_5tupleIJPiS6_EEENSE_IJSB_SB_EEENS0_18inequality_wrapperIN6hipcub16HIPCUB_304000_NS8EqualityEEEPlJS6_EEE10hipError_tPvRmT3_T4_T5_T6_T7_T9_mT8_P12ihipStream_tbDpT10_ENKUlT_T0_E_clISt17integral_constantIbLb0EES16_IbLb1EEEEDaS12_S13_EUlS12_E_NS1_11comp_targetILNS1_3genE10ELNS1_11target_archE1200ELNS1_3gpuE4ELNS1_3repE0EEENS1_30default_config_static_selectorELNS0_4arch9wavefront6targetE0EEEvT1_.uses_vcc, 0
	.set _ZN7rocprim17ROCPRIM_400000_NS6detail17trampoline_kernelINS0_14default_configENS1_25partition_config_selectorILNS1_17partition_subalgoE8EiNS0_10empty_typeEbEEZZNS1_14partition_implILS5_8ELb0ES3_jPKiPS6_PKS6_NS0_5tupleIJPiS6_EEENSE_IJSB_SB_EEENS0_18inequality_wrapperIN6hipcub16HIPCUB_304000_NS8EqualityEEEPlJS6_EEE10hipError_tPvRmT3_T4_T5_T6_T7_T9_mT8_P12ihipStream_tbDpT10_ENKUlT_T0_E_clISt17integral_constantIbLb0EES16_IbLb1EEEEDaS12_S13_EUlS12_E_NS1_11comp_targetILNS1_3genE10ELNS1_11target_archE1200ELNS1_3gpuE4ELNS1_3repE0EEENS1_30default_config_static_selectorELNS0_4arch9wavefront6targetE0EEEvT1_.uses_flat_scratch, 0
	.set _ZN7rocprim17ROCPRIM_400000_NS6detail17trampoline_kernelINS0_14default_configENS1_25partition_config_selectorILNS1_17partition_subalgoE8EiNS0_10empty_typeEbEEZZNS1_14partition_implILS5_8ELb0ES3_jPKiPS6_PKS6_NS0_5tupleIJPiS6_EEENSE_IJSB_SB_EEENS0_18inequality_wrapperIN6hipcub16HIPCUB_304000_NS8EqualityEEEPlJS6_EEE10hipError_tPvRmT3_T4_T5_T6_T7_T9_mT8_P12ihipStream_tbDpT10_ENKUlT_T0_E_clISt17integral_constantIbLb0EES16_IbLb1EEEEDaS12_S13_EUlS12_E_NS1_11comp_targetILNS1_3genE10ELNS1_11target_archE1200ELNS1_3gpuE4ELNS1_3repE0EEENS1_30default_config_static_selectorELNS0_4arch9wavefront6targetE0EEEvT1_.has_dyn_sized_stack, 0
	.set _ZN7rocprim17ROCPRIM_400000_NS6detail17trampoline_kernelINS0_14default_configENS1_25partition_config_selectorILNS1_17partition_subalgoE8EiNS0_10empty_typeEbEEZZNS1_14partition_implILS5_8ELb0ES3_jPKiPS6_PKS6_NS0_5tupleIJPiS6_EEENSE_IJSB_SB_EEENS0_18inequality_wrapperIN6hipcub16HIPCUB_304000_NS8EqualityEEEPlJS6_EEE10hipError_tPvRmT3_T4_T5_T6_T7_T9_mT8_P12ihipStream_tbDpT10_ENKUlT_T0_E_clISt17integral_constantIbLb0EES16_IbLb1EEEEDaS12_S13_EUlS12_E_NS1_11comp_targetILNS1_3genE10ELNS1_11target_archE1200ELNS1_3gpuE4ELNS1_3repE0EEENS1_30default_config_static_selectorELNS0_4arch9wavefront6targetE0EEEvT1_.has_recursion, 0
	.set _ZN7rocprim17ROCPRIM_400000_NS6detail17trampoline_kernelINS0_14default_configENS1_25partition_config_selectorILNS1_17partition_subalgoE8EiNS0_10empty_typeEbEEZZNS1_14partition_implILS5_8ELb0ES3_jPKiPS6_PKS6_NS0_5tupleIJPiS6_EEENSE_IJSB_SB_EEENS0_18inequality_wrapperIN6hipcub16HIPCUB_304000_NS8EqualityEEEPlJS6_EEE10hipError_tPvRmT3_T4_T5_T6_T7_T9_mT8_P12ihipStream_tbDpT10_ENKUlT_T0_E_clISt17integral_constantIbLb0EES16_IbLb1EEEEDaS12_S13_EUlS12_E_NS1_11comp_targetILNS1_3genE10ELNS1_11target_archE1200ELNS1_3gpuE4ELNS1_3repE0EEENS1_30default_config_static_selectorELNS0_4arch9wavefront6targetE0EEEvT1_.has_indirect_call, 0
	.section	.AMDGPU.csdata,"",@progbits
; Kernel info:
; codeLenInByte = 0
; TotalNumSgprs: 0
; NumVgprs: 0
; ScratchSize: 0
; MemoryBound: 0
; FloatMode: 240
; IeeeMode: 1
; LDSByteSize: 0 bytes/workgroup (compile time only)
; SGPRBlocks: 0
; VGPRBlocks: 0
; NumSGPRsForWavesPerEU: 1
; NumVGPRsForWavesPerEU: 1
; NamedBarCnt: 0
; Occupancy: 16
; WaveLimiterHint : 0
; COMPUTE_PGM_RSRC2:SCRATCH_EN: 0
; COMPUTE_PGM_RSRC2:USER_SGPR: 2
; COMPUTE_PGM_RSRC2:TRAP_HANDLER: 0
; COMPUTE_PGM_RSRC2:TGID_X_EN: 1
; COMPUTE_PGM_RSRC2:TGID_Y_EN: 0
; COMPUTE_PGM_RSRC2:TGID_Z_EN: 0
; COMPUTE_PGM_RSRC2:TIDIG_COMP_CNT: 0
	.section	.text._ZN7rocprim17ROCPRIM_400000_NS6detail17trampoline_kernelINS0_14default_configENS1_25partition_config_selectorILNS1_17partition_subalgoE8EiNS0_10empty_typeEbEEZZNS1_14partition_implILS5_8ELb0ES3_jPKiPS6_PKS6_NS0_5tupleIJPiS6_EEENSE_IJSB_SB_EEENS0_18inequality_wrapperIN6hipcub16HIPCUB_304000_NS8EqualityEEEPlJS6_EEE10hipError_tPvRmT3_T4_T5_T6_T7_T9_mT8_P12ihipStream_tbDpT10_ENKUlT_T0_E_clISt17integral_constantIbLb0EES16_IbLb1EEEEDaS12_S13_EUlS12_E_NS1_11comp_targetILNS1_3genE9ELNS1_11target_archE1100ELNS1_3gpuE3ELNS1_3repE0EEENS1_30default_config_static_selectorELNS0_4arch9wavefront6targetE0EEEvT1_,"axG",@progbits,_ZN7rocprim17ROCPRIM_400000_NS6detail17trampoline_kernelINS0_14default_configENS1_25partition_config_selectorILNS1_17partition_subalgoE8EiNS0_10empty_typeEbEEZZNS1_14partition_implILS5_8ELb0ES3_jPKiPS6_PKS6_NS0_5tupleIJPiS6_EEENSE_IJSB_SB_EEENS0_18inequality_wrapperIN6hipcub16HIPCUB_304000_NS8EqualityEEEPlJS6_EEE10hipError_tPvRmT3_T4_T5_T6_T7_T9_mT8_P12ihipStream_tbDpT10_ENKUlT_T0_E_clISt17integral_constantIbLb0EES16_IbLb1EEEEDaS12_S13_EUlS12_E_NS1_11comp_targetILNS1_3genE9ELNS1_11target_archE1100ELNS1_3gpuE3ELNS1_3repE0EEENS1_30default_config_static_selectorELNS0_4arch9wavefront6targetE0EEEvT1_,comdat
	.protected	_ZN7rocprim17ROCPRIM_400000_NS6detail17trampoline_kernelINS0_14default_configENS1_25partition_config_selectorILNS1_17partition_subalgoE8EiNS0_10empty_typeEbEEZZNS1_14partition_implILS5_8ELb0ES3_jPKiPS6_PKS6_NS0_5tupleIJPiS6_EEENSE_IJSB_SB_EEENS0_18inequality_wrapperIN6hipcub16HIPCUB_304000_NS8EqualityEEEPlJS6_EEE10hipError_tPvRmT3_T4_T5_T6_T7_T9_mT8_P12ihipStream_tbDpT10_ENKUlT_T0_E_clISt17integral_constantIbLb0EES16_IbLb1EEEEDaS12_S13_EUlS12_E_NS1_11comp_targetILNS1_3genE9ELNS1_11target_archE1100ELNS1_3gpuE3ELNS1_3repE0EEENS1_30default_config_static_selectorELNS0_4arch9wavefront6targetE0EEEvT1_ ; -- Begin function _ZN7rocprim17ROCPRIM_400000_NS6detail17trampoline_kernelINS0_14default_configENS1_25partition_config_selectorILNS1_17partition_subalgoE8EiNS0_10empty_typeEbEEZZNS1_14partition_implILS5_8ELb0ES3_jPKiPS6_PKS6_NS0_5tupleIJPiS6_EEENSE_IJSB_SB_EEENS0_18inequality_wrapperIN6hipcub16HIPCUB_304000_NS8EqualityEEEPlJS6_EEE10hipError_tPvRmT3_T4_T5_T6_T7_T9_mT8_P12ihipStream_tbDpT10_ENKUlT_T0_E_clISt17integral_constantIbLb0EES16_IbLb1EEEEDaS12_S13_EUlS12_E_NS1_11comp_targetILNS1_3genE9ELNS1_11target_archE1100ELNS1_3gpuE3ELNS1_3repE0EEENS1_30default_config_static_selectorELNS0_4arch9wavefront6targetE0EEEvT1_
	.globl	_ZN7rocprim17ROCPRIM_400000_NS6detail17trampoline_kernelINS0_14default_configENS1_25partition_config_selectorILNS1_17partition_subalgoE8EiNS0_10empty_typeEbEEZZNS1_14partition_implILS5_8ELb0ES3_jPKiPS6_PKS6_NS0_5tupleIJPiS6_EEENSE_IJSB_SB_EEENS0_18inequality_wrapperIN6hipcub16HIPCUB_304000_NS8EqualityEEEPlJS6_EEE10hipError_tPvRmT3_T4_T5_T6_T7_T9_mT8_P12ihipStream_tbDpT10_ENKUlT_T0_E_clISt17integral_constantIbLb0EES16_IbLb1EEEEDaS12_S13_EUlS12_E_NS1_11comp_targetILNS1_3genE9ELNS1_11target_archE1100ELNS1_3gpuE3ELNS1_3repE0EEENS1_30default_config_static_selectorELNS0_4arch9wavefront6targetE0EEEvT1_
	.p2align	8
	.type	_ZN7rocprim17ROCPRIM_400000_NS6detail17trampoline_kernelINS0_14default_configENS1_25partition_config_selectorILNS1_17partition_subalgoE8EiNS0_10empty_typeEbEEZZNS1_14partition_implILS5_8ELb0ES3_jPKiPS6_PKS6_NS0_5tupleIJPiS6_EEENSE_IJSB_SB_EEENS0_18inequality_wrapperIN6hipcub16HIPCUB_304000_NS8EqualityEEEPlJS6_EEE10hipError_tPvRmT3_T4_T5_T6_T7_T9_mT8_P12ihipStream_tbDpT10_ENKUlT_T0_E_clISt17integral_constantIbLb0EES16_IbLb1EEEEDaS12_S13_EUlS12_E_NS1_11comp_targetILNS1_3genE9ELNS1_11target_archE1100ELNS1_3gpuE3ELNS1_3repE0EEENS1_30default_config_static_selectorELNS0_4arch9wavefront6targetE0EEEvT1_,@function
_ZN7rocprim17ROCPRIM_400000_NS6detail17trampoline_kernelINS0_14default_configENS1_25partition_config_selectorILNS1_17partition_subalgoE8EiNS0_10empty_typeEbEEZZNS1_14partition_implILS5_8ELb0ES3_jPKiPS6_PKS6_NS0_5tupleIJPiS6_EEENSE_IJSB_SB_EEENS0_18inequality_wrapperIN6hipcub16HIPCUB_304000_NS8EqualityEEEPlJS6_EEE10hipError_tPvRmT3_T4_T5_T6_T7_T9_mT8_P12ihipStream_tbDpT10_ENKUlT_T0_E_clISt17integral_constantIbLb0EES16_IbLb1EEEEDaS12_S13_EUlS12_E_NS1_11comp_targetILNS1_3genE9ELNS1_11target_archE1100ELNS1_3gpuE3ELNS1_3repE0EEENS1_30default_config_static_selectorELNS0_4arch9wavefront6targetE0EEEvT1_: ; @_ZN7rocprim17ROCPRIM_400000_NS6detail17trampoline_kernelINS0_14default_configENS1_25partition_config_selectorILNS1_17partition_subalgoE8EiNS0_10empty_typeEbEEZZNS1_14partition_implILS5_8ELb0ES3_jPKiPS6_PKS6_NS0_5tupleIJPiS6_EEENSE_IJSB_SB_EEENS0_18inequality_wrapperIN6hipcub16HIPCUB_304000_NS8EqualityEEEPlJS6_EEE10hipError_tPvRmT3_T4_T5_T6_T7_T9_mT8_P12ihipStream_tbDpT10_ENKUlT_T0_E_clISt17integral_constantIbLb0EES16_IbLb1EEEEDaS12_S13_EUlS12_E_NS1_11comp_targetILNS1_3genE9ELNS1_11target_archE1100ELNS1_3gpuE3ELNS1_3repE0EEENS1_30default_config_static_selectorELNS0_4arch9wavefront6targetE0EEEvT1_
; %bb.0:
	.section	.rodata,"a",@progbits
	.p2align	6, 0x0
	.amdhsa_kernel _ZN7rocprim17ROCPRIM_400000_NS6detail17trampoline_kernelINS0_14default_configENS1_25partition_config_selectorILNS1_17partition_subalgoE8EiNS0_10empty_typeEbEEZZNS1_14partition_implILS5_8ELb0ES3_jPKiPS6_PKS6_NS0_5tupleIJPiS6_EEENSE_IJSB_SB_EEENS0_18inequality_wrapperIN6hipcub16HIPCUB_304000_NS8EqualityEEEPlJS6_EEE10hipError_tPvRmT3_T4_T5_T6_T7_T9_mT8_P12ihipStream_tbDpT10_ENKUlT_T0_E_clISt17integral_constantIbLb0EES16_IbLb1EEEEDaS12_S13_EUlS12_E_NS1_11comp_targetILNS1_3genE9ELNS1_11target_archE1100ELNS1_3gpuE3ELNS1_3repE0EEENS1_30default_config_static_selectorELNS0_4arch9wavefront6targetE0EEEvT1_
		.amdhsa_group_segment_fixed_size 0
		.amdhsa_private_segment_fixed_size 0
		.amdhsa_kernarg_size 128
		.amdhsa_user_sgpr_count 2
		.amdhsa_user_sgpr_dispatch_ptr 0
		.amdhsa_user_sgpr_queue_ptr 0
		.amdhsa_user_sgpr_kernarg_segment_ptr 1
		.amdhsa_user_sgpr_dispatch_id 0
		.amdhsa_user_sgpr_kernarg_preload_length 0
		.amdhsa_user_sgpr_kernarg_preload_offset 0
		.amdhsa_user_sgpr_private_segment_size 0
		.amdhsa_wavefront_size32 1
		.amdhsa_uses_dynamic_stack 0
		.amdhsa_enable_private_segment 0
		.amdhsa_system_sgpr_workgroup_id_x 1
		.amdhsa_system_sgpr_workgroup_id_y 0
		.amdhsa_system_sgpr_workgroup_id_z 0
		.amdhsa_system_sgpr_workgroup_info 0
		.amdhsa_system_vgpr_workitem_id 0
		.amdhsa_next_free_vgpr 1
		.amdhsa_next_free_sgpr 1
		.amdhsa_named_barrier_count 0
		.amdhsa_reserve_vcc 0
		.amdhsa_float_round_mode_32 0
		.amdhsa_float_round_mode_16_64 0
		.amdhsa_float_denorm_mode_32 3
		.amdhsa_float_denorm_mode_16_64 3
		.amdhsa_fp16_overflow 0
		.amdhsa_memory_ordered 1
		.amdhsa_forward_progress 1
		.amdhsa_inst_pref_size 0
		.amdhsa_round_robin_scheduling 0
		.amdhsa_exception_fp_ieee_invalid_op 0
		.amdhsa_exception_fp_denorm_src 0
		.amdhsa_exception_fp_ieee_div_zero 0
		.amdhsa_exception_fp_ieee_overflow 0
		.amdhsa_exception_fp_ieee_underflow 0
		.amdhsa_exception_fp_ieee_inexact 0
		.amdhsa_exception_int_div_zero 0
	.end_amdhsa_kernel
	.section	.text._ZN7rocprim17ROCPRIM_400000_NS6detail17trampoline_kernelINS0_14default_configENS1_25partition_config_selectorILNS1_17partition_subalgoE8EiNS0_10empty_typeEbEEZZNS1_14partition_implILS5_8ELb0ES3_jPKiPS6_PKS6_NS0_5tupleIJPiS6_EEENSE_IJSB_SB_EEENS0_18inequality_wrapperIN6hipcub16HIPCUB_304000_NS8EqualityEEEPlJS6_EEE10hipError_tPvRmT3_T4_T5_T6_T7_T9_mT8_P12ihipStream_tbDpT10_ENKUlT_T0_E_clISt17integral_constantIbLb0EES16_IbLb1EEEEDaS12_S13_EUlS12_E_NS1_11comp_targetILNS1_3genE9ELNS1_11target_archE1100ELNS1_3gpuE3ELNS1_3repE0EEENS1_30default_config_static_selectorELNS0_4arch9wavefront6targetE0EEEvT1_,"axG",@progbits,_ZN7rocprim17ROCPRIM_400000_NS6detail17trampoline_kernelINS0_14default_configENS1_25partition_config_selectorILNS1_17partition_subalgoE8EiNS0_10empty_typeEbEEZZNS1_14partition_implILS5_8ELb0ES3_jPKiPS6_PKS6_NS0_5tupleIJPiS6_EEENSE_IJSB_SB_EEENS0_18inequality_wrapperIN6hipcub16HIPCUB_304000_NS8EqualityEEEPlJS6_EEE10hipError_tPvRmT3_T4_T5_T6_T7_T9_mT8_P12ihipStream_tbDpT10_ENKUlT_T0_E_clISt17integral_constantIbLb0EES16_IbLb1EEEEDaS12_S13_EUlS12_E_NS1_11comp_targetILNS1_3genE9ELNS1_11target_archE1100ELNS1_3gpuE3ELNS1_3repE0EEENS1_30default_config_static_selectorELNS0_4arch9wavefront6targetE0EEEvT1_,comdat
.Lfunc_end440:
	.size	_ZN7rocprim17ROCPRIM_400000_NS6detail17trampoline_kernelINS0_14default_configENS1_25partition_config_selectorILNS1_17partition_subalgoE8EiNS0_10empty_typeEbEEZZNS1_14partition_implILS5_8ELb0ES3_jPKiPS6_PKS6_NS0_5tupleIJPiS6_EEENSE_IJSB_SB_EEENS0_18inequality_wrapperIN6hipcub16HIPCUB_304000_NS8EqualityEEEPlJS6_EEE10hipError_tPvRmT3_T4_T5_T6_T7_T9_mT8_P12ihipStream_tbDpT10_ENKUlT_T0_E_clISt17integral_constantIbLb0EES16_IbLb1EEEEDaS12_S13_EUlS12_E_NS1_11comp_targetILNS1_3genE9ELNS1_11target_archE1100ELNS1_3gpuE3ELNS1_3repE0EEENS1_30default_config_static_selectorELNS0_4arch9wavefront6targetE0EEEvT1_, .Lfunc_end440-_ZN7rocprim17ROCPRIM_400000_NS6detail17trampoline_kernelINS0_14default_configENS1_25partition_config_selectorILNS1_17partition_subalgoE8EiNS0_10empty_typeEbEEZZNS1_14partition_implILS5_8ELb0ES3_jPKiPS6_PKS6_NS0_5tupleIJPiS6_EEENSE_IJSB_SB_EEENS0_18inequality_wrapperIN6hipcub16HIPCUB_304000_NS8EqualityEEEPlJS6_EEE10hipError_tPvRmT3_T4_T5_T6_T7_T9_mT8_P12ihipStream_tbDpT10_ENKUlT_T0_E_clISt17integral_constantIbLb0EES16_IbLb1EEEEDaS12_S13_EUlS12_E_NS1_11comp_targetILNS1_3genE9ELNS1_11target_archE1100ELNS1_3gpuE3ELNS1_3repE0EEENS1_30default_config_static_selectorELNS0_4arch9wavefront6targetE0EEEvT1_
                                        ; -- End function
	.set _ZN7rocprim17ROCPRIM_400000_NS6detail17trampoline_kernelINS0_14default_configENS1_25partition_config_selectorILNS1_17partition_subalgoE8EiNS0_10empty_typeEbEEZZNS1_14partition_implILS5_8ELb0ES3_jPKiPS6_PKS6_NS0_5tupleIJPiS6_EEENSE_IJSB_SB_EEENS0_18inequality_wrapperIN6hipcub16HIPCUB_304000_NS8EqualityEEEPlJS6_EEE10hipError_tPvRmT3_T4_T5_T6_T7_T9_mT8_P12ihipStream_tbDpT10_ENKUlT_T0_E_clISt17integral_constantIbLb0EES16_IbLb1EEEEDaS12_S13_EUlS12_E_NS1_11comp_targetILNS1_3genE9ELNS1_11target_archE1100ELNS1_3gpuE3ELNS1_3repE0EEENS1_30default_config_static_selectorELNS0_4arch9wavefront6targetE0EEEvT1_.num_vgpr, 0
	.set _ZN7rocprim17ROCPRIM_400000_NS6detail17trampoline_kernelINS0_14default_configENS1_25partition_config_selectorILNS1_17partition_subalgoE8EiNS0_10empty_typeEbEEZZNS1_14partition_implILS5_8ELb0ES3_jPKiPS6_PKS6_NS0_5tupleIJPiS6_EEENSE_IJSB_SB_EEENS0_18inequality_wrapperIN6hipcub16HIPCUB_304000_NS8EqualityEEEPlJS6_EEE10hipError_tPvRmT3_T4_T5_T6_T7_T9_mT8_P12ihipStream_tbDpT10_ENKUlT_T0_E_clISt17integral_constantIbLb0EES16_IbLb1EEEEDaS12_S13_EUlS12_E_NS1_11comp_targetILNS1_3genE9ELNS1_11target_archE1100ELNS1_3gpuE3ELNS1_3repE0EEENS1_30default_config_static_selectorELNS0_4arch9wavefront6targetE0EEEvT1_.num_agpr, 0
	.set _ZN7rocprim17ROCPRIM_400000_NS6detail17trampoline_kernelINS0_14default_configENS1_25partition_config_selectorILNS1_17partition_subalgoE8EiNS0_10empty_typeEbEEZZNS1_14partition_implILS5_8ELb0ES3_jPKiPS6_PKS6_NS0_5tupleIJPiS6_EEENSE_IJSB_SB_EEENS0_18inequality_wrapperIN6hipcub16HIPCUB_304000_NS8EqualityEEEPlJS6_EEE10hipError_tPvRmT3_T4_T5_T6_T7_T9_mT8_P12ihipStream_tbDpT10_ENKUlT_T0_E_clISt17integral_constantIbLb0EES16_IbLb1EEEEDaS12_S13_EUlS12_E_NS1_11comp_targetILNS1_3genE9ELNS1_11target_archE1100ELNS1_3gpuE3ELNS1_3repE0EEENS1_30default_config_static_selectorELNS0_4arch9wavefront6targetE0EEEvT1_.numbered_sgpr, 0
	.set _ZN7rocprim17ROCPRIM_400000_NS6detail17trampoline_kernelINS0_14default_configENS1_25partition_config_selectorILNS1_17partition_subalgoE8EiNS0_10empty_typeEbEEZZNS1_14partition_implILS5_8ELb0ES3_jPKiPS6_PKS6_NS0_5tupleIJPiS6_EEENSE_IJSB_SB_EEENS0_18inequality_wrapperIN6hipcub16HIPCUB_304000_NS8EqualityEEEPlJS6_EEE10hipError_tPvRmT3_T4_T5_T6_T7_T9_mT8_P12ihipStream_tbDpT10_ENKUlT_T0_E_clISt17integral_constantIbLb0EES16_IbLb1EEEEDaS12_S13_EUlS12_E_NS1_11comp_targetILNS1_3genE9ELNS1_11target_archE1100ELNS1_3gpuE3ELNS1_3repE0EEENS1_30default_config_static_selectorELNS0_4arch9wavefront6targetE0EEEvT1_.num_named_barrier, 0
	.set _ZN7rocprim17ROCPRIM_400000_NS6detail17trampoline_kernelINS0_14default_configENS1_25partition_config_selectorILNS1_17partition_subalgoE8EiNS0_10empty_typeEbEEZZNS1_14partition_implILS5_8ELb0ES3_jPKiPS6_PKS6_NS0_5tupleIJPiS6_EEENSE_IJSB_SB_EEENS0_18inequality_wrapperIN6hipcub16HIPCUB_304000_NS8EqualityEEEPlJS6_EEE10hipError_tPvRmT3_T4_T5_T6_T7_T9_mT8_P12ihipStream_tbDpT10_ENKUlT_T0_E_clISt17integral_constantIbLb0EES16_IbLb1EEEEDaS12_S13_EUlS12_E_NS1_11comp_targetILNS1_3genE9ELNS1_11target_archE1100ELNS1_3gpuE3ELNS1_3repE0EEENS1_30default_config_static_selectorELNS0_4arch9wavefront6targetE0EEEvT1_.private_seg_size, 0
	.set _ZN7rocprim17ROCPRIM_400000_NS6detail17trampoline_kernelINS0_14default_configENS1_25partition_config_selectorILNS1_17partition_subalgoE8EiNS0_10empty_typeEbEEZZNS1_14partition_implILS5_8ELb0ES3_jPKiPS6_PKS6_NS0_5tupleIJPiS6_EEENSE_IJSB_SB_EEENS0_18inequality_wrapperIN6hipcub16HIPCUB_304000_NS8EqualityEEEPlJS6_EEE10hipError_tPvRmT3_T4_T5_T6_T7_T9_mT8_P12ihipStream_tbDpT10_ENKUlT_T0_E_clISt17integral_constantIbLb0EES16_IbLb1EEEEDaS12_S13_EUlS12_E_NS1_11comp_targetILNS1_3genE9ELNS1_11target_archE1100ELNS1_3gpuE3ELNS1_3repE0EEENS1_30default_config_static_selectorELNS0_4arch9wavefront6targetE0EEEvT1_.uses_vcc, 0
	.set _ZN7rocprim17ROCPRIM_400000_NS6detail17trampoline_kernelINS0_14default_configENS1_25partition_config_selectorILNS1_17partition_subalgoE8EiNS0_10empty_typeEbEEZZNS1_14partition_implILS5_8ELb0ES3_jPKiPS6_PKS6_NS0_5tupleIJPiS6_EEENSE_IJSB_SB_EEENS0_18inequality_wrapperIN6hipcub16HIPCUB_304000_NS8EqualityEEEPlJS6_EEE10hipError_tPvRmT3_T4_T5_T6_T7_T9_mT8_P12ihipStream_tbDpT10_ENKUlT_T0_E_clISt17integral_constantIbLb0EES16_IbLb1EEEEDaS12_S13_EUlS12_E_NS1_11comp_targetILNS1_3genE9ELNS1_11target_archE1100ELNS1_3gpuE3ELNS1_3repE0EEENS1_30default_config_static_selectorELNS0_4arch9wavefront6targetE0EEEvT1_.uses_flat_scratch, 0
	.set _ZN7rocprim17ROCPRIM_400000_NS6detail17trampoline_kernelINS0_14default_configENS1_25partition_config_selectorILNS1_17partition_subalgoE8EiNS0_10empty_typeEbEEZZNS1_14partition_implILS5_8ELb0ES3_jPKiPS6_PKS6_NS0_5tupleIJPiS6_EEENSE_IJSB_SB_EEENS0_18inequality_wrapperIN6hipcub16HIPCUB_304000_NS8EqualityEEEPlJS6_EEE10hipError_tPvRmT3_T4_T5_T6_T7_T9_mT8_P12ihipStream_tbDpT10_ENKUlT_T0_E_clISt17integral_constantIbLb0EES16_IbLb1EEEEDaS12_S13_EUlS12_E_NS1_11comp_targetILNS1_3genE9ELNS1_11target_archE1100ELNS1_3gpuE3ELNS1_3repE0EEENS1_30default_config_static_selectorELNS0_4arch9wavefront6targetE0EEEvT1_.has_dyn_sized_stack, 0
	.set _ZN7rocprim17ROCPRIM_400000_NS6detail17trampoline_kernelINS0_14default_configENS1_25partition_config_selectorILNS1_17partition_subalgoE8EiNS0_10empty_typeEbEEZZNS1_14partition_implILS5_8ELb0ES3_jPKiPS6_PKS6_NS0_5tupleIJPiS6_EEENSE_IJSB_SB_EEENS0_18inequality_wrapperIN6hipcub16HIPCUB_304000_NS8EqualityEEEPlJS6_EEE10hipError_tPvRmT3_T4_T5_T6_T7_T9_mT8_P12ihipStream_tbDpT10_ENKUlT_T0_E_clISt17integral_constantIbLb0EES16_IbLb1EEEEDaS12_S13_EUlS12_E_NS1_11comp_targetILNS1_3genE9ELNS1_11target_archE1100ELNS1_3gpuE3ELNS1_3repE0EEENS1_30default_config_static_selectorELNS0_4arch9wavefront6targetE0EEEvT1_.has_recursion, 0
	.set _ZN7rocprim17ROCPRIM_400000_NS6detail17trampoline_kernelINS0_14default_configENS1_25partition_config_selectorILNS1_17partition_subalgoE8EiNS0_10empty_typeEbEEZZNS1_14partition_implILS5_8ELb0ES3_jPKiPS6_PKS6_NS0_5tupleIJPiS6_EEENSE_IJSB_SB_EEENS0_18inequality_wrapperIN6hipcub16HIPCUB_304000_NS8EqualityEEEPlJS6_EEE10hipError_tPvRmT3_T4_T5_T6_T7_T9_mT8_P12ihipStream_tbDpT10_ENKUlT_T0_E_clISt17integral_constantIbLb0EES16_IbLb1EEEEDaS12_S13_EUlS12_E_NS1_11comp_targetILNS1_3genE9ELNS1_11target_archE1100ELNS1_3gpuE3ELNS1_3repE0EEENS1_30default_config_static_selectorELNS0_4arch9wavefront6targetE0EEEvT1_.has_indirect_call, 0
	.section	.AMDGPU.csdata,"",@progbits
; Kernel info:
; codeLenInByte = 0
; TotalNumSgprs: 0
; NumVgprs: 0
; ScratchSize: 0
; MemoryBound: 0
; FloatMode: 240
; IeeeMode: 1
; LDSByteSize: 0 bytes/workgroup (compile time only)
; SGPRBlocks: 0
; VGPRBlocks: 0
; NumSGPRsForWavesPerEU: 1
; NumVGPRsForWavesPerEU: 1
; NamedBarCnt: 0
; Occupancy: 16
; WaveLimiterHint : 0
; COMPUTE_PGM_RSRC2:SCRATCH_EN: 0
; COMPUTE_PGM_RSRC2:USER_SGPR: 2
; COMPUTE_PGM_RSRC2:TRAP_HANDLER: 0
; COMPUTE_PGM_RSRC2:TGID_X_EN: 1
; COMPUTE_PGM_RSRC2:TGID_Y_EN: 0
; COMPUTE_PGM_RSRC2:TGID_Z_EN: 0
; COMPUTE_PGM_RSRC2:TIDIG_COMP_CNT: 0
	.section	.text._ZN7rocprim17ROCPRIM_400000_NS6detail17trampoline_kernelINS0_14default_configENS1_25partition_config_selectorILNS1_17partition_subalgoE8EiNS0_10empty_typeEbEEZZNS1_14partition_implILS5_8ELb0ES3_jPKiPS6_PKS6_NS0_5tupleIJPiS6_EEENSE_IJSB_SB_EEENS0_18inequality_wrapperIN6hipcub16HIPCUB_304000_NS8EqualityEEEPlJS6_EEE10hipError_tPvRmT3_T4_T5_T6_T7_T9_mT8_P12ihipStream_tbDpT10_ENKUlT_T0_E_clISt17integral_constantIbLb0EES16_IbLb1EEEEDaS12_S13_EUlS12_E_NS1_11comp_targetILNS1_3genE8ELNS1_11target_archE1030ELNS1_3gpuE2ELNS1_3repE0EEENS1_30default_config_static_selectorELNS0_4arch9wavefront6targetE0EEEvT1_,"axG",@progbits,_ZN7rocprim17ROCPRIM_400000_NS6detail17trampoline_kernelINS0_14default_configENS1_25partition_config_selectorILNS1_17partition_subalgoE8EiNS0_10empty_typeEbEEZZNS1_14partition_implILS5_8ELb0ES3_jPKiPS6_PKS6_NS0_5tupleIJPiS6_EEENSE_IJSB_SB_EEENS0_18inequality_wrapperIN6hipcub16HIPCUB_304000_NS8EqualityEEEPlJS6_EEE10hipError_tPvRmT3_T4_T5_T6_T7_T9_mT8_P12ihipStream_tbDpT10_ENKUlT_T0_E_clISt17integral_constantIbLb0EES16_IbLb1EEEEDaS12_S13_EUlS12_E_NS1_11comp_targetILNS1_3genE8ELNS1_11target_archE1030ELNS1_3gpuE2ELNS1_3repE0EEENS1_30default_config_static_selectorELNS0_4arch9wavefront6targetE0EEEvT1_,comdat
	.protected	_ZN7rocprim17ROCPRIM_400000_NS6detail17trampoline_kernelINS0_14default_configENS1_25partition_config_selectorILNS1_17partition_subalgoE8EiNS0_10empty_typeEbEEZZNS1_14partition_implILS5_8ELb0ES3_jPKiPS6_PKS6_NS0_5tupleIJPiS6_EEENSE_IJSB_SB_EEENS0_18inequality_wrapperIN6hipcub16HIPCUB_304000_NS8EqualityEEEPlJS6_EEE10hipError_tPvRmT3_T4_T5_T6_T7_T9_mT8_P12ihipStream_tbDpT10_ENKUlT_T0_E_clISt17integral_constantIbLb0EES16_IbLb1EEEEDaS12_S13_EUlS12_E_NS1_11comp_targetILNS1_3genE8ELNS1_11target_archE1030ELNS1_3gpuE2ELNS1_3repE0EEENS1_30default_config_static_selectorELNS0_4arch9wavefront6targetE0EEEvT1_ ; -- Begin function _ZN7rocprim17ROCPRIM_400000_NS6detail17trampoline_kernelINS0_14default_configENS1_25partition_config_selectorILNS1_17partition_subalgoE8EiNS0_10empty_typeEbEEZZNS1_14partition_implILS5_8ELb0ES3_jPKiPS6_PKS6_NS0_5tupleIJPiS6_EEENSE_IJSB_SB_EEENS0_18inequality_wrapperIN6hipcub16HIPCUB_304000_NS8EqualityEEEPlJS6_EEE10hipError_tPvRmT3_T4_T5_T6_T7_T9_mT8_P12ihipStream_tbDpT10_ENKUlT_T0_E_clISt17integral_constantIbLb0EES16_IbLb1EEEEDaS12_S13_EUlS12_E_NS1_11comp_targetILNS1_3genE8ELNS1_11target_archE1030ELNS1_3gpuE2ELNS1_3repE0EEENS1_30default_config_static_selectorELNS0_4arch9wavefront6targetE0EEEvT1_
	.globl	_ZN7rocprim17ROCPRIM_400000_NS6detail17trampoline_kernelINS0_14default_configENS1_25partition_config_selectorILNS1_17partition_subalgoE8EiNS0_10empty_typeEbEEZZNS1_14partition_implILS5_8ELb0ES3_jPKiPS6_PKS6_NS0_5tupleIJPiS6_EEENSE_IJSB_SB_EEENS0_18inequality_wrapperIN6hipcub16HIPCUB_304000_NS8EqualityEEEPlJS6_EEE10hipError_tPvRmT3_T4_T5_T6_T7_T9_mT8_P12ihipStream_tbDpT10_ENKUlT_T0_E_clISt17integral_constantIbLb0EES16_IbLb1EEEEDaS12_S13_EUlS12_E_NS1_11comp_targetILNS1_3genE8ELNS1_11target_archE1030ELNS1_3gpuE2ELNS1_3repE0EEENS1_30default_config_static_selectorELNS0_4arch9wavefront6targetE0EEEvT1_
	.p2align	8
	.type	_ZN7rocprim17ROCPRIM_400000_NS6detail17trampoline_kernelINS0_14default_configENS1_25partition_config_selectorILNS1_17partition_subalgoE8EiNS0_10empty_typeEbEEZZNS1_14partition_implILS5_8ELb0ES3_jPKiPS6_PKS6_NS0_5tupleIJPiS6_EEENSE_IJSB_SB_EEENS0_18inequality_wrapperIN6hipcub16HIPCUB_304000_NS8EqualityEEEPlJS6_EEE10hipError_tPvRmT3_T4_T5_T6_T7_T9_mT8_P12ihipStream_tbDpT10_ENKUlT_T0_E_clISt17integral_constantIbLb0EES16_IbLb1EEEEDaS12_S13_EUlS12_E_NS1_11comp_targetILNS1_3genE8ELNS1_11target_archE1030ELNS1_3gpuE2ELNS1_3repE0EEENS1_30default_config_static_selectorELNS0_4arch9wavefront6targetE0EEEvT1_,@function
_ZN7rocprim17ROCPRIM_400000_NS6detail17trampoline_kernelINS0_14default_configENS1_25partition_config_selectorILNS1_17partition_subalgoE8EiNS0_10empty_typeEbEEZZNS1_14partition_implILS5_8ELb0ES3_jPKiPS6_PKS6_NS0_5tupleIJPiS6_EEENSE_IJSB_SB_EEENS0_18inequality_wrapperIN6hipcub16HIPCUB_304000_NS8EqualityEEEPlJS6_EEE10hipError_tPvRmT3_T4_T5_T6_T7_T9_mT8_P12ihipStream_tbDpT10_ENKUlT_T0_E_clISt17integral_constantIbLb0EES16_IbLb1EEEEDaS12_S13_EUlS12_E_NS1_11comp_targetILNS1_3genE8ELNS1_11target_archE1030ELNS1_3gpuE2ELNS1_3repE0EEENS1_30default_config_static_selectorELNS0_4arch9wavefront6targetE0EEEvT1_: ; @_ZN7rocprim17ROCPRIM_400000_NS6detail17trampoline_kernelINS0_14default_configENS1_25partition_config_selectorILNS1_17partition_subalgoE8EiNS0_10empty_typeEbEEZZNS1_14partition_implILS5_8ELb0ES3_jPKiPS6_PKS6_NS0_5tupleIJPiS6_EEENSE_IJSB_SB_EEENS0_18inequality_wrapperIN6hipcub16HIPCUB_304000_NS8EqualityEEEPlJS6_EEE10hipError_tPvRmT3_T4_T5_T6_T7_T9_mT8_P12ihipStream_tbDpT10_ENKUlT_T0_E_clISt17integral_constantIbLb0EES16_IbLb1EEEEDaS12_S13_EUlS12_E_NS1_11comp_targetILNS1_3genE8ELNS1_11target_archE1030ELNS1_3gpuE2ELNS1_3repE0EEENS1_30default_config_static_selectorELNS0_4arch9wavefront6targetE0EEEvT1_
; %bb.0:
	.section	.rodata,"a",@progbits
	.p2align	6, 0x0
	.amdhsa_kernel _ZN7rocprim17ROCPRIM_400000_NS6detail17trampoline_kernelINS0_14default_configENS1_25partition_config_selectorILNS1_17partition_subalgoE8EiNS0_10empty_typeEbEEZZNS1_14partition_implILS5_8ELb0ES3_jPKiPS6_PKS6_NS0_5tupleIJPiS6_EEENSE_IJSB_SB_EEENS0_18inequality_wrapperIN6hipcub16HIPCUB_304000_NS8EqualityEEEPlJS6_EEE10hipError_tPvRmT3_T4_T5_T6_T7_T9_mT8_P12ihipStream_tbDpT10_ENKUlT_T0_E_clISt17integral_constantIbLb0EES16_IbLb1EEEEDaS12_S13_EUlS12_E_NS1_11comp_targetILNS1_3genE8ELNS1_11target_archE1030ELNS1_3gpuE2ELNS1_3repE0EEENS1_30default_config_static_selectorELNS0_4arch9wavefront6targetE0EEEvT1_
		.amdhsa_group_segment_fixed_size 0
		.amdhsa_private_segment_fixed_size 0
		.amdhsa_kernarg_size 128
		.amdhsa_user_sgpr_count 2
		.amdhsa_user_sgpr_dispatch_ptr 0
		.amdhsa_user_sgpr_queue_ptr 0
		.amdhsa_user_sgpr_kernarg_segment_ptr 1
		.amdhsa_user_sgpr_dispatch_id 0
		.amdhsa_user_sgpr_kernarg_preload_length 0
		.amdhsa_user_sgpr_kernarg_preload_offset 0
		.amdhsa_user_sgpr_private_segment_size 0
		.amdhsa_wavefront_size32 1
		.amdhsa_uses_dynamic_stack 0
		.amdhsa_enable_private_segment 0
		.amdhsa_system_sgpr_workgroup_id_x 1
		.amdhsa_system_sgpr_workgroup_id_y 0
		.amdhsa_system_sgpr_workgroup_id_z 0
		.amdhsa_system_sgpr_workgroup_info 0
		.amdhsa_system_vgpr_workitem_id 0
		.amdhsa_next_free_vgpr 1
		.amdhsa_next_free_sgpr 1
		.amdhsa_named_barrier_count 0
		.amdhsa_reserve_vcc 0
		.amdhsa_float_round_mode_32 0
		.amdhsa_float_round_mode_16_64 0
		.amdhsa_float_denorm_mode_32 3
		.amdhsa_float_denorm_mode_16_64 3
		.amdhsa_fp16_overflow 0
		.amdhsa_memory_ordered 1
		.amdhsa_forward_progress 1
		.amdhsa_inst_pref_size 0
		.amdhsa_round_robin_scheduling 0
		.amdhsa_exception_fp_ieee_invalid_op 0
		.amdhsa_exception_fp_denorm_src 0
		.amdhsa_exception_fp_ieee_div_zero 0
		.amdhsa_exception_fp_ieee_overflow 0
		.amdhsa_exception_fp_ieee_underflow 0
		.amdhsa_exception_fp_ieee_inexact 0
		.amdhsa_exception_int_div_zero 0
	.end_amdhsa_kernel
	.section	.text._ZN7rocprim17ROCPRIM_400000_NS6detail17trampoline_kernelINS0_14default_configENS1_25partition_config_selectorILNS1_17partition_subalgoE8EiNS0_10empty_typeEbEEZZNS1_14partition_implILS5_8ELb0ES3_jPKiPS6_PKS6_NS0_5tupleIJPiS6_EEENSE_IJSB_SB_EEENS0_18inequality_wrapperIN6hipcub16HIPCUB_304000_NS8EqualityEEEPlJS6_EEE10hipError_tPvRmT3_T4_T5_T6_T7_T9_mT8_P12ihipStream_tbDpT10_ENKUlT_T0_E_clISt17integral_constantIbLb0EES16_IbLb1EEEEDaS12_S13_EUlS12_E_NS1_11comp_targetILNS1_3genE8ELNS1_11target_archE1030ELNS1_3gpuE2ELNS1_3repE0EEENS1_30default_config_static_selectorELNS0_4arch9wavefront6targetE0EEEvT1_,"axG",@progbits,_ZN7rocprim17ROCPRIM_400000_NS6detail17trampoline_kernelINS0_14default_configENS1_25partition_config_selectorILNS1_17partition_subalgoE8EiNS0_10empty_typeEbEEZZNS1_14partition_implILS5_8ELb0ES3_jPKiPS6_PKS6_NS0_5tupleIJPiS6_EEENSE_IJSB_SB_EEENS0_18inequality_wrapperIN6hipcub16HIPCUB_304000_NS8EqualityEEEPlJS6_EEE10hipError_tPvRmT3_T4_T5_T6_T7_T9_mT8_P12ihipStream_tbDpT10_ENKUlT_T0_E_clISt17integral_constantIbLb0EES16_IbLb1EEEEDaS12_S13_EUlS12_E_NS1_11comp_targetILNS1_3genE8ELNS1_11target_archE1030ELNS1_3gpuE2ELNS1_3repE0EEENS1_30default_config_static_selectorELNS0_4arch9wavefront6targetE0EEEvT1_,comdat
.Lfunc_end441:
	.size	_ZN7rocprim17ROCPRIM_400000_NS6detail17trampoline_kernelINS0_14default_configENS1_25partition_config_selectorILNS1_17partition_subalgoE8EiNS0_10empty_typeEbEEZZNS1_14partition_implILS5_8ELb0ES3_jPKiPS6_PKS6_NS0_5tupleIJPiS6_EEENSE_IJSB_SB_EEENS0_18inequality_wrapperIN6hipcub16HIPCUB_304000_NS8EqualityEEEPlJS6_EEE10hipError_tPvRmT3_T4_T5_T6_T7_T9_mT8_P12ihipStream_tbDpT10_ENKUlT_T0_E_clISt17integral_constantIbLb0EES16_IbLb1EEEEDaS12_S13_EUlS12_E_NS1_11comp_targetILNS1_3genE8ELNS1_11target_archE1030ELNS1_3gpuE2ELNS1_3repE0EEENS1_30default_config_static_selectorELNS0_4arch9wavefront6targetE0EEEvT1_, .Lfunc_end441-_ZN7rocprim17ROCPRIM_400000_NS6detail17trampoline_kernelINS0_14default_configENS1_25partition_config_selectorILNS1_17partition_subalgoE8EiNS0_10empty_typeEbEEZZNS1_14partition_implILS5_8ELb0ES3_jPKiPS6_PKS6_NS0_5tupleIJPiS6_EEENSE_IJSB_SB_EEENS0_18inequality_wrapperIN6hipcub16HIPCUB_304000_NS8EqualityEEEPlJS6_EEE10hipError_tPvRmT3_T4_T5_T6_T7_T9_mT8_P12ihipStream_tbDpT10_ENKUlT_T0_E_clISt17integral_constantIbLb0EES16_IbLb1EEEEDaS12_S13_EUlS12_E_NS1_11comp_targetILNS1_3genE8ELNS1_11target_archE1030ELNS1_3gpuE2ELNS1_3repE0EEENS1_30default_config_static_selectorELNS0_4arch9wavefront6targetE0EEEvT1_
                                        ; -- End function
	.set _ZN7rocprim17ROCPRIM_400000_NS6detail17trampoline_kernelINS0_14default_configENS1_25partition_config_selectorILNS1_17partition_subalgoE8EiNS0_10empty_typeEbEEZZNS1_14partition_implILS5_8ELb0ES3_jPKiPS6_PKS6_NS0_5tupleIJPiS6_EEENSE_IJSB_SB_EEENS0_18inequality_wrapperIN6hipcub16HIPCUB_304000_NS8EqualityEEEPlJS6_EEE10hipError_tPvRmT3_T4_T5_T6_T7_T9_mT8_P12ihipStream_tbDpT10_ENKUlT_T0_E_clISt17integral_constantIbLb0EES16_IbLb1EEEEDaS12_S13_EUlS12_E_NS1_11comp_targetILNS1_3genE8ELNS1_11target_archE1030ELNS1_3gpuE2ELNS1_3repE0EEENS1_30default_config_static_selectorELNS0_4arch9wavefront6targetE0EEEvT1_.num_vgpr, 0
	.set _ZN7rocprim17ROCPRIM_400000_NS6detail17trampoline_kernelINS0_14default_configENS1_25partition_config_selectorILNS1_17partition_subalgoE8EiNS0_10empty_typeEbEEZZNS1_14partition_implILS5_8ELb0ES3_jPKiPS6_PKS6_NS0_5tupleIJPiS6_EEENSE_IJSB_SB_EEENS0_18inequality_wrapperIN6hipcub16HIPCUB_304000_NS8EqualityEEEPlJS6_EEE10hipError_tPvRmT3_T4_T5_T6_T7_T9_mT8_P12ihipStream_tbDpT10_ENKUlT_T0_E_clISt17integral_constantIbLb0EES16_IbLb1EEEEDaS12_S13_EUlS12_E_NS1_11comp_targetILNS1_3genE8ELNS1_11target_archE1030ELNS1_3gpuE2ELNS1_3repE0EEENS1_30default_config_static_selectorELNS0_4arch9wavefront6targetE0EEEvT1_.num_agpr, 0
	.set _ZN7rocprim17ROCPRIM_400000_NS6detail17trampoline_kernelINS0_14default_configENS1_25partition_config_selectorILNS1_17partition_subalgoE8EiNS0_10empty_typeEbEEZZNS1_14partition_implILS5_8ELb0ES3_jPKiPS6_PKS6_NS0_5tupleIJPiS6_EEENSE_IJSB_SB_EEENS0_18inequality_wrapperIN6hipcub16HIPCUB_304000_NS8EqualityEEEPlJS6_EEE10hipError_tPvRmT3_T4_T5_T6_T7_T9_mT8_P12ihipStream_tbDpT10_ENKUlT_T0_E_clISt17integral_constantIbLb0EES16_IbLb1EEEEDaS12_S13_EUlS12_E_NS1_11comp_targetILNS1_3genE8ELNS1_11target_archE1030ELNS1_3gpuE2ELNS1_3repE0EEENS1_30default_config_static_selectorELNS0_4arch9wavefront6targetE0EEEvT1_.numbered_sgpr, 0
	.set _ZN7rocprim17ROCPRIM_400000_NS6detail17trampoline_kernelINS0_14default_configENS1_25partition_config_selectorILNS1_17partition_subalgoE8EiNS0_10empty_typeEbEEZZNS1_14partition_implILS5_8ELb0ES3_jPKiPS6_PKS6_NS0_5tupleIJPiS6_EEENSE_IJSB_SB_EEENS0_18inequality_wrapperIN6hipcub16HIPCUB_304000_NS8EqualityEEEPlJS6_EEE10hipError_tPvRmT3_T4_T5_T6_T7_T9_mT8_P12ihipStream_tbDpT10_ENKUlT_T0_E_clISt17integral_constantIbLb0EES16_IbLb1EEEEDaS12_S13_EUlS12_E_NS1_11comp_targetILNS1_3genE8ELNS1_11target_archE1030ELNS1_3gpuE2ELNS1_3repE0EEENS1_30default_config_static_selectorELNS0_4arch9wavefront6targetE0EEEvT1_.num_named_barrier, 0
	.set _ZN7rocprim17ROCPRIM_400000_NS6detail17trampoline_kernelINS0_14default_configENS1_25partition_config_selectorILNS1_17partition_subalgoE8EiNS0_10empty_typeEbEEZZNS1_14partition_implILS5_8ELb0ES3_jPKiPS6_PKS6_NS0_5tupleIJPiS6_EEENSE_IJSB_SB_EEENS0_18inequality_wrapperIN6hipcub16HIPCUB_304000_NS8EqualityEEEPlJS6_EEE10hipError_tPvRmT3_T4_T5_T6_T7_T9_mT8_P12ihipStream_tbDpT10_ENKUlT_T0_E_clISt17integral_constantIbLb0EES16_IbLb1EEEEDaS12_S13_EUlS12_E_NS1_11comp_targetILNS1_3genE8ELNS1_11target_archE1030ELNS1_3gpuE2ELNS1_3repE0EEENS1_30default_config_static_selectorELNS0_4arch9wavefront6targetE0EEEvT1_.private_seg_size, 0
	.set _ZN7rocprim17ROCPRIM_400000_NS6detail17trampoline_kernelINS0_14default_configENS1_25partition_config_selectorILNS1_17partition_subalgoE8EiNS0_10empty_typeEbEEZZNS1_14partition_implILS5_8ELb0ES3_jPKiPS6_PKS6_NS0_5tupleIJPiS6_EEENSE_IJSB_SB_EEENS0_18inequality_wrapperIN6hipcub16HIPCUB_304000_NS8EqualityEEEPlJS6_EEE10hipError_tPvRmT3_T4_T5_T6_T7_T9_mT8_P12ihipStream_tbDpT10_ENKUlT_T0_E_clISt17integral_constantIbLb0EES16_IbLb1EEEEDaS12_S13_EUlS12_E_NS1_11comp_targetILNS1_3genE8ELNS1_11target_archE1030ELNS1_3gpuE2ELNS1_3repE0EEENS1_30default_config_static_selectorELNS0_4arch9wavefront6targetE0EEEvT1_.uses_vcc, 0
	.set _ZN7rocprim17ROCPRIM_400000_NS6detail17trampoline_kernelINS0_14default_configENS1_25partition_config_selectorILNS1_17partition_subalgoE8EiNS0_10empty_typeEbEEZZNS1_14partition_implILS5_8ELb0ES3_jPKiPS6_PKS6_NS0_5tupleIJPiS6_EEENSE_IJSB_SB_EEENS0_18inequality_wrapperIN6hipcub16HIPCUB_304000_NS8EqualityEEEPlJS6_EEE10hipError_tPvRmT3_T4_T5_T6_T7_T9_mT8_P12ihipStream_tbDpT10_ENKUlT_T0_E_clISt17integral_constantIbLb0EES16_IbLb1EEEEDaS12_S13_EUlS12_E_NS1_11comp_targetILNS1_3genE8ELNS1_11target_archE1030ELNS1_3gpuE2ELNS1_3repE0EEENS1_30default_config_static_selectorELNS0_4arch9wavefront6targetE0EEEvT1_.uses_flat_scratch, 0
	.set _ZN7rocprim17ROCPRIM_400000_NS6detail17trampoline_kernelINS0_14default_configENS1_25partition_config_selectorILNS1_17partition_subalgoE8EiNS0_10empty_typeEbEEZZNS1_14partition_implILS5_8ELb0ES3_jPKiPS6_PKS6_NS0_5tupleIJPiS6_EEENSE_IJSB_SB_EEENS0_18inequality_wrapperIN6hipcub16HIPCUB_304000_NS8EqualityEEEPlJS6_EEE10hipError_tPvRmT3_T4_T5_T6_T7_T9_mT8_P12ihipStream_tbDpT10_ENKUlT_T0_E_clISt17integral_constantIbLb0EES16_IbLb1EEEEDaS12_S13_EUlS12_E_NS1_11comp_targetILNS1_3genE8ELNS1_11target_archE1030ELNS1_3gpuE2ELNS1_3repE0EEENS1_30default_config_static_selectorELNS0_4arch9wavefront6targetE0EEEvT1_.has_dyn_sized_stack, 0
	.set _ZN7rocprim17ROCPRIM_400000_NS6detail17trampoline_kernelINS0_14default_configENS1_25partition_config_selectorILNS1_17partition_subalgoE8EiNS0_10empty_typeEbEEZZNS1_14partition_implILS5_8ELb0ES3_jPKiPS6_PKS6_NS0_5tupleIJPiS6_EEENSE_IJSB_SB_EEENS0_18inequality_wrapperIN6hipcub16HIPCUB_304000_NS8EqualityEEEPlJS6_EEE10hipError_tPvRmT3_T4_T5_T6_T7_T9_mT8_P12ihipStream_tbDpT10_ENKUlT_T0_E_clISt17integral_constantIbLb0EES16_IbLb1EEEEDaS12_S13_EUlS12_E_NS1_11comp_targetILNS1_3genE8ELNS1_11target_archE1030ELNS1_3gpuE2ELNS1_3repE0EEENS1_30default_config_static_selectorELNS0_4arch9wavefront6targetE0EEEvT1_.has_recursion, 0
	.set _ZN7rocprim17ROCPRIM_400000_NS6detail17trampoline_kernelINS0_14default_configENS1_25partition_config_selectorILNS1_17partition_subalgoE8EiNS0_10empty_typeEbEEZZNS1_14partition_implILS5_8ELb0ES3_jPKiPS6_PKS6_NS0_5tupleIJPiS6_EEENSE_IJSB_SB_EEENS0_18inequality_wrapperIN6hipcub16HIPCUB_304000_NS8EqualityEEEPlJS6_EEE10hipError_tPvRmT3_T4_T5_T6_T7_T9_mT8_P12ihipStream_tbDpT10_ENKUlT_T0_E_clISt17integral_constantIbLb0EES16_IbLb1EEEEDaS12_S13_EUlS12_E_NS1_11comp_targetILNS1_3genE8ELNS1_11target_archE1030ELNS1_3gpuE2ELNS1_3repE0EEENS1_30default_config_static_selectorELNS0_4arch9wavefront6targetE0EEEvT1_.has_indirect_call, 0
	.section	.AMDGPU.csdata,"",@progbits
; Kernel info:
; codeLenInByte = 0
; TotalNumSgprs: 0
; NumVgprs: 0
; ScratchSize: 0
; MemoryBound: 0
; FloatMode: 240
; IeeeMode: 1
; LDSByteSize: 0 bytes/workgroup (compile time only)
; SGPRBlocks: 0
; VGPRBlocks: 0
; NumSGPRsForWavesPerEU: 1
; NumVGPRsForWavesPerEU: 1
; NamedBarCnt: 0
; Occupancy: 16
; WaveLimiterHint : 0
; COMPUTE_PGM_RSRC2:SCRATCH_EN: 0
; COMPUTE_PGM_RSRC2:USER_SGPR: 2
; COMPUTE_PGM_RSRC2:TRAP_HANDLER: 0
; COMPUTE_PGM_RSRC2:TGID_X_EN: 1
; COMPUTE_PGM_RSRC2:TGID_Y_EN: 0
; COMPUTE_PGM_RSRC2:TGID_Z_EN: 0
; COMPUTE_PGM_RSRC2:TIDIG_COMP_CNT: 0
	.section	.text._ZN7rocprim17ROCPRIM_400000_NS6detail17trampoline_kernelINS0_14default_configENS1_33run_length_encode_config_selectorIijNS0_4plusIjEEEEZZNS1_33reduce_by_key_impl_wrapped_configILNS1_25lookback_scan_determinismE0ES3_S7_PKiNS0_17constant_iteratorIjlEEPiPlSF_S6_NS0_8equal_toIiEEEE10hipError_tPvRmT2_T3_mT4_T5_T6_T7_T8_P12ihipStream_tbENKUlT_T0_E_clISt17integral_constantIbLb0EESZ_EEDaSU_SV_EUlSU_E_NS1_11comp_targetILNS1_3genE0ELNS1_11target_archE4294967295ELNS1_3gpuE0ELNS1_3repE0EEENS1_30default_config_static_selectorELNS0_4arch9wavefront6targetE0EEEvT1_,"axG",@progbits,_ZN7rocprim17ROCPRIM_400000_NS6detail17trampoline_kernelINS0_14default_configENS1_33run_length_encode_config_selectorIijNS0_4plusIjEEEEZZNS1_33reduce_by_key_impl_wrapped_configILNS1_25lookback_scan_determinismE0ES3_S7_PKiNS0_17constant_iteratorIjlEEPiPlSF_S6_NS0_8equal_toIiEEEE10hipError_tPvRmT2_T3_mT4_T5_T6_T7_T8_P12ihipStream_tbENKUlT_T0_E_clISt17integral_constantIbLb0EESZ_EEDaSU_SV_EUlSU_E_NS1_11comp_targetILNS1_3genE0ELNS1_11target_archE4294967295ELNS1_3gpuE0ELNS1_3repE0EEENS1_30default_config_static_selectorELNS0_4arch9wavefront6targetE0EEEvT1_,comdat
	.protected	_ZN7rocprim17ROCPRIM_400000_NS6detail17trampoline_kernelINS0_14default_configENS1_33run_length_encode_config_selectorIijNS0_4plusIjEEEEZZNS1_33reduce_by_key_impl_wrapped_configILNS1_25lookback_scan_determinismE0ES3_S7_PKiNS0_17constant_iteratorIjlEEPiPlSF_S6_NS0_8equal_toIiEEEE10hipError_tPvRmT2_T3_mT4_T5_T6_T7_T8_P12ihipStream_tbENKUlT_T0_E_clISt17integral_constantIbLb0EESZ_EEDaSU_SV_EUlSU_E_NS1_11comp_targetILNS1_3genE0ELNS1_11target_archE4294967295ELNS1_3gpuE0ELNS1_3repE0EEENS1_30default_config_static_selectorELNS0_4arch9wavefront6targetE0EEEvT1_ ; -- Begin function _ZN7rocprim17ROCPRIM_400000_NS6detail17trampoline_kernelINS0_14default_configENS1_33run_length_encode_config_selectorIijNS0_4plusIjEEEEZZNS1_33reduce_by_key_impl_wrapped_configILNS1_25lookback_scan_determinismE0ES3_S7_PKiNS0_17constant_iteratorIjlEEPiPlSF_S6_NS0_8equal_toIiEEEE10hipError_tPvRmT2_T3_mT4_T5_T6_T7_T8_P12ihipStream_tbENKUlT_T0_E_clISt17integral_constantIbLb0EESZ_EEDaSU_SV_EUlSU_E_NS1_11comp_targetILNS1_3genE0ELNS1_11target_archE4294967295ELNS1_3gpuE0ELNS1_3repE0EEENS1_30default_config_static_selectorELNS0_4arch9wavefront6targetE0EEEvT1_
	.globl	_ZN7rocprim17ROCPRIM_400000_NS6detail17trampoline_kernelINS0_14default_configENS1_33run_length_encode_config_selectorIijNS0_4plusIjEEEEZZNS1_33reduce_by_key_impl_wrapped_configILNS1_25lookback_scan_determinismE0ES3_S7_PKiNS0_17constant_iteratorIjlEEPiPlSF_S6_NS0_8equal_toIiEEEE10hipError_tPvRmT2_T3_mT4_T5_T6_T7_T8_P12ihipStream_tbENKUlT_T0_E_clISt17integral_constantIbLb0EESZ_EEDaSU_SV_EUlSU_E_NS1_11comp_targetILNS1_3genE0ELNS1_11target_archE4294967295ELNS1_3gpuE0ELNS1_3repE0EEENS1_30default_config_static_selectorELNS0_4arch9wavefront6targetE0EEEvT1_
	.p2align	8
	.type	_ZN7rocprim17ROCPRIM_400000_NS6detail17trampoline_kernelINS0_14default_configENS1_33run_length_encode_config_selectorIijNS0_4plusIjEEEEZZNS1_33reduce_by_key_impl_wrapped_configILNS1_25lookback_scan_determinismE0ES3_S7_PKiNS0_17constant_iteratorIjlEEPiPlSF_S6_NS0_8equal_toIiEEEE10hipError_tPvRmT2_T3_mT4_T5_T6_T7_T8_P12ihipStream_tbENKUlT_T0_E_clISt17integral_constantIbLb0EESZ_EEDaSU_SV_EUlSU_E_NS1_11comp_targetILNS1_3genE0ELNS1_11target_archE4294967295ELNS1_3gpuE0ELNS1_3repE0EEENS1_30default_config_static_selectorELNS0_4arch9wavefront6targetE0EEEvT1_,@function
_ZN7rocprim17ROCPRIM_400000_NS6detail17trampoline_kernelINS0_14default_configENS1_33run_length_encode_config_selectorIijNS0_4plusIjEEEEZZNS1_33reduce_by_key_impl_wrapped_configILNS1_25lookback_scan_determinismE0ES3_S7_PKiNS0_17constant_iteratorIjlEEPiPlSF_S6_NS0_8equal_toIiEEEE10hipError_tPvRmT2_T3_mT4_T5_T6_T7_T8_P12ihipStream_tbENKUlT_T0_E_clISt17integral_constantIbLb0EESZ_EEDaSU_SV_EUlSU_E_NS1_11comp_targetILNS1_3genE0ELNS1_11target_archE4294967295ELNS1_3gpuE0ELNS1_3repE0EEENS1_30default_config_static_selectorELNS0_4arch9wavefront6targetE0EEEvT1_: ; @_ZN7rocprim17ROCPRIM_400000_NS6detail17trampoline_kernelINS0_14default_configENS1_33run_length_encode_config_selectorIijNS0_4plusIjEEEEZZNS1_33reduce_by_key_impl_wrapped_configILNS1_25lookback_scan_determinismE0ES3_S7_PKiNS0_17constant_iteratorIjlEEPiPlSF_S6_NS0_8equal_toIiEEEE10hipError_tPvRmT2_T3_mT4_T5_T6_T7_T8_P12ihipStream_tbENKUlT_T0_E_clISt17integral_constantIbLb0EESZ_EEDaSU_SV_EUlSU_E_NS1_11comp_targetILNS1_3genE0ELNS1_11target_archE4294967295ELNS1_3gpuE0ELNS1_3repE0EEENS1_30default_config_static_selectorELNS0_4arch9wavefront6targetE0EEEvT1_
; %bb.0:
	s_clause 0x1
	s_load_b128 s[8:11], s[0:1], 0x0
	s_load_b256 s[24:31], s[0:1], 0x40
	s_bfe_u32 s5, ttmp6, 0x4000c
	s_clause 0x1
	s_load_b32 s4, s[0:1], 0x10
	s_load_b128 s[20:23], s[0:1], 0x60
	s_add_co_i32 s5, s5, 1
	s_and_b32 s2, ttmp6, 15
	s_mul_i32 s5, ttmp9, s5
	s_getreg_b32 s12, hwreg(HW_REG_IB_STS2, 6, 4)
	s_add_co_i32 s2, s2, s5
	s_mov_b32 s3, 0
	s_delay_alu instid0(SALU_CYCLE_1)
	s_mov_b32 s35, s3
	s_wait_kmcnt 0x0
	s_lshl_b64 s[6:7], s[10:11], 2
	s_cmp_eq_u32 s12, 0
	s_mul_u64 s[10:11], s[28:29], s[26:27]
	s_cselect_b32 s34, ttmp9, s2
	s_add_nc_u64 s[12:13], s[30:31], -1
	s_mul_i32 s2, s34, 0xe00
	s_add_nc_u64 s[18:19], s[10:11], s[34:35]
	s_lshl_b64 s[10:11], s[2:3], 2
	s_cmp_eq_u64 s[18:19], s[12:13]
	s_add_nc_u64 s[6:7], s[8:9], s[6:7]
	s_cselect_b32 s33, -1, 0
	s_cmp_lg_u64 s[18:19], s[12:13]
	s_add_nc_u64 s[16:17], s[6:7], s[10:11]
	s_cselect_b32 s2, -1, 0
	s_and_b32 vcc_lo, exec_lo, s33
	s_mul_i32 s35, s12, 0xfffff200
	s_cbranch_vccnz .LBB442_2
; %bb.1:
	s_clause 0xd
	global_load_b32 v1, v0, s[16:17] scale_offset
	global_load_b32 v2, v0, s[16:17] offset:1024 scale_offset
	global_load_b32 v3, v0, s[16:17] offset:2048 scale_offset
	;; [unrolled: 1-line block ×13, first 2 shown]
	v_lshlrev_b32_e32 v15, 2, v0
	s_mov_b32 s5, 0
	s_mov_b32 s3, -1
	s_wait_loadcnt 0xc
	ds_store_2addr_stride64_b32 v15, v1, v2 offset1:4
	s_wait_loadcnt 0xa
	ds_store_2addr_stride64_b32 v15, v3, v4 offset0:8 offset1:12
	s_wait_loadcnt 0x8
	ds_store_2addr_stride64_b32 v15, v5, v6 offset0:16 offset1:20
	;; [unrolled: 2-line block ×6, first 2 shown]
	v_mad_u32_u24 v16, v0, 52, v15
	s_wait_dscnt 0x0
	s_barrier_signal -1
	s_barrier_wait -1
	ds_load_2addr_b64 v[10:13], v16 offset1:1
	ds_load_2addr_b64 v[6:9], v16 offset0:2 offset1:3
	ds_load_2addr_b64 v[2:5], v16 offset0:4 offset1:5
	ds_load_b64 v[22:23], v16 offset:48
	s_wait_dscnt 0x3
	v_dual_mov_b32 v14, v10 :: v_dual_mov_b32 v15, v12
	s_wait_dscnt 0x2
	v_dual_mov_b32 v16, v6 :: v_dual_mov_b32 v17, v8
	;; [unrolled: 2-line block ×3, first 2 shown]
	s_branch .LBB442_3
.LBB442_2:
	s_mov_b32 s5, -1
                                        ; implicit-def: $vgpr4
                                        ; implicit-def: $vgpr8
                                        ; implicit-def: $vgpr12
                                        ; implicit-def: $vgpr22_vgpr23
                                        ; implicit-def: $vgpr18_vgpr19
                                        ; implicit-def: $vgpr16_vgpr17
                                        ; implicit-def: $vgpr14_vgpr15
.LBB442_3:
	v_dual_mov_b32 v1, s4 :: v_dual_mov_b32 v50, s4
	v_dual_mov_b32 v51, s4 :: v_dual_mov_b32 v53, s4
	v_dual_mov_b32 v69, s4 :: v_dual_mov_b32 v73, s4
	v_dual_mov_b32 v75, s4 :: v_dual_mov_b32 v71, s4
	v_dual_mov_b32 v70, s4 :: v_dual_mov_b32 v74, s4
	v_dual_mov_b32 v72, s4 :: v_dual_mov_b32 v68, s4
	v_mov_b32_e32 v52, s4
	s_and_not1_b32 vcc_lo, exec_lo, s5
	s_add_co_i32 s35, s35, s20
                                        ; implicit-def: $vgpr76
	s_cbranch_vccnz .LBB442_33
; %bb.4:
	s_mov_b32 s3, exec_lo
                                        ; implicit-def: $vgpr1
	v_cmpx_gt_u32_e64 s35, v0
	s_cbranch_execz .LBB442_6
; %bb.5:
	global_load_b32 v1, v0, s[16:17] scale_offset
.LBB442_6:
	s_wait_xcnt 0x0
	s_or_b32 exec_lo, exec_lo, s3
	v_or_b32_e32 v2, 0x100, v0
	s_delay_alu instid0(VALU_DEP_1)
	v_cmp_gt_u32_e32 vcc_lo, s35, v2
                                        ; implicit-def: $vgpr2
	s_and_saveexec_b32 s3, vcc_lo
	s_cbranch_execz .LBB442_8
; %bb.7:
	global_load_b32 v2, v0, s[16:17] offset:1024 scale_offset
.LBB442_8:
	s_wait_xcnt 0x0
	s_or_b32 exec_lo, exec_lo, s3
	v_or_b32_e32 v3, 0x200, v0
	s_delay_alu instid0(VALU_DEP_1)
	v_cmp_gt_u32_e32 vcc_lo, s35, v3
                                        ; implicit-def: $vgpr3
	s_and_saveexec_b32 s3, vcc_lo
	s_cbranch_execz .LBB442_10
; %bb.9:
	global_load_b32 v3, v0, s[16:17] offset:2048 scale_offset
.LBB442_10:
	s_wait_xcnt 0x0
	s_or_b32 exec_lo, exec_lo, s3
	v_or_b32_e32 v4, 0x300, v0
	s_delay_alu instid0(VALU_DEP_1)
	v_cmp_gt_u32_e32 vcc_lo, s35, v4
                                        ; implicit-def: $vgpr4
	s_and_saveexec_b32 s3, vcc_lo
	s_cbranch_execz .LBB442_12
; %bb.11:
	global_load_b32 v4, v0, s[16:17] offset:3072 scale_offset
.LBB442_12:
	s_wait_xcnt 0x0
	s_or_b32 exec_lo, exec_lo, s3
	v_or_b32_e32 v5, 0x400, v0
	s_delay_alu instid0(VALU_DEP_1)
	v_cmp_gt_u32_e32 vcc_lo, s35, v5
                                        ; implicit-def: $vgpr5
	s_and_saveexec_b32 s3, vcc_lo
	s_cbranch_execz .LBB442_14
; %bb.13:
	global_load_b32 v5, v0, s[16:17] offset:4096 scale_offset
.LBB442_14:
	s_wait_xcnt 0x0
	s_or_b32 exec_lo, exec_lo, s3
	v_or_b32_e32 v6, 0x500, v0
	s_delay_alu instid0(VALU_DEP_1)
	v_cmp_gt_u32_e32 vcc_lo, s35, v6
                                        ; implicit-def: $vgpr6
	s_and_saveexec_b32 s3, vcc_lo
	s_cbranch_execz .LBB442_16
; %bb.15:
	global_load_b32 v6, v0, s[16:17] offset:5120 scale_offset
.LBB442_16:
	s_wait_xcnt 0x0
	s_or_b32 exec_lo, exec_lo, s3
	v_or_b32_e32 v7, 0x600, v0
	s_delay_alu instid0(VALU_DEP_1)
	v_cmp_gt_u32_e32 vcc_lo, s35, v7
                                        ; implicit-def: $vgpr7
	s_and_saveexec_b32 s3, vcc_lo
	s_cbranch_execz .LBB442_18
; %bb.17:
	global_load_b32 v7, v0, s[16:17] offset:6144 scale_offset
.LBB442_18:
	s_wait_xcnt 0x0
	s_or_b32 exec_lo, exec_lo, s3
	v_or_b32_e32 v8, 0x700, v0
	s_delay_alu instid0(VALU_DEP_1)
	v_cmp_gt_u32_e32 vcc_lo, s35, v8
                                        ; implicit-def: $vgpr8
	s_and_saveexec_b32 s3, vcc_lo
	s_cbranch_execz .LBB442_20
; %bb.19:
	global_load_b32 v8, v0, s[16:17] offset:7168 scale_offset
.LBB442_20:
	s_wait_xcnt 0x0
	s_or_b32 exec_lo, exec_lo, s3
	v_or_b32_e32 v9, 0x800, v0
	s_delay_alu instid0(VALU_DEP_1)
	v_cmp_gt_u32_e32 vcc_lo, s35, v9
                                        ; implicit-def: $vgpr9
	s_and_saveexec_b32 s3, vcc_lo
	s_cbranch_execz .LBB442_22
; %bb.21:
	global_load_b32 v9, v0, s[16:17] offset:8192 scale_offset
.LBB442_22:
	s_wait_xcnt 0x0
	s_or_b32 exec_lo, exec_lo, s3
	v_or_b32_e32 v10, 0x900, v0
	s_delay_alu instid0(VALU_DEP_1)
	v_cmp_gt_u32_e32 vcc_lo, s35, v10
                                        ; implicit-def: $vgpr10
	s_and_saveexec_b32 s3, vcc_lo
	s_cbranch_execz .LBB442_24
; %bb.23:
	global_load_b32 v10, v0, s[16:17] offset:9216 scale_offset
.LBB442_24:
	s_wait_xcnt 0x0
	s_or_b32 exec_lo, exec_lo, s3
	v_or_b32_e32 v11, 0xa00, v0
	s_delay_alu instid0(VALU_DEP_1)
	v_cmp_gt_u32_e32 vcc_lo, s35, v11
                                        ; implicit-def: $vgpr11
	s_and_saveexec_b32 s3, vcc_lo
	s_cbranch_execz .LBB442_26
; %bb.25:
	global_load_b32 v11, v0, s[16:17] offset:10240 scale_offset
.LBB442_26:
	s_wait_xcnt 0x0
	s_or_b32 exec_lo, exec_lo, s3
	v_or_b32_e32 v12, 0xb00, v0
	s_delay_alu instid0(VALU_DEP_1)
	v_cmp_gt_u32_e32 vcc_lo, s35, v12
                                        ; implicit-def: $vgpr12
	s_and_saveexec_b32 s3, vcc_lo
	s_cbranch_execz .LBB442_28
; %bb.27:
	global_load_b32 v12, v0, s[16:17] offset:11264 scale_offset
.LBB442_28:
	s_wait_xcnt 0x0
	s_or_b32 exec_lo, exec_lo, s3
	v_or_b32_e32 v13, 0xc00, v0
	s_delay_alu instid0(VALU_DEP_1)
	v_cmp_gt_u32_e32 vcc_lo, s35, v13
                                        ; implicit-def: $vgpr13
	s_and_saveexec_b32 s3, vcc_lo
	s_cbranch_execz .LBB442_30
; %bb.29:
	global_load_b32 v13, v0, s[16:17] offset:12288 scale_offset
.LBB442_30:
	s_wait_xcnt 0x0
	s_or_b32 exec_lo, exec_lo, s3
	v_or_b32_e32 v14, 0xd00, v0
	s_delay_alu instid0(VALU_DEP_1)
	v_cmp_gt_u32_e32 vcc_lo, s35, v14
                                        ; implicit-def: $vgpr14
	s_and_saveexec_b32 s3, vcc_lo
	s_cbranch_execz .LBB442_32
; %bb.31:
	global_load_b32 v14, v0, s[16:17] offset:13312 scale_offset
.LBB442_32:
	s_wait_xcnt 0x0
	s_or_b32 exec_lo, exec_lo, s3
	v_lshlrev_b32_e32 v15, 2, v0
	v_mad_u32_u24 v16, v0, 14, 13
	v_mov_b32_e32 v76, 0
	s_wait_loadcnt 0x0
	ds_store_2addr_stride64_b32 v15, v1, v2 offset1:4
	ds_store_2addr_stride64_b32 v15, v3, v4 offset0:8 offset1:12
	ds_store_2addr_stride64_b32 v15, v5, v6 offset0:16 offset1:20
	;; [unrolled: 1-line block ×6, first 2 shown]
	v_mad_u32_u24 v1, v0, 52, v15
	s_wait_dscnt 0x0
	s_barrier_signal -1
	s_barrier_wait -1
	ds_load_2addr_b64 v[10:13], v1 offset1:1
	ds_load_2addr_b64 v[6:9], v1 offset0:2 offset1:3
	v_mul_u32_u24_e32 v14, 14, v0
	ds_load_2addr_b64 v[2:5], v1 offset0:4 offset1:5
	ds_load_b64 v[22:23], v1 offset:48
	v_mad_u32_u24 v1, v0, 14, 2
	v_cmp_gt_u32_e64 s3, s35, v16
	v_or_b32_e32 v15, 1, v14
	v_cmp_gt_u32_e32 vcc_lo, s35, v14
	v_mad_u32_u24 v14, v0, 14, 3
	v_cndmask_b32_e64 v52, 0, s4, vcc_lo
	s_wait_dscnt 0x2
	v_mov_b32_e32 v16, v6
	v_cmp_gt_u32_e32 vcc_lo, s35, v15
	v_mad_u32_u24 v15, v0, 14, 4
	s_wait_dscnt 0x1
	v_dual_mov_b32 v18, v2 :: v_dual_mov_b32 v19, v4
	v_mov_b32_e32 v17, v8
	v_cndmask_b32_e64 v68, 0, s4, vcc_lo
	v_cmp_gt_u32_e32 vcc_lo, s35, v1
	v_mad_u32_u24 v1, v0, 14, 5
	v_cndmask_b32_e64 v72, 0, s4, vcc_lo
	v_cmp_gt_u32_e32 vcc_lo, s35, v14
	v_mad_u32_u24 v14, v0, 14, 6
	;; [unrolled: 3-line block ×8, first 2 shown]
	v_cndmask_b32_e64 v53, 0, s4, vcc_lo
	v_cmp_gt_u32_e32 vcc_lo, s35, v1
	v_cndmask_b32_e64 v51, 0, s4, vcc_lo
	s_delay_alu instid0(VALU_DEP_4)
	v_cmp_gt_u32_e32 vcc_lo, s35, v14
	v_mov_b32_e32 v14, v10
	v_cndmask_b32_e64 v50, 0, s4, vcc_lo
	v_cmp_gt_u32_e32 vcc_lo, s35, v15
	v_mov_b32_e32 v15, v12
	v_cndmask_b32_e64 v1, 0, s4, vcc_lo
.LBB442_33:
	s_and_saveexec_b32 s5, s3
; %bb.34:
	v_mov_b32_e32 v76, s4
; %bb.35:
	s_or_b32 exec_lo, exec_lo, s5
	s_load_b64 s[28:29], s[0:1], 0x70
	s_cmp_eq_u64 s[18:19], 0
	s_wait_dscnt 0x0
	s_cselect_b32 s36, -1, 0
	s_cmp_lg_u64 s[18:19], 0
	s_barrier_signal -1
	s_cselect_b32 s30, -1, 0
	s_and_b32 vcc_lo, exec_lo, s2
	s_barrier_wait -1
	s_cbranch_vccz .LBB442_40
; %bb.36:
	s_and_b32 vcc_lo, exec_lo, s30
	s_cbranch_vccz .LBB442_41
; %bb.37:
	s_add_nc_u64 s[2:3], s[16:17], -4
	s_load_b32 s2, s[2:3], 0x0
	v_lshlrev_b32_e32 v21, 2, v0
	s_wait_xcnt 0x0
	s_mov_b32 s3, exec_lo
	s_wait_kmcnt 0x0
	v_mov_b32_e32 v20, s2
	s_mov_b32 s2, 0
	ds_store_b32 v21, v23
	s_wait_dscnt 0x0
	s_barrier_signal -1
	s_barrier_wait -1
	v_cmpx_ne_u32_e32 0, v0
; %bb.38:
	v_add_nc_u32_e32 v20, -4, v21
	ds_load_b32 v20, v20
; %bb.39:
	s_or_b32 exec_lo, exec_lo, s3
	v_cmp_ne_u32_e32 vcc_lo, v22, v23
	s_wait_dscnt 0x0
	v_cmp_ne_u32_e64 s15, v20, v10
	s_mov_b32 s37, -1
	v_cndmask_b32_e64 v57, 0, 1, vcc_lo
	v_cmp_ne_u32_e32 vcc_lo, v14, v11
	v_cndmask_b32_e64 v66, 0, 1, vcc_lo
	v_cmp_ne_u32_e32 vcc_lo, v15, v11
	;; [unrolled: 2-line block ×12, first 2 shown]
	v_cndmask_b32_e64 v62, 0, 1, vcc_lo
	s_and_b32 vcc_lo, exec_lo, s2
	s_cbranch_vccnz .LBB442_42
	s_branch .LBB442_45
.LBB442_40:
	s_mov_b32 s37, 0
                                        ; implicit-def: $sgpr15
                                        ; implicit-def: $vgpr57
                                        ; implicit-def: $vgpr62
                                        ; implicit-def: $vgpr56
                                        ; implicit-def: $vgpr54
                                        ; implicit-def: $vgpr55
                                        ; implicit-def: $vgpr58
                                        ; implicit-def: $vgpr59
                                        ; implicit-def: $vgpr60
                                        ; implicit-def: $vgpr65
                                        ; implicit-def: $vgpr61
                                        ; implicit-def: $vgpr63
                                        ; implicit-def: $vgpr64
                                        ; implicit-def: $vgpr66
	s_cbranch_execnz .LBB442_46
	s_branch .LBB442_54
.LBB442_41:
	s_mov_b32 s37, 0
                                        ; implicit-def: $sgpr15
                                        ; implicit-def: $vgpr57
                                        ; implicit-def: $vgpr62
                                        ; implicit-def: $vgpr56
                                        ; implicit-def: $vgpr54
                                        ; implicit-def: $vgpr55
                                        ; implicit-def: $vgpr58
                                        ; implicit-def: $vgpr59
                                        ; implicit-def: $vgpr60
                                        ; implicit-def: $vgpr65
                                        ; implicit-def: $vgpr61
                                        ; implicit-def: $vgpr63
                                        ; implicit-def: $vgpr64
                                        ; implicit-def: $vgpr66
	s_cbranch_execz .LBB442_45
.LBB442_42:
	v_lshlrev_b32_e32 v20, 2, v0
	v_cmp_ne_u32_e64 s6, v22, v23
	v_cmp_ne_u32_e64 s2, v19, v5
	;; [unrolled: 1-line block ×13, first 2 shown]
	v_cmp_ne_u32_e32 vcc_lo, v22, v5
	ds_store_b32 v20, v23
	s_wait_dscnt 0x0
	s_barrier_signal -1
	s_barrier_wait -1
                                        ; implicit-def: $sgpr15
	s_and_saveexec_b32 s31, s14
	s_delay_alu instid0(SALU_CYCLE_1)
	s_xor_b32 s14, exec_lo, s31
	s_cbranch_execz .LBB442_44
; %bb.43:
	v_add_nc_u32_e32 v14, -4, v20
	s_or_b32 s37, s37, exec_lo
	ds_load_b32 v14, v14
	s_wait_dscnt 0x0
	v_cmp_ne_u32_e64 s15, v14, v10
.LBB442_44:
	s_or_b32 exec_lo, exec_lo, s14
	v_cndmask_b32_e64 v57, 0, 1, s6
	v_cndmask_b32_e64 v66, 0, 1, s13
	;; [unrolled: 1-line block ×12, first 2 shown]
	v_cndmask_b32_e64 v62, 0, 1, vcc_lo
.LBB442_45:
	s_branch .LBB442_54
.LBB442_46:
	s_mov_b64 s[2:3], 0xfffffffffffff200
	v_cmp_ne_u32_e64 s13, v22, v23
	s_mul_u64 s[18:19], s[18:19], s[2:3]
	v_cmp_ne_u32_e64 s14, v5, v22
	v_cmp_ne_u32_e64 s15, v4, v5
	;; [unrolled: 1-line block ×12, first 2 shown]
	v_mul_u32_u24_e32 v14, 14, v0
	v_mad_u32_u24 v16, v0, 14, 13
	v_mad_u32_u24 v40, v0, 14, 12
	;; [unrolled: 1-line block ×12, first 2 shown]
	v_cmp_ne_u32_e64 s9, 0, v0
	s_and_b32 vcc_lo, exec_lo, s30
	s_add_nc_u64 s[30:31], s[18:19], s[20:21]
	s_cbranch_vccz .LBB442_50
; %bb.47:
	s_add_nc_u64 s[16:17], s[16:17], -4
	v_dual_mov_b32 v17, 0 :: v_dual_lshlrev_b32 v15, 2, v0
	s_load_b32 s38, s[16:17], 0x0
	s_delay_alu instid0(VALU_DEP_1)
	v_dual_mov_b32 v19, v17 :: v_dual_bitop2_b32 v42, 1, v14 bitop3:0x54
	v_dual_mov_b32 v41, v17 :: v_dual_mov_b32 v39, v17
	v_dual_mov_b32 v37, v17 :: v_dual_mov_b32 v35, v17
	;; [unrolled: 1-line block ×3, first 2 shown]
	v_cmp_gt_u64_e32 vcc_lo, s[30:31], v[16:17]
	s_wait_xcnt 0x0
	v_cmp_gt_u64_e64 s16, s[30:31], v[40:41]
	v_cmp_gt_u64_e64 s17, s[30:31], v[38:39]
	;; [unrolled: 1-line block ×5, first 2 shown]
	v_dual_mov_b32 v29, v17 :: v_dual_mov_b32 v27, v17
	v_dual_mov_b32 v25, v17 :: v_dual_mov_b32 v21, v17
	v_mov_b32_e32 v43, v17
	s_and_b32 s21, vcc_lo, s13
	s_and_b32 s37, s16, s14
	s_and_b32 s17, s17, s15
	;; [unrolled: 1-line block ×5, first 2 shown]
	v_cmp_gt_u64_e32 vcc_lo, s[30:31], v[30:31]
	v_cmp_gt_u64_e64 s10, s[30:31], v[28:29]
	v_cmp_gt_u64_e64 s11, s[30:31], v[26:27]
	;; [unrolled: 1-line block ×5, first 2 shown]
	s_wait_kmcnt 0x0
	v_mov_b32_e32 v19, s38
	v_cmp_gt_u64_e64 s15, s[30:31], v[42:43]
	s_and_b32 s20, vcc_lo, s2
	s_and_b32 s10, s10, s3
	s_and_b32 s11, s11, s4
	;; [unrolled: 1-line block ×6, first 2 shown]
	s_mov_b32 s3, 0
	ds_store_b32 v15, v23
	s_wait_dscnt 0x0
	s_barrier_signal -1
	s_barrier_wait -1
	s_and_saveexec_b32 s7, s9
; %bb.48:
	v_add_nc_u32_e32 v15, -4, v15
	ds_load_b32 v19, v15
; %bb.49:
	s_or_b32 exec_lo, exec_lo, s7
	v_mov_b32_e32 v15, v17
	v_cndmask_b32_e64 v61, 0, 1, s2
	s_wait_dscnt 0x0
	v_cmp_ne_u32_e64 s2, v19, v10
	v_cndmask_b32_e64 v57, 0, 1, s21
	v_cndmask_b32_e64 v62, 0, 1, s37
	v_cmp_gt_u64_e32 vcc_lo, s[30:31], v[14:15]
	v_cndmask_b32_e64 v56, 0, 1, s17
	v_cndmask_b32_e64 v54, 0, 1, s18
	;; [unrolled: 1-line block ×10, first 2 shown]
	s_and_b32 s15, vcc_lo, s2
	s_mov_b32 s37, -1
	s_and_b32 vcc_lo, exec_lo, s3
	s_cbranch_vccnz .LBB442_51
	s_branch .LBB442_54
.LBB442_50:
                                        ; implicit-def: $sgpr15
                                        ; implicit-def: $vgpr57
                                        ; implicit-def: $vgpr62
                                        ; implicit-def: $vgpr56
                                        ; implicit-def: $vgpr54
                                        ; implicit-def: $vgpr55
                                        ; implicit-def: $vgpr58
                                        ; implicit-def: $vgpr59
                                        ; implicit-def: $vgpr60
                                        ; implicit-def: $vgpr65
                                        ; implicit-def: $vgpr61
                                        ; implicit-def: $vgpr63
                                        ; implicit-def: $vgpr64
                                        ; implicit-def: $vgpr66
	s_cbranch_execz .LBB442_54
.LBB442_51:
	v_dual_mov_b32 v17, 0 :: v_dual_lshlrev_b32 v15, 2, v0
	v_cmp_ne_u32_e32 vcc_lo, v22, v23
	v_cmp_ne_u32_e64 s2, v5, v22
	v_cmp_ne_u32_e64 s3, v4, v5
	s_delay_alu instid0(VALU_DEP_4) | instskip(SKIP_2) | instid1(VALU_DEP_3)
	v_dual_mov_b32 v41, v17 :: v_dual_mov_b32 v39, v17
	v_dual_mov_b32 v37, v17 :: v_dual_mov_b32 v35, v17
	v_cmp_gt_u64_e64 s4, s[30:31], v[16:17]
	v_cmp_gt_u64_e64 s5, s[30:31], v[40:41]
	s_delay_alu instid0(VALU_DEP_4) | instskip(NEXT) | instid1(VALU_DEP_4)
	v_cmp_gt_u64_e64 s6, s[30:31], v[38:39]
	v_cmp_gt_u64_e64 s7, s[30:31], v[36:37]
	v_cmp_ne_u32_e64 s8, v3, v4
	v_dual_mov_b32 v33, v17 :: v_dual_mov_b32 v31, v17
	s_and_b32 s11, s4, vcc_lo
	v_cmp_gt_u64_e32 vcc_lo, s[30:31], v[34:35]
	v_dual_mov_b32 v29, v17 :: v_dual_mov_b32 v27, v17
	s_and_b32 s12, s5, s2
	v_cmp_ne_u32_e64 s2, v2, v3
	s_and_b32 s13, s6, s3
	s_and_b32 s14, s7, s8
	v_cmp_gt_u64_e64 s3, s[30:31], v[32:33]
	v_cmp_gt_u64_e64 s5, s[30:31], v[30:31]
	;; [unrolled: 1-line block ×3, first 2 shown]
	v_cmp_ne_u32_e64 s4, v9, v2
	v_cmp_ne_u32_e64 s6, v8, v9
	s_and_b32 s16, vcc_lo, s2
	v_cmp_ne_u32_e32 vcc_lo, v7, v8
	v_dual_mov_b32 v25, v17 :: v_dual_mov_b32 v21, v17
	v_dual_mov_b32 v19, v17 :: v_dual_bitop2_b32 v16, 1, v14 bitop3:0x54
	s_and_b32 s17, s3, s4
	s_and_b32 s18, s5, s6
	s_and_b32 s19, s7, vcc_lo
	v_cmp_gt_u64_e32 vcc_lo, s[30:31], v[26:27]
	v_cmp_gt_u64_e64 s3, s[30:31], v[24:25]
	v_cmp_gt_u64_e64 s5, s[30:31], v[20:21]
	;; [unrolled: 1-line block ×4, first 2 shown]
	v_cmp_ne_u32_e64 s2, v6, v7
	v_cmp_ne_u32_e64 s4, v13, v6
	;; [unrolled: 1-line block ×5, first 2 shown]
	s_and_b32 s20, vcc_lo, s2
	s_and_b32 s3, s3, s4
	s_and_b32 s4, s5, s6
	;; [unrolled: 1-line block ×4, first 2 shown]
	s_mov_b32 s7, exec_lo
	ds_store_b32 v15, v23
	s_wait_dscnt 0x0
	s_barrier_signal -1
	s_barrier_wait -1
                                        ; implicit-def: $sgpr15
	v_cmpx_ne_u32_e32 0, v0
	s_cbranch_execz .LBB442_53
; %bb.52:
	v_add_nc_u32_e32 v15, -4, v15
	s_or_b32 s37, s37, exec_lo
	ds_load_b32 v16, v15
	v_mov_b32_e32 v15, v17
	s_delay_alu instid0(VALU_DEP_1)
	v_cmp_gt_u64_e32 vcc_lo, s[30:31], v[14:15]
	s_wait_dscnt 0x0
	v_cmp_ne_u32_e64 s2, v16, v10
	s_and_b32 s15, vcc_lo, s2
.LBB442_53:
	s_or_b32 exec_lo, exec_lo, s7
	v_cndmask_b32_e64 v57, 0, 1, s11
	v_cndmask_b32_e64 v62, 0, 1, s12
	;; [unrolled: 1-line block ×13, first 2 shown]
.LBB442_54:
	v_mov_b32_e32 v67, 1
	s_and_saveexec_b32 s2, s37
; %bb.55:
	v_cndmask_b32_e64 v67, 0, 1, s15
; %bb.56:
	s_or_b32 exec_lo, exec_lo, s2
	s_clause 0x1
	s_load_b128 s[16:19], s[0:1], 0x20
	s_load_b64 s[20:21], s[0:1], 0x30
	v_dual_add_nc_u32 v14, v66, v67 :: v_dual_lshrrev_b32 v78, 5, v0
	v_cmp_eq_u32_e64 s11, 0, v66
	v_cmp_eq_u32_e64 s10, 0, v64
	v_cmp_eq_u32_e64 s9, 0, v63
	s_delay_alu instid0(VALU_DEP_4)
	v_add3_u32 v80, v14, v64, v63
	v_cmp_eq_u32_e64 s8, 0, v61
	v_cmp_eq_u32_e64 s7, 0, v65
	;; [unrolled: 1-line block ×7, first 2 shown]
	s_wait_xcnt 0x0
	v_cmp_eq_u32_e64 s1, 0, v56
	v_cmp_eq_u32_e64 s0, 0, v62
	v_mbcnt_lo_u32_b32 v77, -1, 0
	v_or_b32_e32 v79, 31, v0
	s_cmp_eq_u64 s[26:27], 0
	v_cmp_eq_u32_e32 vcc_lo, 0, v57
	s_cselect_b32 s15, -1, 0
	s_cmp_lg_u32 s34, 0
	s_cbranch_scc0 .LBB442_77
; %bb.57:
	v_dual_cndmask_b32 v14, 0, v52, s11 :: v_dual_bitop2_b32 v17, 15, v77 bitop3:0x40
	v_add3_u32 v15, v80, v61, v65
	s_delay_alu instid0(VALU_DEP_2) | instskip(NEXT) | instid1(VALU_DEP_2)
	v_add_nc_u32_e32 v14, v14, v68
	v_add3_u32 v15, v15, v60, v59
	s_delay_alu instid0(VALU_DEP_2) | instskip(NEXT) | instid1(VALU_DEP_2)
	v_cndmask_b32_e64 v14, 0, v14, s10
	v_add3_u32 v15, v15, v58, v55
	s_delay_alu instid0(VALU_DEP_2) | instskip(NEXT) | instid1(VALU_DEP_2)
	v_add_nc_u32_e32 v14, v14, v72
	v_add3_u32 v15, v15, v54, v56
	s_delay_alu instid0(VALU_DEP_1) | instskip(NEXT) | instid1(VALU_DEP_3)
	v_add3_u32 v15, v15, v62, v57
	v_cndmask_b32_e64 v14, 0, v14, s9
	s_delay_alu instid0(VALU_DEP_2) | instskip(NEXT) | instid1(VALU_DEP_2)
	v_mov_b32_dpp v18, v15 row_shr:1 row_mask:0xf bank_mask:0xf
	v_add_nc_u32_e32 v14, v14, v74
	s_delay_alu instid0(VALU_DEP_1) | instskip(NEXT) | instid1(VALU_DEP_1)
	v_cndmask_b32_e64 v14, 0, v14, s8
	v_add_nc_u32_e32 v14, v14, v70
	s_delay_alu instid0(VALU_DEP_1) | instskip(NEXT) | instid1(VALU_DEP_1)
	v_cndmask_b32_e64 v14, 0, v14, s7
	;; [unrolled: 3-line block ×9, first 2 shown]
	v_add_nc_u32_e32 v14, v14, v1
	s_delay_alu instid0(VALU_DEP_1) | instskip(SKIP_1) | instid1(VALU_DEP_2)
	v_cndmask_b32_e32 v14, 0, v14, vcc_lo
	v_cmp_eq_u32_e32 vcc_lo, 0, v15
	v_add_nc_u32_e32 v14, v14, v76
	s_delay_alu instid0(VALU_DEP_1) | instskip(NEXT) | instid1(VALU_DEP_1)
	v_mov_b32_dpp v16, v14 row_shr:1 row_mask:0xf bank_mask:0xf
	v_cndmask_b32_e32 v16, 0, v16, vcc_lo
	v_cmp_eq_u32_e32 vcc_lo, 0, v17
	v_cndmask_b32_e64 v18, v18, 0, vcc_lo
	s_delay_alu instid0(VALU_DEP_3) | instskip(SKIP_1) | instid1(VALU_DEP_2)
	v_cndmask_b32_e64 v16, v16, 0, vcc_lo
	v_cmp_lt_u32_e32 vcc_lo, 1, v17
	v_dual_add_nc_u32 v15, v18, v15 :: v_dual_add_nc_u32 v14, v16, v14
	s_delay_alu instid0(VALU_DEP_1) | instskip(SKIP_1) | instid1(VALU_DEP_3)
	v_mov_b32_dpp v16, v15 row_shr:2 row_mask:0xf bank_mask:0xf
	v_cmp_eq_u32_e64 s12, 0, v15
	v_mov_b32_dpp v18, v14 row_shr:2 row_mask:0xf bank_mask:0xf
	s_delay_alu instid0(VALU_DEP_3) | instskip(SKIP_1) | instid1(VALU_DEP_2)
	v_cndmask_b32_e32 v16, 0, v16, vcc_lo
	s_and_b32 vcc_lo, vcc_lo, s12
	v_cndmask_b32_e32 v18, 0, v18, vcc_lo
	v_cmp_lt_u32_e32 vcc_lo, 3, v17
	s_delay_alu instid0(VALU_DEP_2) | instskip(NEXT) | instid1(VALU_DEP_1)
	v_dual_add_nc_u32 v15, v15, v16 :: v_dual_add_nc_u32 v14, v18, v14
	v_mov_b32_dpp v16, v15 row_shr:4 row_mask:0xf bank_mask:0xf
	v_cmp_eq_u32_e64 s12, 0, v15
	s_delay_alu instid0(VALU_DEP_3) | instskip(NEXT) | instid1(VALU_DEP_3)
	v_mov_b32_dpp v18, v14 row_shr:4 row_mask:0xf bank_mask:0xf
	v_cndmask_b32_e32 v16, 0, v16, vcc_lo
	s_and_b32 vcc_lo, vcc_lo, s12
	s_delay_alu instid0(VALU_DEP_2) | instskip(SKIP_1) | instid1(VALU_DEP_2)
	v_cndmask_b32_e32 v18, 0, v18, vcc_lo
	v_cmp_lt_u32_e32 vcc_lo, 7, v17
	v_dual_add_nc_u32 v15, v16, v15 :: v_dual_add_nc_u32 v14, v14, v18
	v_bfe_i32 v18, v77, 4, 1
	s_delay_alu instid0(VALU_DEP_2) | instskip(SKIP_1) | instid1(VALU_DEP_4)
	v_mov_b32_dpp v16, v15 row_shr:8 row_mask:0xf bank_mask:0xf
	v_cmp_eq_u32_e64 s12, 0, v15
	v_mov_b32_dpp v17, v14 row_shr:8 row_mask:0xf bank_mask:0xf
	s_delay_alu instid0(VALU_DEP_3) | instskip(SKIP_2) | instid1(VALU_DEP_2)
	v_cndmask_b32_e32 v16, 0, v16, vcc_lo
	s_and_b32 vcc_lo, vcc_lo, s12
	s_mov_b32 s12, exec_lo
	v_cndmask_b32_e32 v17, 0, v17, vcc_lo
	s_delay_alu instid0(VALU_DEP_1)
	v_dual_add_nc_u32 v17, v17, v14 :: v_dual_add_nc_u32 v14, v16, v15
	ds_swizzle_b32 v15, v17 offset:swizzle(BROADCAST,32,15)
	ds_swizzle_b32 v16, v14 offset:swizzle(BROADCAST,32,15)
	v_cmp_eq_u32_e32 vcc_lo, 0, v14
	s_wait_dscnt 0x0
	v_dual_cndmask_b32 v15, 0, v15, vcc_lo :: v_dual_bitop2_b32 v16, v18, v16 bitop3:0x40
	s_delay_alu instid0(VALU_DEP_1) | instskip(NEXT) | instid1(VALU_DEP_1)
	v_dual_add_nc_u32 v14, v16, v14 :: v_dual_bitop2_b32 v15, v18, v15 bitop3:0x40
	v_dual_lshlrev_b32 v16, 3, v78 :: v_dual_add_nc_u32 v15, v15, v17
	v_cmpx_eq_u32_e64 v0, v79
; %bb.58:
	ds_store_b64 v16, v[14:15] offset:2064
; %bb.59:
	s_or_b32 exec_lo, exec_lo, s12
	s_delay_alu instid0(SALU_CYCLE_1)
	s_mov_b32 s13, exec_lo
	s_wait_dscnt 0x0
	s_barrier_signal -1
	s_barrier_wait -1
	v_cmpx_gt_u32_e32 8, v0
	s_cbranch_execz .LBB442_61
; %bb.60:
	v_dual_lshlrev_b32 v17, 3, v0 :: v_dual_bitop2_b32 v21, 7, v77 bitop3:0x40
	ds_load_b64 v[18:19], v17 offset:2064
	s_wait_dscnt 0x0
	v_mov_b32_dpp v20, v19 row_shr:1 row_mask:0xf bank_mask:0xf
	v_cmp_eq_u32_e32 vcc_lo, 0, v18
	v_mov_b32_dpp v24, v18 row_shr:1 row_mask:0xf bank_mask:0xf
	s_delay_alu instid0(VALU_DEP_3) | instskip(SKIP_1) | instid1(VALU_DEP_3)
	v_cndmask_b32_e32 v20, 0, v20, vcc_lo
	v_cmp_eq_u32_e32 vcc_lo, 0, v21
	v_cndmask_b32_e64 v24, v24, 0, vcc_lo
	s_delay_alu instid0(VALU_DEP_1) | instskip(NEXT) | instid1(VALU_DEP_4)
	v_add_nc_u32_e32 v18, v24, v18
	v_cndmask_b32_e64 v20, v20, 0, vcc_lo
	v_cmp_lt_u32_e32 vcc_lo, 1, v21
	s_delay_alu instid0(VALU_DEP_3) | instskip(NEXT) | instid1(VALU_DEP_3)
	v_cmp_eq_u32_e64 s12, 0, v18
	v_add_nc_u32_e32 v19, v20, v19
	v_mov_b32_dpp v20, v18 row_shr:2 row_mask:0xf bank_mask:0xf
	s_delay_alu instid0(VALU_DEP_1) | instskip(NEXT) | instid1(VALU_DEP_3)
	v_cndmask_b32_e32 v20, 0, v20, vcc_lo
	v_mov_b32_dpp v24, v19 row_shr:2 row_mask:0xf bank_mask:0xf
	s_and_b32 vcc_lo, vcc_lo, s12
	s_delay_alu instid0(VALU_DEP_1) | instid1(SALU_CYCLE_1)
	v_dual_add_nc_u32 v18, v20, v18 :: v_dual_cndmask_b32 v24, 0, v24, vcc_lo
	v_cmp_lt_u32_e32 vcc_lo, 3, v21
	s_delay_alu instid0(VALU_DEP_2) | instskip(NEXT) | instid1(VALU_DEP_3)
	v_mov_b32_dpp v20, v18 row_shr:4 row_mask:0xf bank_mask:0xf
	v_add_nc_u32_e32 v19, v24, v19
	v_cmp_eq_u32_e64 s12, 0, v18
	s_delay_alu instid0(VALU_DEP_3) | instskip(NEXT) | instid1(VALU_DEP_3)
	v_cndmask_b32_e32 v20, 0, v20, vcc_lo
	v_mov_b32_dpp v21, v19 row_shr:4 row_mask:0xf bank_mask:0xf
	s_and_b32 vcc_lo, vcc_lo, s12
	s_delay_alu instid0(VALU_DEP_1) | instskip(NEXT) | instid1(VALU_DEP_1)
	v_dual_cndmask_b32 v21, 0, v21 :: v_dual_add_nc_u32 v18, v20, v18
	v_add_nc_u32_e32 v19, v21, v19
	ds_store_b64 v17, v[18:19] offset:2064
.LBB442_61:
	s_or_b32 exec_lo, exec_lo, s13
	v_dual_mov_b32 v24, 0 :: v_dual_mov_b32 v25, 0
	s_mov_b32 s13, exec_lo
	v_cmp_gt_u32_e32 vcc_lo, 32, v0
	s_wait_dscnt 0x0
	s_barrier_signal -1
	s_barrier_wait -1
	v_cmpx_lt_u32_e32 31, v0
	s_cbranch_execz .LBB442_63
; %bb.62:
	ds_load_b64 v[24:25], v16 offset:2056
	v_cmp_eq_u32_e64 s12, 0, v14
	s_wait_dscnt 0x0
	s_delay_alu instid0(VALU_DEP_1) | instskip(NEXT) | instid1(VALU_DEP_1)
	v_dual_cndmask_b32 v16, 0, v25, s12 :: v_dual_add_nc_u32 v14, v24, v14
	v_add_nc_u32_e32 v15, v16, v15
.LBB442_63:
	s_or_b32 exec_lo, exec_lo, s13
	v_sub_co_u32 v16, s12, v77, 1
	s_delay_alu instid0(VALU_DEP_1) | instskip(NEXT) | instid1(VALU_DEP_1)
	v_cmp_gt_i32_e64 s13, 0, v16
	v_cndmask_b32_e64 v16, v16, v77, s13
	s_delay_alu instid0(VALU_DEP_1)
	v_lshlrev_b32_e32 v16, 2, v16
	ds_bpermute_b32 v30, v16, v14
	ds_bpermute_b32 v31, v16, v15
	s_and_saveexec_b32 s26, vcc_lo
	s_cbranch_execz .LBB442_82
; %bb.64:
	v_mov_b32_e32 v17, 0
	ds_load_b64 v[14:15], v17 offset:2120
	s_and_saveexec_b32 s13, s12
	s_cbranch_execz .LBB442_66
; %bb.65:
	s_add_co_i32 s30, s34, 32
	s_mov_b32 s31, 0
	v_mov_b32_e32 v16, 1
	s_lshl_b64 s[30:31], s[30:31], 4
	s_delay_alu instid0(SALU_CYCLE_1) | instskip(NEXT) | instid1(SALU_CYCLE_1)
	s_add_nc_u64 s[30:31], s[24:25], s[30:31]
	v_mov_b64_e32 v[18:19], s[30:31]
	s_wait_dscnt 0x0
	;;#ASMSTART
	global_store_b128 v[18:19], v[14:17] off scope:SCOPE_DEV	
s_wait_storecnt 0x0
	;;#ASMEND
.LBB442_66:
	s_or_b32 exec_lo, exec_lo, s13
	v_xad_u32 v26, v77, -1, s34
	s_mov_b32 s14, 0
	s_mov_b32 s13, exec_lo
	s_delay_alu instid0(VALU_DEP_1) | instskip(NEXT) | instid1(VALU_DEP_1)
	v_add_nc_u32_e32 v16, 32, v26
	v_lshl_add_u64 v[16:17], v[16:17], 4, s[24:25]
	;;#ASMSTART
	global_load_b128 v[18:21], v[16:17] off scope:SCOPE_DEV	
s_wait_loadcnt 0x0
	;;#ASMEND
	v_and_b32_e32 v21, 0xff, v20
	s_delay_alu instid0(VALU_DEP_1)
	v_cmpx_eq_u16_e32 0, v21
	s_cbranch_execz .LBB442_69
.LBB442_67:                             ; =>This Inner Loop Header: Depth=1
	;;#ASMSTART
	global_load_b128 v[18:21], v[16:17] off scope:SCOPE_DEV	
s_wait_loadcnt 0x0
	;;#ASMEND
	v_and_b32_e32 v21, 0xff, v20
	s_delay_alu instid0(VALU_DEP_1) | instskip(SKIP_1) | instid1(SALU_CYCLE_1)
	v_cmp_ne_u16_e32 vcc_lo, 0, v21
	s_or_b32 s14, vcc_lo, s14
	s_and_not1_b32 exec_lo, exec_lo, s14
	s_cbranch_execnz .LBB442_67
; %bb.68:
	s_or_b32 exec_lo, exec_lo, s14
.LBB442_69:
	s_delay_alu instid0(SALU_CYCLE_1)
	s_or_b32 exec_lo, exec_lo, s13
	v_cmp_ne_u32_e32 vcc_lo, 31, v77
	v_lshlrev_b32_e64 v33, v77, -1
	v_cmp_gt_u32_e64 s14, 30, v77
	v_lshl_or_b32 v40, v77, 2, 64
	v_add_nc_u32_e32 v35, 2, v77
	v_add_co_ci_u32_e64 v16, null, 0, v77, vcc_lo
	s_delay_alu instid0(VALU_DEP_4) | instskip(SKIP_1) | instid1(VALU_DEP_3)
	v_cndmask_b32_e64 v27, 0, 2, s14
	v_dual_add_nc_u32 v37, 4, v77 :: v_dual_add_nc_u32 v39, 8, v77
	v_lshlrev_b32_e32 v32, 2, v16
	v_and_b32_e32 v16, 0xff, v20
	s_delay_alu instid0(VALU_DEP_4)
	v_add_lshl_u32 v34, v27, v77, 2
	v_add_nc_u32_e32 v41, 16, v77
	ds_bpermute_b32 v17, v32, v18
	v_cmp_eq_u16_e32 vcc_lo, 2, v16
	v_and_or_b32 v21, vcc_lo, v33, 0x80000000
	v_cmp_eq_u32_e32 vcc_lo, 0, v18
	s_delay_alu instid0(VALU_DEP_2) | instskip(NEXT) | instid1(VALU_DEP_1)
	v_ctz_i32_b32_e32 v21, v21
	v_cmp_lt_u32_e64 s13, v77, v21
	s_wait_dscnt 0x0
	s_delay_alu instid0(VALU_DEP_1) | instskip(SKIP_4) | instid1(VALU_DEP_1)
	v_cndmask_b32_e64 v17, 0, v17, s13
	ds_bpermute_b32 v16, v32, v19
	s_and_b32 vcc_lo, s13, vcc_lo
	s_wait_dscnt 0x0
	v_dual_cndmask_b32 v16, 0, v16 :: v_dual_add_nc_u32 v17, v17, v18
	v_cmp_eq_u32_e32 vcc_lo, 0, v17
	s_delay_alu instid0(VALU_DEP_2)
	v_add_nc_u32_e32 v16, v16, v19
	ds_bpermute_b32 v19, v34, v16
	s_wait_dscnt 0x0
	v_cndmask_b32_e32 v18, 0, v19, vcc_lo
	ds_bpermute_b32 v19, v34, v17
	v_cmp_gt_u32_e32 vcc_lo, 28, v77
	v_cndmask_b32_e64 v27, 0, 4, vcc_lo
	v_cmp_gt_u32_e32 vcc_lo, v35, v21
	s_delay_alu instid0(VALU_DEP_2) | instskip(SKIP_2) | instid1(VALU_DEP_1)
	v_add_lshl_u32 v36, v27, v77, 2
	s_wait_dscnt 0x0
	v_cndmask_b32_e64 v19, v19, 0, vcc_lo
	v_add_nc_u32_e32 v17, v17, v19
	v_cndmask_b32_e64 v18, v18, 0, vcc_lo
	ds_bpermute_b32 v19, v36, v17
	v_add_nc_u32_e32 v16, v18, v16
	v_cmp_eq_u32_e32 vcc_lo, 0, v17
	ds_bpermute_b32 v18, v36, v16
	s_wait_dscnt 0x0
	v_cndmask_b32_e32 v18, 0, v18, vcc_lo
	v_cmp_gt_u32_e32 vcc_lo, 24, v77
	v_cndmask_b32_e64 v27, 0, 8, vcc_lo
	v_cmp_gt_u32_e32 vcc_lo, v37, v21
	s_delay_alu instid0(VALU_DEP_2) | instskip(SKIP_1) | instid1(VALU_DEP_1)
	v_add_lshl_u32 v38, v27, v77, 2
	v_cndmask_b32_e64 v19, v19, 0, vcc_lo
	v_dual_mov_b32 v27, 0 :: v_dual_add_nc_u32 v17, v17, v19
	v_cndmask_b32_e64 v18, v18, 0, vcc_lo
	ds_bpermute_b32 v19, v38, v17
	v_add_nc_u32_e32 v16, v16, v18
	v_cmp_eq_u32_e32 vcc_lo, 0, v17
	ds_bpermute_b32 v18, v38, v16
	s_wait_dscnt 0x0
	v_cndmask_b32_e32 v18, 0, v18, vcc_lo
	v_cmp_gt_u32_e32 vcc_lo, v39, v21
	s_delay_alu instid0(VALU_DEP_2) | instskip(NEXT) | instid1(VALU_DEP_1)
	v_cndmask_b32_e64 v18, v18, 0, vcc_lo
	v_add_nc_u32_e32 v16, v16, v18
	v_cndmask_b32_e64 v18, v19, 0, vcc_lo
	s_delay_alu instid0(VALU_DEP_1)
	v_add_nc_u32_e32 v17, v17, v18
	ds_bpermute_b32 v19, v40, v16
	ds_bpermute_b32 v18, v40, v17
	v_cmp_eq_u32_e32 vcc_lo, 0, v17
	s_wait_dscnt 0x1
	v_cndmask_b32_e32 v19, 0, v19, vcc_lo
	v_cmp_gt_u32_e32 vcc_lo, v41, v21
	s_wait_dscnt 0x0
	v_cndmask_b32_e64 v18, v18, 0, vcc_lo
	s_delay_alu instid0(VALU_DEP_1) | instskip(SKIP_1) | instid1(VALU_DEP_1)
	v_add_nc_u32_e32 v18, v18, v17
	v_cndmask_b32_e64 v19, v19, 0, vcc_lo
	v_add_nc_u32_e32 v19, v19, v16
	s_branch .LBB442_73
.LBB442_70:                             ;   in Loop: Header=BB442_73 Depth=1
	s_or_b32 exec_lo, exec_lo, s14
.LBB442_71:                             ;   in Loop: Header=BB442_73 Depth=1
	s_delay_alu instid0(SALU_CYCLE_1)
	s_or_b32 exec_lo, exec_lo, s13
	v_and_b32_e32 v21, 0xff, v20
	ds_bpermute_b32 v28, v32, v18
	v_subrev_nc_u32_e32 v26, 32, v26
	v_cmp_eq_u16_e32 vcc_lo, 2, v21
	ds_bpermute_b32 v21, v32, v19
	v_and_or_b32 v29, vcc_lo, v33, 0x80000000
	v_cmp_eq_u32_e32 vcc_lo, 0, v18
	s_delay_alu instid0(VALU_DEP_2) | instskip(NEXT) | instid1(VALU_DEP_1)
	v_ctz_i32_b32_e32 v29, v29
	v_cmp_lt_u32_e64 s13, v77, v29
	s_and_b32 vcc_lo, s13, vcc_lo
	s_wait_dscnt 0x0
	v_dual_cndmask_b32 v28, 0, v28, s13 :: v_dual_cndmask_b32 v21, 0, v21, vcc_lo
	s_mov_b32 s13, 0
	s_delay_alu instid0(VALU_DEP_1)
	v_dual_add_nc_u32 v18, v28, v18 :: v_dual_add_nc_u32 v19, v21, v19
	ds_bpermute_b32 v28, v34, v18
	ds_bpermute_b32 v21, v34, v19
	v_cmp_eq_u32_e32 vcc_lo, 0, v18
	s_wait_dscnt 0x0
	v_cndmask_b32_e32 v21, 0, v21, vcc_lo
	v_cmp_gt_u32_e32 vcc_lo, v35, v29
	v_cndmask_b32_e64 v28, v28, 0, vcc_lo
	s_delay_alu instid0(VALU_DEP_1) | instskip(NEXT) | instid1(VALU_DEP_4)
	v_add_nc_u32_e32 v18, v18, v28
	v_cndmask_b32_e64 v21, v21, 0, vcc_lo
	s_delay_alu instid0(VALU_DEP_2) | instskip(NEXT) | instid1(VALU_DEP_2)
	v_cmp_eq_u32_e32 vcc_lo, 0, v18
	v_add_nc_u32_e32 v19, v21, v19
	ds_bpermute_b32 v28, v36, v18
	ds_bpermute_b32 v21, v36, v19
	s_wait_dscnt 0x0
	v_cndmask_b32_e32 v21, 0, v21, vcc_lo
	v_cmp_gt_u32_e32 vcc_lo, v37, v29
	s_delay_alu instid0(VALU_DEP_2) | instskip(SKIP_1) | instid1(VALU_DEP_1)
	v_cndmask_b32_e64 v21, v21, 0, vcc_lo
	v_cndmask_b32_e64 v28, v28, 0, vcc_lo
	v_dual_add_nc_u32 v19, v19, v21 :: v_dual_add_nc_u32 v18, v18, v28
	ds_bpermute_b32 v21, v38, v19
	ds_bpermute_b32 v28, v38, v18
	v_cmp_eq_u32_e32 vcc_lo, 0, v18
	s_wait_dscnt 0x1
	v_cndmask_b32_e32 v21, 0, v21, vcc_lo
	v_cmp_gt_u32_e32 vcc_lo, v39, v29
	s_wait_dscnt 0x0
	v_cndmask_b32_e64 v28, v28, 0, vcc_lo
	s_delay_alu instid0(VALU_DEP_1) | instskip(SKIP_1) | instid1(VALU_DEP_2)
	v_add_nc_u32_e32 v18, v18, v28
	v_cndmask_b32_e64 v21, v21, 0, vcc_lo
	v_cmp_eq_u32_e32 vcc_lo, 0, v18
	s_delay_alu instid0(VALU_DEP_2)
	v_add_nc_u32_e32 v19, v19, v21
	ds_bpermute_b32 v28, v40, v18
	ds_bpermute_b32 v21, v40, v19
	s_wait_dscnt 0x0
	v_cndmask_b32_e32 v21, 0, v21, vcc_lo
	v_cmp_gt_u32_e32 vcc_lo, v41, v29
	s_delay_alu instid0(VALU_DEP_2) | instskip(NEXT) | instid1(VALU_DEP_1)
	v_cndmask_b32_e64 v21, v21, 0, vcc_lo
	v_add_nc_u32_e32 v19, v21, v19
	v_cndmask_b32_e64 v21, v28, 0, vcc_lo
	v_cmp_eq_u32_e32 vcc_lo, 0, v16
	s_delay_alu instid0(VALU_DEP_2) | instskip(NEXT) | instid1(VALU_DEP_4)
	v_add3_u32 v18, v18, v16, v21
	v_cndmask_b32_e32 v19, 0, v19, vcc_lo
	s_delay_alu instid0(VALU_DEP_1)
	v_add_nc_u32_e32 v19, v19, v17
.LBB442_72:                             ;   in Loop: Header=BB442_73 Depth=1
	s_and_b32 vcc_lo, exec_lo, s13
	s_cbranch_vccnz .LBB442_78
.LBB442_73:                             ; =>This Loop Header: Depth=1
                                        ;     Child Loop BB442_76 Depth 2
	v_and_b32_e32 v16, 0xff, v20
	s_delay_alu instid0(VALU_DEP_2) | instskip(SKIP_1) | instid1(VALU_DEP_2)
	v_mov_b32_e32 v17, v19
	s_mov_b32 s13, -1
                                        ; implicit-def: $vgpr19
                                        ; implicit-def: $vgpr20
	v_cmp_ne_u16_e32 vcc_lo, 2, v16
	v_mov_b32_e32 v16, v18
                                        ; implicit-def: $vgpr18
	s_cmp_lg_u32 vcc_lo, exec_lo
	s_cbranch_scc1 .LBB442_72
; %bb.74:                               ;   in Loop: Header=BB442_73 Depth=1
	v_lshl_add_u64 v[28:29], v[26:27], 4, s[24:25]
	;;#ASMSTART
	global_load_b128 v[18:21], v[28:29] off scope:SCOPE_DEV	
s_wait_loadcnt 0x0
	;;#ASMEND
	v_and_b32_e32 v21, 0xff, v20
	s_mov_b32 s13, exec_lo
	s_delay_alu instid0(VALU_DEP_1)
	v_cmpx_eq_u16_e32 0, v21
	s_cbranch_execz .LBB442_71
; %bb.75:                               ;   in Loop: Header=BB442_73 Depth=1
	s_mov_b32 s14, 0
.LBB442_76:                             ;   Parent Loop BB442_73 Depth=1
                                        ; =>  This Inner Loop Header: Depth=2
	;;#ASMSTART
	global_load_b128 v[18:21], v[28:29] off scope:SCOPE_DEV	
s_wait_loadcnt 0x0
	;;#ASMEND
	v_and_b32_e32 v21, 0xff, v20
	s_delay_alu instid0(VALU_DEP_1) | instskip(SKIP_1) | instid1(SALU_CYCLE_1)
	v_cmp_ne_u16_e32 vcc_lo, 0, v21
	s_or_b32 s14, vcc_lo, s14
	s_and_not1_b32 exec_lo, exec_lo, s14
	s_cbranch_execnz .LBB442_76
	s_branch .LBB442_70
.LBB442_77:
                                        ; implicit-def: $vgpr14
                                        ; implicit-def: $vgpr18
                                        ; implicit-def: $vgpr20_vgpr21
                                        ; implicit-def: $vgpr28_vgpr29
                                        ; implicit-def: $vgpr36_vgpr37
                                        ; implicit-def: $vgpr30_vgpr31
                                        ; implicit-def: $vgpr44_vgpr45
                                        ; implicit-def: $vgpr48_vgpr49
                                        ; implicit-def: $vgpr46_vgpr47
                                        ; implicit-def: $vgpr42_vgpr43
                                        ; implicit-def: $vgpr38_vgpr39
                                        ; implicit-def: $vgpr32_vgpr33
                                        ; implicit-def: $vgpr34_vgpr35
                                        ; implicit-def: $vgpr40_vgpr41
                                        ; implicit-def: $vgpr24_vgpr25
                                        ; implicit-def: $vgpr26_vgpr27
	s_cbranch_execnz .LBB442_83
	s_branch .LBB442_94
.LBB442_78:
	s_and_saveexec_b32 s13, s12
	s_cbranch_execz .LBB442_80
; %bb.79:
	v_cmp_eq_u32_e32 vcc_lo, 0, v14
	s_mov_b32 s31, 0
	s_add_co_i32 s30, s34, 32
	v_mov_b32_e32 v21, 0
	s_lshl_b64 s[30:31], s[30:31], 4
	v_dual_cndmask_b32 v19, 0, v17 :: v_dual_add_nc_u32 v18, v16, v14
	s_add_nc_u64 s[30:31], s[24:25], s[30:31]
	v_mov_b32_e32 v20, 2
	v_mov_b64_e32 v[26:27], s[30:31]
	s_delay_alu instid0(VALU_DEP_3)
	v_add_nc_u32_e32 v19, v19, v15
	;;#ASMSTART
	global_store_b128 v[26:27], v[18:21] off scope:SCOPE_DEV	
s_wait_storecnt 0x0
	;;#ASMEND
	ds_store_b128 v21, v[14:17] offset:2048
.LBB442_80:
	s_or_b32 exec_lo, exec_lo, s13
	v_cmp_eq_u32_e32 vcc_lo, 0, v0
	s_and_b32 exec_lo, exec_lo, vcc_lo
; %bb.81:
	v_mov_b32_e32 v14, 0
	ds_store_b64 v14, v[16:17] offset:2120
.LBB442_82:
	s_or_b32 exec_lo, exec_lo, s26
	s_wait_dscnt 0x1
	v_dual_mov_b32 v16, 0 :: v_dual_cndmask_b32 v17, v30, v24, s12
	s_wait_dscnt 0x0
	s_barrier_signal -1
	s_barrier_wait -1
	ds_load_b64 v[14:15], v16 offset:2120
	v_cmp_eq_u32_e32 vcc_lo, 0, v17
	v_cndmask_b32_e64 v18, v31, v25, s12
	v_cmp_eq_u32_e64 s12, 0, v67
	s_wait_dscnt 0x0
	s_barrier_signal -1
	s_barrier_wait -1
	v_cndmask_b32_e32 v19, 0, v15, vcc_lo
	v_cmp_eq_u32_e32 vcc_lo, 0, v0
	s_delay_alu instid0(VALU_DEP_2) | instskip(SKIP_1) | instid1(VALU_DEP_2)
	v_add_nc_u32_e32 v18, v19, v18
	v_cndmask_b32_e64 v17, v17, 0, vcc_lo
	v_cndmask_b32_e32 v45, v18, v15, vcc_lo
	s_delay_alu instid0(VALU_DEP_2) | instskip(NEXT) | instid1(VALU_DEP_1)
	v_add_nc_u32_e32 v44, v14, v17
	v_dual_cndmask_b32 v15, 0, v45, s12 :: v_dual_add_nc_u32 v48, v44, v67
	s_delay_alu instid0(VALU_DEP_1) | instskip(NEXT) | instid1(VALU_DEP_1)
	v_dual_add_nc_u32 v49, v15, v52 :: v_dual_add_nc_u32 v46, v48, v66
	v_cndmask_b32_e64 v15, 0, v49, s11
	s_delay_alu instid0(VALU_DEP_1) | instskip(NEXT) | instid1(VALU_DEP_1)
	v_add_nc_u32_e32 v47, v15, v68
	v_cndmask_b32_e64 v15, 0, v47, s10
	s_delay_alu instid0(VALU_DEP_1) | instskip(NEXT) | instid1(VALU_DEP_1)
	v_add_nc_u32_e32 v43, v15, v72
	v_cndmask_b32_e64 v15, 0, v43, s9
	s_delay_alu instid0(VALU_DEP_1) | instskip(NEXT) | instid1(VALU_DEP_1)
	v_add_nc_u32_e32 v39, v15, v74
	v_cndmask_b32_e64 v15, 0, v39, s8
	s_delay_alu instid0(VALU_DEP_1) | instskip(NEXT) | instid1(VALU_DEP_1)
	v_add_nc_u32_e32 v33, v15, v70
	v_cndmask_b32_e64 v15, 0, v33, s7
	s_delay_alu instid0(VALU_DEP_1) | instskip(NEXT) | instid1(VALU_DEP_1)
	v_add_nc_u32_e32 v35, v15, v71
	v_cndmask_b32_e64 v14, 0, v35, s6
	s_delay_alu instid0(VALU_DEP_1) | instskip(NEXT) | instid1(VALU_DEP_1)
	v_add_nc_u32_e32 v41, v14, v75
	v_cndmask_b32_e64 v14, 0, v41, s5
	s_delay_alu instid0(VALU_DEP_1) | instskip(NEXT) | instid1(VALU_DEP_1)
	v_add_nc_u32_e32 v25, v14, v73
	v_dual_add_nc_u32 v42, v46, v64 :: v_dual_cndmask_b32 v14, 0, v25, s4
	s_delay_alu instid0(VALU_DEP_1) | instskip(NEXT) | instid1(VALU_DEP_2)
	v_add_nc_u32_e32 v38, v42, v63
	v_add_nc_u32_e32 v27, v14, v69
	s_delay_alu instid0(VALU_DEP_1) | instskip(NEXT) | instid1(VALU_DEP_1)
	v_dual_add_nc_u32 v32, v38, v61 :: v_dual_cndmask_b32 v14, 0, v27, s3
	v_add_nc_u32_e32 v34, v32, v65
	s_delay_alu instid0(VALU_DEP_1) | instskip(NEXT) | instid1(VALU_DEP_1)
	v_add_nc_u32_e32 v40, v34, v60
	v_add_nc_u32_e32 v24, v40, v59
	s_delay_alu instid0(VALU_DEP_1) | instskip(NEXT) | instid1(VALU_DEP_1)
	v_add_nc_u32_e32 v26, v24, v58
	v_add_nc_u32_e32 v30, v26, v55
	s_delay_alu instid0(VALU_DEP_1) | instskip(SKIP_3) | instid1(VALU_DEP_1)
	v_add_nc_u32_e32 v36, v30, v54
	v_add_nc_u32_e32 v31, v14, v53
	ds_load_b128 v[14:17], v16 offset:2048
	v_dual_add_nc_u32 v28, v36, v56 :: v_dual_cndmask_b32 v18, 0, v31, s2
	v_dual_add_nc_u32 v20, v28, v62 :: v_dual_add_nc_u32 v37, v18, v51
	s_delay_alu instid0(VALU_DEP_1) | instskip(NEXT) | instid1(VALU_DEP_1)
	v_cndmask_b32_e64 v18, 0, v37, s1
	v_add_nc_u32_e32 v29, v18, v50
	s_wait_dscnt 0x0
	v_cmp_eq_u32_e32 vcc_lo, 0, v14
	s_delay_alu instid0(VALU_DEP_2) | instskip(SKIP_1) | instid1(VALU_DEP_1)
	v_cndmask_b32_e64 v18, 0, v29, s0
	v_cndmask_b32_e32 v17, 0, v17, vcc_lo
	v_dual_add_nc_u32 v21, v18, v1 :: v_dual_add_nc_u32 v18, v17, v15
	s_branch .LBB442_94
.LBB442_83:
	s_wait_kmcnt 0x0
	s_cmp_eq_u64 s[28:29], 0
	v_mov_b32_e32 v18, v52
	s_cselect_b32 s0, -1, 0
	s_delay_alu instid0(SALU_CYCLE_1) | instskip(NEXT) | instid1(SALU_CYCLE_1)
	s_or_b32 s0, s15, s0
	s_and_b32 vcc_lo, exec_lo, s0
	s_cbranch_vccnz .LBB442_85
; %bb.84:
	v_mov_b32_e32 v14, 0
	global_load_b32 v18, v14, s[28:29]
.LBB442_85:
	v_add3_u32 v15, v80, v61, v65
	v_cmp_eq_u32_e64 s5, 0, v66
	v_cmp_eq_u32_e64 s6, 0, v64
	;; [unrolled: 1-line block ×4, first 2 shown]
	v_add3_u32 v15, v15, v60, v59
	s_wait_xcnt 0x0
	v_dual_cndmask_b32 v14, 0, v52, s5 :: v_dual_bitop2_b32 v17, 15, v77 bitop3:0x40
	v_cmp_eq_u32_e64 s10, 0, v65
	v_cmp_eq_u32_e64 s9, 0, v60
	v_add3_u32 v15, v15, v58, v55
	v_cmp_eq_u32_e64 s4, 0, v59
	v_cmp_eq_u32_e64 s3, 0, v58
	;; [unrolled: 1-line block ×4, first 2 shown]
	v_add3_u32 v15, v15, v54, v56
	v_cmp_eq_u32_e32 vcc_lo, 0, v56
	v_cmp_eq_u32_e64 s0, 0, v62
	v_cmp_eq_u32_e64 s11, 0, v57
	s_delay_alu instid0(VALU_DEP_4) | instskip(SKIP_1) | instid1(VALU_DEP_2)
	v_add3_u32 v15, v15, v62, v57
	v_add_nc_u32_e32 v14, v14, v68
	v_mov_b32_dpp v19, v15 row_shr:1 row_mask:0xf bank_mask:0xf
	s_delay_alu instid0(VALU_DEP_2) | instskip(NEXT) | instid1(VALU_DEP_1)
	v_cndmask_b32_e64 v14, 0, v14, s6
	v_add_nc_u32_e32 v14, v14, v72
	s_delay_alu instid0(VALU_DEP_1) | instskip(NEXT) | instid1(VALU_DEP_1)
	v_cndmask_b32_e64 v14, 0, v14, s7
	v_add_nc_u32_e32 v14, v14, v74
	s_delay_alu instid0(VALU_DEP_1) | instskip(NEXT) | instid1(VALU_DEP_1)
	;; [unrolled: 3-line block ×9, first 2 shown]
	v_cndmask_b32_e32 v14, 0, v14, vcc_lo
	v_add_nc_u32_e32 v14, v14, v50
	s_delay_alu instid0(VALU_DEP_1) | instskip(NEXT) | instid1(VALU_DEP_1)
	v_cndmask_b32_e64 v14, 0, v14, s0
	v_add_nc_u32_e32 v14, v14, v1
	s_delay_alu instid0(VALU_DEP_1) | instskip(SKIP_1) | instid1(VALU_DEP_2)
	v_cndmask_b32_e64 v14, 0, v14, s11
	v_cmp_eq_u32_e64 s11, 0, v15
	v_add_nc_u32_e32 v14, v14, v76
	s_delay_alu instid0(VALU_DEP_1) | instskip(NEXT) | instid1(VALU_DEP_1)
	v_mov_b32_dpp v16, v14 row_shr:1 row_mask:0xf bank_mask:0xf
	v_cndmask_b32_e64 v16, 0, v16, s11
	v_cmp_eq_u32_e64 s11, 0, v17
	s_delay_alu instid0(VALU_DEP_1) | instskip(NEXT) | instid1(VALU_DEP_3)
	v_cndmask_b32_e64 v19, v19, 0, s11
	v_cndmask_b32_e64 v16, v16, 0, s11
	v_cmp_lt_u32_e64 s11, 1, v17
	s_delay_alu instid0(VALU_DEP_2) | instskip(NEXT) | instid1(VALU_DEP_1)
	v_dual_add_nc_u32 v15, v19, v15 :: v_dual_add_nc_u32 v14, v16, v14
	v_mov_b32_dpp v16, v15 row_shr:2 row_mask:0xf bank_mask:0xf
	v_cmp_eq_u32_e64 s12, 0, v15
	s_delay_alu instid0(VALU_DEP_3) | instskip(NEXT) | instid1(VALU_DEP_3)
	v_mov_b32_dpp v19, v14 row_shr:2 row_mask:0xf bank_mask:0xf
	v_cndmask_b32_e64 v16, 0, v16, s11
	s_and_b32 s11, s11, s12
	s_delay_alu instid0(VALU_DEP_2) | instid1(SALU_CYCLE_1)
	v_cndmask_b32_e64 v19, 0, v19, s11
	v_cmp_lt_u32_e64 s11, 3, v17
	s_delay_alu instid0(VALU_DEP_3) | instskip(NEXT) | instid1(VALU_DEP_3)
	v_add_nc_u32_e32 v15, v15, v16
	v_add_nc_u32_e32 v14, v19, v14
	s_delay_alu instid0(VALU_DEP_2) | instskip(SKIP_1) | instid1(VALU_DEP_3)
	v_mov_b32_dpp v16, v15 row_shr:4 row_mask:0xf bank_mask:0xf
	v_cmp_eq_u32_e64 s12, 0, v15
	v_mov_b32_dpp v19, v14 row_shr:4 row_mask:0xf bank_mask:0xf
	s_delay_alu instid0(VALU_DEP_3)
	v_cndmask_b32_e64 v16, 0, v16, s11
	s_and_b32 s11, s11, s12
	s_delay_alu instid0(VALU_DEP_2) | instid1(SALU_CYCLE_1)
	v_cndmask_b32_e64 v19, 0, v19, s11
	v_cmp_lt_u32_e64 s11, 7, v17
	s_delay_alu instid0(VALU_DEP_3) | instskip(NEXT) | instid1(VALU_DEP_3)
	v_add_nc_u32_e32 v15, v16, v15
	v_add_nc_u32_e32 v14, v14, v19
	v_bfe_i32 v19, v77, 4, 1
	s_delay_alu instid0(VALU_DEP_3) | instskip(SKIP_1) | instid1(VALU_DEP_4)
	v_mov_b32_dpp v16, v15 row_shr:8 row_mask:0xf bank_mask:0xf
	v_cmp_eq_u32_e64 s12, 0, v15
	v_mov_b32_dpp v17, v14 row_shr:8 row_mask:0xf bank_mask:0xf
	s_delay_alu instid0(VALU_DEP_3) | instskip(SKIP_2) | instid1(VALU_DEP_2)
	v_cndmask_b32_e64 v16, 0, v16, s11
	s_and_b32 s11, s11, s12
	s_mov_b32 s12, exec_lo
	v_cndmask_b32_e64 v17, 0, v17, s11
	s_delay_alu instid0(VALU_DEP_1) | instskip(SKIP_4) | instid1(VALU_DEP_1)
	v_dual_add_nc_u32 v17, v17, v14 :: v_dual_add_nc_u32 v14, v16, v15
	ds_swizzle_b32 v15, v17 offset:swizzle(BROADCAST,32,15)
	ds_swizzle_b32 v16, v14 offset:swizzle(BROADCAST,32,15)
	v_cmp_eq_u32_e64 s11, 0, v14
	s_wait_dscnt 0x0
	v_dual_cndmask_b32 v15, 0, v15, s11 :: v_dual_bitop2_b32 v16, v19, v16 bitop3:0x40
	s_delay_alu instid0(VALU_DEP_1) | instskip(NEXT) | instid1(VALU_DEP_1)
	v_dual_add_nc_u32 v14, v16, v14 :: v_dual_bitop2_b32 v15, v19, v15 bitop3:0x40
	v_dual_add_nc_u32 v15, v15, v17 :: v_dual_lshlrev_b32 v17, 3, v78
	v_cmpx_eq_u32_e64 v0, v79
; %bb.86:
	ds_store_b64 v17, v[14:15] offset:2064
; %bb.87:
	s_or_b32 exec_lo, exec_lo, s12
	s_delay_alu instid0(SALU_CYCLE_1)
	s_mov_b32 s13, exec_lo
	s_wait_loadcnt_dscnt 0x0
	s_barrier_signal -1
	s_barrier_wait -1
	v_cmpx_gt_u32_e32 8, v0
	s_cbranch_execz .LBB442_89
; %bb.88:
	v_dual_lshlrev_b32 v16, 3, v0 :: v_dual_bitop2_b32 v24, 7, v77 bitop3:0x40
	ds_load_b64 v[20:21], v16 offset:2064
	s_wait_dscnt 0x0
	v_mov_b32_dpp v19, v21 row_shr:1 row_mask:0xf bank_mask:0xf
	v_cmp_eq_u32_e64 s11, 0, v20
	v_mov_b32_dpp v25, v20 row_shr:1 row_mask:0xf bank_mask:0xf
	s_delay_alu instid0(VALU_DEP_2) | instskip(SKIP_1) | instid1(VALU_DEP_1)
	v_cndmask_b32_e64 v19, 0, v19, s11
	v_cmp_eq_u32_e64 s11, 0, v24
	v_cndmask_b32_e64 v25, v25, 0, s11
	s_delay_alu instid0(VALU_DEP_1) | instskip(NEXT) | instid1(VALU_DEP_4)
	v_add_nc_u32_e32 v20, v25, v20
	v_cndmask_b32_e64 v19, v19, 0, s11
	v_cmp_lt_u32_e64 s11, 1, v24
	s_delay_alu instid0(VALU_DEP_3) | instskip(NEXT) | instid1(VALU_DEP_3)
	v_cmp_eq_u32_e64 s12, 0, v20
	v_add_nc_u32_e32 v19, v19, v21
	v_mov_b32_dpp v21, v20 row_shr:2 row_mask:0xf bank_mask:0xf
	s_delay_alu instid0(VALU_DEP_1) | instskip(NEXT) | instid1(VALU_DEP_3)
	v_cndmask_b32_e64 v21, 0, v21, s11
	v_mov_b32_dpp v25, v19 row_shr:2 row_mask:0xf bank_mask:0xf
	s_and_b32 s11, s11, s12
	s_delay_alu instid0(VALU_DEP_1) | instid1(SALU_CYCLE_1)
	v_dual_add_nc_u32 v20, v21, v20 :: v_dual_cndmask_b32 v25, 0, v25, s11
	v_cmp_lt_u32_e64 s11, 3, v24
	s_delay_alu instid0(VALU_DEP_2) | instskip(NEXT) | instid1(VALU_DEP_3)
	v_mov_b32_dpp v21, v20 row_shr:4 row_mask:0xf bank_mask:0xf
	v_add_nc_u32_e32 v19, v25, v19
	v_cmp_eq_u32_e64 s12, 0, v20
	s_delay_alu instid0(VALU_DEP_3) | instskip(NEXT) | instid1(VALU_DEP_3)
	v_cndmask_b32_e64 v21, 0, v21, s11
	v_mov_b32_dpp v24, v19 row_shr:4 row_mask:0xf bank_mask:0xf
	s_and_b32 s11, s11, s12
	s_delay_alu instid0(VALU_DEP_1) | instid1(SALU_CYCLE_1)
	v_cndmask_b32_e64 v24, 0, v24, s11
	s_delay_alu instid0(VALU_DEP_1)
	v_dual_add_nc_u32 v20, v21, v20 :: v_dual_add_nc_u32 v21, v24, v19
	ds_store_b64 v16, v[20:21] offset:2064
.LBB442_89:
	s_or_b32 exec_lo, exec_lo, s13
	v_dual_mov_b32 v19, 0 :: v_dual_mov_b32 v16, 0
	v_mov_b32_e32 v20, v18
	s_mov_b32 s12, exec_lo
	s_wait_dscnt 0x0
	s_barrier_signal -1
	s_barrier_wait -1
	v_cmpx_lt_u32_e32 31, v0
	s_cbranch_execz .LBB442_91
; %bb.90:
	ds_load_b64 v[16:17], v17 offset:2056
	s_wait_dscnt 0x0
	v_cmp_eq_u32_e64 s11, 0, v16
	s_delay_alu instid0(VALU_DEP_1) | instskip(NEXT) | instid1(VALU_DEP_1)
	v_cndmask_b32_e64 v20, 0, v18, s11
	v_add_nc_u32_e32 v20, v20, v17
.LBB442_91:
	s_or_b32 exec_lo, exec_lo, s12
	v_sub_co_u32 v17, s11, v77, 1
	s_delay_alu instid0(VALU_DEP_1) | instskip(NEXT) | instid1(VALU_DEP_1)
	v_cmp_gt_i32_e64 s12, 0, v17
	v_cndmask_b32_e64 v17, v17, v77, s12
	v_cmp_eq_u32_e64 s12, 0, v14
	s_delay_alu instid0(VALU_DEP_1) | instskip(NEXT) | instid1(VALU_DEP_3)
	v_dual_cndmask_b32 v21, 0, v20, s12 :: v_dual_add_nc_u32 v14, v16, v14
	v_lshlrev_b32_e32 v17, 2, v17
	v_cmp_eq_u32_e64 s12, 0, v67
	ds_bpermute_b32 v14, v17, v14
	s_wait_dscnt 0x0
	v_dual_add_nc_u32 v15, v21, v15 :: v_dual_cndmask_b32 v14, v14, v16, s11
	ds_bpermute_b32 v15, v17, v15
	s_wait_dscnt 0x0
	v_cndmask_b32_e64 v15, v15, v20, s11
	v_cmp_eq_u32_e64 s11, 0, v0
	s_delay_alu instid0(VALU_DEP_1) | instskip(SKIP_1) | instid1(VALU_DEP_1)
	v_cndmask_b32_e64 v45, v15, v18, s11
	v_cndmask_b32_e64 v44, v14, 0, s11
	v_dual_cndmask_b32 v15, 0, v45, s12 :: v_dual_add_nc_u32 v48, v44, v67
	s_delay_alu instid0(VALU_DEP_1) | instskip(NEXT) | instid1(VALU_DEP_1)
	v_dual_add_nc_u32 v49, v15, v52 :: v_dual_add_nc_u32 v46, v48, v66
	v_dual_cndmask_b32 v15, 0, v49, s5 :: v_dual_add_nc_u32 v42, v46, v64
	s_delay_alu instid0(VALU_DEP_1) | instskip(NEXT) | instid1(VALU_DEP_1)
	v_add_nc_u32_e32 v47, v15, v68
	v_cndmask_b32_e64 v15, 0, v47, s6
	s_delay_alu instid0(VALU_DEP_1) | instskip(NEXT) | instid1(VALU_DEP_1)
	v_add_nc_u32_e32 v43, v15, v72
	v_cndmask_b32_e64 v15, 0, v43, s7
	;; [unrolled: 3-line block ×6, first 2 shown]
	s_delay_alu instid0(VALU_DEP_1) | instskip(NEXT) | instid1(VALU_DEP_1)
	v_add_nc_u32_e32 v25, v14, v73
	v_dual_add_nc_u32 v38, v42, v63 :: v_dual_cndmask_b32 v14, 0, v25, s3
	s_delay_alu instid0(VALU_DEP_1) | instskip(NEXT) | instid1(VALU_DEP_2)
	v_add_nc_u32_e32 v32, v38, v61
	v_add_nc_u32_e32 v27, v14, v69
	s_delay_alu instid0(VALU_DEP_1) | instskip(NEXT) | instid1(VALU_DEP_1)
	v_dual_add_nc_u32 v34, v32, v65 :: v_dual_cndmask_b32 v14, 0, v27, s2
	v_add_nc_u32_e32 v40, v34, v60
	s_delay_alu instid0(VALU_DEP_2) | instskip(SKIP_2) | instid1(VALU_DEP_1)
	v_add_nc_u32_e32 v31, v14, v53
	ds_load_b64 v[14:15], v19 offset:2120
	v_add_nc_u32_e32 v24, v40, v59
	v_dual_cndmask_b32 v16, 0, v31, s1 :: v_dual_add_nc_u32 v26, v24, v58
	s_delay_alu instid0(VALU_DEP_1) | instskip(NEXT) | instid1(VALU_DEP_1)
	v_add_nc_u32_e32 v37, v16, v51
	v_dual_add_nc_u32 v30, v26, v55 :: v_dual_cndmask_b32 v16, 0, v37, vcc_lo
	s_delay_alu instid0(VALU_DEP_1) | instskip(NEXT) | instid1(VALU_DEP_2)
	v_add_nc_u32_e32 v36, v30, v54
	v_add_nc_u32_e32 v29, v16, v50
	s_wait_dscnt 0x0
	v_cmp_eq_u32_e32 vcc_lo, 0, v14
	s_delay_alu instid0(VALU_DEP_2) | instskip(SKIP_1) | instid1(VALU_DEP_2)
	v_dual_add_nc_u32 v28, v36, v56 :: v_dual_cndmask_b32 v16, 0, v29, s0
	v_cndmask_b32_e32 v17, 0, v18, vcc_lo
	v_add_nc_u32_e32 v20, v28, v62
	s_delay_alu instid0(VALU_DEP_2)
	v_dual_add_nc_u32 v21, v16, v1 :: v_dual_add_nc_u32 v18, v17, v15
	s_and_saveexec_b32 s0, s11
	s_cbranch_execz .LBB442_93
; %bb.92:
	s_add_nc_u64 s[2:3], s[24:25], 0x200
	v_dual_mov_b32 v16, 2 :: v_dual_mov_b32 v17, 0
	v_mov_b32_e32 v15, v18
	v_mov_b64_e32 v[50:51], s[2:3]
	;;#ASMSTART
	global_store_b128 v[50:51], v[14:17] off scope:SCOPE_DEV	
s_wait_storecnt 0x0
	;;#ASMEND
.LBB442_93:
	s_or_b32 exec_lo, exec_lo, s0
	v_mov_b32_e32 v16, 0
.LBB442_94:
	s_cmp_eq_u64 s[22:23], 0
	v_mov_b64_e32 v[50:51], 0
	s_cselect_b32 s0, -1, 0
	s_delay_alu instid0(SALU_CYCLE_1)
	s_or_b32 s0, s15, s0
	s_barrier_signal -1
	s_and_b32 vcc_lo, exec_lo, s0
	s_barrier_wait -1
	s_cbranch_vccnz .LBB442_96
; %bb.95:
	v_mov_b32_e32 v1, 0
	global_load_b64 v[50:51], v1, s[22:23]
.LBB442_96:
	v_cmp_eq_u32_e32 vcc_lo, 0, v67
	s_wait_loadcnt 0x0
	v_lshlrev_b64_e32 v[52:53], 2, v[50:51]
	v_cmp_ne_u32_e64 s13, 0, v67
	v_cmp_ne_u32_e64 s12, 0, v66
	;; [unrolled: 1-line block ×3, first 2 shown]
	v_cndmask_b32_e64 v1, 1, 2, vcc_lo
	v_cmp_eq_u32_e32 vcc_lo, 0, v66
	v_cmp_ne_u32_e64 s10, 0, v63
	s_wait_kmcnt 0x0
	v_add_nc_u64_e32 v[52:53], s[16:17], v[52:53]
	v_cmp_ne_u32_e64 s9, 0, v61
	v_cmp_ne_u32_e64 s8, 0, v65
	v_cndmask_b32_e64 v15, 1, 2, vcc_lo
	v_cmp_eq_u32_e32 vcc_lo, 0, v64
	v_cmp_ne_u32_e64 s7, 0, v60
	v_cmp_ne_u32_e64 s6, 0, v59
	v_cmp_ne_u32_e64 s5, 0, v58
	v_and_b32_e32 v1, v15, v1
	v_cndmask_b32_e64 v17, 1, 2, vcc_lo
	v_cmp_eq_u32_e32 vcc_lo, 0, v63
	v_cmp_ne_u32_e64 s4, 0, v55
	v_cmp_ne_u32_e64 s3, 0, v54
	;; [unrolled: 1-line block ×4, first 2 shown]
	v_cndmask_b32_e64 v19, 1, 2, vcc_lo
	v_cmp_eq_u32_e32 vcc_lo, 0, v61
	v_cmp_ne_u32_e64 s0, 0, v57
	s_mov_b32 s15, -1
	v_bitop3_b16 v1, v1, v19, v17 bitop3:0x80
	v_cndmask_b32_e64 v15, 1, 2, vcc_lo
	v_cmp_eq_u32_e32 vcc_lo, 0, v65
	v_mov_b32_e32 v17, 0
	v_cndmask_b32_e64 v19, 1, 2, vcc_lo
	v_cmp_eq_u32_e32 vcc_lo, 0, v60
	s_delay_alu instid0(VALU_DEP_3) | instskip(NEXT) | instid1(VALU_DEP_3)
	v_lshlrev_b64_e32 v[68:69], 2, v[16:17]
	v_bitop3_b16 v1, v1, v19, v15 bitop3:0x80
	v_cndmask_b32_e64 v15, 1, 2, vcc_lo
	v_cmp_eq_u32_e32 vcc_lo, 0, v59
	s_delay_alu instid0(VALU_DEP_4) | instskip(SKIP_2) | instid1(VALU_DEP_2)
	v_add_nc_u64_e32 v[52:53], v[52:53], v[68:69]
	v_cndmask_b32_e64 v19, 1, 2, vcc_lo
	v_cmp_eq_u32_e32 vcc_lo, 0, v58
	v_bitop3_b16 v1, v1, v19, v15 bitop3:0x80
	v_cndmask_b32_e64 v15, 1, 2, vcc_lo
	v_cmp_eq_u32_e32 vcc_lo, 0, v55
	v_cndmask_b32_e64 v19, 1, 2, vcc_lo
	v_cmp_eq_u32_e32 vcc_lo, 0, v54
	s_delay_alu instid0(VALU_DEP_2) | instskip(SKIP_4) | instid1(VALU_DEP_2)
	v_bitop3_b16 v1, v1, v19, v15 bitop3:0x80
	v_cndmask_b32_e64 v15, 1, 2, vcc_lo
	v_cmp_eq_u32_e32 vcc_lo, 0, v56
	v_cndmask_b32_e64 v19, 1, 2, vcc_lo
	v_cmp_eq_u32_e32 vcc_lo, 0, v62
	v_bitop3_b16 v1, v1, v19, v15 bitop3:0x80
	v_cndmask_b32_e64 v15, 1, 2, vcc_lo
	v_cmp_eq_u32_e32 vcc_lo, 0, v57
	v_cndmask_b32_e64 v19, 1, 2, vcc_lo
	v_cmp_gt_u32_e32 vcc_lo, 0x100, v14
	s_delay_alu instid0(VALU_DEP_2) | instskip(NEXT) | instid1(VALU_DEP_1)
	v_bitop3_b16 v1, v1, v19, v15 bitop3:0x80
	v_cmp_gt_i16_e64 s14, 2, v1
	s_cbranch_vccz .LBB442_103
; %bb.97:
	s_and_saveexec_b32 s15, s14
	s_cbranch_execz .LBB442_102
; %bb.98:
	s_mov_b32 s16, 0
	s_mov_b32 s14, exec_lo
	v_cmpx_ne_u16_e32 1, v1
	s_xor_b32 s14, exec_lo, s14
	s_cbranch_execnz .LBB442_146
; %bb.99:
	s_and_not1_saveexec_b32 s14, s14
	s_cbranch_execnz .LBB442_161
.LBB442_100:
	s_or_b32 exec_lo, exec_lo, s14
	s_delay_alu instid0(SALU_CYCLE_1)
	s_and_b32 exec_lo, exec_lo, s16
	s_cbranch_execz .LBB442_102
.LBB442_101:
	v_sub_nc_u32_e32 v15, v20, v16
	v_readfirstlane_b32 s16, v52
	v_readfirstlane_b32 s17, v53
	global_store_b32 v15, v23, s[16:17] scale_offset
.LBB442_102:
	s_wait_xcnt 0x0
	s_or_b32 exec_lo, exec_lo, s15
	s_mov_b32 s15, 0
.LBB442_103:
	s_delay_alu instid0(SALU_CYCLE_1)
	s_and_b32 vcc_lo, exec_lo, s15
	s_cbranch_vccz .LBB442_125
; %bb.104:
	s_mov_b32 s14, exec_lo
	v_cmpx_gt_i16_e32 2, v1
	s_cbranch_execz .LBB442_109
; %bb.105:
	s_mov_b32 s16, 0
	s_mov_b32 s15, exec_lo
	v_cmpx_ne_u16_e32 1, v1
	s_xor_b32 s15, exec_lo, s15
	s_cbranch_execnz .LBB442_162
; %bb.106:
	s_and_not1_saveexec_b32 s0, s15
	s_cbranch_execnz .LBB442_177
.LBB442_107:
	s_or_b32 exec_lo, exec_lo, s0
	s_delay_alu instid0(SALU_CYCLE_1)
	s_and_b32 exec_lo, exec_lo, s16
.LBB442_108:
	v_sub_nc_u32_e32 v1, v20, v16
	s_delay_alu instid0(VALU_DEP_1)
	v_lshlrev_b32_e32 v1, 2, v1
	ds_store_b32 v1, v23
.LBB442_109:
	s_or_b32 exec_lo, exec_lo, s14
	s_delay_alu instid0(SALU_CYCLE_1)
	s_mov_b32 s0, exec_lo
	s_wait_storecnt_dscnt 0x0
	s_barrier_signal -1
	s_barrier_wait -1
	v_cmpx_lt_u32_e64 v0, v14
	s_cbranch_execz .LBB442_124
; %bb.110:
	v_xad_u32 v2, v0, -1, v14
	v_mov_b32_e32 v1, v0
	s_mov_b32 s4, -1
	s_mov_b32 s2, exec_lo
	s_delay_alu instid0(VALU_DEP_2)
	v_cmp_gt_u32_e64 s1, 0x1900, v2
	v_cmpx_lt_u32_e32 0x18ff, v2
	s_cbranch_execz .LBB442_121
; %bb.111:
	v_sub_nc_u32_e32 v1, v0, v14
	s_delay_alu instid0(VALU_DEP_1) | instskip(NEXT) | instid1(VALU_DEP_1)
	v_or_b32_e32 v1, 0xff, v1
	v_cmp_ge_u32_e32 vcc_lo, v1, v0
	v_mov_b32_e32 v1, v0
	s_and_saveexec_b32 s3, vcc_lo
	s_cbranch_execz .LBB442_120
; %bb.112:
	v_lshrrev_b32_e32 v6, 8, v2
	v_or_b32_e32 v1, 0x100, v0
	s_delay_alu instid0(VALU_DEP_2) | instskip(NEXT) | instid1(VALU_DEP_1)
	v_dual_mov_b32 v10, 0 :: v_dual_add_nc_u32 v2, -1, v6
	v_lshrrev_b32_e32 v3, 1, v2
	v_cmp_lt_u32_e32 vcc_lo, 13, v2
	s_delay_alu instid0(VALU_DEP_2)
	v_add_nc_u32_e32 v7, 1, v3
	v_mov_b64_e32 v[2:3], v[0:1]
	s_and_saveexec_b32 s4, vcc_lo
	s_cbranch_execz .LBB442_116
; %bb.113:
	v_mov_b64_e32 v[2:3], v[0:1]
	v_dual_lshlrev_b32 v9, 2, v0 :: v_dual_bitop2_b32 v8, -8, v7 bitop3:0x40
	v_mov_b32_e32 v5, 0
	s_mov_b32 s5, 0
	s_mov_b32 s6, 0
.LBB442_114:                            ; =>This Inner Loop Header: Depth=1
	s_delay_alu instid0(VALU_DEP_1)
	v_dual_mov_b32 v4, v2 :: v_dual_mov_b32 v23, v5
	ds_load_2addr_stride64_b32 v[12:13], v9 offset1:4
	v_add_nc_u32_e32 v8, -8, v8
	ds_load_2addr_stride64_b32 v[68:69], v9 offset0:8 offset1:12
	v_lshl_add_u64 v[94:95], v[4:5], 2, v[52:53]
	v_mov_b32_e32 v4, v3
	ds_load_2addr_stride64_b32 v[72:73], v9 offset0:16 offset1:20
	ds_load_2addr_stride64_b32 v[76:77], v9 offset0:24 offset1:28
	v_dual_mov_b32 v71, v5 :: v_dual_add_nc_u32 v22, 0x200, v3
	v_lshl_add_u64 v[96:97], v[4:5], 2, v[52:53]
	v_add_nc_u32_e32 v4, 0x200, v2
	ds_load_2addr_stride64_b32 v[80:81], v9 offset0:32 offset1:36
	v_lshl_add_u64 v[22:23], v[22:23], 2, v[52:53]
	ds_load_2addr_stride64_b32 v[84:85], v9 offset0:40 offset1:44
	ds_load_2addr_stride64_b32 v[88:89], v9 offset0:48 offset1:52
	v_lshl_add_u64 v[98:99], v[4:5], 2, v[52:53]
	v_add_nc_u32_e32 v4, 0x400, v2
	ds_load_2addr_stride64_b32 v[92:93], v9 offset0:56 offset1:60
	s_wait_dscnt 0x7
	s_clause 0x1
	global_store_b32 v[94:95], v12, off
	global_store_b32 v[96:97], v13, off
	s_wait_dscnt 0x6
	s_clause 0x1
	global_store_b32 v[98:99], v68, off
	global_store_b32 v[22:23], v69, off
	v_lshl_add_u64 v[100:101], v[4:5], 2, v[52:53]
	v_add_nc_u32_e32 v4, 0x600, v2
	v_dual_mov_b32 v75, v5 :: v_dual_add_nc_u32 v70, 0x400, v3
	v_dual_mov_b32 v79, v5 :: v_dual_add_nc_u32 v74, 0x600, v3
	s_wait_xcnt 0x2
	s_delay_alu instid0(VALU_DEP_3)
	v_lshl_add_u64 v[12:13], v[4:5], 2, v[52:53]
	v_add_nc_u32_e32 v4, 0x800, v2
	v_lshl_add_u64 v[70:71], v[70:71], 2, v[52:53]
	v_dual_mov_b32 v83, v5 :: v_dual_add_nc_u32 v78, 0x800, v3
	v_lshl_add_u64 v[74:75], v[74:75], 2, v[52:53]
	s_wait_xcnt 0x0
	v_lshl_add_u64 v[22:23], v[4:5], 2, v[52:53]
	v_add_nc_u32_e32 v4, 0xa00, v2
	s_wait_dscnt 0x5
	s_clause 0x1
	global_store_b32 v[100:101], v72, off
	global_store_b32 v[70:71], v73, off
	s_wait_dscnt 0x4
	global_store_b32 v[12:13], v76, off
	v_dual_mov_b32 v87, v5 :: v_dual_add_nc_u32 v82, 0xa00, v3
	s_wait_xcnt 0x0
	v_lshl_add_u64 v[12:13], v[4:5], 2, v[52:53]
	v_add_nc_u32_e32 v4, 0xc00, v2
	v_dual_mov_b32 v91, v5 :: v_dual_add_nc_u32 v86, 0xc00, v3
	v_lshl_add_u64 v[78:79], v[78:79], 2, v[52:53]
	global_store_b32 v[74:75], v77, off
	s_wait_dscnt 0x3
	global_store_b32 v[22:23], v80, off
	s_wait_xcnt 0x0
	v_lshl_add_u64 v[22:23], v[4:5], 2, v[52:53]
	v_add_nc_u32_e32 v4, 0xe00, v2
	v_add_nc_u32_e32 v90, 0xe00, v3
	s_add_co_i32 s6, s6, 16
	v_cmp_eq_u32_e32 vcc_lo, 0, v8
	v_lshl_add_u64 v[82:83], v[82:83], 2, v[52:53]
	v_dual_mov_b32 v10, s6 :: v_dual_add_nc_u32 v9, 0x4000, v9
	v_add_nc_u32_e32 v3, 0x1000, v3
	v_add_nc_u32_e32 v2, 0x1000, v2
	v_lshl_add_u64 v[86:87], v[86:87], 2, v[52:53]
	global_store_b32 v[78:79], v81, off
	s_wait_dscnt 0x2
	s_clause 0x1
	global_store_b32 v[12:13], v84, off
	global_store_b32 v[82:83], v85, off
	s_wait_xcnt 0x1
	v_lshl_add_u64 v[12:13], v[4:5], 2, v[52:53]
	v_lshl_add_u64 v[90:91], v[90:91], 2, v[52:53]
	s_or_b32 s5, vcc_lo, s5
	s_wait_dscnt 0x1
	s_clause 0x1
	global_store_b32 v[22:23], v88, off
	global_store_b32 v[86:87], v89, off
	s_wait_dscnt 0x0
	s_clause 0x1
	global_store_b32 v[12:13], v92, off
	global_store_b32 v[90:91], v93, off
	s_wait_xcnt 0x0
	s_and_not1_b32 exec_lo, exec_lo, s5
	s_cbranch_execnz .LBB442_114
; %bb.115:
	s_or_b32 exec_lo, exec_lo, s5
.LBB442_116:
	s_delay_alu instid0(SALU_CYCLE_1) | instskip(SKIP_3) | instid1(VALU_DEP_1)
	s_or_b32 exec_lo, exec_lo, s4
	v_and_b32_e32 v1, 7, v7
	s_mov_b32 s5, 0
	s_mov_b32 s4, exec_lo
	v_cmpx_ne_u32_e32 0, v1
	s_cbranch_execz .LBB442_119
; %bb.117:
	v_dual_mov_b32 v5, 0 :: v_dual_lshlrev_b32 v4, 2, v0
	s_delay_alu instid0(VALU_DEP_1)
	v_lshl_or_b32 v7, v10, 10, v4
.LBB442_118:                            ; =>This Inner Loop Header: Depth=1
	ds_load_2addr_stride64_b32 v[8:9], v7 offset1:4
	v_dual_mov_b32 v4, v2 :: v_dual_add_nc_u32 v1, -1, v1
	v_add_nc_u32_e32 v2, 0x200, v2
	v_add_nc_u32_e32 v7, 0x800, v7
	s_delay_alu instid0(VALU_DEP_3) | instskip(SKIP_3) | instid1(VALU_DEP_3)
	v_lshl_add_u64 v[10:11], v[4:5], 2, v[52:53]
	v_mov_b32_e32 v4, v3
	v_cmp_eq_u32_e32 vcc_lo, 0, v1
	v_add_nc_u32_e32 v3, 0x200, v3
	v_lshl_add_u64 v[12:13], v[4:5], 2, v[52:53]
	s_or_b32 s5, vcc_lo, s5
	s_wait_dscnt 0x0
	s_clause 0x1
	global_store_b32 v[10:11], v8, off
	global_store_b32 v[12:13], v9, off
	s_wait_xcnt 0x0
	s_and_not1_b32 exec_lo, exec_lo, s5
	s_cbranch_execnz .LBB442_118
.LBB442_119:
	s_or_b32 exec_lo, exec_lo, s4
	v_add_nc_u32_e32 v1, 1, v6
	s_delay_alu instid0(VALU_DEP_1) | instskip(NEXT) | instid1(VALU_DEP_1)
	v_and_b32_e32 v2, 0x1fffffe, v1
	v_cmp_ne_u32_e32 vcc_lo, v1, v2
	v_lshl_or_b32 v1, v2, 8, v0
	s_or_not1_b32 s4, vcc_lo, exec_lo
.LBB442_120:
	s_or_b32 exec_lo, exec_lo, s3
	s_delay_alu instid0(SALU_CYCLE_1) | instskip(SKIP_1) | instid1(SALU_CYCLE_1)
	s_and_not1_b32 s1, s1, exec_lo
	s_and_b32 s3, s4, exec_lo
	s_or_b32 s1, s1, s3
.LBB442_121:
	s_or_b32 exec_lo, exec_lo, s2
	s_delay_alu instid0(SALU_CYCLE_1)
	s_and_b32 exec_lo, exec_lo, s1
	s_cbranch_execz .LBB442_124
; %bb.122:
	v_lshlrev_b32_e32 v2, 2, v1
	s_mov_b32 s1, 0
.LBB442_123:                            ; =>This Inner Loop Header: Depth=1
	ds_load_b32 v3, v2
	v_readfirstlane_b32 s2, v52
	v_readfirstlane_b32 s3, v53
	v_add_nc_u32_e32 v2, 0x400, v2
	s_wait_dscnt 0x0
	global_store_b32 v1, v3, s[2:3] scale_offset
	s_wait_xcnt 0x0
	v_add_nc_u32_e32 v1, 0x100, v1
	s_delay_alu instid0(VALU_DEP_1) | instskip(SKIP_1) | instid1(SALU_CYCLE_1)
	v_cmp_ge_u32_e32 vcc_lo, v1, v14
	s_or_b32 s1, vcc_lo, s1
	s_and_not1_b32 exec_lo, exec_lo, s1
	s_cbranch_execnz .LBB442_123
.LBB442_124:
	s_or_b32 exec_lo, exec_lo, s0
.LBB442_125:
	s_cmp_lg_u32 s35, 0xe00
	v_cmp_eq_u32_e32 vcc_lo, 0, v0
	s_cselect_b32 s0, -1, 0
	s_lshr_b32 s1, s35, 1
	s_and_b32 s0, s33, s0
	v_cndmask_b32_e64 v6, 0, 1, s36
	v_mad_i32_i24 v3, v0, -14, s35
	v_cndmask_b32_e64 v2, 0, 1, s0
	s_mul_hi_u32 s0, s1, 0x92492493
	s_and_b32 s1, vcc_lo, s36
	s_lshr_b32 s0, s0, 2
	v_cndmask_b32_e64 v4, v67, 0, s1
	v_cmp_eq_u32_e32 vcc_lo, s0, v0
	v_cmp_ne_u32_e64 s0, 0, v3
	v_sub_nc_u32_e32 v1, v14, v6
	s_mov_b32 s15, -1
	s_wait_storecnt 0x0
	s_and_b32 vcc_lo, s33, vcc_lo
	s_barrier_signal -1
	v_dual_add_nc_u32 v1, v1, v2 :: v_dual_cndmask_b32 v2, 1, v4, s0
	v_cmp_ne_u32_e64 s0, 1, v3
	s_barrier_wait -1
	s_delay_alu instid0(VALU_DEP_1) | instskip(SKIP_1) | instid1(VALU_DEP_1)
	v_cndmask_b32_e64 v5, 1, v66, s0
	v_cmp_ne_u32_e64 s0, 2, v3
	v_cndmask_b32_e64 v7, 1, v64, s0
	v_cmp_ne_u32_e64 s0, 3, v3
	s_delay_alu instid0(VALU_DEP_2) | instskip(NEXT) | instid1(VALU_DEP_2)
	v_cndmask_b32_e32 v7, v64, v7, vcc_lo
	v_cndmask_b32_e64 v8, 1, v63, s0
	v_cmp_ne_u32_e64 s0, 4, v3
	v_cndmask_b32_e32 v53, v4, v2, vcc_lo
	s_delay_alu instid0(VALU_DEP_4) | instskip(NEXT) | instid1(VALU_DEP_3)
	v_cmp_ne_u32_e64 s11, 0, v7
	v_cndmask_b32_e64 v9, 1, v61, s0
	v_cmp_ne_u32_e64 s0, 5, v3
	s_delay_alu instid0(VALU_DEP_1) | instskip(SKIP_1) | instid1(VALU_DEP_1)
	v_cndmask_b32_e64 v10, 1, v65, s0
	v_cmp_ne_u32_e64 s0, 6, v3
	v_cndmask_b32_e64 v11, 1, v60, s0
	v_cmp_ne_u32_e64 s0, 7, v3
	s_delay_alu instid0(VALU_DEP_2) | instskip(NEXT) | instid1(VALU_DEP_2)
	v_dual_cndmask_b32 v9, v61, v9, vcc_lo :: v_dual_cndmask_b32 v11, v60, v11, vcc_lo
	v_cndmask_b32_e64 v12, 1, v59, s0
	v_cmp_ne_u32_e64 s0, 8, v3
	v_cndmask_b32_e32 v10, v65, v10, vcc_lo
	s_delay_alu instid0(VALU_DEP_4) | instskip(NEXT) | instid1(VALU_DEP_3)
	v_cmp_ne_u32_e64 s7, 0, v11
	v_cndmask_b32_e64 v13, 1, v58, s0
	v_cmp_ne_u32_e64 s0, 9, v3
	s_delay_alu instid0(VALU_DEP_4) | instskip(NEXT) | instid1(VALU_DEP_2)
	v_cmp_ne_u32_e64 s8, 0, v10
	v_cndmask_b32_e64 v15, 1, v55, s0
	v_cmp_ne_u32_e64 s0, 10, v3
	s_delay_alu instid0(VALU_DEP_2) | instskip(NEXT) | instid1(VALU_DEP_2)
	v_dual_cndmask_b32 v13, v58, v13, vcc_lo :: v_dual_cndmask_b32 v15, v55, v15, vcc_lo
	v_cndmask_b32_e64 v19, 1, v54, s0
	v_cmp_ne_u32_e64 s0, 13, v3
	s_delay_alu instid0(VALU_DEP_3) | instskip(NEXT) | instid1(VALU_DEP_2)
	v_cmp_ne_u32_e64 s5, 0, v13
	v_cndmask_b32_e64 v22, 1, v57, s0
	v_cmp_ne_u32_e64 s0, 12, v3
	v_dual_cndmask_b32 v12, v59, v12 :: v_dual_cndmask_b32 v19, v54, v19
	s_delay_alu instid0(VALU_DEP_2) | instskip(SKIP_2) | instid1(VALU_DEP_4)
	v_cndmask_b32_e64 v23, 1, v62, s0
	v_cmp_ne_u32_e64 s0, 11, v3
	v_lshlrev_b64_e32 v[2:3], 3, v[50:51]
	v_cmp_ne_u32_e64 s6, 0, v12
	v_cmp_ne_u32_e64 s3, 0, v19
	s_delay_alu instid0(VALU_DEP_4)
	v_dual_cndmask_b32 v52, 1, v56, s0 :: v_dual_cndmask_b32 v22, v57, v22, vcc_lo
	v_cndmask_b32_e32 v23, v62, v23, vcc_lo
	v_cndmask_b32_e32 v57, v66, v5, vcc_lo
	v_cmp_eq_u32_e64 s0, 0, v53
	v_add_nc_u64_e32 v[2:3], s[18:19], v[2:3]
	v_lshlrev_b64_e32 v[4:5], 3, v[16:17]
	v_cndmask_b32_e32 v52, v56, v52, vcc_lo
	v_cmp_ne_u32_e64 s13, 0, v53
	v_cndmask_b32_e64 v62, 1, 2, s0
	v_cmp_eq_u32_e64 s0, 0, v57
	v_cmp_ne_u32_e64 s12, 0, v57
	v_cmp_ne_u32_e64 s2, 0, v52
	v_add_nc_u64_e32 v[2:3], v[2:3], v[4:5]
	v_lshlrev_b32_e32 v4, 3, v6
	v_cndmask_b32_e64 v65, 1, 2, s0
	v_cndmask_b32_e32 v8, v63, v8, vcc_lo
	v_cmp_eq_u32_e64 s0, 0, v7
	v_mov_b32_e32 v5, 0
	v_cmp_eq_u32_e32 vcc_lo, 0, v13
	v_and_b32_e32 v62, v65, v62
	v_add_nc_u32_e32 v6, v16, v6
	v_cndmask_b32_e64 v63, 1, 2, s0
	v_cmp_eq_u32_e64 s0, 0, v8
	v_cndmask_b32_e64 v55, 1, 2, vcc_lo
	v_cmp_eq_u32_e32 vcc_lo, 0, v15
	v_cmp_ne_u32_e64 s10, 0, v8
	v_cmp_ne_u32_e64 s9, 0, v9
	v_cndmask_b32_e64 v64, 1, 2, s0
	v_cmp_eq_u32_e64 s0, 0, v9
	v_add_nc_u64_e32 v[4:5], v[2:3], v[4:5]
	v_cmp_ne_u32_e64 s4, 0, v15
	v_cmp_ne_u32_e64 s1, 0, v23
	v_bitop3_b16 v61, v62, v64, v63 bitop3:0x80
	v_cndmask_b32_e64 v62, 1, 2, s0
	v_cmp_eq_u32_e64 s0, 0, v10
	v_add_nc_u64_e32 v[4:5], -8, v[4:5]
	s_delay_alu instid0(VALU_DEP_2) | instskip(SKIP_1) | instid1(VALU_DEP_2)
	v_cndmask_b32_e64 v63, 1, 2, s0
	v_cmp_eq_u32_e64 s0, 0, v11
	v_bitop3_b16 v56, v61, v63, v62 bitop3:0x80
	s_delay_alu instid0(VALU_DEP_2) | instskip(SKIP_1) | instid1(VALU_DEP_1)
	v_cndmask_b32_e64 v59, 1, 2, s0
	v_cmp_eq_u32_e64 s0, 0, v12
	v_cndmask_b32_e64 v60, 1, 2, s0
	v_cmp_ne_u32_e64 s0, 0, v22
	s_delay_alu instid0(VALU_DEP_2) | instskip(SKIP_2) | instid1(VALU_DEP_2)
	v_bitop3_b16 v54, v56, v60, v59 bitop3:0x80
	v_cndmask_b32_e64 v56, 1, 2, vcc_lo
	v_cmp_eq_u32_e32 vcc_lo, 0, v19
	v_bitop3_b16 v7, v54, v56, v55 bitop3:0x80
	v_cndmask_b32_e64 v53, 1, 2, vcc_lo
	v_cmp_eq_u32_e32 vcc_lo, 0, v52
	v_cndmask_b32_e64 v54, 1, 2, vcc_lo
	v_cmp_eq_u32_e32 vcc_lo, 0, v23
	s_delay_alu instid0(VALU_DEP_2) | instskip(SKIP_4) | instid1(VALU_DEP_2)
	v_bitop3_b16 v7, v7, v54, v53 bitop3:0x80
	v_cndmask_b32_e64 v8, 1, 2, vcc_lo
	v_cmp_eq_u32_e32 vcc_lo, 0, v22
	v_cndmask_b32_e64 v9, 1, 2, vcc_lo
	v_cmp_gt_u32_e32 vcc_lo, 0x100, v1
	v_bitop3_b16 v7, v7, v9, v8 bitop3:0x80
	s_delay_alu instid0(VALU_DEP_1)
	v_cmp_gt_i16_e64 s14, 2, v7
	s_cbranch_vccnz .LBB442_129
; %bb.126:
	s_and_b32 vcc_lo, exec_lo, s15
	s_cbranch_vccnz .LBB442_135
.LBB442_127:
	v_cmp_eq_u32_e32 vcc_lo, 0xff, v0
	s_and_b32 s0, vcc_lo, s33
	s_delay_alu instid0(SALU_CYCLE_1)
	s_and_saveexec_b32 s1, s0
	s_cbranch_execnz .LBB442_144
.LBB442_128:
	s_sendmsg sendmsg(MSG_DEALLOC_VGPRS)
	s_endpgm
.LBB442_129:
	s_and_saveexec_b32 s15, s14
	s_cbranch_execz .LBB442_134
; %bb.130:
	s_mov_b32 s16, 0
	s_mov_b32 s14, exec_lo
	v_cmpx_ne_u16_e32 1, v7
	s_xor_b32 s14, exec_lo, s14
	s_cbranch_execnz .LBB442_178
; %bb.131:
	s_and_not1_saveexec_b32 s14, s14
	s_cbranch_execnz .LBB442_193
.LBB442_132:
	s_or_b32 exec_lo, exec_lo, s14
	s_delay_alu instid0(SALU_CYCLE_1)
	s_and_b32 exec_lo, exec_lo, s16
	s_cbranch_execz .LBB442_134
.LBB442_133:
	v_dual_mov_b32 v9, 0 :: v_dual_mov_b32 v8, v21
	v_sub_nc_u32_e32 v10, v20, v6
	v_readfirstlane_b32 s16, v4
	v_readfirstlane_b32 s17, v5
	global_store_b64 v10, v[8:9], s[16:17] scale_offset
.LBB442_134:
	s_wait_xcnt 0x0
	s_or_b32 exec_lo, exec_lo, s15
	s_branch .LBB442_127
.LBB442_135:
	s_mov_b32 s14, exec_lo
	v_cmpx_gt_i16_e32 2, v7
	s_cbranch_execz .LBB442_140
; %bb.136:
	s_mov_b32 s16, 0
	s_mov_b32 s15, exec_lo
	v_cmpx_ne_u16_e32 1, v7
	s_xor_b32 s15, exec_lo, s15
	s_cbranch_execnz .LBB442_194
; %bb.137:
	s_and_not1_saveexec_b32 s0, s15
	s_cbranch_execnz .LBB442_209
.LBB442_138:
	s_or_b32 exec_lo, exec_lo, s0
	s_delay_alu instid0(SALU_CYCLE_1)
	s_and_b32 exec_lo, exec_lo, s16
.LBB442_139:
	v_sub_nc_u32_e32 v6, v20, v6
	s_delay_alu instid0(VALU_DEP_1)
	v_lshlrev_b32_e32 v6, 2, v6
	ds_store_b32 v6, v21
.LBB442_140:
	s_or_b32 exec_lo, exec_lo, s14
	s_delay_alu instid0(SALU_CYCLE_1)
	s_mov_b32 s0, exec_lo
	s_wait_storecnt_dscnt 0x0
	s_barrier_signal -1
	s_barrier_wait -1
	v_cmpx_lt_u32_e64 v0, v1
	s_cbranch_execz .LBB442_143
; %bb.141:
	v_dual_mov_b32 v7, 0 :: v_dual_lshlrev_b32 v8, 2, v0
	v_mov_b32_e32 v9, v0
	s_mov_b32 s1, 0
.LBB442_142:                            ; =>This Inner Loop Header: Depth=1
	ds_load_b32 v6, v8
	v_readfirstlane_b32 s2, v4
	v_readfirstlane_b32 s3, v5
	v_add_nc_u32_e32 v8, 0x400, v8
	s_wait_dscnt 0x0
	global_store_b64 v9, v[6:7], s[2:3] scale_offset
	s_wait_xcnt 0x0
	v_add_nc_u32_e32 v9, 0x100, v9
	s_delay_alu instid0(VALU_DEP_1) | instskip(SKIP_1) | instid1(SALU_CYCLE_1)
	v_cmp_ge_u32_e32 vcc_lo, v9, v1
	s_or_b32 s1, vcc_lo, s1
	s_and_not1_b32 exec_lo, exec_lo, s1
	s_cbranch_execnz .LBB442_142
.LBB442_143:
	s_or_b32 exec_lo, exec_lo, s0
	v_cmp_eq_u32_e32 vcc_lo, 0xff, v0
	s_and_b32 s0, vcc_lo, s33
	s_delay_alu instid0(SALU_CYCLE_1)
	s_and_saveexec_b32 s1, s0
	s_cbranch_execz .LBB442_128
.LBB442_144:
	v_mov_b32_e32 v15, 0
	s_cmp_lg_u32 s35, 0xe00
	s_delay_alu instid0(VALU_DEP_1) | instskip(NEXT) | instid1(VALU_DEP_1)
	v_add_nc_u64_e32 v[0:1], v[14:15], v[16:17]
	v_add_nc_u64_e32 v[0:1], v[0:1], v[50:51]
	global_store_b64 v15, v[0:1], s[20:21]
	s_cbranch_scc1 .LBB442_128
; %bb.145:
	s_wait_xcnt 0x0
	v_lshlrev_b64_e32 v[0:1], 3, v[14:15]
	v_mov_b32_e32 v19, v15
	s_delay_alu instid0(VALU_DEP_2)
	v_add_nc_u64_e32 v[0:1], v[2:3], v[0:1]
	global_store_b64 v[0:1], v[18:19], off offset:-8
	s_sendmsg sendmsg(MSG_DEALLOC_VGPRS)
	s_endpgm
.LBB442_146:
	s_and_saveexec_b32 s16, s13
	s_cbranch_execnz .LBB442_210
; %bb.147:
	s_or_b32 exec_lo, exec_lo, s16
	s_and_saveexec_b32 s16, s12
	s_cbranch_execnz .LBB442_211
.LBB442_148:
	s_or_b32 exec_lo, exec_lo, s16
	s_and_saveexec_b32 s16, s11
	s_cbranch_execnz .LBB442_212
.LBB442_149:
	s_or_b32 exec_lo, exec_lo, s16
	s_and_saveexec_b32 s16, s10
	s_cbranch_execnz .LBB442_213
.LBB442_150:
	s_or_b32 exec_lo, exec_lo, s16
	s_and_saveexec_b32 s16, s9
	s_cbranch_execnz .LBB442_214
.LBB442_151:
	s_or_b32 exec_lo, exec_lo, s16
	s_and_saveexec_b32 s16, s8
	s_cbranch_execnz .LBB442_215
.LBB442_152:
	s_or_b32 exec_lo, exec_lo, s16
	s_and_saveexec_b32 s16, s7
	s_cbranch_execnz .LBB442_216
.LBB442_153:
	s_or_b32 exec_lo, exec_lo, s16
	s_and_saveexec_b32 s16, s6
	s_cbranch_execnz .LBB442_217
.LBB442_154:
	s_or_b32 exec_lo, exec_lo, s16
	s_and_saveexec_b32 s16, s5
	s_cbranch_execnz .LBB442_218
.LBB442_155:
	s_or_b32 exec_lo, exec_lo, s16
	s_and_saveexec_b32 s16, s4
	s_cbranch_execnz .LBB442_219
.LBB442_156:
	s_or_b32 exec_lo, exec_lo, s16
	s_and_saveexec_b32 s16, s3
	s_cbranch_execnz .LBB442_220
.LBB442_157:
	s_or_b32 exec_lo, exec_lo, s16
	s_and_saveexec_b32 s16, s2
	s_cbranch_execnz .LBB442_221
.LBB442_158:
	s_or_b32 exec_lo, exec_lo, s16
	s_and_saveexec_b32 s16, s1
	s_cbranch_execz .LBB442_160
.LBB442_159:
	v_sub_nc_u32_e32 v15, v28, v16
	v_readfirstlane_b32 s22, v52
	v_readfirstlane_b32 s23, v53
	global_store_b32 v15, v22, s[22:23] scale_offset
.LBB442_160:
	s_wait_xcnt 0x0
	s_or_b32 exec_lo, exec_lo, s16
	s_delay_alu instid0(SALU_CYCLE_1)
	s_and_b32 s16, s0, exec_lo
	s_and_not1_saveexec_b32 s14, s14
	s_cbranch_execz .LBB442_100
.LBB442_161:
	v_dual_sub_nc_u32 v15, v44, v16 :: v_dual_sub_nc_u32 v68, v46, v16
	v_readfirstlane_b32 s22, v52
	v_readfirstlane_b32 s23, v53
	v_sub_nc_u32_e32 v19, v48, v16
	s_clause 0x1
	global_store_b32 v15, v10, s[22:23] scale_offset
	global_store_b32 v19, v11, s[22:23] scale_offset
	s_wait_xcnt 0x1
	v_sub_nc_u32_e32 v15, v42, v16
	s_wait_xcnt 0x0
	v_sub_nc_u32_e32 v19, v38, v16
	global_store_b32 v68, v12, s[22:23] scale_offset
	s_wait_xcnt 0x0
	v_dual_sub_nc_u32 v68, v32, v16 :: v_dual_sub_nc_u32 v69, v34, v16
	global_store_b32 v15, v13, s[22:23] scale_offset
	s_wait_xcnt 0x0
	v_sub_nc_u32_e32 v15, v40, v16
	s_clause 0x2
	global_store_b32 v19, v6, s[22:23] scale_offset
	global_store_b32 v68, v7, s[22:23] scale_offset
	;; [unrolled: 1-line block ×3, first 2 shown]
	s_wait_xcnt 0x1
	v_dual_sub_nc_u32 v19, v24, v16 :: v_dual_sub_nc_u32 v68, v30, v16
	s_wait_xcnt 0x0
	v_sub_nc_u32_e32 v69, v36, v16
	global_store_b32 v15, v9, s[22:23] scale_offset
	s_wait_xcnt 0x0
	v_sub_nc_u32_e32 v15, v26, v16
	global_store_b32 v19, v2, s[22:23] scale_offset
	s_wait_xcnt 0x0
	v_sub_nc_u32_e32 v19, v28, v16
	s_or_b32 s16, s16, exec_lo
	s_clause 0x3
	global_store_b32 v15, v3, s[22:23] scale_offset
	global_store_b32 v68, v4, s[22:23] scale_offset
	;; [unrolled: 1-line block ×4, first 2 shown]
	s_wait_xcnt 0x0
	s_or_b32 exec_lo, exec_lo, s14
	s_delay_alu instid0(SALU_CYCLE_1)
	s_and_b32 exec_lo, exec_lo, s16
	s_cbranch_execnz .LBB442_101
	s_branch .LBB442_102
.LBB442_162:
	s_and_saveexec_b32 s16, s13
	s_cbranch_execnz .LBB442_222
; %bb.163:
	s_or_b32 exec_lo, exec_lo, s16
	s_and_saveexec_b32 s13, s12
	s_cbranch_execnz .LBB442_223
.LBB442_164:
	s_or_b32 exec_lo, exec_lo, s13
	s_and_saveexec_b32 s12, s11
	s_cbranch_execnz .LBB442_224
.LBB442_165:
	s_or_b32 exec_lo, exec_lo, s12
	s_and_saveexec_b32 s11, s10
	s_cbranch_execnz .LBB442_225
.LBB442_166:
	s_or_b32 exec_lo, exec_lo, s11
	s_and_saveexec_b32 s10, s9
	s_cbranch_execnz .LBB442_226
.LBB442_167:
	s_or_b32 exec_lo, exec_lo, s10
	s_and_saveexec_b32 s9, s8
	s_cbranch_execnz .LBB442_227
.LBB442_168:
	s_or_b32 exec_lo, exec_lo, s9
	s_and_saveexec_b32 s8, s7
	s_cbranch_execnz .LBB442_228
.LBB442_169:
	s_or_b32 exec_lo, exec_lo, s8
	s_and_saveexec_b32 s7, s6
	s_cbranch_execnz .LBB442_229
.LBB442_170:
	s_or_b32 exec_lo, exec_lo, s7
	s_and_saveexec_b32 s6, s5
	s_cbranch_execnz .LBB442_230
.LBB442_171:
	s_or_b32 exec_lo, exec_lo, s6
	s_and_saveexec_b32 s5, s4
	s_cbranch_execnz .LBB442_231
.LBB442_172:
	s_or_b32 exec_lo, exec_lo, s5
	s_and_saveexec_b32 s4, s3
	s_cbranch_execnz .LBB442_232
.LBB442_173:
	s_or_b32 exec_lo, exec_lo, s4
	s_and_saveexec_b32 s3, s2
	s_cbranch_execnz .LBB442_233
.LBB442_174:
	s_or_b32 exec_lo, exec_lo, s3
	s_and_saveexec_b32 s2, s1
.LBB442_175:
	v_sub_nc_u32_e32 v1, v28, v16
	s_delay_alu instid0(VALU_DEP_1)
	v_lshlrev_b32_e32 v1, 2, v1
	ds_store_b32 v1, v22
.LBB442_176:
	s_or_b32 exec_lo, exec_lo, s2
	s_delay_alu instid0(SALU_CYCLE_1)
	s_and_b32 s16, s0, exec_lo
                                        ; implicit-def: $vgpr4
                                        ; implicit-def: $vgpr8
                                        ; implicit-def: $vgpr12
	s_and_not1_saveexec_b32 s0, s15
	s_cbranch_execz .LBB442_107
.LBB442_177:
	v_dual_sub_nc_u32 v1, v44, v16 :: v_dual_sub_nc_u32 v19, v46, v16
	v_sub_nc_u32_e32 v15, v48, v16
	s_or_b32 s16, s16, exec_lo
	s_delay_alu instid0(VALU_DEP_2) | instskip(NEXT) | instid1(VALU_DEP_3)
	v_dual_sub_nc_u32 v68, v42, v16 :: v_dual_lshlrev_b32 v1, 2, v1
	v_dual_lshlrev_b32 v19, 2, v19 :: v_dual_sub_nc_u32 v69, v38, v16
	s_delay_alu instid0(VALU_DEP_3)
	v_lshlrev_b32_e32 v15, 2, v15
	ds_store_b32 v1, v10
	ds_store_b32 v15, v11
	;; [unrolled: 1-line block ×3, first 2 shown]
	v_dual_sub_nc_u32 v1, v32, v16 :: v_dual_sub_nc_u32 v10, v34, v16
	v_dual_lshlrev_b32 v11, 2, v68 :: v_dual_lshlrev_b32 v15, 2, v69
	s_delay_alu instid0(VALU_DEP_2) | instskip(NEXT) | instid1(VALU_DEP_3)
	v_dual_sub_nc_u32 v12, v40, v16 :: v_dual_lshlrev_b32 v1, 2, v1
	v_lshlrev_b32_e32 v10, 2, v10
	ds_store_b32 v11, v13
	v_lshlrev_b32_e32 v11, 2, v12
	ds_store_b32 v15, v6
	ds_store_b32 v1, v7
	;; [unrolled: 1-line block ×3, first 2 shown]
	v_dual_sub_nc_u32 v1, v24, v16 :: v_dual_sub_nc_u32 v6, v26, v16
	v_dual_sub_nc_u32 v7, v30, v16 :: v_dual_sub_nc_u32 v8, v36, v16
	ds_store_b32 v11, v9
	v_dual_lshlrev_b32 v1, 2, v1 :: v_dual_sub_nc_u32 v9, v28, v16
	v_dual_lshlrev_b32 v6, 2, v6 :: v_dual_lshlrev_b32 v7, 2, v7
	v_lshlrev_b32_e32 v8, 2, v8
	ds_store_b32 v1, v2
	v_lshlrev_b32_e32 v1, 2, v9
	ds_store_b32 v6, v3
	ds_store_b32 v7, v4
	;; [unrolled: 1-line block ×4, first 2 shown]
	s_or_b32 exec_lo, exec_lo, s0
	s_delay_alu instid0(SALU_CYCLE_1)
	s_and_b32 exec_lo, exec_lo, s16
	s_cbranch_execnz .LBB442_108
	s_branch .LBB442_109
.LBB442_178:
	s_and_saveexec_b32 s16, s13
	s_cbranch_execnz .LBB442_234
; %bb.179:
	s_or_b32 exec_lo, exec_lo, s16
	s_and_saveexec_b32 s16, s12
	s_cbranch_execnz .LBB442_235
.LBB442_180:
	s_or_b32 exec_lo, exec_lo, s16
	s_and_saveexec_b32 s16, s11
	s_cbranch_execnz .LBB442_236
.LBB442_181:
	s_or_b32 exec_lo, exec_lo, s16
	s_and_saveexec_b32 s16, s10
	s_cbranch_execnz .LBB442_237
.LBB442_182:
	s_or_b32 exec_lo, exec_lo, s16
	s_and_saveexec_b32 s16, s9
	s_cbranch_execnz .LBB442_238
.LBB442_183:
	s_or_b32 exec_lo, exec_lo, s16
	s_and_saveexec_b32 s16, s8
	s_cbranch_execnz .LBB442_239
.LBB442_184:
	s_or_b32 exec_lo, exec_lo, s16
	s_and_saveexec_b32 s16, s7
	s_cbranch_execnz .LBB442_240
.LBB442_185:
	s_or_b32 exec_lo, exec_lo, s16
	s_and_saveexec_b32 s16, s6
	s_cbranch_execnz .LBB442_241
.LBB442_186:
	s_or_b32 exec_lo, exec_lo, s16
	s_and_saveexec_b32 s16, s5
	s_cbranch_execnz .LBB442_242
.LBB442_187:
	s_or_b32 exec_lo, exec_lo, s16
	s_and_saveexec_b32 s16, s4
	s_cbranch_execnz .LBB442_243
.LBB442_188:
	s_or_b32 exec_lo, exec_lo, s16
	s_and_saveexec_b32 s16, s3
	s_cbranch_execnz .LBB442_244
.LBB442_189:
	s_or_b32 exec_lo, exec_lo, s16
	s_and_saveexec_b32 s16, s2
	s_cbranch_execnz .LBB442_245
.LBB442_190:
	s_or_b32 exec_lo, exec_lo, s16
	s_and_saveexec_b32 s16, s1
	s_cbranch_execz .LBB442_192
.LBB442_191:
	v_dual_mov_b32 v9, 0 :: v_dual_sub_nc_u32 v10, v28, v6
	v_mov_b32_e32 v8, v29
	v_readfirstlane_b32 s18, v4
	v_readfirstlane_b32 s19, v5
	global_store_b64 v10, v[8:9], s[18:19] scale_offset
.LBB442_192:
	s_wait_xcnt 0x0
	s_or_b32 exec_lo, exec_lo, s16
	s_delay_alu instid0(SALU_CYCLE_1)
	s_and_b32 s16, s0, exec_lo
	s_and_not1_saveexec_b32 s14, s14
	s_cbranch_execz .LBB442_132
.LBB442_193:
	v_dual_mov_b32 v9, 0 :: v_dual_mov_b32 v8, v45
	v_sub_nc_u32_e32 v10, v44, v6
	v_readfirstlane_b32 s18, v4
	v_readfirstlane_b32 s19, v5
	v_sub_nc_u32_e32 v11, v46, v6
	s_or_b32 s16, s16, exec_lo
	global_store_b64 v10, v[8:9], s[18:19] scale_offset
	s_wait_xcnt 0x0
	v_dual_sub_nc_u32 v10, v48, v6 :: v_dual_mov_b32 v8, v49
	global_store_b64 v10, v[8:9], s[18:19] scale_offset
	s_wait_xcnt 0x0
	v_dual_mov_b32 v8, v47 :: v_dual_sub_nc_u32 v10, v42, v6
	global_store_b64 v11, v[8:9], s[18:19] scale_offset
	s_wait_xcnt 0x0
	v_dual_mov_b32 v8, v43 :: v_dual_sub_nc_u32 v11, v38, v6
	;; [unrolled: 3-line block ×9, first 2 shown]
	global_store_b64 v11, v[8:9], s[18:19] scale_offset
	s_wait_xcnt 0x0
	v_mov_b32_e32 v8, v37
	global_store_b64 v10, v[8:9], s[18:19] scale_offset
	s_wait_xcnt 0x0
	v_dual_mov_b32 v8, v29 :: v_dual_sub_nc_u32 v10, v28, v6
	global_store_b64 v10, v[8:9], s[18:19] scale_offset
	s_wait_xcnt 0x0
	s_or_b32 exec_lo, exec_lo, s14
	s_delay_alu instid0(SALU_CYCLE_1)
	s_and_b32 exec_lo, exec_lo, s16
	s_cbranch_execnz .LBB442_133
	s_branch .LBB442_134
.LBB442_194:
	s_and_saveexec_b32 s16, s13
	s_cbranch_execnz .LBB442_246
; %bb.195:
	s_or_b32 exec_lo, exec_lo, s16
	s_and_saveexec_b32 s13, s12
	s_cbranch_execnz .LBB442_247
.LBB442_196:
	s_or_b32 exec_lo, exec_lo, s13
	s_and_saveexec_b32 s12, s11
	s_cbranch_execnz .LBB442_248
.LBB442_197:
	s_or_b32 exec_lo, exec_lo, s12
	s_and_saveexec_b32 s11, s10
	s_cbranch_execnz .LBB442_249
.LBB442_198:
	s_or_b32 exec_lo, exec_lo, s11
	s_and_saveexec_b32 s10, s9
	s_cbranch_execnz .LBB442_250
.LBB442_199:
	s_or_b32 exec_lo, exec_lo, s10
	s_and_saveexec_b32 s9, s8
	s_cbranch_execnz .LBB442_251
.LBB442_200:
	s_or_b32 exec_lo, exec_lo, s9
	s_and_saveexec_b32 s8, s7
	s_cbranch_execnz .LBB442_252
.LBB442_201:
	s_or_b32 exec_lo, exec_lo, s8
	s_and_saveexec_b32 s7, s6
	s_cbranch_execnz .LBB442_253
.LBB442_202:
	s_or_b32 exec_lo, exec_lo, s7
	s_and_saveexec_b32 s6, s5
	s_cbranch_execnz .LBB442_254
.LBB442_203:
	s_or_b32 exec_lo, exec_lo, s6
	s_and_saveexec_b32 s5, s4
	s_cbranch_execnz .LBB442_255
.LBB442_204:
	s_or_b32 exec_lo, exec_lo, s5
	s_and_saveexec_b32 s4, s3
	s_cbranch_execnz .LBB442_256
.LBB442_205:
	s_or_b32 exec_lo, exec_lo, s4
	s_and_saveexec_b32 s3, s2
	s_cbranch_execnz .LBB442_257
.LBB442_206:
	s_or_b32 exec_lo, exec_lo, s3
	s_and_saveexec_b32 s2, s1
.LBB442_207:
	v_sub_nc_u32_e32 v7, v28, v6
	s_delay_alu instid0(VALU_DEP_1)
	v_lshlrev_b32_e32 v7, 2, v7
	ds_store_b32 v7, v29
.LBB442_208:
	s_or_b32 exec_lo, exec_lo, s2
	s_delay_alu instid0(SALU_CYCLE_1)
	s_and_b32 s16, s0, exec_lo
                                        ; implicit-def: $vgpr28_vgpr29
                                        ; implicit-def: $vgpr36_vgpr37
                                        ; implicit-def: $vgpr30_vgpr31
                                        ; implicit-def: $vgpr44_vgpr45
                                        ; implicit-def: $vgpr48_vgpr49
                                        ; implicit-def: $vgpr46_vgpr47
                                        ; implicit-def: $vgpr42_vgpr43
                                        ; implicit-def: $vgpr38_vgpr39
                                        ; implicit-def: $vgpr32_vgpr33
                                        ; implicit-def: $vgpr34_vgpr35
                                        ; implicit-def: $vgpr40_vgpr41
                                        ; implicit-def: $vgpr24_vgpr25
                                        ; implicit-def: $vgpr26_vgpr27
	s_and_not1_saveexec_b32 s0, s15
	s_cbranch_execz .LBB442_138
.LBB442_209:
	v_dual_sub_nc_u32 v7, v44, v6 :: v_dual_sub_nc_u32 v9, v46, v6
	v_dual_sub_nc_u32 v8, v48, v6 :: v_dual_sub_nc_u32 v10, v42, v6
	s_delay_alu instid0(VALU_DEP_2) | instskip(NEXT) | instid1(VALU_DEP_2)
	v_dual_sub_nc_u32 v11, v38, v6 :: v_dual_lshlrev_b32 v7, 2, v7
	v_dual_lshlrev_b32 v9, 2, v9 :: v_dual_lshlrev_b32 v8, 2, v8
	s_or_b32 s16, s16, exec_lo
	ds_store_b32 v7, v45
	ds_store_b32 v8, v49
	;; [unrolled: 1-line block ×3, first 2 shown]
	v_sub_nc_u32_e32 v7, v32, v6
	v_lshlrev_b32_e32 v9, 2, v10
	v_dual_sub_nc_u32 v10, v40, v6 :: v_dual_sub_nc_u32 v8, v34, v6
	v_lshlrev_b32_e32 v11, 2, v11
	s_delay_alu instid0(VALU_DEP_4)
	v_lshlrev_b32_e32 v7, 2, v7
	ds_store_b32 v9, v43
	v_dual_lshlrev_b32 v9, 2, v10 :: v_dual_lshlrev_b32 v8, 2, v8
	ds_store_b32 v11, v39
	ds_store_b32 v7, v33
	;; [unrolled: 1-line block ×3, first 2 shown]
	v_dual_sub_nc_u32 v7, v24, v6 :: v_dual_sub_nc_u32 v8, v26, v6
	ds_store_b32 v9, v41
	v_dual_sub_nc_u32 v9, v30, v6 :: v_dual_sub_nc_u32 v10, v36, v6
	v_dual_lshlrev_b32 v7, 2, v7 :: v_dual_sub_nc_u32 v11, v28, v6
	s_delay_alu instid0(VALU_DEP_2) | instskip(NEXT) | instid1(VALU_DEP_3)
	v_dual_lshlrev_b32 v8, 2, v8 :: v_dual_lshlrev_b32 v9, 2, v9
	v_lshlrev_b32_e32 v10, 2, v10
	ds_store_b32 v7, v25
	v_lshlrev_b32_e32 v7, 2, v11
	ds_store_b32 v8, v27
	ds_store_b32 v9, v31
	;; [unrolled: 1-line block ×4, first 2 shown]
	s_or_b32 exec_lo, exec_lo, s0
	s_delay_alu instid0(SALU_CYCLE_1)
	s_and_b32 exec_lo, exec_lo, s16
	s_cbranch_execnz .LBB442_139
	s_branch .LBB442_140
.LBB442_210:
	v_sub_nc_u32_e32 v15, v44, v16
	v_readfirstlane_b32 s22, v52
	v_readfirstlane_b32 s23, v53
	global_store_b32 v15, v10, s[22:23] scale_offset
	s_wait_xcnt 0x0
	s_or_b32 exec_lo, exec_lo, s16
	s_and_saveexec_b32 s16, s12
	s_cbranch_execz .LBB442_148
.LBB442_211:
	v_sub_nc_u32_e32 v15, v48, v16
	v_readfirstlane_b32 s22, v52
	v_readfirstlane_b32 s23, v53
	global_store_b32 v15, v11, s[22:23] scale_offset
	s_wait_xcnt 0x0
	s_or_b32 exec_lo, exec_lo, s16
	s_and_saveexec_b32 s16, s11
	s_cbranch_execz .LBB442_149
.LBB442_212:
	v_sub_nc_u32_e32 v15, v46, v16
	v_readfirstlane_b32 s22, v52
	v_readfirstlane_b32 s23, v53
	global_store_b32 v15, v12, s[22:23] scale_offset
	s_wait_xcnt 0x0
	s_or_b32 exec_lo, exec_lo, s16
	s_and_saveexec_b32 s16, s10
	s_cbranch_execz .LBB442_150
.LBB442_213:
	v_sub_nc_u32_e32 v15, v42, v16
	v_readfirstlane_b32 s22, v52
	v_readfirstlane_b32 s23, v53
	global_store_b32 v15, v13, s[22:23] scale_offset
	s_wait_xcnt 0x0
	s_or_b32 exec_lo, exec_lo, s16
	s_and_saveexec_b32 s16, s9
	s_cbranch_execz .LBB442_151
.LBB442_214:
	v_sub_nc_u32_e32 v15, v38, v16
	v_readfirstlane_b32 s22, v52
	v_readfirstlane_b32 s23, v53
	global_store_b32 v15, v6, s[22:23] scale_offset
	s_wait_xcnt 0x0
	s_or_b32 exec_lo, exec_lo, s16
	s_and_saveexec_b32 s16, s8
	s_cbranch_execz .LBB442_152
.LBB442_215:
	v_sub_nc_u32_e32 v15, v32, v16
	v_readfirstlane_b32 s22, v52
	v_readfirstlane_b32 s23, v53
	global_store_b32 v15, v7, s[22:23] scale_offset
	s_wait_xcnt 0x0
	s_or_b32 exec_lo, exec_lo, s16
	s_and_saveexec_b32 s16, s7
	s_cbranch_execz .LBB442_153
.LBB442_216:
	v_sub_nc_u32_e32 v15, v34, v16
	v_readfirstlane_b32 s22, v52
	v_readfirstlane_b32 s23, v53
	global_store_b32 v15, v8, s[22:23] scale_offset
	s_wait_xcnt 0x0
	s_or_b32 exec_lo, exec_lo, s16
	s_and_saveexec_b32 s16, s6
	s_cbranch_execz .LBB442_154
.LBB442_217:
	v_sub_nc_u32_e32 v15, v40, v16
	v_readfirstlane_b32 s22, v52
	v_readfirstlane_b32 s23, v53
	global_store_b32 v15, v9, s[22:23] scale_offset
	s_wait_xcnt 0x0
	s_or_b32 exec_lo, exec_lo, s16
	s_and_saveexec_b32 s16, s5
	s_cbranch_execz .LBB442_155
.LBB442_218:
	v_sub_nc_u32_e32 v15, v24, v16
	v_readfirstlane_b32 s22, v52
	v_readfirstlane_b32 s23, v53
	global_store_b32 v15, v2, s[22:23] scale_offset
	s_wait_xcnt 0x0
	s_or_b32 exec_lo, exec_lo, s16
	s_and_saveexec_b32 s16, s4
	s_cbranch_execz .LBB442_156
.LBB442_219:
	v_sub_nc_u32_e32 v15, v26, v16
	v_readfirstlane_b32 s22, v52
	v_readfirstlane_b32 s23, v53
	global_store_b32 v15, v3, s[22:23] scale_offset
	s_wait_xcnt 0x0
	s_or_b32 exec_lo, exec_lo, s16
	s_and_saveexec_b32 s16, s3
	s_cbranch_execz .LBB442_157
.LBB442_220:
	v_sub_nc_u32_e32 v15, v30, v16
	v_readfirstlane_b32 s22, v52
	v_readfirstlane_b32 s23, v53
	global_store_b32 v15, v4, s[22:23] scale_offset
	s_wait_xcnt 0x0
	s_or_b32 exec_lo, exec_lo, s16
	s_and_saveexec_b32 s16, s2
	s_cbranch_execz .LBB442_158
.LBB442_221:
	v_sub_nc_u32_e32 v15, v36, v16
	v_readfirstlane_b32 s22, v52
	v_readfirstlane_b32 s23, v53
	global_store_b32 v15, v5, s[22:23] scale_offset
	s_wait_xcnt 0x0
	s_or_b32 exec_lo, exec_lo, s16
	s_and_saveexec_b32 s16, s1
	s_cbranch_execnz .LBB442_159
	s_branch .LBB442_160
.LBB442_222:
	v_sub_nc_u32_e32 v1, v44, v16
	s_delay_alu instid0(VALU_DEP_1)
	v_lshlrev_b32_e32 v1, 2, v1
	ds_store_b32 v1, v10
	s_or_b32 exec_lo, exec_lo, s16
	s_and_saveexec_b32 s13, s12
	s_cbranch_execz .LBB442_164
.LBB442_223:
	v_sub_nc_u32_e32 v1, v48, v16
	s_delay_alu instid0(VALU_DEP_1)
	v_lshlrev_b32_e32 v1, 2, v1
	ds_store_b32 v1, v11
	s_or_b32 exec_lo, exec_lo, s13
	s_and_saveexec_b32 s12, s11
	s_cbranch_execz .LBB442_165
.LBB442_224:
	v_sub_nc_u32_e32 v1, v46, v16
	s_delay_alu instid0(VALU_DEP_1)
	v_lshlrev_b32_e32 v1, 2, v1
	ds_store_b32 v1, v12
	s_or_b32 exec_lo, exec_lo, s12
	s_and_saveexec_b32 s11, s10
	s_cbranch_execz .LBB442_166
.LBB442_225:
	v_sub_nc_u32_e32 v1, v42, v16
	s_delay_alu instid0(VALU_DEP_1)
	v_lshlrev_b32_e32 v1, 2, v1
	ds_store_b32 v1, v13
	s_or_b32 exec_lo, exec_lo, s11
	s_and_saveexec_b32 s10, s9
	s_cbranch_execz .LBB442_167
.LBB442_226:
	v_sub_nc_u32_e32 v1, v38, v16
	s_delay_alu instid0(VALU_DEP_1)
	v_lshlrev_b32_e32 v1, 2, v1
	ds_store_b32 v1, v6
	s_or_b32 exec_lo, exec_lo, s10
	s_and_saveexec_b32 s9, s8
	s_cbranch_execz .LBB442_168
.LBB442_227:
	v_sub_nc_u32_e32 v1, v32, v16
	s_delay_alu instid0(VALU_DEP_1)
	v_lshlrev_b32_e32 v1, 2, v1
	ds_store_b32 v1, v7
	s_or_b32 exec_lo, exec_lo, s9
	s_and_saveexec_b32 s8, s7
	s_cbranch_execz .LBB442_169
.LBB442_228:
	v_sub_nc_u32_e32 v1, v34, v16
	s_delay_alu instid0(VALU_DEP_1)
	v_lshlrev_b32_e32 v1, 2, v1
	ds_store_b32 v1, v8
	s_or_b32 exec_lo, exec_lo, s8
	s_and_saveexec_b32 s7, s6
	s_cbranch_execz .LBB442_170
.LBB442_229:
	v_sub_nc_u32_e32 v1, v40, v16
	s_delay_alu instid0(VALU_DEP_1)
	v_lshlrev_b32_e32 v1, 2, v1
	ds_store_b32 v1, v9
	s_or_b32 exec_lo, exec_lo, s7
	s_and_saveexec_b32 s6, s5
	s_cbranch_execz .LBB442_171
.LBB442_230:
	v_sub_nc_u32_e32 v1, v24, v16
	s_delay_alu instid0(VALU_DEP_1)
	v_lshlrev_b32_e32 v1, 2, v1
	ds_store_b32 v1, v2
	s_or_b32 exec_lo, exec_lo, s6
	s_and_saveexec_b32 s5, s4
	s_cbranch_execz .LBB442_172
.LBB442_231:
	v_sub_nc_u32_e32 v1, v26, v16
	s_delay_alu instid0(VALU_DEP_1)
	v_lshlrev_b32_e32 v1, 2, v1
	ds_store_b32 v1, v3
	s_or_b32 exec_lo, exec_lo, s5
	s_and_saveexec_b32 s4, s3
	s_cbranch_execz .LBB442_173
.LBB442_232:
	v_sub_nc_u32_e32 v1, v30, v16
	s_delay_alu instid0(VALU_DEP_1)
	v_lshlrev_b32_e32 v1, 2, v1
	ds_store_b32 v1, v4
	s_or_b32 exec_lo, exec_lo, s4
	s_and_saveexec_b32 s3, s2
	s_cbranch_execz .LBB442_174
.LBB442_233:
	v_sub_nc_u32_e32 v1, v36, v16
	s_delay_alu instid0(VALU_DEP_1)
	v_lshlrev_b32_e32 v1, 2, v1
	ds_store_b32 v1, v5
	s_or_b32 exec_lo, exec_lo, s3
	s_and_saveexec_b32 s2, s1
	s_cbranch_execnz .LBB442_175
	s_branch .LBB442_176
.LBB442_234:
	v_dual_mov_b32 v9, 0 :: v_dual_sub_nc_u32 v10, v44, v6
	v_mov_b32_e32 v8, v45
	v_readfirstlane_b32 s18, v4
	v_readfirstlane_b32 s19, v5
	global_store_b64 v10, v[8:9], s[18:19] scale_offset
	s_wait_xcnt 0x0
	s_or_b32 exec_lo, exec_lo, s16
	s_and_saveexec_b32 s16, s12
	s_cbranch_execz .LBB442_180
.LBB442_235:
	v_dual_mov_b32 v9, 0 :: v_dual_sub_nc_u32 v10, v48, v6
	v_mov_b32_e32 v8, v49
	v_readfirstlane_b32 s18, v4
	v_readfirstlane_b32 s19, v5
	global_store_b64 v10, v[8:9], s[18:19] scale_offset
	s_wait_xcnt 0x0
	s_or_b32 exec_lo, exec_lo, s16
	s_and_saveexec_b32 s16, s11
	s_cbranch_execz .LBB442_181
.LBB442_236:
	v_dual_mov_b32 v9, 0 :: v_dual_sub_nc_u32 v10, v46, v6
	v_mov_b32_e32 v8, v47
	v_readfirstlane_b32 s18, v4
	v_readfirstlane_b32 s19, v5
	global_store_b64 v10, v[8:9], s[18:19] scale_offset
	s_wait_xcnt 0x0
	s_or_b32 exec_lo, exec_lo, s16
	s_and_saveexec_b32 s16, s10
	s_cbranch_execz .LBB442_182
.LBB442_237:
	v_dual_mov_b32 v9, 0 :: v_dual_sub_nc_u32 v10, v42, v6
	v_mov_b32_e32 v8, v43
	v_readfirstlane_b32 s18, v4
	v_readfirstlane_b32 s19, v5
	global_store_b64 v10, v[8:9], s[18:19] scale_offset
	s_wait_xcnt 0x0
	s_or_b32 exec_lo, exec_lo, s16
	s_and_saveexec_b32 s16, s9
	s_cbranch_execz .LBB442_183
.LBB442_238:
	v_dual_mov_b32 v9, 0 :: v_dual_sub_nc_u32 v10, v38, v6
	v_mov_b32_e32 v8, v39
	v_readfirstlane_b32 s18, v4
	v_readfirstlane_b32 s19, v5
	global_store_b64 v10, v[8:9], s[18:19] scale_offset
	s_wait_xcnt 0x0
	s_or_b32 exec_lo, exec_lo, s16
	s_and_saveexec_b32 s16, s8
	s_cbranch_execz .LBB442_184
.LBB442_239:
	v_dual_mov_b32 v9, 0 :: v_dual_sub_nc_u32 v10, v32, v6
	v_mov_b32_e32 v8, v33
	v_readfirstlane_b32 s18, v4
	v_readfirstlane_b32 s19, v5
	global_store_b64 v10, v[8:9], s[18:19] scale_offset
	s_wait_xcnt 0x0
	s_or_b32 exec_lo, exec_lo, s16
	s_and_saveexec_b32 s16, s7
	s_cbranch_execz .LBB442_185
.LBB442_240:
	v_dual_mov_b32 v9, 0 :: v_dual_sub_nc_u32 v10, v34, v6
	v_mov_b32_e32 v8, v35
	v_readfirstlane_b32 s18, v4
	v_readfirstlane_b32 s19, v5
	global_store_b64 v10, v[8:9], s[18:19] scale_offset
	s_wait_xcnt 0x0
	s_or_b32 exec_lo, exec_lo, s16
	s_and_saveexec_b32 s16, s6
	s_cbranch_execz .LBB442_186
.LBB442_241:
	v_dual_mov_b32 v9, 0 :: v_dual_sub_nc_u32 v10, v40, v6
	v_mov_b32_e32 v8, v41
	v_readfirstlane_b32 s18, v4
	v_readfirstlane_b32 s19, v5
	global_store_b64 v10, v[8:9], s[18:19] scale_offset
	s_wait_xcnt 0x0
	s_or_b32 exec_lo, exec_lo, s16
	s_and_saveexec_b32 s16, s5
	s_cbranch_execz .LBB442_187
.LBB442_242:
	v_dual_mov_b32 v9, 0 :: v_dual_sub_nc_u32 v10, v24, v6
	v_mov_b32_e32 v8, v25
	v_readfirstlane_b32 s18, v4
	v_readfirstlane_b32 s19, v5
	global_store_b64 v10, v[8:9], s[18:19] scale_offset
	s_wait_xcnt 0x0
	s_or_b32 exec_lo, exec_lo, s16
	s_and_saveexec_b32 s16, s4
	s_cbranch_execz .LBB442_188
.LBB442_243:
	v_dual_mov_b32 v9, 0 :: v_dual_sub_nc_u32 v10, v26, v6
	v_mov_b32_e32 v8, v27
	v_readfirstlane_b32 s18, v4
	v_readfirstlane_b32 s19, v5
	global_store_b64 v10, v[8:9], s[18:19] scale_offset
	s_wait_xcnt 0x0
	s_or_b32 exec_lo, exec_lo, s16
	s_and_saveexec_b32 s16, s3
	s_cbranch_execz .LBB442_189
.LBB442_244:
	v_dual_mov_b32 v9, 0 :: v_dual_sub_nc_u32 v10, v30, v6
	v_mov_b32_e32 v8, v31
	v_readfirstlane_b32 s18, v4
	v_readfirstlane_b32 s19, v5
	global_store_b64 v10, v[8:9], s[18:19] scale_offset
	s_wait_xcnt 0x0
	s_or_b32 exec_lo, exec_lo, s16
	s_and_saveexec_b32 s16, s2
	s_cbranch_execz .LBB442_190
.LBB442_245:
	v_dual_mov_b32 v9, 0 :: v_dual_sub_nc_u32 v10, v36, v6
	v_mov_b32_e32 v8, v37
	v_readfirstlane_b32 s18, v4
	v_readfirstlane_b32 s19, v5
	global_store_b64 v10, v[8:9], s[18:19] scale_offset
	s_wait_xcnt 0x0
	s_or_b32 exec_lo, exec_lo, s16
	s_and_saveexec_b32 s16, s1
	s_cbranch_execnz .LBB442_191
	s_branch .LBB442_192
.LBB442_246:
	v_sub_nc_u32_e32 v7, v44, v6
	s_delay_alu instid0(VALU_DEP_1)
	v_lshlrev_b32_e32 v7, 2, v7
	ds_store_b32 v7, v45
	s_or_b32 exec_lo, exec_lo, s16
	s_and_saveexec_b32 s13, s12
	s_cbranch_execz .LBB442_196
.LBB442_247:
	v_sub_nc_u32_e32 v7, v48, v6
	s_delay_alu instid0(VALU_DEP_1)
	v_lshlrev_b32_e32 v7, 2, v7
	ds_store_b32 v7, v49
	s_or_b32 exec_lo, exec_lo, s13
	s_and_saveexec_b32 s12, s11
	s_cbranch_execz .LBB442_197
.LBB442_248:
	v_sub_nc_u32_e32 v7, v46, v6
	s_delay_alu instid0(VALU_DEP_1)
	v_lshlrev_b32_e32 v7, 2, v7
	ds_store_b32 v7, v47
	s_or_b32 exec_lo, exec_lo, s12
	s_and_saveexec_b32 s11, s10
	s_cbranch_execz .LBB442_198
.LBB442_249:
	v_sub_nc_u32_e32 v7, v42, v6
	s_delay_alu instid0(VALU_DEP_1)
	v_lshlrev_b32_e32 v7, 2, v7
	ds_store_b32 v7, v43
	s_or_b32 exec_lo, exec_lo, s11
	s_and_saveexec_b32 s10, s9
	s_cbranch_execz .LBB442_199
.LBB442_250:
	v_sub_nc_u32_e32 v7, v38, v6
	s_delay_alu instid0(VALU_DEP_1)
	v_lshlrev_b32_e32 v7, 2, v7
	ds_store_b32 v7, v39
	s_or_b32 exec_lo, exec_lo, s10
	s_and_saveexec_b32 s9, s8
	s_cbranch_execz .LBB442_200
.LBB442_251:
	v_sub_nc_u32_e32 v7, v32, v6
	s_delay_alu instid0(VALU_DEP_1)
	v_lshlrev_b32_e32 v7, 2, v7
	ds_store_b32 v7, v33
	s_or_b32 exec_lo, exec_lo, s9
	s_and_saveexec_b32 s8, s7
	s_cbranch_execz .LBB442_201
.LBB442_252:
	v_sub_nc_u32_e32 v7, v34, v6
	s_delay_alu instid0(VALU_DEP_1)
	v_lshlrev_b32_e32 v7, 2, v7
	ds_store_b32 v7, v35
	s_or_b32 exec_lo, exec_lo, s8
	s_and_saveexec_b32 s7, s6
	s_cbranch_execz .LBB442_202
.LBB442_253:
	v_sub_nc_u32_e32 v7, v40, v6
	s_delay_alu instid0(VALU_DEP_1)
	v_lshlrev_b32_e32 v7, 2, v7
	ds_store_b32 v7, v41
	s_or_b32 exec_lo, exec_lo, s7
	s_and_saveexec_b32 s6, s5
	s_cbranch_execz .LBB442_203
.LBB442_254:
	v_sub_nc_u32_e32 v7, v24, v6
	s_delay_alu instid0(VALU_DEP_1)
	v_lshlrev_b32_e32 v7, 2, v7
	ds_store_b32 v7, v25
	s_or_b32 exec_lo, exec_lo, s6
	s_and_saveexec_b32 s5, s4
	s_cbranch_execz .LBB442_204
.LBB442_255:
	v_sub_nc_u32_e32 v7, v26, v6
	s_delay_alu instid0(VALU_DEP_1)
	v_lshlrev_b32_e32 v7, 2, v7
	ds_store_b32 v7, v27
	s_or_b32 exec_lo, exec_lo, s5
	s_and_saveexec_b32 s4, s3
	s_cbranch_execz .LBB442_205
.LBB442_256:
	v_sub_nc_u32_e32 v7, v30, v6
	s_delay_alu instid0(VALU_DEP_1)
	v_lshlrev_b32_e32 v7, 2, v7
	ds_store_b32 v7, v31
	s_or_b32 exec_lo, exec_lo, s4
	s_and_saveexec_b32 s3, s2
	s_cbranch_execz .LBB442_206
.LBB442_257:
	v_sub_nc_u32_e32 v7, v36, v6
	s_delay_alu instid0(VALU_DEP_1)
	v_lshlrev_b32_e32 v7, 2, v7
	ds_store_b32 v7, v37
	s_or_b32 exec_lo, exec_lo, s3
	s_and_saveexec_b32 s2, s1
	s_cbranch_execnz .LBB442_207
	s_branch .LBB442_208
	.section	.rodata,"a",@progbits
	.p2align	6, 0x0
	.amdhsa_kernel _ZN7rocprim17ROCPRIM_400000_NS6detail17trampoline_kernelINS0_14default_configENS1_33run_length_encode_config_selectorIijNS0_4plusIjEEEEZZNS1_33reduce_by_key_impl_wrapped_configILNS1_25lookback_scan_determinismE0ES3_S7_PKiNS0_17constant_iteratorIjlEEPiPlSF_S6_NS0_8equal_toIiEEEE10hipError_tPvRmT2_T3_mT4_T5_T6_T7_T8_P12ihipStream_tbENKUlT_T0_E_clISt17integral_constantIbLb0EESZ_EEDaSU_SV_EUlSU_E_NS1_11comp_targetILNS1_3genE0ELNS1_11target_archE4294967295ELNS1_3gpuE0ELNS1_3repE0EEENS1_30default_config_static_selectorELNS0_4arch9wavefront6targetE0EEEvT1_
		.amdhsa_group_segment_fixed_size 14336
		.amdhsa_private_segment_fixed_size 0
		.amdhsa_kernarg_size 128
		.amdhsa_user_sgpr_count 2
		.amdhsa_user_sgpr_dispatch_ptr 0
		.amdhsa_user_sgpr_queue_ptr 0
		.amdhsa_user_sgpr_kernarg_segment_ptr 1
		.amdhsa_user_sgpr_dispatch_id 0
		.amdhsa_user_sgpr_kernarg_preload_length 0
		.amdhsa_user_sgpr_kernarg_preload_offset 0
		.amdhsa_user_sgpr_private_segment_size 0
		.amdhsa_wavefront_size32 1
		.amdhsa_uses_dynamic_stack 0
		.amdhsa_enable_private_segment 0
		.amdhsa_system_sgpr_workgroup_id_x 1
		.amdhsa_system_sgpr_workgroup_id_y 0
		.amdhsa_system_sgpr_workgroup_id_z 0
		.amdhsa_system_sgpr_workgroup_info 0
		.amdhsa_system_vgpr_workitem_id 0
		.amdhsa_next_free_vgpr 102
		.amdhsa_next_free_sgpr 39
		.amdhsa_named_barrier_count 0
		.amdhsa_reserve_vcc 1
		.amdhsa_float_round_mode_32 0
		.amdhsa_float_round_mode_16_64 0
		.amdhsa_float_denorm_mode_32 3
		.amdhsa_float_denorm_mode_16_64 3
		.amdhsa_fp16_overflow 0
		.amdhsa_memory_ordered 1
		.amdhsa_forward_progress 1
		.amdhsa_inst_pref_size 117
		.amdhsa_round_robin_scheduling 0
		.amdhsa_exception_fp_ieee_invalid_op 0
		.amdhsa_exception_fp_denorm_src 0
		.amdhsa_exception_fp_ieee_div_zero 0
		.amdhsa_exception_fp_ieee_overflow 0
		.amdhsa_exception_fp_ieee_underflow 0
		.amdhsa_exception_fp_ieee_inexact 0
		.amdhsa_exception_int_div_zero 0
	.end_amdhsa_kernel
	.section	.text._ZN7rocprim17ROCPRIM_400000_NS6detail17trampoline_kernelINS0_14default_configENS1_33run_length_encode_config_selectorIijNS0_4plusIjEEEEZZNS1_33reduce_by_key_impl_wrapped_configILNS1_25lookback_scan_determinismE0ES3_S7_PKiNS0_17constant_iteratorIjlEEPiPlSF_S6_NS0_8equal_toIiEEEE10hipError_tPvRmT2_T3_mT4_T5_T6_T7_T8_P12ihipStream_tbENKUlT_T0_E_clISt17integral_constantIbLb0EESZ_EEDaSU_SV_EUlSU_E_NS1_11comp_targetILNS1_3genE0ELNS1_11target_archE4294967295ELNS1_3gpuE0ELNS1_3repE0EEENS1_30default_config_static_selectorELNS0_4arch9wavefront6targetE0EEEvT1_,"axG",@progbits,_ZN7rocprim17ROCPRIM_400000_NS6detail17trampoline_kernelINS0_14default_configENS1_33run_length_encode_config_selectorIijNS0_4plusIjEEEEZZNS1_33reduce_by_key_impl_wrapped_configILNS1_25lookback_scan_determinismE0ES3_S7_PKiNS0_17constant_iteratorIjlEEPiPlSF_S6_NS0_8equal_toIiEEEE10hipError_tPvRmT2_T3_mT4_T5_T6_T7_T8_P12ihipStream_tbENKUlT_T0_E_clISt17integral_constantIbLb0EESZ_EEDaSU_SV_EUlSU_E_NS1_11comp_targetILNS1_3genE0ELNS1_11target_archE4294967295ELNS1_3gpuE0ELNS1_3repE0EEENS1_30default_config_static_selectorELNS0_4arch9wavefront6targetE0EEEvT1_,comdat
.Lfunc_end442:
	.size	_ZN7rocprim17ROCPRIM_400000_NS6detail17trampoline_kernelINS0_14default_configENS1_33run_length_encode_config_selectorIijNS0_4plusIjEEEEZZNS1_33reduce_by_key_impl_wrapped_configILNS1_25lookback_scan_determinismE0ES3_S7_PKiNS0_17constant_iteratorIjlEEPiPlSF_S6_NS0_8equal_toIiEEEE10hipError_tPvRmT2_T3_mT4_T5_T6_T7_T8_P12ihipStream_tbENKUlT_T0_E_clISt17integral_constantIbLb0EESZ_EEDaSU_SV_EUlSU_E_NS1_11comp_targetILNS1_3genE0ELNS1_11target_archE4294967295ELNS1_3gpuE0ELNS1_3repE0EEENS1_30default_config_static_selectorELNS0_4arch9wavefront6targetE0EEEvT1_, .Lfunc_end442-_ZN7rocprim17ROCPRIM_400000_NS6detail17trampoline_kernelINS0_14default_configENS1_33run_length_encode_config_selectorIijNS0_4plusIjEEEEZZNS1_33reduce_by_key_impl_wrapped_configILNS1_25lookback_scan_determinismE0ES3_S7_PKiNS0_17constant_iteratorIjlEEPiPlSF_S6_NS0_8equal_toIiEEEE10hipError_tPvRmT2_T3_mT4_T5_T6_T7_T8_P12ihipStream_tbENKUlT_T0_E_clISt17integral_constantIbLb0EESZ_EEDaSU_SV_EUlSU_E_NS1_11comp_targetILNS1_3genE0ELNS1_11target_archE4294967295ELNS1_3gpuE0ELNS1_3repE0EEENS1_30default_config_static_selectorELNS0_4arch9wavefront6targetE0EEEvT1_
                                        ; -- End function
	.set _ZN7rocprim17ROCPRIM_400000_NS6detail17trampoline_kernelINS0_14default_configENS1_33run_length_encode_config_selectorIijNS0_4plusIjEEEEZZNS1_33reduce_by_key_impl_wrapped_configILNS1_25lookback_scan_determinismE0ES3_S7_PKiNS0_17constant_iteratorIjlEEPiPlSF_S6_NS0_8equal_toIiEEEE10hipError_tPvRmT2_T3_mT4_T5_T6_T7_T8_P12ihipStream_tbENKUlT_T0_E_clISt17integral_constantIbLb0EESZ_EEDaSU_SV_EUlSU_E_NS1_11comp_targetILNS1_3genE0ELNS1_11target_archE4294967295ELNS1_3gpuE0ELNS1_3repE0EEENS1_30default_config_static_selectorELNS0_4arch9wavefront6targetE0EEEvT1_.num_vgpr, 102
	.set _ZN7rocprim17ROCPRIM_400000_NS6detail17trampoline_kernelINS0_14default_configENS1_33run_length_encode_config_selectorIijNS0_4plusIjEEEEZZNS1_33reduce_by_key_impl_wrapped_configILNS1_25lookback_scan_determinismE0ES3_S7_PKiNS0_17constant_iteratorIjlEEPiPlSF_S6_NS0_8equal_toIiEEEE10hipError_tPvRmT2_T3_mT4_T5_T6_T7_T8_P12ihipStream_tbENKUlT_T0_E_clISt17integral_constantIbLb0EESZ_EEDaSU_SV_EUlSU_E_NS1_11comp_targetILNS1_3genE0ELNS1_11target_archE4294967295ELNS1_3gpuE0ELNS1_3repE0EEENS1_30default_config_static_selectorELNS0_4arch9wavefront6targetE0EEEvT1_.num_agpr, 0
	.set _ZN7rocprim17ROCPRIM_400000_NS6detail17trampoline_kernelINS0_14default_configENS1_33run_length_encode_config_selectorIijNS0_4plusIjEEEEZZNS1_33reduce_by_key_impl_wrapped_configILNS1_25lookback_scan_determinismE0ES3_S7_PKiNS0_17constant_iteratorIjlEEPiPlSF_S6_NS0_8equal_toIiEEEE10hipError_tPvRmT2_T3_mT4_T5_T6_T7_T8_P12ihipStream_tbENKUlT_T0_E_clISt17integral_constantIbLb0EESZ_EEDaSU_SV_EUlSU_E_NS1_11comp_targetILNS1_3genE0ELNS1_11target_archE4294967295ELNS1_3gpuE0ELNS1_3repE0EEENS1_30default_config_static_selectorELNS0_4arch9wavefront6targetE0EEEvT1_.numbered_sgpr, 39
	.set _ZN7rocprim17ROCPRIM_400000_NS6detail17trampoline_kernelINS0_14default_configENS1_33run_length_encode_config_selectorIijNS0_4plusIjEEEEZZNS1_33reduce_by_key_impl_wrapped_configILNS1_25lookback_scan_determinismE0ES3_S7_PKiNS0_17constant_iteratorIjlEEPiPlSF_S6_NS0_8equal_toIiEEEE10hipError_tPvRmT2_T3_mT4_T5_T6_T7_T8_P12ihipStream_tbENKUlT_T0_E_clISt17integral_constantIbLb0EESZ_EEDaSU_SV_EUlSU_E_NS1_11comp_targetILNS1_3genE0ELNS1_11target_archE4294967295ELNS1_3gpuE0ELNS1_3repE0EEENS1_30default_config_static_selectorELNS0_4arch9wavefront6targetE0EEEvT1_.num_named_barrier, 0
	.set _ZN7rocprim17ROCPRIM_400000_NS6detail17trampoline_kernelINS0_14default_configENS1_33run_length_encode_config_selectorIijNS0_4plusIjEEEEZZNS1_33reduce_by_key_impl_wrapped_configILNS1_25lookback_scan_determinismE0ES3_S7_PKiNS0_17constant_iteratorIjlEEPiPlSF_S6_NS0_8equal_toIiEEEE10hipError_tPvRmT2_T3_mT4_T5_T6_T7_T8_P12ihipStream_tbENKUlT_T0_E_clISt17integral_constantIbLb0EESZ_EEDaSU_SV_EUlSU_E_NS1_11comp_targetILNS1_3genE0ELNS1_11target_archE4294967295ELNS1_3gpuE0ELNS1_3repE0EEENS1_30default_config_static_selectorELNS0_4arch9wavefront6targetE0EEEvT1_.private_seg_size, 0
	.set _ZN7rocprim17ROCPRIM_400000_NS6detail17trampoline_kernelINS0_14default_configENS1_33run_length_encode_config_selectorIijNS0_4plusIjEEEEZZNS1_33reduce_by_key_impl_wrapped_configILNS1_25lookback_scan_determinismE0ES3_S7_PKiNS0_17constant_iteratorIjlEEPiPlSF_S6_NS0_8equal_toIiEEEE10hipError_tPvRmT2_T3_mT4_T5_T6_T7_T8_P12ihipStream_tbENKUlT_T0_E_clISt17integral_constantIbLb0EESZ_EEDaSU_SV_EUlSU_E_NS1_11comp_targetILNS1_3genE0ELNS1_11target_archE4294967295ELNS1_3gpuE0ELNS1_3repE0EEENS1_30default_config_static_selectorELNS0_4arch9wavefront6targetE0EEEvT1_.uses_vcc, 1
	.set _ZN7rocprim17ROCPRIM_400000_NS6detail17trampoline_kernelINS0_14default_configENS1_33run_length_encode_config_selectorIijNS0_4plusIjEEEEZZNS1_33reduce_by_key_impl_wrapped_configILNS1_25lookback_scan_determinismE0ES3_S7_PKiNS0_17constant_iteratorIjlEEPiPlSF_S6_NS0_8equal_toIiEEEE10hipError_tPvRmT2_T3_mT4_T5_T6_T7_T8_P12ihipStream_tbENKUlT_T0_E_clISt17integral_constantIbLb0EESZ_EEDaSU_SV_EUlSU_E_NS1_11comp_targetILNS1_3genE0ELNS1_11target_archE4294967295ELNS1_3gpuE0ELNS1_3repE0EEENS1_30default_config_static_selectorELNS0_4arch9wavefront6targetE0EEEvT1_.uses_flat_scratch, 0
	.set _ZN7rocprim17ROCPRIM_400000_NS6detail17trampoline_kernelINS0_14default_configENS1_33run_length_encode_config_selectorIijNS0_4plusIjEEEEZZNS1_33reduce_by_key_impl_wrapped_configILNS1_25lookback_scan_determinismE0ES3_S7_PKiNS0_17constant_iteratorIjlEEPiPlSF_S6_NS0_8equal_toIiEEEE10hipError_tPvRmT2_T3_mT4_T5_T6_T7_T8_P12ihipStream_tbENKUlT_T0_E_clISt17integral_constantIbLb0EESZ_EEDaSU_SV_EUlSU_E_NS1_11comp_targetILNS1_3genE0ELNS1_11target_archE4294967295ELNS1_3gpuE0ELNS1_3repE0EEENS1_30default_config_static_selectorELNS0_4arch9wavefront6targetE0EEEvT1_.has_dyn_sized_stack, 0
	.set _ZN7rocprim17ROCPRIM_400000_NS6detail17trampoline_kernelINS0_14default_configENS1_33run_length_encode_config_selectorIijNS0_4plusIjEEEEZZNS1_33reduce_by_key_impl_wrapped_configILNS1_25lookback_scan_determinismE0ES3_S7_PKiNS0_17constant_iteratorIjlEEPiPlSF_S6_NS0_8equal_toIiEEEE10hipError_tPvRmT2_T3_mT4_T5_T6_T7_T8_P12ihipStream_tbENKUlT_T0_E_clISt17integral_constantIbLb0EESZ_EEDaSU_SV_EUlSU_E_NS1_11comp_targetILNS1_3genE0ELNS1_11target_archE4294967295ELNS1_3gpuE0ELNS1_3repE0EEENS1_30default_config_static_selectorELNS0_4arch9wavefront6targetE0EEEvT1_.has_recursion, 0
	.set _ZN7rocprim17ROCPRIM_400000_NS6detail17trampoline_kernelINS0_14default_configENS1_33run_length_encode_config_selectorIijNS0_4plusIjEEEEZZNS1_33reduce_by_key_impl_wrapped_configILNS1_25lookback_scan_determinismE0ES3_S7_PKiNS0_17constant_iteratorIjlEEPiPlSF_S6_NS0_8equal_toIiEEEE10hipError_tPvRmT2_T3_mT4_T5_T6_T7_T8_P12ihipStream_tbENKUlT_T0_E_clISt17integral_constantIbLb0EESZ_EEDaSU_SV_EUlSU_E_NS1_11comp_targetILNS1_3genE0ELNS1_11target_archE4294967295ELNS1_3gpuE0ELNS1_3repE0EEENS1_30default_config_static_selectorELNS0_4arch9wavefront6targetE0EEEvT1_.has_indirect_call, 0
	.section	.AMDGPU.csdata,"",@progbits
; Kernel info:
; codeLenInByte = 14976
; TotalNumSgprs: 41
; NumVgprs: 102
; ScratchSize: 0
; MemoryBound: 0
; FloatMode: 240
; IeeeMode: 1
; LDSByteSize: 14336 bytes/workgroup (compile time only)
; SGPRBlocks: 0
; VGPRBlocks: 6
; NumSGPRsForWavesPerEU: 41
; NumVGPRsForWavesPerEU: 102
; NamedBarCnt: 0
; Occupancy: 9
; WaveLimiterHint : 1
; COMPUTE_PGM_RSRC2:SCRATCH_EN: 0
; COMPUTE_PGM_RSRC2:USER_SGPR: 2
; COMPUTE_PGM_RSRC2:TRAP_HANDLER: 0
; COMPUTE_PGM_RSRC2:TGID_X_EN: 1
; COMPUTE_PGM_RSRC2:TGID_Y_EN: 0
; COMPUTE_PGM_RSRC2:TGID_Z_EN: 0
; COMPUTE_PGM_RSRC2:TIDIG_COMP_CNT: 0
	.section	.text._ZN7rocprim17ROCPRIM_400000_NS6detail17trampoline_kernelINS0_14default_configENS1_33run_length_encode_config_selectorIijNS0_4plusIjEEEEZZNS1_33reduce_by_key_impl_wrapped_configILNS1_25lookback_scan_determinismE0ES3_S7_PKiNS0_17constant_iteratorIjlEEPiPlSF_S6_NS0_8equal_toIiEEEE10hipError_tPvRmT2_T3_mT4_T5_T6_T7_T8_P12ihipStream_tbENKUlT_T0_E_clISt17integral_constantIbLb0EESZ_EEDaSU_SV_EUlSU_E_NS1_11comp_targetILNS1_3genE5ELNS1_11target_archE942ELNS1_3gpuE9ELNS1_3repE0EEENS1_30default_config_static_selectorELNS0_4arch9wavefront6targetE0EEEvT1_,"axG",@progbits,_ZN7rocprim17ROCPRIM_400000_NS6detail17trampoline_kernelINS0_14default_configENS1_33run_length_encode_config_selectorIijNS0_4plusIjEEEEZZNS1_33reduce_by_key_impl_wrapped_configILNS1_25lookback_scan_determinismE0ES3_S7_PKiNS0_17constant_iteratorIjlEEPiPlSF_S6_NS0_8equal_toIiEEEE10hipError_tPvRmT2_T3_mT4_T5_T6_T7_T8_P12ihipStream_tbENKUlT_T0_E_clISt17integral_constantIbLb0EESZ_EEDaSU_SV_EUlSU_E_NS1_11comp_targetILNS1_3genE5ELNS1_11target_archE942ELNS1_3gpuE9ELNS1_3repE0EEENS1_30default_config_static_selectorELNS0_4arch9wavefront6targetE0EEEvT1_,comdat
	.protected	_ZN7rocprim17ROCPRIM_400000_NS6detail17trampoline_kernelINS0_14default_configENS1_33run_length_encode_config_selectorIijNS0_4plusIjEEEEZZNS1_33reduce_by_key_impl_wrapped_configILNS1_25lookback_scan_determinismE0ES3_S7_PKiNS0_17constant_iteratorIjlEEPiPlSF_S6_NS0_8equal_toIiEEEE10hipError_tPvRmT2_T3_mT4_T5_T6_T7_T8_P12ihipStream_tbENKUlT_T0_E_clISt17integral_constantIbLb0EESZ_EEDaSU_SV_EUlSU_E_NS1_11comp_targetILNS1_3genE5ELNS1_11target_archE942ELNS1_3gpuE9ELNS1_3repE0EEENS1_30default_config_static_selectorELNS0_4arch9wavefront6targetE0EEEvT1_ ; -- Begin function _ZN7rocprim17ROCPRIM_400000_NS6detail17trampoline_kernelINS0_14default_configENS1_33run_length_encode_config_selectorIijNS0_4plusIjEEEEZZNS1_33reduce_by_key_impl_wrapped_configILNS1_25lookback_scan_determinismE0ES3_S7_PKiNS0_17constant_iteratorIjlEEPiPlSF_S6_NS0_8equal_toIiEEEE10hipError_tPvRmT2_T3_mT4_T5_T6_T7_T8_P12ihipStream_tbENKUlT_T0_E_clISt17integral_constantIbLb0EESZ_EEDaSU_SV_EUlSU_E_NS1_11comp_targetILNS1_3genE5ELNS1_11target_archE942ELNS1_3gpuE9ELNS1_3repE0EEENS1_30default_config_static_selectorELNS0_4arch9wavefront6targetE0EEEvT1_
	.globl	_ZN7rocprim17ROCPRIM_400000_NS6detail17trampoline_kernelINS0_14default_configENS1_33run_length_encode_config_selectorIijNS0_4plusIjEEEEZZNS1_33reduce_by_key_impl_wrapped_configILNS1_25lookback_scan_determinismE0ES3_S7_PKiNS0_17constant_iteratorIjlEEPiPlSF_S6_NS0_8equal_toIiEEEE10hipError_tPvRmT2_T3_mT4_T5_T6_T7_T8_P12ihipStream_tbENKUlT_T0_E_clISt17integral_constantIbLb0EESZ_EEDaSU_SV_EUlSU_E_NS1_11comp_targetILNS1_3genE5ELNS1_11target_archE942ELNS1_3gpuE9ELNS1_3repE0EEENS1_30default_config_static_selectorELNS0_4arch9wavefront6targetE0EEEvT1_
	.p2align	8
	.type	_ZN7rocprim17ROCPRIM_400000_NS6detail17trampoline_kernelINS0_14default_configENS1_33run_length_encode_config_selectorIijNS0_4plusIjEEEEZZNS1_33reduce_by_key_impl_wrapped_configILNS1_25lookback_scan_determinismE0ES3_S7_PKiNS0_17constant_iteratorIjlEEPiPlSF_S6_NS0_8equal_toIiEEEE10hipError_tPvRmT2_T3_mT4_T5_T6_T7_T8_P12ihipStream_tbENKUlT_T0_E_clISt17integral_constantIbLb0EESZ_EEDaSU_SV_EUlSU_E_NS1_11comp_targetILNS1_3genE5ELNS1_11target_archE942ELNS1_3gpuE9ELNS1_3repE0EEENS1_30default_config_static_selectorELNS0_4arch9wavefront6targetE0EEEvT1_,@function
_ZN7rocprim17ROCPRIM_400000_NS6detail17trampoline_kernelINS0_14default_configENS1_33run_length_encode_config_selectorIijNS0_4plusIjEEEEZZNS1_33reduce_by_key_impl_wrapped_configILNS1_25lookback_scan_determinismE0ES3_S7_PKiNS0_17constant_iteratorIjlEEPiPlSF_S6_NS0_8equal_toIiEEEE10hipError_tPvRmT2_T3_mT4_T5_T6_T7_T8_P12ihipStream_tbENKUlT_T0_E_clISt17integral_constantIbLb0EESZ_EEDaSU_SV_EUlSU_E_NS1_11comp_targetILNS1_3genE5ELNS1_11target_archE942ELNS1_3gpuE9ELNS1_3repE0EEENS1_30default_config_static_selectorELNS0_4arch9wavefront6targetE0EEEvT1_: ; @_ZN7rocprim17ROCPRIM_400000_NS6detail17trampoline_kernelINS0_14default_configENS1_33run_length_encode_config_selectorIijNS0_4plusIjEEEEZZNS1_33reduce_by_key_impl_wrapped_configILNS1_25lookback_scan_determinismE0ES3_S7_PKiNS0_17constant_iteratorIjlEEPiPlSF_S6_NS0_8equal_toIiEEEE10hipError_tPvRmT2_T3_mT4_T5_T6_T7_T8_P12ihipStream_tbENKUlT_T0_E_clISt17integral_constantIbLb0EESZ_EEDaSU_SV_EUlSU_E_NS1_11comp_targetILNS1_3genE5ELNS1_11target_archE942ELNS1_3gpuE9ELNS1_3repE0EEENS1_30default_config_static_selectorELNS0_4arch9wavefront6targetE0EEEvT1_
; %bb.0:
	.section	.rodata,"a",@progbits
	.p2align	6, 0x0
	.amdhsa_kernel _ZN7rocprim17ROCPRIM_400000_NS6detail17trampoline_kernelINS0_14default_configENS1_33run_length_encode_config_selectorIijNS0_4plusIjEEEEZZNS1_33reduce_by_key_impl_wrapped_configILNS1_25lookback_scan_determinismE0ES3_S7_PKiNS0_17constant_iteratorIjlEEPiPlSF_S6_NS0_8equal_toIiEEEE10hipError_tPvRmT2_T3_mT4_T5_T6_T7_T8_P12ihipStream_tbENKUlT_T0_E_clISt17integral_constantIbLb0EESZ_EEDaSU_SV_EUlSU_E_NS1_11comp_targetILNS1_3genE5ELNS1_11target_archE942ELNS1_3gpuE9ELNS1_3repE0EEENS1_30default_config_static_selectorELNS0_4arch9wavefront6targetE0EEEvT1_
		.amdhsa_group_segment_fixed_size 0
		.amdhsa_private_segment_fixed_size 0
		.amdhsa_kernarg_size 128
		.amdhsa_user_sgpr_count 2
		.amdhsa_user_sgpr_dispatch_ptr 0
		.amdhsa_user_sgpr_queue_ptr 0
		.amdhsa_user_sgpr_kernarg_segment_ptr 1
		.amdhsa_user_sgpr_dispatch_id 0
		.amdhsa_user_sgpr_kernarg_preload_length 0
		.amdhsa_user_sgpr_kernarg_preload_offset 0
		.amdhsa_user_sgpr_private_segment_size 0
		.amdhsa_wavefront_size32 1
		.amdhsa_uses_dynamic_stack 0
		.amdhsa_enable_private_segment 0
		.amdhsa_system_sgpr_workgroup_id_x 1
		.amdhsa_system_sgpr_workgroup_id_y 0
		.amdhsa_system_sgpr_workgroup_id_z 0
		.amdhsa_system_sgpr_workgroup_info 0
		.amdhsa_system_vgpr_workitem_id 0
		.amdhsa_next_free_vgpr 1
		.amdhsa_next_free_sgpr 1
		.amdhsa_named_barrier_count 0
		.amdhsa_reserve_vcc 0
		.amdhsa_float_round_mode_32 0
		.amdhsa_float_round_mode_16_64 0
		.amdhsa_float_denorm_mode_32 3
		.amdhsa_float_denorm_mode_16_64 3
		.amdhsa_fp16_overflow 0
		.amdhsa_memory_ordered 1
		.amdhsa_forward_progress 1
		.amdhsa_inst_pref_size 0
		.amdhsa_round_robin_scheduling 0
		.amdhsa_exception_fp_ieee_invalid_op 0
		.amdhsa_exception_fp_denorm_src 0
		.amdhsa_exception_fp_ieee_div_zero 0
		.amdhsa_exception_fp_ieee_overflow 0
		.amdhsa_exception_fp_ieee_underflow 0
		.amdhsa_exception_fp_ieee_inexact 0
		.amdhsa_exception_int_div_zero 0
	.end_amdhsa_kernel
	.section	.text._ZN7rocprim17ROCPRIM_400000_NS6detail17trampoline_kernelINS0_14default_configENS1_33run_length_encode_config_selectorIijNS0_4plusIjEEEEZZNS1_33reduce_by_key_impl_wrapped_configILNS1_25lookback_scan_determinismE0ES3_S7_PKiNS0_17constant_iteratorIjlEEPiPlSF_S6_NS0_8equal_toIiEEEE10hipError_tPvRmT2_T3_mT4_T5_T6_T7_T8_P12ihipStream_tbENKUlT_T0_E_clISt17integral_constantIbLb0EESZ_EEDaSU_SV_EUlSU_E_NS1_11comp_targetILNS1_3genE5ELNS1_11target_archE942ELNS1_3gpuE9ELNS1_3repE0EEENS1_30default_config_static_selectorELNS0_4arch9wavefront6targetE0EEEvT1_,"axG",@progbits,_ZN7rocprim17ROCPRIM_400000_NS6detail17trampoline_kernelINS0_14default_configENS1_33run_length_encode_config_selectorIijNS0_4plusIjEEEEZZNS1_33reduce_by_key_impl_wrapped_configILNS1_25lookback_scan_determinismE0ES3_S7_PKiNS0_17constant_iteratorIjlEEPiPlSF_S6_NS0_8equal_toIiEEEE10hipError_tPvRmT2_T3_mT4_T5_T6_T7_T8_P12ihipStream_tbENKUlT_T0_E_clISt17integral_constantIbLb0EESZ_EEDaSU_SV_EUlSU_E_NS1_11comp_targetILNS1_3genE5ELNS1_11target_archE942ELNS1_3gpuE9ELNS1_3repE0EEENS1_30default_config_static_selectorELNS0_4arch9wavefront6targetE0EEEvT1_,comdat
.Lfunc_end443:
	.size	_ZN7rocprim17ROCPRIM_400000_NS6detail17trampoline_kernelINS0_14default_configENS1_33run_length_encode_config_selectorIijNS0_4plusIjEEEEZZNS1_33reduce_by_key_impl_wrapped_configILNS1_25lookback_scan_determinismE0ES3_S7_PKiNS0_17constant_iteratorIjlEEPiPlSF_S6_NS0_8equal_toIiEEEE10hipError_tPvRmT2_T3_mT4_T5_T6_T7_T8_P12ihipStream_tbENKUlT_T0_E_clISt17integral_constantIbLb0EESZ_EEDaSU_SV_EUlSU_E_NS1_11comp_targetILNS1_3genE5ELNS1_11target_archE942ELNS1_3gpuE9ELNS1_3repE0EEENS1_30default_config_static_selectorELNS0_4arch9wavefront6targetE0EEEvT1_, .Lfunc_end443-_ZN7rocprim17ROCPRIM_400000_NS6detail17trampoline_kernelINS0_14default_configENS1_33run_length_encode_config_selectorIijNS0_4plusIjEEEEZZNS1_33reduce_by_key_impl_wrapped_configILNS1_25lookback_scan_determinismE0ES3_S7_PKiNS0_17constant_iteratorIjlEEPiPlSF_S6_NS0_8equal_toIiEEEE10hipError_tPvRmT2_T3_mT4_T5_T6_T7_T8_P12ihipStream_tbENKUlT_T0_E_clISt17integral_constantIbLb0EESZ_EEDaSU_SV_EUlSU_E_NS1_11comp_targetILNS1_3genE5ELNS1_11target_archE942ELNS1_3gpuE9ELNS1_3repE0EEENS1_30default_config_static_selectorELNS0_4arch9wavefront6targetE0EEEvT1_
                                        ; -- End function
	.set _ZN7rocprim17ROCPRIM_400000_NS6detail17trampoline_kernelINS0_14default_configENS1_33run_length_encode_config_selectorIijNS0_4plusIjEEEEZZNS1_33reduce_by_key_impl_wrapped_configILNS1_25lookback_scan_determinismE0ES3_S7_PKiNS0_17constant_iteratorIjlEEPiPlSF_S6_NS0_8equal_toIiEEEE10hipError_tPvRmT2_T3_mT4_T5_T6_T7_T8_P12ihipStream_tbENKUlT_T0_E_clISt17integral_constantIbLb0EESZ_EEDaSU_SV_EUlSU_E_NS1_11comp_targetILNS1_3genE5ELNS1_11target_archE942ELNS1_3gpuE9ELNS1_3repE0EEENS1_30default_config_static_selectorELNS0_4arch9wavefront6targetE0EEEvT1_.num_vgpr, 0
	.set _ZN7rocprim17ROCPRIM_400000_NS6detail17trampoline_kernelINS0_14default_configENS1_33run_length_encode_config_selectorIijNS0_4plusIjEEEEZZNS1_33reduce_by_key_impl_wrapped_configILNS1_25lookback_scan_determinismE0ES3_S7_PKiNS0_17constant_iteratorIjlEEPiPlSF_S6_NS0_8equal_toIiEEEE10hipError_tPvRmT2_T3_mT4_T5_T6_T7_T8_P12ihipStream_tbENKUlT_T0_E_clISt17integral_constantIbLb0EESZ_EEDaSU_SV_EUlSU_E_NS1_11comp_targetILNS1_3genE5ELNS1_11target_archE942ELNS1_3gpuE9ELNS1_3repE0EEENS1_30default_config_static_selectorELNS0_4arch9wavefront6targetE0EEEvT1_.num_agpr, 0
	.set _ZN7rocprim17ROCPRIM_400000_NS6detail17trampoline_kernelINS0_14default_configENS1_33run_length_encode_config_selectorIijNS0_4plusIjEEEEZZNS1_33reduce_by_key_impl_wrapped_configILNS1_25lookback_scan_determinismE0ES3_S7_PKiNS0_17constant_iteratorIjlEEPiPlSF_S6_NS0_8equal_toIiEEEE10hipError_tPvRmT2_T3_mT4_T5_T6_T7_T8_P12ihipStream_tbENKUlT_T0_E_clISt17integral_constantIbLb0EESZ_EEDaSU_SV_EUlSU_E_NS1_11comp_targetILNS1_3genE5ELNS1_11target_archE942ELNS1_3gpuE9ELNS1_3repE0EEENS1_30default_config_static_selectorELNS0_4arch9wavefront6targetE0EEEvT1_.numbered_sgpr, 0
	.set _ZN7rocprim17ROCPRIM_400000_NS6detail17trampoline_kernelINS0_14default_configENS1_33run_length_encode_config_selectorIijNS0_4plusIjEEEEZZNS1_33reduce_by_key_impl_wrapped_configILNS1_25lookback_scan_determinismE0ES3_S7_PKiNS0_17constant_iteratorIjlEEPiPlSF_S6_NS0_8equal_toIiEEEE10hipError_tPvRmT2_T3_mT4_T5_T6_T7_T8_P12ihipStream_tbENKUlT_T0_E_clISt17integral_constantIbLb0EESZ_EEDaSU_SV_EUlSU_E_NS1_11comp_targetILNS1_3genE5ELNS1_11target_archE942ELNS1_3gpuE9ELNS1_3repE0EEENS1_30default_config_static_selectorELNS0_4arch9wavefront6targetE0EEEvT1_.num_named_barrier, 0
	.set _ZN7rocprim17ROCPRIM_400000_NS6detail17trampoline_kernelINS0_14default_configENS1_33run_length_encode_config_selectorIijNS0_4plusIjEEEEZZNS1_33reduce_by_key_impl_wrapped_configILNS1_25lookback_scan_determinismE0ES3_S7_PKiNS0_17constant_iteratorIjlEEPiPlSF_S6_NS0_8equal_toIiEEEE10hipError_tPvRmT2_T3_mT4_T5_T6_T7_T8_P12ihipStream_tbENKUlT_T0_E_clISt17integral_constantIbLb0EESZ_EEDaSU_SV_EUlSU_E_NS1_11comp_targetILNS1_3genE5ELNS1_11target_archE942ELNS1_3gpuE9ELNS1_3repE0EEENS1_30default_config_static_selectorELNS0_4arch9wavefront6targetE0EEEvT1_.private_seg_size, 0
	.set _ZN7rocprim17ROCPRIM_400000_NS6detail17trampoline_kernelINS0_14default_configENS1_33run_length_encode_config_selectorIijNS0_4plusIjEEEEZZNS1_33reduce_by_key_impl_wrapped_configILNS1_25lookback_scan_determinismE0ES3_S7_PKiNS0_17constant_iteratorIjlEEPiPlSF_S6_NS0_8equal_toIiEEEE10hipError_tPvRmT2_T3_mT4_T5_T6_T7_T8_P12ihipStream_tbENKUlT_T0_E_clISt17integral_constantIbLb0EESZ_EEDaSU_SV_EUlSU_E_NS1_11comp_targetILNS1_3genE5ELNS1_11target_archE942ELNS1_3gpuE9ELNS1_3repE0EEENS1_30default_config_static_selectorELNS0_4arch9wavefront6targetE0EEEvT1_.uses_vcc, 0
	.set _ZN7rocprim17ROCPRIM_400000_NS6detail17trampoline_kernelINS0_14default_configENS1_33run_length_encode_config_selectorIijNS0_4plusIjEEEEZZNS1_33reduce_by_key_impl_wrapped_configILNS1_25lookback_scan_determinismE0ES3_S7_PKiNS0_17constant_iteratorIjlEEPiPlSF_S6_NS0_8equal_toIiEEEE10hipError_tPvRmT2_T3_mT4_T5_T6_T7_T8_P12ihipStream_tbENKUlT_T0_E_clISt17integral_constantIbLb0EESZ_EEDaSU_SV_EUlSU_E_NS1_11comp_targetILNS1_3genE5ELNS1_11target_archE942ELNS1_3gpuE9ELNS1_3repE0EEENS1_30default_config_static_selectorELNS0_4arch9wavefront6targetE0EEEvT1_.uses_flat_scratch, 0
	.set _ZN7rocprim17ROCPRIM_400000_NS6detail17trampoline_kernelINS0_14default_configENS1_33run_length_encode_config_selectorIijNS0_4plusIjEEEEZZNS1_33reduce_by_key_impl_wrapped_configILNS1_25lookback_scan_determinismE0ES3_S7_PKiNS0_17constant_iteratorIjlEEPiPlSF_S6_NS0_8equal_toIiEEEE10hipError_tPvRmT2_T3_mT4_T5_T6_T7_T8_P12ihipStream_tbENKUlT_T0_E_clISt17integral_constantIbLb0EESZ_EEDaSU_SV_EUlSU_E_NS1_11comp_targetILNS1_3genE5ELNS1_11target_archE942ELNS1_3gpuE9ELNS1_3repE0EEENS1_30default_config_static_selectorELNS0_4arch9wavefront6targetE0EEEvT1_.has_dyn_sized_stack, 0
	.set _ZN7rocprim17ROCPRIM_400000_NS6detail17trampoline_kernelINS0_14default_configENS1_33run_length_encode_config_selectorIijNS0_4plusIjEEEEZZNS1_33reduce_by_key_impl_wrapped_configILNS1_25lookback_scan_determinismE0ES3_S7_PKiNS0_17constant_iteratorIjlEEPiPlSF_S6_NS0_8equal_toIiEEEE10hipError_tPvRmT2_T3_mT4_T5_T6_T7_T8_P12ihipStream_tbENKUlT_T0_E_clISt17integral_constantIbLb0EESZ_EEDaSU_SV_EUlSU_E_NS1_11comp_targetILNS1_3genE5ELNS1_11target_archE942ELNS1_3gpuE9ELNS1_3repE0EEENS1_30default_config_static_selectorELNS0_4arch9wavefront6targetE0EEEvT1_.has_recursion, 0
	.set _ZN7rocprim17ROCPRIM_400000_NS6detail17trampoline_kernelINS0_14default_configENS1_33run_length_encode_config_selectorIijNS0_4plusIjEEEEZZNS1_33reduce_by_key_impl_wrapped_configILNS1_25lookback_scan_determinismE0ES3_S7_PKiNS0_17constant_iteratorIjlEEPiPlSF_S6_NS0_8equal_toIiEEEE10hipError_tPvRmT2_T3_mT4_T5_T6_T7_T8_P12ihipStream_tbENKUlT_T0_E_clISt17integral_constantIbLb0EESZ_EEDaSU_SV_EUlSU_E_NS1_11comp_targetILNS1_3genE5ELNS1_11target_archE942ELNS1_3gpuE9ELNS1_3repE0EEENS1_30default_config_static_selectorELNS0_4arch9wavefront6targetE0EEEvT1_.has_indirect_call, 0
	.section	.AMDGPU.csdata,"",@progbits
; Kernel info:
; codeLenInByte = 0
; TotalNumSgprs: 0
; NumVgprs: 0
; ScratchSize: 0
; MemoryBound: 0
; FloatMode: 240
; IeeeMode: 1
; LDSByteSize: 0 bytes/workgroup (compile time only)
; SGPRBlocks: 0
; VGPRBlocks: 0
; NumSGPRsForWavesPerEU: 1
; NumVGPRsForWavesPerEU: 1
; NamedBarCnt: 0
; Occupancy: 16
; WaveLimiterHint : 0
; COMPUTE_PGM_RSRC2:SCRATCH_EN: 0
; COMPUTE_PGM_RSRC2:USER_SGPR: 2
; COMPUTE_PGM_RSRC2:TRAP_HANDLER: 0
; COMPUTE_PGM_RSRC2:TGID_X_EN: 1
; COMPUTE_PGM_RSRC2:TGID_Y_EN: 0
; COMPUTE_PGM_RSRC2:TGID_Z_EN: 0
; COMPUTE_PGM_RSRC2:TIDIG_COMP_CNT: 0
	.section	.text._ZN7rocprim17ROCPRIM_400000_NS6detail17trampoline_kernelINS0_14default_configENS1_33run_length_encode_config_selectorIijNS0_4plusIjEEEEZZNS1_33reduce_by_key_impl_wrapped_configILNS1_25lookback_scan_determinismE0ES3_S7_PKiNS0_17constant_iteratorIjlEEPiPlSF_S6_NS0_8equal_toIiEEEE10hipError_tPvRmT2_T3_mT4_T5_T6_T7_T8_P12ihipStream_tbENKUlT_T0_E_clISt17integral_constantIbLb0EESZ_EEDaSU_SV_EUlSU_E_NS1_11comp_targetILNS1_3genE4ELNS1_11target_archE910ELNS1_3gpuE8ELNS1_3repE0EEENS1_30default_config_static_selectorELNS0_4arch9wavefront6targetE0EEEvT1_,"axG",@progbits,_ZN7rocprim17ROCPRIM_400000_NS6detail17trampoline_kernelINS0_14default_configENS1_33run_length_encode_config_selectorIijNS0_4plusIjEEEEZZNS1_33reduce_by_key_impl_wrapped_configILNS1_25lookback_scan_determinismE0ES3_S7_PKiNS0_17constant_iteratorIjlEEPiPlSF_S6_NS0_8equal_toIiEEEE10hipError_tPvRmT2_T3_mT4_T5_T6_T7_T8_P12ihipStream_tbENKUlT_T0_E_clISt17integral_constantIbLb0EESZ_EEDaSU_SV_EUlSU_E_NS1_11comp_targetILNS1_3genE4ELNS1_11target_archE910ELNS1_3gpuE8ELNS1_3repE0EEENS1_30default_config_static_selectorELNS0_4arch9wavefront6targetE0EEEvT1_,comdat
	.protected	_ZN7rocprim17ROCPRIM_400000_NS6detail17trampoline_kernelINS0_14default_configENS1_33run_length_encode_config_selectorIijNS0_4plusIjEEEEZZNS1_33reduce_by_key_impl_wrapped_configILNS1_25lookback_scan_determinismE0ES3_S7_PKiNS0_17constant_iteratorIjlEEPiPlSF_S6_NS0_8equal_toIiEEEE10hipError_tPvRmT2_T3_mT4_T5_T6_T7_T8_P12ihipStream_tbENKUlT_T0_E_clISt17integral_constantIbLb0EESZ_EEDaSU_SV_EUlSU_E_NS1_11comp_targetILNS1_3genE4ELNS1_11target_archE910ELNS1_3gpuE8ELNS1_3repE0EEENS1_30default_config_static_selectorELNS0_4arch9wavefront6targetE0EEEvT1_ ; -- Begin function _ZN7rocprim17ROCPRIM_400000_NS6detail17trampoline_kernelINS0_14default_configENS1_33run_length_encode_config_selectorIijNS0_4plusIjEEEEZZNS1_33reduce_by_key_impl_wrapped_configILNS1_25lookback_scan_determinismE0ES3_S7_PKiNS0_17constant_iteratorIjlEEPiPlSF_S6_NS0_8equal_toIiEEEE10hipError_tPvRmT2_T3_mT4_T5_T6_T7_T8_P12ihipStream_tbENKUlT_T0_E_clISt17integral_constantIbLb0EESZ_EEDaSU_SV_EUlSU_E_NS1_11comp_targetILNS1_3genE4ELNS1_11target_archE910ELNS1_3gpuE8ELNS1_3repE0EEENS1_30default_config_static_selectorELNS0_4arch9wavefront6targetE0EEEvT1_
	.globl	_ZN7rocprim17ROCPRIM_400000_NS6detail17trampoline_kernelINS0_14default_configENS1_33run_length_encode_config_selectorIijNS0_4plusIjEEEEZZNS1_33reduce_by_key_impl_wrapped_configILNS1_25lookback_scan_determinismE0ES3_S7_PKiNS0_17constant_iteratorIjlEEPiPlSF_S6_NS0_8equal_toIiEEEE10hipError_tPvRmT2_T3_mT4_T5_T6_T7_T8_P12ihipStream_tbENKUlT_T0_E_clISt17integral_constantIbLb0EESZ_EEDaSU_SV_EUlSU_E_NS1_11comp_targetILNS1_3genE4ELNS1_11target_archE910ELNS1_3gpuE8ELNS1_3repE0EEENS1_30default_config_static_selectorELNS0_4arch9wavefront6targetE0EEEvT1_
	.p2align	8
	.type	_ZN7rocprim17ROCPRIM_400000_NS6detail17trampoline_kernelINS0_14default_configENS1_33run_length_encode_config_selectorIijNS0_4plusIjEEEEZZNS1_33reduce_by_key_impl_wrapped_configILNS1_25lookback_scan_determinismE0ES3_S7_PKiNS0_17constant_iteratorIjlEEPiPlSF_S6_NS0_8equal_toIiEEEE10hipError_tPvRmT2_T3_mT4_T5_T6_T7_T8_P12ihipStream_tbENKUlT_T0_E_clISt17integral_constantIbLb0EESZ_EEDaSU_SV_EUlSU_E_NS1_11comp_targetILNS1_3genE4ELNS1_11target_archE910ELNS1_3gpuE8ELNS1_3repE0EEENS1_30default_config_static_selectorELNS0_4arch9wavefront6targetE0EEEvT1_,@function
_ZN7rocprim17ROCPRIM_400000_NS6detail17trampoline_kernelINS0_14default_configENS1_33run_length_encode_config_selectorIijNS0_4plusIjEEEEZZNS1_33reduce_by_key_impl_wrapped_configILNS1_25lookback_scan_determinismE0ES3_S7_PKiNS0_17constant_iteratorIjlEEPiPlSF_S6_NS0_8equal_toIiEEEE10hipError_tPvRmT2_T3_mT4_T5_T6_T7_T8_P12ihipStream_tbENKUlT_T0_E_clISt17integral_constantIbLb0EESZ_EEDaSU_SV_EUlSU_E_NS1_11comp_targetILNS1_3genE4ELNS1_11target_archE910ELNS1_3gpuE8ELNS1_3repE0EEENS1_30default_config_static_selectorELNS0_4arch9wavefront6targetE0EEEvT1_: ; @_ZN7rocprim17ROCPRIM_400000_NS6detail17trampoline_kernelINS0_14default_configENS1_33run_length_encode_config_selectorIijNS0_4plusIjEEEEZZNS1_33reduce_by_key_impl_wrapped_configILNS1_25lookback_scan_determinismE0ES3_S7_PKiNS0_17constant_iteratorIjlEEPiPlSF_S6_NS0_8equal_toIiEEEE10hipError_tPvRmT2_T3_mT4_T5_T6_T7_T8_P12ihipStream_tbENKUlT_T0_E_clISt17integral_constantIbLb0EESZ_EEDaSU_SV_EUlSU_E_NS1_11comp_targetILNS1_3genE4ELNS1_11target_archE910ELNS1_3gpuE8ELNS1_3repE0EEENS1_30default_config_static_selectorELNS0_4arch9wavefront6targetE0EEEvT1_
; %bb.0:
	.section	.rodata,"a",@progbits
	.p2align	6, 0x0
	.amdhsa_kernel _ZN7rocprim17ROCPRIM_400000_NS6detail17trampoline_kernelINS0_14default_configENS1_33run_length_encode_config_selectorIijNS0_4plusIjEEEEZZNS1_33reduce_by_key_impl_wrapped_configILNS1_25lookback_scan_determinismE0ES3_S7_PKiNS0_17constant_iteratorIjlEEPiPlSF_S6_NS0_8equal_toIiEEEE10hipError_tPvRmT2_T3_mT4_T5_T6_T7_T8_P12ihipStream_tbENKUlT_T0_E_clISt17integral_constantIbLb0EESZ_EEDaSU_SV_EUlSU_E_NS1_11comp_targetILNS1_3genE4ELNS1_11target_archE910ELNS1_3gpuE8ELNS1_3repE0EEENS1_30default_config_static_selectorELNS0_4arch9wavefront6targetE0EEEvT1_
		.amdhsa_group_segment_fixed_size 0
		.amdhsa_private_segment_fixed_size 0
		.amdhsa_kernarg_size 128
		.amdhsa_user_sgpr_count 2
		.amdhsa_user_sgpr_dispatch_ptr 0
		.amdhsa_user_sgpr_queue_ptr 0
		.amdhsa_user_sgpr_kernarg_segment_ptr 1
		.amdhsa_user_sgpr_dispatch_id 0
		.amdhsa_user_sgpr_kernarg_preload_length 0
		.amdhsa_user_sgpr_kernarg_preload_offset 0
		.amdhsa_user_sgpr_private_segment_size 0
		.amdhsa_wavefront_size32 1
		.amdhsa_uses_dynamic_stack 0
		.amdhsa_enable_private_segment 0
		.amdhsa_system_sgpr_workgroup_id_x 1
		.amdhsa_system_sgpr_workgroup_id_y 0
		.amdhsa_system_sgpr_workgroup_id_z 0
		.amdhsa_system_sgpr_workgroup_info 0
		.amdhsa_system_vgpr_workitem_id 0
		.amdhsa_next_free_vgpr 1
		.amdhsa_next_free_sgpr 1
		.amdhsa_named_barrier_count 0
		.amdhsa_reserve_vcc 0
		.amdhsa_float_round_mode_32 0
		.amdhsa_float_round_mode_16_64 0
		.amdhsa_float_denorm_mode_32 3
		.amdhsa_float_denorm_mode_16_64 3
		.amdhsa_fp16_overflow 0
		.amdhsa_memory_ordered 1
		.amdhsa_forward_progress 1
		.amdhsa_inst_pref_size 0
		.amdhsa_round_robin_scheduling 0
		.amdhsa_exception_fp_ieee_invalid_op 0
		.amdhsa_exception_fp_denorm_src 0
		.amdhsa_exception_fp_ieee_div_zero 0
		.amdhsa_exception_fp_ieee_overflow 0
		.amdhsa_exception_fp_ieee_underflow 0
		.amdhsa_exception_fp_ieee_inexact 0
		.amdhsa_exception_int_div_zero 0
	.end_amdhsa_kernel
	.section	.text._ZN7rocprim17ROCPRIM_400000_NS6detail17trampoline_kernelINS0_14default_configENS1_33run_length_encode_config_selectorIijNS0_4plusIjEEEEZZNS1_33reduce_by_key_impl_wrapped_configILNS1_25lookback_scan_determinismE0ES3_S7_PKiNS0_17constant_iteratorIjlEEPiPlSF_S6_NS0_8equal_toIiEEEE10hipError_tPvRmT2_T3_mT4_T5_T6_T7_T8_P12ihipStream_tbENKUlT_T0_E_clISt17integral_constantIbLb0EESZ_EEDaSU_SV_EUlSU_E_NS1_11comp_targetILNS1_3genE4ELNS1_11target_archE910ELNS1_3gpuE8ELNS1_3repE0EEENS1_30default_config_static_selectorELNS0_4arch9wavefront6targetE0EEEvT1_,"axG",@progbits,_ZN7rocprim17ROCPRIM_400000_NS6detail17trampoline_kernelINS0_14default_configENS1_33run_length_encode_config_selectorIijNS0_4plusIjEEEEZZNS1_33reduce_by_key_impl_wrapped_configILNS1_25lookback_scan_determinismE0ES3_S7_PKiNS0_17constant_iteratorIjlEEPiPlSF_S6_NS0_8equal_toIiEEEE10hipError_tPvRmT2_T3_mT4_T5_T6_T7_T8_P12ihipStream_tbENKUlT_T0_E_clISt17integral_constantIbLb0EESZ_EEDaSU_SV_EUlSU_E_NS1_11comp_targetILNS1_3genE4ELNS1_11target_archE910ELNS1_3gpuE8ELNS1_3repE0EEENS1_30default_config_static_selectorELNS0_4arch9wavefront6targetE0EEEvT1_,comdat
.Lfunc_end444:
	.size	_ZN7rocprim17ROCPRIM_400000_NS6detail17trampoline_kernelINS0_14default_configENS1_33run_length_encode_config_selectorIijNS0_4plusIjEEEEZZNS1_33reduce_by_key_impl_wrapped_configILNS1_25lookback_scan_determinismE0ES3_S7_PKiNS0_17constant_iteratorIjlEEPiPlSF_S6_NS0_8equal_toIiEEEE10hipError_tPvRmT2_T3_mT4_T5_T6_T7_T8_P12ihipStream_tbENKUlT_T0_E_clISt17integral_constantIbLb0EESZ_EEDaSU_SV_EUlSU_E_NS1_11comp_targetILNS1_3genE4ELNS1_11target_archE910ELNS1_3gpuE8ELNS1_3repE0EEENS1_30default_config_static_selectorELNS0_4arch9wavefront6targetE0EEEvT1_, .Lfunc_end444-_ZN7rocprim17ROCPRIM_400000_NS6detail17trampoline_kernelINS0_14default_configENS1_33run_length_encode_config_selectorIijNS0_4plusIjEEEEZZNS1_33reduce_by_key_impl_wrapped_configILNS1_25lookback_scan_determinismE0ES3_S7_PKiNS0_17constant_iteratorIjlEEPiPlSF_S6_NS0_8equal_toIiEEEE10hipError_tPvRmT2_T3_mT4_T5_T6_T7_T8_P12ihipStream_tbENKUlT_T0_E_clISt17integral_constantIbLb0EESZ_EEDaSU_SV_EUlSU_E_NS1_11comp_targetILNS1_3genE4ELNS1_11target_archE910ELNS1_3gpuE8ELNS1_3repE0EEENS1_30default_config_static_selectorELNS0_4arch9wavefront6targetE0EEEvT1_
                                        ; -- End function
	.set _ZN7rocprim17ROCPRIM_400000_NS6detail17trampoline_kernelINS0_14default_configENS1_33run_length_encode_config_selectorIijNS0_4plusIjEEEEZZNS1_33reduce_by_key_impl_wrapped_configILNS1_25lookback_scan_determinismE0ES3_S7_PKiNS0_17constant_iteratorIjlEEPiPlSF_S6_NS0_8equal_toIiEEEE10hipError_tPvRmT2_T3_mT4_T5_T6_T7_T8_P12ihipStream_tbENKUlT_T0_E_clISt17integral_constantIbLb0EESZ_EEDaSU_SV_EUlSU_E_NS1_11comp_targetILNS1_3genE4ELNS1_11target_archE910ELNS1_3gpuE8ELNS1_3repE0EEENS1_30default_config_static_selectorELNS0_4arch9wavefront6targetE0EEEvT1_.num_vgpr, 0
	.set _ZN7rocprim17ROCPRIM_400000_NS6detail17trampoline_kernelINS0_14default_configENS1_33run_length_encode_config_selectorIijNS0_4plusIjEEEEZZNS1_33reduce_by_key_impl_wrapped_configILNS1_25lookback_scan_determinismE0ES3_S7_PKiNS0_17constant_iteratorIjlEEPiPlSF_S6_NS0_8equal_toIiEEEE10hipError_tPvRmT2_T3_mT4_T5_T6_T7_T8_P12ihipStream_tbENKUlT_T0_E_clISt17integral_constantIbLb0EESZ_EEDaSU_SV_EUlSU_E_NS1_11comp_targetILNS1_3genE4ELNS1_11target_archE910ELNS1_3gpuE8ELNS1_3repE0EEENS1_30default_config_static_selectorELNS0_4arch9wavefront6targetE0EEEvT1_.num_agpr, 0
	.set _ZN7rocprim17ROCPRIM_400000_NS6detail17trampoline_kernelINS0_14default_configENS1_33run_length_encode_config_selectorIijNS0_4plusIjEEEEZZNS1_33reduce_by_key_impl_wrapped_configILNS1_25lookback_scan_determinismE0ES3_S7_PKiNS0_17constant_iteratorIjlEEPiPlSF_S6_NS0_8equal_toIiEEEE10hipError_tPvRmT2_T3_mT4_T5_T6_T7_T8_P12ihipStream_tbENKUlT_T0_E_clISt17integral_constantIbLb0EESZ_EEDaSU_SV_EUlSU_E_NS1_11comp_targetILNS1_3genE4ELNS1_11target_archE910ELNS1_3gpuE8ELNS1_3repE0EEENS1_30default_config_static_selectorELNS0_4arch9wavefront6targetE0EEEvT1_.numbered_sgpr, 0
	.set _ZN7rocprim17ROCPRIM_400000_NS6detail17trampoline_kernelINS0_14default_configENS1_33run_length_encode_config_selectorIijNS0_4plusIjEEEEZZNS1_33reduce_by_key_impl_wrapped_configILNS1_25lookback_scan_determinismE0ES3_S7_PKiNS0_17constant_iteratorIjlEEPiPlSF_S6_NS0_8equal_toIiEEEE10hipError_tPvRmT2_T3_mT4_T5_T6_T7_T8_P12ihipStream_tbENKUlT_T0_E_clISt17integral_constantIbLb0EESZ_EEDaSU_SV_EUlSU_E_NS1_11comp_targetILNS1_3genE4ELNS1_11target_archE910ELNS1_3gpuE8ELNS1_3repE0EEENS1_30default_config_static_selectorELNS0_4arch9wavefront6targetE0EEEvT1_.num_named_barrier, 0
	.set _ZN7rocprim17ROCPRIM_400000_NS6detail17trampoline_kernelINS0_14default_configENS1_33run_length_encode_config_selectorIijNS0_4plusIjEEEEZZNS1_33reduce_by_key_impl_wrapped_configILNS1_25lookback_scan_determinismE0ES3_S7_PKiNS0_17constant_iteratorIjlEEPiPlSF_S6_NS0_8equal_toIiEEEE10hipError_tPvRmT2_T3_mT4_T5_T6_T7_T8_P12ihipStream_tbENKUlT_T0_E_clISt17integral_constantIbLb0EESZ_EEDaSU_SV_EUlSU_E_NS1_11comp_targetILNS1_3genE4ELNS1_11target_archE910ELNS1_3gpuE8ELNS1_3repE0EEENS1_30default_config_static_selectorELNS0_4arch9wavefront6targetE0EEEvT1_.private_seg_size, 0
	.set _ZN7rocprim17ROCPRIM_400000_NS6detail17trampoline_kernelINS0_14default_configENS1_33run_length_encode_config_selectorIijNS0_4plusIjEEEEZZNS1_33reduce_by_key_impl_wrapped_configILNS1_25lookback_scan_determinismE0ES3_S7_PKiNS0_17constant_iteratorIjlEEPiPlSF_S6_NS0_8equal_toIiEEEE10hipError_tPvRmT2_T3_mT4_T5_T6_T7_T8_P12ihipStream_tbENKUlT_T0_E_clISt17integral_constantIbLb0EESZ_EEDaSU_SV_EUlSU_E_NS1_11comp_targetILNS1_3genE4ELNS1_11target_archE910ELNS1_3gpuE8ELNS1_3repE0EEENS1_30default_config_static_selectorELNS0_4arch9wavefront6targetE0EEEvT1_.uses_vcc, 0
	.set _ZN7rocprim17ROCPRIM_400000_NS6detail17trampoline_kernelINS0_14default_configENS1_33run_length_encode_config_selectorIijNS0_4plusIjEEEEZZNS1_33reduce_by_key_impl_wrapped_configILNS1_25lookback_scan_determinismE0ES3_S7_PKiNS0_17constant_iteratorIjlEEPiPlSF_S6_NS0_8equal_toIiEEEE10hipError_tPvRmT2_T3_mT4_T5_T6_T7_T8_P12ihipStream_tbENKUlT_T0_E_clISt17integral_constantIbLb0EESZ_EEDaSU_SV_EUlSU_E_NS1_11comp_targetILNS1_3genE4ELNS1_11target_archE910ELNS1_3gpuE8ELNS1_3repE0EEENS1_30default_config_static_selectorELNS0_4arch9wavefront6targetE0EEEvT1_.uses_flat_scratch, 0
	.set _ZN7rocprim17ROCPRIM_400000_NS6detail17trampoline_kernelINS0_14default_configENS1_33run_length_encode_config_selectorIijNS0_4plusIjEEEEZZNS1_33reduce_by_key_impl_wrapped_configILNS1_25lookback_scan_determinismE0ES3_S7_PKiNS0_17constant_iteratorIjlEEPiPlSF_S6_NS0_8equal_toIiEEEE10hipError_tPvRmT2_T3_mT4_T5_T6_T7_T8_P12ihipStream_tbENKUlT_T0_E_clISt17integral_constantIbLb0EESZ_EEDaSU_SV_EUlSU_E_NS1_11comp_targetILNS1_3genE4ELNS1_11target_archE910ELNS1_3gpuE8ELNS1_3repE0EEENS1_30default_config_static_selectorELNS0_4arch9wavefront6targetE0EEEvT1_.has_dyn_sized_stack, 0
	.set _ZN7rocprim17ROCPRIM_400000_NS6detail17trampoline_kernelINS0_14default_configENS1_33run_length_encode_config_selectorIijNS0_4plusIjEEEEZZNS1_33reduce_by_key_impl_wrapped_configILNS1_25lookback_scan_determinismE0ES3_S7_PKiNS0_17constant_iteratorIjlEEPiPlSF_S6_NS0_8equal_toIiEEEE10hipError_tPvRmT2_T3_mT4_T5_T6_T7_T8_P12ihipStream_tbENKUlT_T0_E_clISt17integral_constantIbLb0EESZ_EEDaSU_SV_EUlSU_E_NS1_11comp_targetILNS1_3genE4ELNS1_11target_archE910ELNS1_3gpuE8ELNS1_3repE0EEENS1_30default_config_static_selectorELNS0_4arch9wavefront6targetE0EEEvT1_.has_recursion, 0
	.set _ZN7rocprim17ROCPRIM_400000_NS6detail17trampoline_kernelINS0_14default_configENS1_33run_length_encode_config_selectorIijNS0_4plusIjEEEEZZNS1_33reduce_by_key_impl_wrapped_configILNS1_25lookback_scan_determinismE0ES3_S7_PKiNS0_17constant_iteratorIjlEEPiPlSF_S6_NS0_8equal_toIiEEEE10hipError_tPvRmT2_T3_mT4_T5_T6_T7_T8_P12ihipStream_tbENKUlT_T0_E_clISt17integral_constantIbLb0EESZ_EEDaSU_SV_EUlSU_E_NS1_11comp_targetILNS1_3genE4ELNS1_11target_archE910ELNS1_3gpuE8ELNS1_3repE0EEENS1_30default_config_static_selectorELNS0_4arch9wavefront6targetE0EEEvT1_.has_indirect_call, 0
	.section	.AMDGPU.csdata,"",@progbits
; Kernel info:
; codeLenInByte = 0
; TotalNumSgprs: 0
; NumVgprs: 0
; ScratchSize: 0
; MemoryBound: 0
; FloatMode: 240
; IeeeMode: 1
; LDSByteSize: 0 bytes/workgroup (compile time only)
; SGPRBlocks: 0
; VGPRBlocks: 0
; NumSGPRsForWavesPerEU: 1
; NumVGPRsForWavesPerEU: 1
; NamedBarCnt: 0
; Occupancy: 16
; WaveLimiterHint : 0
; COMPUTE_PGM_RSRC2:SCRATCH_EN: 0
; COMPUTE_PGM_RSRC2:USER_SGPR: 2
; COMPUTE_PGM_RSRC2:TRAP_HANDLER: 0
; COMPUTE_PGM_RSRC2:TGID_X_EN: 1
; COMPUTE_PGM_RSRC2:TGID_Y_EN: 0
; COMPUTE_PGM_RSRC2:TGID_Z_EN: 0
; COMPUTE_PGM_RSRC2:TIDIG_COMP_CNT: 0
	.section	.text._ZN7rocprim17ROCPRIM_400000_NS6detail17trampoline_kernelINS0_14default_configENS1_33run_length_encode_config_selectorIijNS0_4plusIjEEEEZZNS1_33reduce_by_key_impl_wrapped_configILNS1_25lookback_scan_determinismE0ES3_S7_PKiNS0_17constant_iteratorIjlEEPiPlSF_S6_NS0_8equal_toIiEEEE10hipError_tPvRmT2_T3_mT4_T5_T6_T7_T8_P12ihipStream_tbENKUlT_T0_E_clISt17integral_constantIbLb0EESZ_EEDaSU_SV_EUlSU_E_NS1_11comp_targetILNS1_3genE3ELNS1_11target_archE908ELNS1_3gpuE7ELNS1_3repE0EEENS1_30default_config_static_selectorELNS0_4arch9wavefront6targetE0EEEvT1_,"axG",@progbits,_ZN7rocprim17ROCPRIM_400000_NS6detail17trampoline_kernelINS0_14default_configENS1_33run_length_encode_config_selectorIijNS0_4plusIjEEEEZZNS1_33reduce_by_key_impl_wrapped_configILNS1_25lookback_scan_determinismE0ES3_S7_PKiNS0_17constant_iteratorIjlEEPiPlSF_S6_NS0_8equal_toIiEEEE10hipError_tPvRmT2_T3_mT4_T5_T6_T7_T8_P12ihipStream_tbENKUlT_T0_E_clISt17integral_constantIbLb0EESZ_EEDaSU_SV_EUlSU_E_NS1_11comp_targetILNS1_3genE3ELNS1_11target_archE908ELNS1_3gpuE7ELNS1_3repE0EEENS1_30default_config_static_selectorELNS0_4arch9wavefront6targetE0EEEvT1_,comdat
	.protected	_ZN7rocprim17ROCPRIM_400000_NS6detail17trampoline_kernelINS0_14default_configENS1_33run_length_encode_config_selectorIijNS0_4plusIjEEEEZZNS1_33reduce_by_key_impl_wrapped_configILNS1_25lookback_scan_determinismE0ES3_S7_PKiNS0_17constant_iteratorIjlEEPiPlSF_S6_NS0_8equal_toIiEEEE10hipError_tPvRmT2_T3_mT4_T5_T6_T7_T8_P12ihipStream_tbENKUlT_T0_E_clISt17integral_constantIbLb0EESZ_EEDaSU_SV_EUlSU_E_NS1_11comp_targetILNS1_3genE3ELNS1_11target_archE908ELNS1_3gpuE7ELNS1_3repE0EEENS1_30default_config_static_selectorELNS0_4arch9wavefront6targetE0EEEvT1_ ; -- Begin function _ZN7rocprim17ROCPRIM_400000_NS6detail17trampoline_kernelINS0_14default_configENS1_33run_length_encode_config_selectorIijNS0_4plusIjEEEEZZNS1_33reduce_by_key_impl_wrapped_configILNS1_25lookback_scan_determinismE0ES3_S7_PKiNS0_17constant_iteratorIjlEEPiPlSF_S6_NS0_8equal_toIiEEEE10hipError_tPvRmT2_T3_mT4_T5_T6_T7_T8_P12ihipStream_tbENKUlT_T0_E_clISt17integral_constantIbLb0EESZ_EEDaSU_SV_EUlSU_E_NS1_11comp_targetILNS1_3genE3ELNS1_11target_archE908ELNS1_3gpuE7ELNS1_3repE0EEENS1_30default_config_static_selectorELNS0_4arch9wavefront6targetE0EEEvT1_
	.globl	_ZN7rocprim17ROCPRIM_400000_NS6detail17trampoline_kernelINS0_14default_configENS1_33run_length_encode_config_selectorIijNS0_4plusIjEEEEZZNS1_33reduce_by_key_impl_wrapped_configILNS1_25lookback_scan_determinismE0ES3_S7_PKiNS0_17constant_iteratorIjlEEPiPlSF_S6_NS0_8equal_toIiEEEE10hipError_tPvRmT2_T3_mT4_T5_T6_T7_T8_P12ihipStream_tbENKUlT_T0_E_clISt17integral_constantIbLb0EESZ_EEDaSU_SV_EUlSU_E_NS1_11comp_targetILNS1_3genE3ELNS1_11target_archE908ELNS1_3gpuE7ELNS1_3repE0EEENS1_30default_config_static_selectorELNS0_4arch9wavefront6targetE0EEEvT1_
	.p2align	8
	.type	_ZN7rocprim17ROCPRIM_400000_NS6detail17trampoline_kernelINS0_14default_configENS1_33run_length_encode_config_selectorIijNS0_4plusIjEEEEZZNS1_33reduce_by_key_impl_wrapped_configILNS1_25lookback_scan_determinismE0ES3_S7_PKiNS0_17constant_iteratorIjlEEPiPlSF_S6_NS0_8equal_toIiEEEE10hipError_tPvRmT2_T3_mT4_T5_T6_T7_T8_P12ihipStream_tbENKUlT_T0_E_clISt17integral_constantIbLb0EESZ_EEDaSU_SV_EUlSU_E_NS1_11comp_targetILNS1_3genE3ELNS1_11target_archE908ELNS1_3gpuE7ELNS1_3repE0EEENS1_30default_config_static_selectorELNS0_4arch9wavefront6targetE0EEEvT1_,@function
_ZN7rocprim17ROCPRIM_400000_NS6detail17trampoline_kernelINS0_14default_configENS1_33run_length_encode_config_selectorIijNS0_4plusIjEEEEZZNS1_33reduce_by_key_impl_wrapped_configILNS1_25lookback_scan_determinismE0ES3_S7_PKiNS0_17constant_iteratorIjlEEPiPlSF_S6_NS0_8equal_toIiEEEE10hipError_tPvRmT2_T3_mT4_T5_T6_T7_T8_P12ihipStream_tbENKUlT_T0_E_clISt17integral_constantIbLb0EESZ_EEDaSU_SV_EUlSU_E_NS1_11comp_targetILNS1_3genE3ELNS1_11target_archE908ELNS1_3gpuE7ELNS1_3repE0EEENS1_30default_config_static_selectorELNS0_4arch9wavefront6targetE0EEEvT1_: ; @_ZN7rocprim17ROCPRIM_400000_NS6detail17trampoline_kernelINS0_14default_configENS1_33run_length_encode_config_selectorIijNS0_4plusIjEEEEZZNS1_33reduce_by_key_impl_wrapped_configILNS1_25lookback_scan_determinismE0ES3_S7_PKiNS0_17constant_iteratorIjlEEPiPlSF_S6_NS0_8equal_toIiEEEE10hipError_tPvRmT2_T3_mT4_T5_T6_T7_T8_P12ihipStream_tbENKUlT_T0_E_clISt17integral_constantIbLb0EESZ_EEDaSU_SV_EUlSU_E_NS1_11comp_targetILNS1_3genE3ELNS1_11target_archE908ELNS1_3gpuE7ELNS1_3repE0EEENS1_30default_config_static_selectorELNS0_4arch9wavefront6targetE0EEEvT1_
; %bb.0:
	.section	.rodata,"a",@progbits
	.p2align	6, 0x0
	.amdhsa_kernel _ZN7rocprim17ROCPRIM_400000_NS6detail17trampoline_kernelINS0_14default_configENS1_33run_length_encode_config_selectorIijNS0_4plusIjEEEEZZNS1_33reduce_by_key_impl_wrapped_configILNS1_25lookback_scan_determinismE0ES3_S7_PKiNS0_17constant_iteratorIjlEEPiPlSF_S6_NS0_8equal_toIiEEEE10hipError_tPvRmT2_T3_mT4_T5_T6_T7_T8_P12ihipStream_tbENKUlT_T0_E_clISt17integral_constantIbLb0EESZ_EEDaSU_SV_EUlSU_E_NS1_11comp_targetILNS1_3genE3ELNS1_11target_archE908ELNS1_3gpuE7ELNS1_3repE0EEENS1_30default_config_static_selectorELNS0_4arch9wavefront6targetE0EEEvT1_
		.amdhsa_group_segment_fixed_size 0
		.amdhsa_private_segment_fixed_size 0
		.amdhsa_kernarg_size 128
		.amdhsa_user_sgpr_count 2
		.amdhsa_user_sgpr_dispatch_ptr 0
		.amdhsa_user_sgpr_queue_ptr 0
		.amdhsa_user_sgpr_kernarg_segment_ptr 1
		.amdhsa_user_sgpr_dispatch_id 0
		.amdhsa_user_sgpr_kernarg_preload_length 0
		.amdhsa_user_sgpr_kernarg_preload_offset 0
		.amdhsa_user_sgpr_private_segment_size 0
		.amdhsa_wavefront_size32 1
		.amdhsa_uses_dynamic_stack 0
		.amdhsa_enable_private_segment 0
		.amdhsa_system_sgpr_workgroup_id_x 1
		.amdhsa_system_sgpr_workgroup_id_y 0
		.amdhsa_system_sgpr_workgroup_id_z 0
		.amdhsa_system_sgpr_workgroup_info 0
		.amdhsa_system_vgpr_workitem_id 0
		.amdhsa_next_free_vgpr 1
		.amdhsa_next_free_sgpr 1
		.amdhsa_named_barrier_count 0
		.amdhsa_reserve_vcc 0
		.amdhsa_float_round_mode_32 0
		.amdhsa_float_round_mode_16_64 0
		.amdhsa_float_denorm_mode_32 3
		.amdhsa_float_denorm_mode_16_64 3
		.amdhsa_fp16_overflow 0
		.amdhsa_memory_ordered 1
		.amdhsa_forward_progress 1
		.amdhsa_inst_pref_size 0
		.amdhsa_round_robin_scheduling 0
		.amdhsa_exception_fp_ieee_invalid_op 0
		.amdhsa_exception_fp_denorm_src 0
		.amdhsa_exception_fp_ieee_div_zero 0
		.amdhsa_exception_fp_ieee_overflow 0
		.amdhsa_exception_fp_ieee_underflow 0
		.amdhsa_exception_fp_ieee_inexact 0
		.amdhsa_exception_int_div_zero 0
	.end_amdhsa_kernel
	.section	.text._ZN7rocprim17ROCPRIM_400000_NS6detail17trampoline_kernelINS0_14default_configENS1_33run_length_encode_config_selectorIijNS0_4plusIjEEEEZZNS1_33reduce_by_key_impl_wrapped_configILNS1_25lookback_scan_determinismE0ES3_S7_PKiNS0_17constant_iteratorIjlEEPiPlSF_S6_NS0_8equal_toIiEEEE10hipError_tPvRmT2_T3_mT4_T5_T6_T7_T8_P12ihipStream_tbENKUlT_T0_E_clISt17integral_constantIbLb0EESZ_EEDaSU_SV_EUlSU_E_NS1_11comp_targetILNS1_3genE3ELNS1_11target_archE908ELNS1_3gpuE7ELNS1_3repE0EEENS1_30default_config_static_selectorELNS0_4arch9wavefront6targetE0EEEvT1_,"axG",@progbits,_ZN7rocprim17ROCPRIM_400000_NS6detail17trampoline_kernelINS0_14default_configENS1_33run_length_encode_config_selectorIijNS0_4plusIjEEEEZZNS1_33reduce_by_key_impl_wrapped_configILNS1_25lookback_scan_determinismE0ES3_S7_PKiNS0_17constant_iteratorIjlEEPiPlSF_S6_NS0_8equal_toIiEEEE10hipError_tPvRmT2_T3_mT4_T5_T6_T7_T8_P12ihipStream_tbENKUlT_T0_E_clISt17integral_constantIbLb0EESZ_EEDaSU_SV_EUlSU_E_NS1_11comp_targetILNS1_3genE3ELNS1_11target_archE908ELNS1_3gpuE7ELNS1_3repE0EEENS1_30default_config_static_selectorELNS0_4arch9wavefront6targetE0EEEvT1_,comdat
.Lfunc_end445:
	.size	_ZN7rocprim17ROCPRIM_400000_NS6detail17trampoline_kernelINS0_14default_configENS1_33run_length_encode_config_selectorIijNS0_4plusIjEEEEZZNS1_33reduce_by_key_impl_wrapped_configILNS1_25lookback_scan_determinismE0ES3_S7_PKiNS0_17constant_iteratorIjlEEPiPlSF_S6_NS0_8equal_toIiEEEE10hipError_tPvRmT2_T3_mT4_T5_T6_T7_T8_P12ihipStream_tbENKUlT_T0_E_clISt17integral_constantIbLb0EESZ_EEDaSU_SV_EUlSU_E_NS1_11comp_targetILNS1_3genE3ELNS1_11target_archE908ELNS1_3gpuE7ELNS1_3repE0EEENS1_30default_config_static_selectorELNS0_4arch9wavefront6targetE0EEEvT1_, .Lfunc_end445-_ZN7rocprim17ROCPRIM_400000_NS6detail17trampoline_kernelINS0_14default_configENS1_33run_length_encode_config_selectorIijNS0_4plusIjEEEEZZNS1_33reduce_by_key_impl_wrapped_configILNS1_25lookback_scan_determinismE0ES3_S7_PKiNS0_17constant_iteratorIjlEEPiPlSF_S6_NS0_8equal_toIiEEEE10hipError_tPvRmT2_T3_mT4_T5_T6_T7_T8_P12ihipStream_tbENKUlT_T0_E_clISt17integral_constantIbLb0EESZ_EEDaSU_SV_EUlSU_E_NS1_11comp_targetILNS1_3genE3ELNS1_11target_archE908ELNS1_3gpuE7ELNS1_3repE0EEENS1_30default_config_static_selectorELNS0_4arch9wavefront6targetE0EEEvT1_
                                        ; -- End function
	.set _ZN7rocprim17ROCPRIM_400000_NS6detail17trampoline_kernelINS0_14default_configENS1_33run_length_encode_config_selectorIijNS0_4plusIjEEEEZZNS1_33reduce_by_key_impl_wrapped_configILNS1_25lookback_scan_determinismE0ES3_S7_PKiNS0_17constant_iteratorIjlEEPiPlSF_S6_NS0_8equal_toIiEEEE10hipError_tPvRmT2_T3_mT4_T5_T6_T7_T8_P12ihipStream_tbENKUlT_T0_E_clISt17integral_constantIbLb0EESZ_EEDaSU_SV_EUlSU_E_NS1_11comp_targetILNS1_3genE3ELNS1_11target_archE908ELNS1_3gpuE7ELNS1_3repE0EEENS1_30default_config_static_selectorELNS0_4arch9wavefront6targetE0EEEvT1_.num_vgpr, 0
	.set _ZN7rocprim17ROCPRIM_400000_NS6detail17trampoline_kernelINS0_14default_configENS1_33run_length_encode_config_selectorIijNS0_4plusIjEEEEZZNS1_33reduce_by_key_impl_wrapped_configILNS1_25lookback_scan_determinismE0ES3_S7_PKiNS0_17constant_iteratorIjlEEPiPlSF_S6_NS0_8equal_toIiEEEE10hipError_tPvRmT2_T3_mT4_T5_T6_T7_T8_P12ihipStream_tbENKUlT_T0_E_clISt17integral_constantIbLb0EESZ_EEDaSU_SV_EUlSU_E_NS1_11comp_targetILNS1_3genE3ELNS1_11target_archE908ELNS1_3gpuE7ELNS1_3repE0EEENS1_30default_config_static_selectorELNS0_4arch9wavefront6targetE0EEEvT1_.num_agpr, 0
	.set _ZN7rocprim17ROCPRIM_400000_NS6detail17trampoline_kernelINS0_14default_configENS1_33run_length_encode_config_selectorIijNS0_4plusIjEEEEZZNS1_33reduce_by_key_impl_wrapped_configILNS1_25lookback_scan_determinismE0ES3_S7_PKiNS0_17constant_iteratorIjlEEPiPlSF_S6_NS0_8equal_toIiEEEE10hipError_tPvRmT2_T3_mT4_T5_T6_T7_T8_P12ihipStream_tbENKUlT_T0_E_clISt17integral_constantIbLb0EESZ_EEDaSU_SV_EUlSU_E_NS1_11comp_targetILNS1_3genE3ELNS1_11target_archE908ELNS1_3gpuE7ELNS1_3repE0EEENS1_30default_config_static_selectorELNS0_4arch9wavefront6targetE0EEEvT1_.numbered_sgpr, 0
	.set _ZN7rocprim17ROCPRIM_400000_NS6detail17trampoline_kernelINS0_14default_configENS1_33run_length_encode_config_selectorIijNS0_4plusIjEEEEZZNS1_33reduce_by_key_impl_wrapped_configILNS1_25lookback_scan_determinismE0ES3_S7_PKiNS0_17constant_iteratorIjlEEPiPlSF_S6_NS0_8equal_toIiEEEE10hipError_tPvRmT2_T3_mT4_T5_T6_T7_T8_P12ihipStream_tbENKUlT_T0_E_clISt17integral_constantIbLb0EESZ_EEDaSU_SV_EUlSU_E_NS1_11comp_targetILNS1_3genE3ELNS1_11target_archE908ELNS1_3gpuE7ELNS1_3repE0EEENS1_30default_config_static_selectorELNS0_4arch9wavefront6targetE0EEEvT1_.num_named_barrier, 0
	.set _ZN7rocprim17ROCPRIM_400000_NS6detail17trampoline_kernelINS0_14default_configENS1_33run_length_encode_config_selectorIijNS0_4plusIjEEEEZZNS1_33reduce_by_key_impl_wrapped_configILNS1_25lookback_scan_determinismE0ES3_S7_PKiNS0_17constant_iteratorIjlEEPiPlSF_S6_NS0_8equal_toIiEEEE10hipError_tPvRmT2_T3_mT4_T5_T6_T7_T8_P12ihipStream_tbENKUlT_T0_E_clISt17integral_constantIbLb0EESZ_EEDaSU_SV_EUlSU_E_NS1_11comp_targetILNS1_3genE3ELNS1_11target_archE908ELNS1_3gpuE7ELNS1_3repE0EEENS1_30default_config_static_selectorELNS0_4arch9wavefront6targetE0EEEvT1_.private_seg_size, 0
	.set _ZN7rocprim17ROCPRIM_400000_NS6detail17trampoline_kernelINS0_14default_configENS1_33run_length_encode_config_selectorIijNS0_4plusIjEEEEZZNS1_33reduce_by_key_impl_wrapped_configILNS1_25lookback_scan_determinismE0ES3_S7_PKiNS0_17constant_iteratorIjlEEPiPlSF_S6_NS0_8equal_toIiEEEE10hipError_tPvRmT2_T3_mT4_T5_T6_T7_T8_P12ihipStream_tbENKUlT_T0_E_clISt17integral_constantIbLb0EESZ_EEDaSU_SV_EUlSU_E_NS1_11comp_targetILNS1_3genE3ELNS1_11target_archE908ELNS1_3gpuE7ELNS1_3repE0EEENS1_30default_config_static_selectorELNS0_4arch9wavefront6targetE0EEEvT1_.uses_vcc, 0
	.set _ZN7rocprim17ROCPRIM_400000_NS6detail17trampoline_kernelINS0_14default_configENS1_33run_length_encode_config_selectorIijNS0_4plusIjEEEEZZNS1_33reduce_by_key_impl_wrapped_configILNS1_25lookback_scan_determinismE0ES3_S7_PKiNS0_17constant_iteratorIjlEEPiPlSF_S6_NS0_8equal_toIiEEEE10hipError_tPvRmT2_T3_mT4_T5_T6_T7_T8_P12ihipStream_tbENKUlT_T0_E_clISt17integral_constantIbLb0EESZ_EEDaSU_SV_EUlSU_E_NS1_11comp_targetILNS1_3genE3ELNS1_11target_archE908ELNS1_3gpuE7ELNS1_3repE0EEENS1_30default_config_static_selectorELNS0_4arch9wavefront6targetE0EEEvT1_.uses_flat_scratch, 0
	.set _ZN7rocprim17ROCPRIM_400000_NS6detail17trampoline_kernelINS0_14default_configENS1_33run_length_encode_config_selectorIijNS0_4plusIjEEEEZZNS1_33reduce_by_key_impl_wrapped_configILNS1_25lookback_scan_determinismE0ES3_S7_PKiNS0_17constant_iteratorIjlEEPiPlSF_S6_NS0_8equal_toIiEEEE10hipError_tPvRmT2_T3_mT4_T5_T6_T7_T8_P12ihipStream_tbENKUlT_T0_E_clISt17integral_constantIbLb0EESZ_EEDaSU_SV_EUlSU_E_NS1_11comp_targetILNS1_3genE3ELNS1_11target_archE908ELNS1_3gpuE7ELNS1_3repE0EEENS1_30default_config_static_selectorELNS0_4arch9wavefront6targetE0EEEvT1_.has_dyn_sized_stack, 0
	.set _ZN7rocprim17ROCPRIM_400000_NS6detail17trampoline_kernelINS0_14default_configENS1_33run_length_encode_config_selectorIijNS0_4plusIjEEEEZZNS1_33reduce_by_key_impl_wrapped_configILNS1_25lookback_scan_determinismE0ES3_S7_PKiNS0_17constant_iteratorIjlEEPiPlSF_S6_NS0_8equal_toIiEEEE10hipError_tPvRmT2_T3_mT4_T5_T6_T7_T8_P12ihipStream_tbENKUlT_T0_E_clISt17integral_constantIbLb0EESZ_EEDaSU_SV_EUlSU_E_NS1_11comp_targetILNS1_3genE3ELNS1_11target_archE908ELNS1_3gpuE7ELNS1_3repE0EEENS1_30default_config_static_selectorELNS0_4arch9wavefront6targetE0EEEvT1_.has_recursion, 0
	.set _ZN7rocprim17ROCPRIM_400000_NS6detail17trampoline_kernelINS0_14default_configENS1_33run_length_encode_config_selectorIijNS0_4plusIjEEEEZZNS1_33reduce_by_key_impl_wrapped_configILNS1_25lookback_scan_determinismE0ES3_S7_PKiNS0_17constant_iteratorIjlEEPiPlSF_S6_NS0_8equal_toIiEEEE10hipError_tPvRmT2_T3_mT4_T5_T6_T7_T8_P12ihipStream_tbENKUlT_T0_E_clISt17integral_constantIbLb0EESZ_EEDaSU_SV_EUlSU_E_NS1_11comp_targetILNS1_3genE3ELNS1_11target_archE908ELNS1_3gpuE7ELNS1_3repE0EEENS1_30default_config_static_selectorELNS0_4arch9wavefront6targetE0EEEvT1_.has_indirect_call, 0
	.section	.AMDGPU.csdata,"",@progbits
; Kernel info:
; codeLenInByte = 0
; TotalNumSgprs: 0
; NumVgprs: 0
; ScratchSize: 0
; MemoryBound: 0
; FloatMode: 240
; IeeeMode: 1
; LDSByteSize: 0 bytes/workgroup (compile time only)
; SGPRBlocks: 0
; VGPRBlocks: 0
; NumSGPRsForWavesPerEU: 1
; NumVGPRsForWavesPerEU: 1
; NamedBarCnt: 0
; Occupancy: 16
; WaveLimiterHint : 0
; COMPUTE_PGM_RSRC2:SCRATCH_EN: 0
; COMPUTE_PGM_RSRC2:USER_SGPR: 2
; COMPUTE_PGM_RSRC2:TRAP_HANDLER: 0
; COMPUTE_PGM_RSRC2:TGID_X_EN: 1
; COMPUTE_PGM_RSRC2:TGID_Y_EN: 0
; COMPUTE_PGM_RSRC2:TGID_Z_EN: 0
; COMPUTE_PGM_RSRC2:TIDIG_COMP_CNT: 0
	.section	.text._ZN7rocprim17ROCPRIM_400000_NS6detail17trampoline_kernelINS0_14default_configENS1_33run_length_encode_config_selectorIijNS0_4plusIjEEEEZZNS1_33reduce_by_key_impl_wrapped_configILNS1_25lookback_scan_determinismE0ES3_S7_PKiNS0_17constant_iteratorIjlEEPiPlSF_S6_NS0_8equal_toIiEEEE10hipError_tPvRmT2_T3_mT4_T5_T6_T7_T8_P12ihipStream_tbENKUlT_T0_E_clISt17integral_constantIbLb0EESZ_EEDaSU_SV_EUlSU_E_NS1_11comp_targetILNS1_3genE2ELNS1_11target_archE906ELNS1_3gpuE6ELNS1_3repE0EEENS1_30default_config_static_selectorELNS0_4arch9wavefront6targetE0EEEvT1_,"axG",@progbits,_ZN7rocprim17ROCPRIM_400000_NS6detail17trampoline_kernelINS0_14default_configENS1_33run_length_encode_config_selectorIijNS0_4plusIjEEEEZZNS1_33reduce_by_key_impl_wrapped_configILNS1_25lookback_scan_determinismE0ES3_S7_PKiNS0_17constant_iteratorIjlEEPiPlSF_S6_NS0_8equal_toIiEEEE10hipError_tPvRmT2_T3_mT4_T5_T6_T7_T8_P12ihipStream_tbENKUlT_T0_E_clISt17integral_constantIbLb0EESZ_EEDaSU_SV_EUlSU_E_NS1_11comp_targetILNS1_3genE2ELNS1_11target_archE906ELNS1_3gpuE6ELNS1_3repE0EEENS1_30default_config_static_selectorELNS0_4arch9wavefront6targetE0EEEvT1_,comdat
	.protected	_ZN7rocprim17ROCPRIM_400000_NS6detail17trampoline_kernelINS0_14default_configENS1_33run_length_encode_config_selectorIijNS0_4plusIjEEEEZZNS1_33reduce_by_key_impl_wrapped_configILNS1_25lookback_scan_determinismE0ES3_S7_PKiNS0_17constant_iteratorIjlEEPiPlSF_S6_NS0_8equal_toIiEEEE10hipError_tPvRmT2_T3_mT4_T5_T6_T7_T8_P12ihipStream_tbENKUlT_T0_E_clISt17integral_constantIbLb0EESZ_EEDaSU_SV_EUlSU_E_NS1_11comp_targetILNS1_3genE2ELNS1_11target_archE906ELNS1_3gpuE6ELNS1_3repE0EEENS1_30default_config_static_selectorELNS0_4arch9wavefront6targetE0EEEvT1_ ; -- Begin function _ZN7rocprim17ROCPRIM_400000_NS6detail17trampoline_kernelINS0_14default_configENS1_33run_length_encode_config_selectorIijNS0_4plusIjEEEEZZNS1_33reduce_by_key_impl_wrapped_configILNS1_25lookback_scan_determinismE0ES3_S7_PKiNS0_17constant_iteratorIjlEEPiPlSF_S6_NS0_8equal_toIiEEEE10hipError_tPvRmT2_T3_mT4_T5_T6_T7_T8_P12ihipStream_tbENKUlT_T0_E_clISt17integral_constantIbLb0EESZ_EEDaSU_SV_EUlSU_E_NS1_11comp_targetILNS1_3genE2ELNS1_11target_archE906ELNS1_3gpuE6ELNS1_3repE0EEENS1_30default_config_static_selectorELNS0_4arch9wavefront6targetE0EEEvT1_
	.globl	_ZN7rocprim17ROCPRIM_400000_NS6detail17trampoline_kernelINS0_14default_configENS1_33run_length_encode_config_selectorIijNS0_4plusIjEEEEZZNS1_33reduce_by_key_impl_wrapped_configILNS1_25lookback_scan_determinismE0ES3_S7_PKiNS0_17constant_iteratorIjlEEPiPlSF_S6_NS0_8equal_toIiEEEE10hipError_tPvRmT2_T3_mT4_T5_T6_T7_T8_P12ihipStream_tbENKUlT_T0_E_clISt17integral_constantIbLb0EESZ_EEDaSU_SV_EUlSU_E_NS1_11comp_targetILNS1_3genE2ELNS1_11target_archE906ELNS1_3gpuE6ELNS1_3repE0EEENS1_30default_config_static_selectorELNS0_4arch9wavefront6targetE0EEEvT1_
	.p2align	8
	.type	_ZN7rocprim17ROCPRIM_400000_NS6detail17trampoline_kernelINS0_14default_configENS1_33run_length_encode_config_selectorIijNS0_4plusIjEEEEZZNS1_33reduce_by_key_impl_wrapped_configILNS1_25lookback_scan_determinismE0ES3_S7_PKiNS0_17constant_iteratorIjlEEPiPlSF_S6_NS0_8equal_toIiEEEE10hipError_tPvRmT2_T3_mT4_T5_T6_T7_T8_P12ihipStream_tbENKUlT_T0_E_clISt17integral_constantIbLb0EESZ_EEDaSU_SV_EUlSU_E_NS1_11comp_targetILNS1_3genE2ELNS1_11target_archE906ELNS1_3gpuE6ELNS1_3repE0EEENS1_30default_config_static_selectorELNS0_4arch9wavefront6targetE0EEEvT1_,@function
_ZN7rocprim17ROCPRIM_400000_NS6detail17trampoline_kernelINS0_14default_configENS1_33run_length_encode_config_selectorIijNS0_4plusIjEEEEZZNS1_33reduce_by_key_impl_wrapped_configILNS1_25lookback_scan_determinismE0ES3_S7_PKiNS0_17constant_iteratorIjlEEPiPlSF_S6_NS0_8equal_toIiEEEE10hipError_tPvRmT2_T3_mT4_T5_T6_T7_T8_P12ihipStream_tbENKUlT_T0_E_clISt17integral_constantIbLb0EESZ_EEDaSU_SV_EUlSU_E_NS1_11comp_targetILNS1_3genE2ELNS1_11target_archE906ELNS1_3gpuE6ELNS1_3repE0EEENS1_30default_config_static_selectorELNS0_4arch9wavefront6targetE0EEEvT1_: ; @_ZN7rocprim17ROCPRIM_400000_NS6detail17trampoline_kernelINS0_14default_configENS1_33run_length_encode_config_selectorIijNS0_4plusIjEEEEZZNS1_33reduce_by_key_impl_wrapped_configILNS1_25lookback_scan_determinismE0ES3_S7_PKiNS0_17constant_iteratorIjlEEPiPlSF_S6_NS0_8equal_toIiEEEE10hipError_tPvRmT2_T3_mT4_T5_T6_T7_T8_P12ihipStream_tbENKUlT_T0_E_clISt17integral_constantIbLb0EESZ_EEDaSU_SV_EUlSU_E_NS1_11comp_targetILNS1_3genE2ELNS1_11target_archE906ELNS1_3gpuE6ELNS1_3repE0EEENS1_30default_config_static_selectorELNS0_4arch9wavefront6targetE0EEEvT1_
; %bb.0:
	.section	.rodata,"a",@progbits
	.p2align	6, 0x0
	.amdhsa_kernel _ZN7rocprim17ROCPRIM_400000_NS6detail17trampoline_kernelINS0_14default_configENS1_33run_length_encode_config_selectorIijNS0_4plusIjEEEEZZNS1_33reduce_by_key_impl_wrapped_configILNS1_25lookback_scan_determinismE0ES3_S7_PKiNS0_17constant_iteratorIjlEEPiPlSF_S6_NS0_8equal_toIiEEEE10hipError_tPvRmT2_T3_mT4_T5_T6_T7_T8_P12ihipStream_tbENKUlT_T0_E_clISt17integral_constantIbLb0EESZ_EEDaSU_SV_EUlSU_E_NS1_11comp_targetILNS1_3genE2ELNS1_11target_archE906ELNS1_3gpuE6ELNS1_3repE0EEENS1_30default_config_static_selectorELNS0_4arch9wavefront6targetE0EEEvT1_
		.amdhsa_group_segment_fixed_size 0
		.amdhsa_private_segment_fixed_size 0
		.amdhsa_kernarg_size 128
		.amdhsa_user_sgpr_count 2
		.amdhsa_user_sgpr_dispatch_ptr 0
		.amdhsa_user_sgpr_queue_ptr 0
		.amdhsa_user_sgpr_kernarg_segment_ptr 1
		.amdhsa_user_sgpr_dispatch_id 0
		.amdhsa_user_sgpr_kernarg_preload_length 0
		.amdhsa_user_sgpr_kernarg_preload_offset 0
		.amdhsa_user_sgpr_private_segment_size 0
		.amdhsa_wavefront_size32 1
		.amdhsa_uses_dynamic_stack 0
		.amdhsa_enable_private_segment 0
		.amdhsa_system_sgpr_workgroup_id_x 1
		.amdhsa_system_sgpr_workgroup_id_y 0
		.amdhsa_system_sgpr_workgroup_id_z 0
		.amdhsa_system_sgpr_workgroup_info 0
		.amdhsa_system_vgpr_workitem_id 0
		.amdhsa_next_free_vgpr 1
		.amdhsa_next_free_sgpr 1
		.amdhsa_named_barrier_count 0
		.amdhsa_reserve_vcc 0
		.amdhsa_float_round_mode_32 0
		.amdhsa_float_round_mode_16_64 0
		.amdhsa_float_denorm_mode_32 3
		.amdhsa_float_denorm_mode_16_64 3
		.amdhsa_fp16_overflow 0
		.amdhsa_memory_ordered 1
		.amdhsa_forward_progress 1
		.amdhsa_inst_pref_size 0
		.amdhsa_round_robin_scheduling 0
		.amdhsa_exception_fp_ieee_invalid_op 0
		.amdhsa_exception_fp_denorm_src 0
		.amdhsa_exception_fp_ieee_div_zero 0
		.amdhsa_exception_fp_ieee_overflow 0
		.amdhsa_exception_fp_ieee_underflow 0
		.amdhsa_exception_fp_ieee_inexact 0
		.amdhsa_exception_int_div_zero 0
	.end_amdhsa_kernel
	.section	.text._ZN7rocprim17ROCPRIM_400000_NS6detail17trampoline_kernelINS0_14default_configENS1_33run_length_encode_config_selectorIijNS0_4plusIjEEEEZZNS1_33reduce_by_key_impl_wrapped_configILNS1_25lookback_scan_determinismE0ES3_S7_PKiNS0_17constant_iteratorIjlEEPiPlSF_S6_NS0_8equal_toIiEEEE10hipError_tPvRmT2_T3_mT4_T5_T6_T7_T8_P12ihipStream_tbENKUlT_T0_E_clISt17integral_constantIbLb0EESZ_EEDaSU_SV_EUlSU_E_NS1_11comp_targetILNS1_3genE2ELNS1_11target_archE906ELNS1_3gpuE6ELNS1_3repE0EEENS1_30default_config_static_selectorELNS0_4arch9wavefront6targetE0EEEvT1_,"axG",@progbits,_ZN7rocprim17ROCPRIM_400000_NS6detail17trampoline_kernelINS0_14default_configENS1_33run_length_encode_config_selectorIijNS0_4plusIjEEEEZZNS1_33reduce_by_key_impl_wrapped_configILNS1_25lookback_scan_determinismE0ES3_S7_PKiNS0_17constant_iteratorIjlEEPiPlSF_S6_NS0_8equal_toIiEEEE10hipError_tPvRmT2_T3_mT4_T5_T6_T7_T8_P12ihipStream_tbENKUlT_T0_E_clISt17integral_constantIbLb0EESZ_EEDaSU_SV_EUlSU_E_NS1_11comp_targetILNS1_3genE2ELNS1_11target_archE906ELNS1_3gpuE6ELNS1_3repE0EEENS1_30default_config_static_selectorELNS0_4arch9wavefront6targetE0EEEvT1_,comdat
.Lfunc_end446:
	.size	_ZN7rocprim17ROCPRIM_400000_NS6detail17trampoline_kernelINS0_14default_configENS1_33run_length_encode_config_selectorIijNS0_4plusIjEEEEZZNS1_33reduce_by_key_impl_wrapped_configILNS1_25lookback_scan_determinismE0ES3_S7_PKiNS0_17constant_iteratorIjlEEPiPlSF_S6_NS0_8equal_toIiEEEE10hipError_tPvRmT2_T3_mT4_T5_T6_T7_T8_P12ihipStream_tbENKUlT_T0_E_clISt17integral_constantIbLb0EESZ_EEDaSU_SV_EUlSU_E_NS1_11comp_targetILNS1_3genE2ELNS1_11target_archE906ELNS1_3gpuE6ELNS1_3repE0EEENS1_30default_config_static_selectorELNS0_4arch9wavefront6targetE0EEEvT1_, .Lfunc_end446-_ZN7rocprim17ROCPRIM_400000_NS6detail17trampoline_kernelINS0_14default_configENS1_33run_length_encode_config_selectorIijNS0_4plusIjEEEEZZNS1_33reduce_by_key_impl_wrapped_configILNS1_25lookback_scan_determinismE0ES3_S7_PKiNS0_17constant_iteratorIjlEEPiPlSF_S6_NS0_8equal_toIiEEEE10hipError_tPvRmT2_T3_mT4_T5_T6_T7_T8_P12ihipStream_tbENKUlT_T0_E_clISt17integral_constantIbLb0EESZ_EEDaSU_SV_EUlSU_E_NS1_11comp_targetILNS1_3genE2ELNS1_11target_archE906ELNS1_3gpuE6ELNS1_3repE0EEENS1_30default_config_static_selectorELNS0_4arch9wavefront6targetE0EEEvT1_
                                        ; -- End function
	.set _ZN7rocprim17ROCPRIM_400000_NS6detail17trampoline_kernelINS0_14default_configENS1_33run_length_encode_config_selectorIijNS0_4plusIjEEEEZZNS1_33reduce_by_key_impl_wrapped_configILNS1_25lookback_scan_determinismE0ES3_S7_PKiNS0_17constant_iteratorIjlEEPiPlSF_S6_NS0_8equal_toIiEEEE10hipError_tPvRmT2_T3_mT4_T5_T6_T7_T8_P12ihipStream_tbENKUlT_T0_E_clISt17integral_constantIbLb0EESZ_EEDaSU_SV_EUlSU_E_NS1_11comp_targetILNS1_3genE2ELNS1_11target_archE906ELNS1_3gpuE6ELNS1_3repE0EEENS1_30default_config_static_selectorELNS0_4arch9wavefront6targetE0EEEvT1_.num_vgpr, 0
	.set _ZN7rocprim17ROCPRIM_400000_NS6detail17trampoline_kernelINS0_14default_configENS1_33run_length_encode_config_selectorIijNS0_4plusIjEEEEZZNS1_33reduce_by_key_impl_wrapped_configILNS1_25lookback_scan_determinismE0ES3_S7_PKiNS0_17constant_iteratorIjlEEPiPlSF_S6_NS0_8equal_toIiEEEE10hipError_tPvRmT2_T3_mT4_T5_T6_T7_T8_P12ihipStream_tbENKUlT_T0_E_clISt17integral_constantIbLb0EESZ_EEDaSU_SV_EUlSU_E_NS1_11comp_targetILNS1_3genE2ELNS1_11target_archE906ELNS1_3gpuE6ELNS1_3repE0EEENS1_30default_config_static_selectorELNS0_4arch9wavefront6targetE0EEEvT1_.num_agpr, 0
	.set _ZN7rocprim17ROCPRIM_400000_NS6detail17trampoline_kernelINS0_14default_configENS1_33run_length_encode_config_selectorIijNS0_4plusIjEEEEZZNS1_33reduce_by_key_impl_wrapped_configILNS1_25lookback_scan_determinismE0ES3_S7_PKiNS0_17constant_iteratorIjlEEPiPlSF_S6_NS0_8equal_toIiEEEE10hipError_tPvRmT2_T3_mT4_T5_T6_T7_T8_P12ihipStream_tbENKUlT_T0_E_clISt17integral_constantIbLb0EESZ_EEDaSU_SV_EUlSU_E_NS1_11comp_targetILNS1_3genE2ELNS1_11target_archE906ELNS1_3gpuE6ELNS1_3repE0EEENS1_30default_config_static_selectorELNS0_4arch9wavefront6targetE0EEEvT1_.numbered_sgpr, 0
	.set _ZN7rocprim17ROCPRIM_400000_NS6detail17trampoline_kernelINS0_14default_configENS1_33run_length_encode_config_selectorIijNS0_4plusIjEEEEZZNS1_33reduce_by_key_impl_wrapped_configILNS1_25lookback_scan_determinismE0ES3_S7_PKiNS0_17constant_iteratorIjlEEPiPlSF_S6_NS0_8equal_toIiEEEE10hipError_tPvRmT2_T3_mT4_T5_T6_T7_T8_P12ihipStream_tbENKUlT_T0_E_clISt17integral_constantIbLb0EESZ_EEDaSU_SV_EUlSU_E_NS1_11comp_targetILNS1_3genE2ELNS1_11target_archE906ELNS1_3gpuE6ELNS1_3repE0EEENS1_30default_config_static_selectorELNS0_4arch9wavefront6targetE0EEEvT1_.num_named_barrier, 0
	.set _ZN7rocprim17ROCPRIM_400000_NS6detail17trampoline_kernelINS0_14default_configENS1_33run_length_encode_config_selectorIijNS0_4plusIjEEEEZZNS1_33reduce_by_key_impl_wrapped_configILNS1_25lookback_scan_determinismE0ES3_S7_PKiNS0_17constant_iteratorIjlEEPiPlSF_S6_NS0_8equal_toIiEEEE10hipError_tPvRmT2_T3_mT4_T5_T6_T7_T8_P12ihipStream_tbENKUlT_T0_E_clISt17integral_constantIbLb0EESZ_EEDaSU_SV_EUlSU_E_NS1_11comp_targetILNS1_3genE2ELNS1_11target_archE906ELNS1_3gpuE6ELNS1_3repE0EEENS1_30default_config_static_selectorELNS0_4arch9wavefront6targetE0EEEvT1_.private_seg_size, 0
	.set _ZN7rocprim17ROCPRIM_400000_NS6detail17trampoline_kernelINS0_14default_configENS1_33run_length_encode_config_selectorIijNS0_4plusIjEEEEZZNS1_33reduce_by_key_impl_wrapped_configILNS1_25lookback_scan_determinismE0ES3_S7_PKiNS0_17constant_iteratorIjlEEPiPlSF_S6_NS0_8equal_toIiEEEE10hipError_tPvRmT2_T3_mT4_T5_T6_T7_T8_P12ihipStream_tbENKUlT_T0_E_clISt17integral_constantIbLb0EESZ_EEDaSU_SV_EUlSU_E_NS1_11comp_targetILNS1_3genE2ELNS1_11target_archE906ELNS1_3gpuE6ELNS1_3repE0EEENS1_30default_config_static_selectorELNS0_4arch9wavefront6targetE0EEEvT1_.uses_vcc, 0
	.set _ZN7rocprim17ROCPRIM_400000_NS6detail17trampoline_kernelINS0_14default_configENS1_33run_length_encode_config_selectorIijNS0_4plusIjEEEEZZNS1_33reduce_by_key_impl_wrapped_configILNS1_25lookback_scan_determinismE0ES3_S7_PKiNS0_17constant_iteratorIjlEEPiPlSF_S6_NS0_8equal_toIiEEEE10hipError_tPvRmT2_T3_mT4_T5_T6_T7_T8_P12ihipStream_tbENKUlT_T0_E_clISt17integral_constantIbLb0EESZ_EEDaSU_SV_EUlSU_E_NS1_11comp_targetILNS1_3genE2ELNS1_11target_archE906ELNS1_3gpuE6ELNS1_3repE0EEENS1_30default_config_static_selectorELNS0_4arch9wavefront6targetE0EEEvT1_.uses_flat_scratch, 0
	.set _ZN7rocprim17ROCPRIM_400000_NS6detail17trampoline_kernelINS0_14default_configENS1_33run_length_encode_config_selectorIijNS0_4plusIjEEEEZZNS1_33reduce_by_key_impl_wrapped_configILNS1_25lookback_scan_determinismE0ES3_S7_PKiNS0_17constant_iteratorIjlEEPiPlSF_S6_NS0_8equal_toIiEEEE10hipError_tPvRmT2_T3_mT4_T5_T6_T7_T8_P12ihipStream_tbENKUlT_T0_E_clISt17integral_constantIbLb0EESZ_EEDaSU_SV_EUlSU_E_NS1_11comp_targetILNS1_3genE2ELNS1_11target_archE906ELNS1_3gpuE6ELNS1_3repE0EEENS1_30default_config_static_selectorELNS0_4arch9wavefront6targetE0EEEvT1_.has_dyn_sized_stack, 0
	.set _ZN7rocprim17ROCPRIM_400000_NS6detail17trampoline_kernelINS0_14default_configENS1_33run_length_encode_config_selectorIijNS0_4plusIjEEEEZZNS1_33reduce_by_key_impl_wrapped_configILNS1_25lookback_scan_determinismE0ES3_S7_PKiNS0_17constant_iteratorIjlEEPiPlSF_S6_NS0_8equal_toIiEEEE10hipError_tPvRmT2_T3_mT4_T5_T6_T7_T8_P12ihipStream_tbENKUlT_T0_E_clISt17integral_constantIbLb0EESZ_EEDaSU_SV_EUlSU_E_NS1_11comp_targetILNS1_3genE2ELNS1_11target_archE906ELNS1_3gpuE6ELNS1_3repE0EEENS1_30default_config_static_selectorELNS0_4arch9wavefront6targetE0EEEvT1_.has_recursion, 0
	.set _ZN7rocprim17ROCPRIM_400000_NS6detail17trampoline_kernelINS0_14default_configENS1_33run_length_encode_config_selectorIijNS0_4plusIjEEEEZZNS1_33reduce_by_key_impl_wrapped_configILNS1_25lookback_scan_determinismE0ES3_S7_PKiNS0_17constant_iteratorIjlEEPiPlSF_S6_NS0_8equal_toIiEEEE10hipError_tPvRmT2_T3_mT4_T5_T6_T7_T8_P12ihipStream_tbENKUlT_T0_E_clISt17integral_constantIbLb0EESZ_EEDaSU_SV_EUlSU_E_NS1_11comp_targetILNS1_3genE2ELNS1_11target_archE906ELNS1_3gpuE6ELNS1_3repE0EEENS1_30default_config_static_selectorELNS0_4arch9wavefront6targetE0EEEvT1_.has_indirect_call, 0
	.section	.AMDGPU.csdata,"",@progbits
; Kernel info:
; codeLenInByte = 0
; TotalNumSgprs: 0
; NumVgprs: 0
; ScratchSize: 0
; MemoryBound: 0
; FloatMode: 240
; IeeeMode: 1
; LDSByteSize: 0 bytes/workgroup (compile time only)
; SGPRBlocks: 0
; VGPRBlocks: 0
; NumSGPRsForWavesPerEU: 1
; NumVGPRsForWavesPerEU: 1
; NamedBarCnt: 0
; Occupancy: 16
; WaveLimiterHint : 0
; COMPUTE_PGM_RSRC2:SCRATCH_EN: 0
; COMPUTE_PGM_RSRC2:USER_SGPR: 2
; COMPUTE_PGM_RSRC2:TRAP_HANDLER: 0
; COMPUTE_PGM_RSRC2:TGID_X_EN: 1
; COMPUTE_PGM_RSRC2:TGID_Y_EN: 0
; COMPUTE_PGM_RSRC2:TGID_Z_EN: 0
; COMPUTE_PGM_RSRC2:TIDIG_COMP_CNT: 0
	.section	.text._ZN7rocprim17ROCPRIM_400000_NS6detail17trampoline_kernelINS0_14default_configENS1_33run_length_encode_config_selectorIijNS0_4plusIjEEEEZZNS1_33reduce_by_key_impl_wrapped_configILNS1_25lookback_scan_determinismE0ES3_S7_PKiNS0_17constant_iteratorIjlEEPiPlSF_S6_NS0_8equal_toIiEEEE10hipError_tPvRmT2_T3_mT4_T5_T6_T7_T8_P12ihipStream_tbENKUlT_T0_E_clISt17integral_constantIbLb0EESZ_EEDaSU_SV_EUlSU_E_NS1_11comp_targetILNS1_3genE10ELNS1_11target_archE1201ELNS1_3gpuE5ELNS1_3repE0EEENS1_30default_config_static_selectorELNS0_4arch9wavefront6targetE0EEEvT1_,"axG",@progbits,_ZN7rocprim17ROCPRIM_400000_NS6detail17trampoline_kernelINS0_14default_configENS1_33run_length_encode_config_selectorIijNS0_4plusIjEEEEZZNS1_33reduce_by_key_impl_wrapped_configILNS1_25lookback_scan_determinismE0ES3_S7_PKiNS0_17constant_iteratorIjlEEPiPlSF_S6_NS0_8equal_toIiEEEE10hipError_tPvRmT2_T3_mT4_T5_T6_T7_T8_P12ihipStream_tbENKUlT_T0_E_clISt17integral_constantIbLb0EESZ_EEDaSU_SV_EUlSU_E_NS1_11comp_targetILNS1_3genE10ELNS1_11target_archE1201ELNS1_3gpuE5ELNS1_3repE0EEENS1_30default_config_static_selectorELNS0_4arch9wavefront6targetE0EEEvT1_,comdat
	.protected	_ZN7rocprim17ROCPRIM_400000_NS6detail17trampoline_kernelINS0_14default_configENS1_33run_length_encode_config_selectorIijNS0_4plusIjEEEEZZNS1_33reduce_by_key_impl_wrapped_configILNS1_25lookback_scan_determinismE0ES3_S7_PKiNS0_17constant_iteratorIjlEEPiPlSF_S6_NS0_8equal_toIiEEEE10hipError_tPvRmT2_T3_mT4_T5_T6_T7_T8_P12ihipStream_tbENKUlT_T0_E_clISt17integral_constantIbLb0EESZ_EEDaSU_SV_EUlSU_E_NS1_11comp_targetILNS1_3genE10ELNS1_11target_archE1201ELNS1_3gpuE5ELNS1_3repE0EEENS1_30default_config_static_selectorELNS0_4arch9wavefront6targetE0EEEvT1_ ; -- Begin function _ZN7rocprim17ROCPRIM_400000_NS6detail17trampoline_kernelINS0_14default_configENS1_33run_length_encode_config_selectorIijNS0_4plusIjEEEEZZNS1_33reduce_by_key_impl_wrapped_configILNS1_25lookback_scan_determinismE0ES3_S7_PKiNS0_17constant_iteratorIjlEEPiPlSF_S6_NS0_8equal_toIiEEEE10hipError_tPvRmT2_T3_mT4_T5_T6_T7_T8_P12ihipStream_tbENKUlT_T0_E_clISt17integral_constantIbLb0EESZ_EEDaSU_SV_EUlSU_E_NS1_11comp_targetILNS1_3genE10ELNS1_11target_archE1201ELNS1_3gpuE5ELNS1_3repE0EEENS1_30default_config_static_selectorELNS0_4arch9wavefront6targetE0EEEvT1_
	.globl	_ZN7rocprim17ROCPRIM_400000_NS6detail17trampoline_kernelINS0_14default_configENS1_33run_length_encode_config_selectorIijNS0_4plusIjEEEEZZNS1_33reduce_by_key_impl_wrapped_configILNS1_25lookback_scan_determinismE0ES3_S7_PKiNS0_17constant_iteratorIjlEEPiPlSF_S6_NS0_8equal_toIiEEEE10hipError_tPvRmT2_T3_mT4_T5_T6_T7_T8_P12ihipStream_tbENKUlT_T0_E_clISt17integral_constantIbLb0EESZ_EEDaSU_SV_EUlSU_E_NS1_11comp_targetILNS1_3genE10ELNS1_11target_archE1201ELNS1_3gpuE5ELNS1_3repE0EEENS1_30default_config_static_selectorELNS0_4arch9wavefront6targetE0EEEvT1_
	.p2align	8
	.type	_ZN7rocprim17ROCPRIM_400000_NS6detail17trampoline_kernelINS0_14default_configENS1_33run_length_encode_config_selectorIijNS0_4plusIjEEEEZZNS1_33reduce_by_key_impl_wrapped_configILNS1_25lookback_scan_determinismE0ES3_S7_PKiNS0_17constant_iteratorIjlEEPiPlSF_S6_NS0_8equal_toIiEEEE10hipError_tPvRmT2_T3_mT4_T5_T6_T7_T8_P12ihipStream_tbENKUlT_T0_E_clISt17integral_constantIbLb0EESZ_EEDaSU_SV_EUlSU_E_NS1_11comp_targetILNS1_3genE10ELNS1_11target_archE1201ELNS1_3gpuE5ELNS1_3repE0EEENS1_30default_config_static_selectorELNS0_4arch9wavefront6targetE0EEEvT1_,@function
_ZN7rocprim17ROCPRIM_400000_NS6detail17trampoline_kernelINS0_14default_configENS1_33run_length_encode_config_selectorIijNS0_4plusIjEEEEZZNS1_33reduce_by_key_impl_wrapped_configILNS1_25lookback_scan_determinismE0ES3_S7_PKiNS0_17constant_iteratorIjlEEPiPlSF_S6_NS0_8equal_toIiEEEE10hipError_tPvRmT2_T3_mT4_T5_T6_T7_T8_P12ihipStream_tbENKUlT_T0_E_clISt17integral_constantIbLb0EESZ_EEDaSU_SV_EUlSU_E_NS1_11comp_targetILNS1_3genE10ELNS1_11target_archE1201ELNS1_3gpuE5ELNS1_3repE0EEENS1_30default_config_static_selectorELNS0_4arch9wavefront6targetE0EEEvT1_: ; @_ZN7rocprim17ROCPRIM_400000_NS6detail17trampoline_kernelINS0_14default_configENS1_33run_length_encode_config_selectorIijNS0_4plusIjEEEEZZNS1_33reduce_by_key_impl_wrapped_configILNS1_25lookback_scan_determinismE0ES3_S7_PKiNS0_17constant_iteratorIjlEEPiPlSF_S6_NS0_8equal_toIiEEEE10hipError_tPvRmT2_T3_mT4_T5_T6_T7_T8_P12ihipStream_tbENKUlT_T0_E_clISt17integral_constantIbLb0EESZ_EEDaSU_SV_EUlSU_E_NS1_11comp_targetILNS1_3genE10ELNS1_11target_archE1201ELNS1_3gpuE5ELNS1_3repE0EEENS1_30default_config_static_selectorELNS0_4arch9wavefront6targetE0EEEvT1_
; %bb.0:
	.section	.rodata,"a",@progbits
	.p2align	6, 0x0
	.amdhsa_kernel _ZN7rocprim17ROCPRIM_400000_NS6detail17trampoline_kernelINS0_14default_configENS1_33run_length_encode_config_selectorIijNS0_4plusIjEEEEZZNS1_33reduce_by_key_impl_wrapped_configILNS1_25lookback_scan_determinismE0ES3_S7_PKiNS0_17constant_iteratorIjlEEPiPlSF_S6_NS0_8equal_toIiEEEE10hipError_tPvRmT2_T3_mT4_T5_T6_T7_T8_P12ihipStream_tbENKUlT_T0_E_clISt17integral_constantIbLb0EESZ_EEDaSU_SV_EUlSU_E_NS1_11comp_targetILNS1_3genE10ELNS1_11target_archE1201ELNS1_3gpuE5ELNS1_3repE0EEENS1_30default_config_static_selectorELNS0_4arch9wavefront6targetE0EEEvT1_
		.amdhsa_group_segment_fixed_size 0
		.amdhsa_private_segment_fixed_size 0
		.amdhsa_kernarg_size 128
		.amdhsa_user_sgpr_count 2
		.amdhsa_user_sgpr_dispatch_ptr 0
		.amdhsa_user_sgpr_queue_ptr 0
		.amdhsa_user_sgpr_kernarg_segment_ptr 1
		.amdhsa_user_sgpr_dispatch_id 0
		.amdhsa_user_sgpr_kernarg_preload_length 0
		.amdhsa_user_sgpr_kernarg_preload_offset 0
		.amdhsa_user_sgpr_private_segment_size 0
		.amdhsa_wavefront_size32 1
		.amdhsa_uses_dynamic_stack 0
		.amdhsa_enable_private_segment 0
		.amdhsa_system_sgpr_workgroup_id_x 1
		.amdhsa_system_sgpr_workgroup_id_y 0
		.amdhsa_system_sgpr_workgroup_id_z 0
		.amdhsa_system_sgpr_workgroup_info 0
		.amdhsa_system_vgpr_workitem_id 0
		.amdhsa_next_free_vgpr 1
		.amdhsa_next_free_sgpr 1
		.amdhsa_named_barrier_count 0
		.amdhsa_reserve_vcc 0
		.amdhsa_float_round_mode_32 0
		.amdhsa_float_round_mode_16_64 0
		.amdhsa_float_denorm_mode_32 3
		.amdhsa_float_denorm_mode_16_64 3
		.amdhsa_fp16_overflow 0
		.amdhsa_memory_ordered 1
		.amdhsa_forward_progress 1
		.amdhsa_inst_pref_size 0
		.amdhsa_round_robin_scheduling 0
		.amdhsa_exception_fp_ieee_invalid_op 0
		.amdhsa_exception_fp_denorm_src 0
		.amdhsa_exception_fp_ieee_div_zero 0
		.amdhsa_exception_fp_ieee_overflow 0
		.amdhsa_exception_fp_ieee_underflow 0
		.amdhsa_exception_fp_ieee_inexact 0
		.amdhsa_exception_int_div_zero 0
	.end_amdhsa_kernel
	.section	.text._ZN7rocprim17ROCPRIM_400000_NS6detail17trampoline_kernelINS0_14default_configENS1_33run_length_encode_config_selectorIijNS0_4plusIjEEEEZZNS1_33reduce_by_key_impl_wrapped_configILNS1_25lookback_scan_determinismE0ES3_S7_PKiNS0_17constant_iteratorIjlEEPiPlSF_S6_NS0_8equal_toIiEEEE10hipError_tPvRmT2_T3_mT4_T5_T6_T7_T8_P12ihipStream_tbENKUlT_T0_E_clISt17integral_constantIbLb0EESZ_EEDaSU_SV_EUlSU_E_NS1_11comp_targetILNS1_3genE10ELNS1_11target_archE1201ELNS1_3gpuE5ELNS1_3repE0EEENS1_30default_config_static_selectorELNS0_4arch9wavefront6targetE0EEEvT1_,"axG",@progbits,_ZN7rocprim17ROCPRIM_400000_NS6detail17trampoline_kernelINS0_14default_configENS1_33run_length_encode_config_selectorIijNS0_4plusIjEEEEZZNS1_33reduce_by_key_impl_wrapped_configILNS1_25lookback_scan_determinismE0ES3_S7_PKiNS0_17constant_iteratorIjlEEPiPlSF_S6_NS0_8equal_toIiEEEE10hipError_tPvRmT2_T3_mT4_T5_T6_T7_T8_P12ihipStream_tbENKUlT_T0_E_clISt17integral_constantIbLb0EESZ_EEDaSU_SV_EUlSU_E_NS1_11comp_targetILNS1_3genE10ELNS1_11target_archE1201ELNS1_3gpuE5ELNS1_3repE0EEENS1_30default_config_static_selectorELNS0_4arch9wavefront6targetE0EEEvT1_,comdat
.Lfunc_end447:
	.size	_ZN7rocprim17ROCPRIM_400000_NS6detail17trampoline_kernelINS0_14default_configENS1_33run_length_encode_config_selectorIijNS0_4plusIjEEEEZZNS1_33reduce_by_key_impl_wrapped_configILNS1_25lookback_scan_determinismE0ES3_S7_PKiNS0_17constant_iteratorIjlEEPiPlSF_S6_NS0_8equal_toIiEEEE10hipError_tPvRmT2_T3_mT4_T5_T6_T7_T8_P12ihipStream_tbENKUlT_T0_E_clISt17integral_constantIbLb0EESZ_EEDaSU_SV_EUlSU_E_NS1_11comp_targetILNS1_3genE10ELNS1_11target_archE1201ELNS1_3gpuE5ELNS1_3repE0EEENS1_30default_config_static_selectorELNS0_4arch9wavefront6targetE0EEEvT1_, .Lfunc_end447-_ZN7rocprim17ROCPRIM_400000_NS6detail17trampoline_kernelINS0_14default_configENS1_33run_length_encode_config_selectorIijNS0_4plusIjEEEEZZNS1_33reduce_by_key_impl_wrapped_configILNS1_25lookback_scan_determinismE0ES3_S7_PKiNS0_17constant_iteratorIjlEEPiPlSF_S6_NS0_8equal_toIiEEEE10hipError_tPvRmT2_T3_mT4_T5_T6_T7_T8_P12ihipStream_tbENKUlT_T0_E_clISt17integral_constantIbLb0EESZ_EEDaSU_SV_EUlSU_E_NS1_11comp_targetILNS1_3genE10ELNS1_11target_archE1201ELNS1_3gpuE5ELNS1_3repE0EEENS1_30default_config_static_selectorELNS0_4arch9wavefront6targetE0EEEvT1_
                                        ; -- End function
	.set _ZN7rocprim17ROCPRIM_400000_NS6detail17trampoline_kernelINS0_14default_configENS1_33run_length_encode_config_selectorIijNS0_4plusIjEEEEZZNS1_33reduce_by_key_impl_wrapped_configILNS1_25lookback_scan_determinismE0ES3_S7_PKiNS0_17constant_iteratorIjlEEPiPlSF_S6_NS0_8equal_toIiEEEE10hipError_tPvRmT2_T3_mT4_T5_T6_T7_T8_P12ihipStream_tbENKUlT_T0_E_clISt17integral_constantIbLb0EESZ_EEDaSU_SV_EUlSU_E_NS1_11comp_targetILNS1_3genE10ELNS1_11target_archE1201ELNS1_3gpuE5ELNS1_3repE0EEENS1_30default_config_static_selectorELNS0_4arch9wavefront6targetE0EEEvT1_.num_vgpr, 0
	.set _ZN7rocprim17ROCPRIM_400000_NS6detail17trampoline_kernelINS0_14default_configENS1_33run_length_encode_config_selectorIijNS0_4plusIjEEEEZZNS1_33reduce_by_key_impl_wrapped_configILNS1_25lookback_scan_determinismE0ES3_S7_PKiNS0_17constant_iteratorIjlEEPiPlSF_S6_NS0_8equal_toIiEEEE10hipError_tPvRmT2_T3_mT4_T5_T6_T7_T8_P12ihipStream_tbENKUlT_T0_E_clISt17integral_constantIbLb0EESZ_EEDaSU_SV_EUlSU_E_NS1_11comp_targetILNS1_3genE10ELNS1_11target_archE1201ELNS1_3gpuE5ELNS1_3repE0EEENS1_30default_config_static_selectorELNS0_4arch9wavefront6targetE0EEEvT1_.num_agpr, 0
	.set _ZN7rocprim17ROCPRIM_400000_NS6detail17trampoline_kernelINS0_14default_configENS1_33run_length_encode_config_selectorIijNS0_4plusIjEEEEZZNS1_33reduce_by_key_impl_wrapped_configILNS1_25lookback_scan_determinismE0ES3_S7_PKiNS0_17constant_iteratorIjlEEPiPlSF_S6_NS0_8equal_toIiEEEE10hipError_tPvRmT2_T3_mT4_T5_T6_T7_T8_P12ihipStream_tbENKUlT_T0_E_clISt17integral_constantIbLb0EESZ_EEDaSU_SV_EUlSU_E_NS1_11comp_targetILNS1_3genE10ELNS1_11target_archE1201ELNS1_3gpuE5ELNS1_3repE0EEENS1_30default_config_static_selectorELNS0_4arch9wavefront6targetE0EEEvT1_.numbered_sgpr, 0
	.set _ZN7rocprim17ROCPRIM_400000_NS6detail17trampoline_kernelINS0_14default_configENS1_33run_length_encode_config_selectorIijNS0_4plusIjEEEEZZNS1_33reduce_by_key_impl_wrapped_configILNS1_25lookback_scan_determinismE0ES3_S7_PKiNS0_17constant_iteratorIjlEEPiPlSF_S6_NS0_8equal_toIiEEEE10hipError_tPvRmT2_T3_mT4_T5_T6_T7_T8_P12ihipStream_tbENKUlT_T0_E_clISt17integral_constantIbLb0EESZ_EEDaSU_SV_EUlSU_E_NS1_11comp_targetILNS1_3genE10ELNS1_11target_archE1201ELNS1_3gpuE5ELNS1_3repE0EEENS1_30default_config_static_selectorELNS0_4arch9wavefront6targetE0EEEvT1_.num_named_barrier, 0
	.set _ZN7rocprim17ROCPRIM_400000_NS6detail17trampoline_kernelINS0_14default_configENS1_33run_length_encode_config_selectorIijNS0_4plusIjEEEEZZNS1_33reduce_by_key_impl_wrapped_configILNS1_25lookback_scan_determinismE0ES3_S7_PKiNS0_17constant_iteratorIjlEEPiPlSF_S6_NS0_8equal_toIiEEEE10hipError_tPvRmT2_T3_mT4_T5_T6_T7_T8_P12ihipStream_tbENKUlT_T0_E_clISt17integral_constantIbLb0EESZ_EEDaSU_SV_EUlSU_E_NS1_11comp_targetILNS1_3genE10ELNS1_11target_archE1201ELNS1_3gpuE5ELNS1_3repE0EEENS1_30default_config_static_selectorELNS0_4arch9wavefront6targetE0EEEvT1_.private_seg_size, 0
	.set _ZN7rocprim17ROCPRIM_400000_NS6detail17trampoline_kernelINS0_14default_configENS1_33run_length_encode_config_selectorIijNS0_4plusIjEEEEZZNS1_33reduce_by_key_impl_wrapped_configILNS1_25lookback_scan_determinismE0ES3_S7_PKiNS0_17constant_iteratorIjlEEPiPlSF_S6_NS0_8equal_toIiEEEE10hipError_tPvRmT2_T3_mT4_T5_T6_T7_T8_P12ihipStream_tbENKUlT_T0_E_clISt17integral_constantIbLb0EESZ_EEDaSU_SV_EUlSU_E_NS1_11comp_targetILNS1_3genE10ELNS1_11target_archE1201ELNS1_3gpuE5ELNS1_3repE0EEENS1_30default_config_static_selectorELNS0_4arch9wavefront6targetE0EEEvT1_.uses_vcc, 0
	.set _ZN7rocprim17ROCPRIM_400000_NS6detail17trampoline_kernelINS0_14default_configENS1_33run_length_encode_config_selectorIijNS0_4plusIjEEEEZZNS1_33reduce_by_key_impl_wrapped_configILNS1_25lookback_scan_determinismE0ES3_S7_PKiNS0_17constant_iteratorIjlEEPiPlSF_S6_NS0_8equal_toIiEEEE10hipError_tPvRmT2_T3_mT4_T5_T6_T7_T8_P12ihipStream_tbENKUlT_T0_E_clISt17integral_constantIbLb0EESZ_EEDaSU_SV_EUlSU_E_NS1_11comp_targetILNS1_3genE10ELNS1_11target_archE1201ELNS1_3gpuE5ELNS1_3repE0EEENS1_30default_config_static_selectorELNS0_4arch9wavefront6targetE0EEEvT1_.uses_flat_scratch, 0
	.set _ZN7rocprim17ROCPRIM_400000_NS6detail17trampoline_kernelINS0_14default_configENS1_33run_length_encode_config_selectorIijNS0_4plusIjEEEEZZNS1_33reduce_by_key_impl_wrapped_configILNS1_25lookback_scan_determinismE0ES3_S7_PKiNS0_17constant_iteratorIjlEEPiPlSF_S6_NS0_8equal_toIiEEEE10hipError_tPvRmT2_T3_mT4_T5_T6_T7_T8_P12ihipStream_tbENKUlT_T0_E_clISt17integral_constantIbLb0EESZ_EEDaSU_SV_EUlSU_E_NS1_11comp_targetILNS1_3genE10ELNS1_11target_archE1201ELNS1_3gpuE5ELNS1_3repE0EEENS1_30default_config_static_selectorELNS0_4arch9wavefront6targetE0EEEvT1_.has_dyn_sized_stack, 0
	.set _ZN7rocprim17ROCPRIM_400000_NS6detail17trampoline_kernelINS0_14default_configENS1_33run_length_encode_config_selectorIijNS0_4plusIjEEEEZZNS1_33reduce_by_key_impl_wrapped_configILNS1_25lookback_scan_determinismE0ES3_S7_PKiNS0_17constant_iteratorIjlEEPiPlSF_S6_NS0_8equal_toIiEEEE10hipError_tPvRmT2_T3_mT4_T5_T6_T7_T8_P12ihipStream_tbENKUlT_T0_E_clISt17integral_constantIbLb0EESZ_EEDaSU_SV_EUlSU_E_NS1_11comp_targetILNS1_3genE10ELNS1_11target_archE1201ELNS1_3gpuE5ELNS1_3repE0EEENS1_30default_config_static_selectorELNS0_4arch9wavefront6targetE0EEEvT1_.has_recursion, 0
	.set _ZN7rocprim17ROCPRIM_400000_NS6detail17trampoline_kernelINS0_14default_configENS1_33run_length_encode_config_selectorIijNS0_4plusIjEEEEZZNS1_33reduce_by_key_impl_wrapped_configILNS1_25lookback_scan_determinismE0ES3_S7_PKiNS0_17constant_iteratorIjlEEPiPlSF_S6_NS0_8equal_toIiEEEE10hipError_tPvRmT2_T3_mT4_T5_T6_T7_T8_P12ihipStream_tbENKUlT_T0_E_clISt17integral_constantIbLb0EESZ_EEDaSU_SV_EUlSU_E_NS1_11comp_targetILNS1_3genE10ELNS1_11target_archE1201ELNS1_3gpuE5ELNS1_3repE0EEENS1_30default_config_static_selectorELNS0_4arch9wavefront6targetE0EEEvT1_.has_indirect_call, 0
	.section	.AMDGPU.csdata,"",@progbits
; Kernel info:
; codeLenInByte = 0
; TotalNumSgprs: 0
; NumVgprs: 0
; ScratchSize: 0
; MemoryBound: 0
; FloatMode: 240
; IeeeMode: 1
; LDSByteSize: 0 bytes/workgroup (compile time only)
; SGPRBlocks: 0
; VGPRBlocks: 0
; NumSGPRsForWavesPerEU: 1
; NumVGPRsForWavesPerEU: 1
; NamedBarCnt: 0
; Occupancy: 16
; WaveLimiterHint : 0
; COMPUTE_PGM_RSRC2:SCRATCH_EN: 0
; COMPUTE_PGM_RSRC2:USER_SGPR: 2
; COMPUTE_PGM_RSRC2:TRAP_HANDLER: 0
; COMPUTE_PGM_RSRC2:TGID_X_EN: 1
; COMPUTE_PGM_RSRC2:TGID_Y_EN: 0
; COMPUTE_PGM_RSRC2:TGID_Z_EN: 0
; COMPUTE_PGM_RSRC2:TIDIG_COMP_CNT: 0
	.section	.text._ZN7rocprim17ROCPRIM_400000_NS6detail17trampoline_kernelINS0_14default_configENS1_33run_length_encode_config_selectorIijNS0_4plusIjEEEEZZNS1_33reduce_by_key_impl_wrapped_configILNS1_25lookback_scan_determinismE0ES3_S7_PKiNS0_17constant_iteratorIjlEEPiPlSF_S6_NS0_8equal_toIiEEEE10hipError_tPvRmT2_T3_mT4_T5_T6_T7_T8_P12ihipStream_tbENKUlT_T0_E_clISt17integral_constantIbLb0EESZ_EEDaSU_SV_EUlSU_E_NS1_11comp_targetILNS1_3genE10ELNS1_11target_archE1200ELNS1_3gpuE4ELNS1_3repE0EEENS1_30default_config_static_selectorELNS0_4arch9wavefront6targetE0EEEvT1_,"axG",@progbits,_ZN7rocprim17ROCPRIM_400000_NS6detail17trampoline_kernelINS0_14default_configENS1_33run_length_encode_config_selectorIijNS0_4plusIjEEEEZZNS1_33reduce_by_key_impl_wrapped_configILNS1_25lookback_scan_determinismE0ES3_S7_PKiNS0_17constant_iteratorIjlEEPiPlSF_S6_NS0_8equal_toIiEEEE10hipError_tPvRmT2_T3_mT4_T5_T6_T7_T8_P12ihipStream_tbENKUlT_T0_E_clISt17integral_constantIbLb0EESZ_EEDaSU_SV_EUlSU_E_NS1_11comp_targetILNS1_3genE10ELNS1_11target_archE1200ELNS1_3gpuE4ELNS1_3repE0EEENS1_30default_config_static_selectorELNS0_4arch9wavefront6targetE0EEEvT1_,comdat
	.protected	_ZN7rocprim17ROCPRIM_400000_NS6detail17trampoline_kernelINS0_14default_configENS1_33run_length_encode_config_selectorIijNS0_4plusIjEEEEZZNS1_33reduce_by_key_impl_wrapped_configILNS1_25lookback_scan_determinismE0ES3_S7_PKiNS0_17constant_iteratorIjlEEPiPlSF_S6_NS0_8equal_toIiEEEE10hipError_tPvRmT2_T3_mT4_T5_T6_T7_T8_P12ihipStream_tbENKUlT_T0_E_clISt17integral_constantIbLb0EESZ_EEDaSU_SV_EUlSU_E_NS1_11comp_targetILNS1_3genE10ELNS1_11target_archE1200ELNS1_3gpuE4ELNS1_3repE0EEENS1_30default_config_static_selectorELNS0_4arch9wavefront6targetE0EEEvT1_ ; -- Begin function _ZN7rocprim17ROCPRIM_400000_NS6detail17trampoline_kernelINS0_14default_configENS1_33run_length_encode_config_selectorIijNS0_4plusIjEEEEZZNS1_33reduce_by_key_impl_wrapped_configILNS1_25lookback_scan_determinismE0ES3_S7_PKiNS0_17constant_iteratorIjlEEPiPlSF_S6_NS0_8equal_toIiEEEE10hipError_tPvRmT2_T3_mT4_T5_T6_T7_T8_P12ihipStream_tbENKUlT_T0_E_clISt17integral_constantIbLb0EESZ_EEDaSU_SV_EUlSU_E_NS1_11comp_targetILNS1_3genE10ELNS1_11target_archE1200ELNS1_3gpuE4ELNS1_3repE0EEENS1_30default_config_static_selectorELNS0_4arch9wavefront6targetE0EEEvT1_
	.globl	_ZN7rocprim17ROCPRIM_400000_NS6detail17trampoline_kernelINS0_14default_configENS1_33run_length_encode_config_selectorIijNS0_4plusIjEEEEZZNS1_33reduce_by_key_impl_wrapped_configILNS1_25lookback_scan_determinismE0ES3_S7_PKiNS0_17constant_iteratorIjlEEPiPlSF_S6_NS0_8equal_toIiEEEE10hipError_tPvRmT2_T3_mT4_T5_T6_T7_T8_P12ihipStream_tbENKUlT_T0_E_clISt17integral_constantIbLb0EESZ_EEDaSU_SV_EUlSU_E_NS1_11comp_targetILNS1_3genE10ELNS1_11target_archE1200ELNS1_3gpuE4ELNS1_3repE0EEENS1_30default_config_static_selectorELNS0_4arch9wavefront6targetE0EEEvT1_
	.p2align	8
	.type	_ZN7rocprim17ROCPRIM_400000_NS6detail17trampoline_kernelINS0_14default_configENS1_33run_length_encode_config_selectorIijNS0_4plusIjEEEEZZNS1_33reduce_by_key_impl_wrapped_configILNS1_25lookback_scan_determinismE0ES3_S7_PKiNS0_17constant_iteratorIjlEEPiPlSF_S6_NS0_8equal_toIiEEEE10hipError_tPvRmT2_T3_mT4_T5_T6_T7_T8_P12ihipStream_tbENKUlT_T0_E_clISt17integral_constantIbLb0EESZ_EEDaSU_SV_EUlSU_E_NS1_11comp_targetILNS1_3genE10ELNS1_11target_archE1200ELNS1_3gpuE4ELNS1_3repE0EEENS1_30default_config_static_selectorELNS0_4arch9wavefront6targetE0EEEvT1_,@function
_ZN7rocprim17ROCPRIM_400000_NS6detail17trampoline_kernelINS0_14default_configENS1_33run_length_encode_config_selectorIijNS0_4plusIjEEEEZZNS1_33reduce_by_key_impl_wrapped_configILNS1_25lookback_scan_determinismE0ES3_S7_PKiNS0_17constant_iteratorIjlEEPiPlSF_S6_NS0_8equal_toIiEEEE10hipError_tPvRmT2_T3_mT4_T5_T6_T7_T8_P12ihipStream_tbENKUlT_T0_E_clISt17integral_constantIbLb0EESZ_EEDaSU_SV_EUlSU_E_NS1_11comp_targetILNS1_3genE10ELNS1_11target_archE1200ELNS1_3gpuE4ELNS1_3repE0EEENS1_30default_config_static_selectorELNS0_4arch9wavefront6targetE0EEEvT1_: ; @_ZN7rocprim17ROCPRIM_400000_NS6detail17trampoline_kernelINS0_14default_configENS1_33run_length_encode_config_selectorIijNS0_4plusIjEEEEZZNS1_33reduce_by_key_impl_wrapped_configILNS1_25lookback_scan_determinismE0ES3_S7_PKiNS0_17constant_iteratorIjlEEPiPlSF_S6_NS0_8equal_toIiEEEE10hipError_tPvRmT2_T3_mT4_T5_T6_T7_T8_P12ihipStream_tbENKUlT_T0_E_clISt17integral_constantIbLb0EESZ_EEDaSU_SV_EUlSU_E_NS1_11comp_targetILNS1_3genE10ELNS1_11target_archE1200ELNS1_3gpuE4ELNS1_3repE0EEENS1_30default_config_static_selectorELNS0_4arch9wavefront6targetE0EEEvT1_
; %bb.0:
	.section	.rodata,"a",@progbits
	.p2align	6, 0x0
	.amdhsa_kernel _ZN7rocprim17ROCPRIM_400000_NS6detail17trampoline_kernelINS0_14default_configENS1_33run_length_encode_config_selectorIijNS0_4plusIjEEEEZZNS1_33reduce_by_key_impl_wrapped_configILNS1_25lookback_scan_determinismE0ES3_S7_PKiNS0_17constant_iteratorIjlEEPiPlSF_S6_NS0_8equal_toIiEEEE10hipError_tPvRmT2_T3_mT4_T5_T6_T7_T8_P12ihipStream_tbENKUlT_T0_E_clISt17integral_constantIbLb0EESZ_EEDaSU_SV_EUlSU_E_NS1_11comp_targetILNS1_3genE10ELNS1_11target_archE1200ELNS1_3gpuE4ELNS1_3repE0EEENS1_30default_config_static_selectorELNS0_4arch9wavefront6targetE0EEEvT1_
		.amdhsa_group_segment_fixed_size 0
		.amdhsa_private_segment_fixed_size 0
		.amdhsa_kernarg_size 128
		.amdhsa_user_sgpr_count 2
		.amdhsa_user_sgpr_dispatch_ptr 0
		.amdhsa_user_sgpr_queue_ptr 0
		.amdhsa_user_sgpr_kernarg_segment_ptr 1
		.amdhsa_user_sgpr_dispatch_id 0
		.amdhsa_user_sgpr_kernarg_preload_length 0
		.amdhsa_user_sgpr_kernarg_preload_offset 0
		.amdhsa_user_sgpr_private_segment_size 0
		.amdhsa_wavefront_size32 1
		.amdhsa_uses_dynamic_stack 0
		.amdhsa_enable_private_segment 0
		.amdhsa_system_sgpr_workgroup_id_x 1
		.amdhsa_system_sgpr_workgroup_id_y 0
		.amdhsa_system_sgpr_workgroup_id_z 0
		.amdhsa_system_sgpr_workgroup_info 0
		.amdhsa_system_vgpr_workitem_id 0
		.amdhsa_next_free_vgpr 1
		.amdhsa_next_free_sgpr 1
		.amdhsa_named_barrier_count 0
		.amdhsa_reserve_vcc 0
		.amdhsa_float_round_mode_32 0
		.amdhsa_float_round_mode_16_64 0
		.amdhsa_float_denorm_mode_32 3
		.amdhsa_float_denorm_mode_16_64 3
		.amdhsa_fp16_overflow 0
		.amdhsa_memory_ordered 1
		.amdhsa_forward_progress 1
		.amdhsa_inst_pref_size 0
		.amdhsa_round_robin_scheduling 0
		.amdhsa_exception_fp_ieee_invalid_op 0
		.amdhsa_exception_fp_denorm_src 0
		.amdhsa_exception_fp_ieee_div_zero 0
		.amdhsa_exception_fp_ieee_overflow 0
		.amdhsa_exception_fp_ieee_underflow 0
		.amdhsa_exception_fp_ieee_inexact 0
		.amdhsa_exception_int_div_zero 0
	.end_amdhsa_kernel
	.section	.text._ZN7rocprim17ROCPRIM_400000_NS6detail17trampoline_kernelINS0_14default_configENS1_33run_length_encode_config_selectorIijNS0_4plusIjEEEEZZNS1_33reduce_by_key_impl_wrapped_configILNS1_25lookback_scan_determinismE0ES3_S7_PKiNS0_17constant_iteratorIjlEEPiPlSF_S6_NS0_8equal_toIiEEEE10hipError_tPvRmT2_T3_mT4_T5_T6_T7_T8_P12ihipStream_tbENKUlT_T0_E_clISt17integral_constantIbLb0EESZ_EEDaSU_SV_EUlSU_E_NS1_11comp_targetILNS1_3genE10ELNS1_11target_archE1200ELNS1_3gpuE4ELNS1_3repE0EEENS1_30default_config_static_selectorELNS0_4arch9wavefront6targetE0EEEvT1_,"axG",@progbits,_ZN7rocprim17ROCPRIM_400000_NS6detail17trampoline_kernelINS0_14default_configENS1_33run_length_encode_config_selectorIijNS0_4plusIjEEEEZZNS1_33reduce_by_key_impl_wrapped_configILNS1_25lookback_scan_determinismE0ES3_S7_PKiNS0_17constant_iteratorIjlEEPiPlSF_S6_NS0_8equal_toIiEEEE10hipError_tPvRmT2_T3_mT4_T5_T6_T7_T8_P12ihipStream_tbENKUlT_T0_E_clISt17integral_constantIbLb0EESZ_EEDaSU_SV_EUlSU_E_NS1_11comp_targetILNS1_3genE10ELNS1_11target_archE1200ELNS1_3gpuE4ELNS1_3repE0EEENS1_30default_config_static_selectorELNS0_4arch9wavefront6targetE0EEEvT1_,comdat
.Lfunc_end448:
	.size	_ZN7rocprim17ROCPRIM_400000_NS6detail17trampoline_kernelINS0_14default_configENS1_33run_length_encode_config_selectorIijNS0_4plusIjEEEEZZNS1_33reduce_by_key_impl_wrapped_configILNS1_25lookback_scan_determinismE0ES3_S7_PKiNS0_17constant_iteratorIjlEEPiPlSF_S6_NS0_8equal_toIiEEEE10hipError_tPvRmT2_T3_mT4_T5_T6_T7_T8_P12ihipStream_tbENKUlT_T0_E_clISt17integral_constantIbLb0EESZ_EEDaSU_SV_EUlSU_E_NS1_11comp_targetILNS1_3genE10ELNS1_11target_archE1200ELNS1_3gpuE4ELNS1_3repE0EEENS1_30default_config_static_selectorELNS0_4arch9wavefront6targetE0EEEvT1_, .Lfunc_end448-_ZN7rocprim17ROCPRIM_400000_NS6detail17trampoline_kernelINS0_14default_configENS1_33run_length_encode_config_selectorIijNS0_4plusIjEEEEZZNS1_33reduce_by_key_impl_wrapped_configILNS1_25lookback_scan_determinismE0ES3_S7_PKiNS0_17constant_iteratorIjlEEPiPlSF_S6_NS0_8equal_toIiEEEE10hipError_tPvRmT2_T3_mT4_T5_T6_T7_T8_P12ihipStream_tbENKUlT_T0_E_clISt17integral_constantIbLb0EESZ_EEDaSU_SV_EUlSU_E_NS1_11comp_targetILNS1_3genE10ELNS1_11target_archE1200ELNS1_3gpuE4ELNS1_3repE0EEENS1_30default_config_static_selectorELNS0_4arch9wavefront6targetE0EEEvT1_
                                        ; -- End function
	.set _ZN7rocprim17ROCPRIM_400000_NS6detail17trampoline_kernelINS0_14default_configENS1_33run_length_encode_config_selectorIijNS0_4plusIjEEEEZZNS1_33reduce_by_key_impl_wrapped_configILNS1_25lookback_scan_determinismE0ES3_S7_PKiNS0_17constant_iteratorIjlEEPiPlSF_S6_NS0_8equal_toIiEEEE10hipError_tPvRmT2_T3_mT4_T5_T6_T7_T8_P12ihipStream_tbENKUlT_T0_E_clISt17integral_constantIbLb0EESZ_EEDaSU_SV_EUlSU_E_NS1_11comp_targetILNS1_3genE10ELNS1_11target_archE1200ELNS1_3gpuE4ELNS1_3repE0EEENS1_30default_config_static_selectorELNS0_4arch9wavefront6targetE0EEEvT1_.num_vgpr, 0
	.set _ZN7rocprim17ROCPRIM_400000_NS6detail17trampoline_kernelINS0_14default_configENS1_33run_length_encode_config_selectorIijNS0_4plusIjEEEEZZNS1_33reduce_by_key_impl_wrapped_configILNS1_25lookback_scan_determinismE0ES3_S7_PKiNS0_17constant_iteratorIjlEEPiPlSF_S6_NS0_8equal_toIiEEEE10hipError_tPvRmT2_T3_mT4_T5_T6_T7_T8_P12ihipStream_tbENKUlT_T0_E_clISt17integral_constantIbLb0EESZ_EEDaSU_SV_EUlSU_E_NS1_11comp_targetILNS1_3genE10ELNS1_11target_archE1200ELNS1_3gpuE4ELNS1_3repE0EEENS1_30default_config_static_selectorELNS0_4arch9wavefront6targetE0EEEvT1_.num_agpr, 0
	.set _ZN7rocprim17ROCPRIM_400000_NS6detail17trampoline_kernelINS0_14default_configENS1_33run_length_encode_config_selectorIijNS0_4plusIjEEEEZZNS1_33reduce_by_key_impl_wrapped_configILNS1_25lookback_scan_determinismE0ES3_S7_PKiNS0_17constant_iteratorIjlEEPiPlSF_S6_NS0_8equal_toIiEEEE10hipError_tPvRmT2_T3_mT4_T5_T6_T7_T8_P12ihipStream_tbENKUlT_T0_E_clISt17integral_constantIbLb0EESZ_EEDaSU_SV_EUlSU_E_NS1_11comp_targetILNS1_3genE10ELNS1_11target_archE1200ELNS1_3gpuE4ELNS1_3repE0EEENS1_30default_config_static_selectorELNS0_4arch9wavefront6targetE0EEEvT1_.numbered_sgpr, 0
	.set _ZN7rocprim17ROCPRIM_400000_NS6detail17trampoline_kernelINS0_14default_configENS1_33run_length_encode_config_selectorIijNS0_4plusIjEEEEZZNS1_33reduce_by_key_impl_wrapped_configILNS1_25lookback_scan_determinismE0ES3_S7_PKiNS0_17constant_iteratorIjlEEPiPlSF_S6_NS0_8equal_toIiEEEE10hipError_tPvRmT2_T3_mT4_T5_T6_T7_T8_P12ihipStream_tbENKUlT_T0_E_clISt17integral_constantIbLb0EESZ_EEDaSU_SV_EUlSU_E_NS1_11comp_targetILNS1_3genE10ELNS1_11target_archE1200ELNS1_3gpuE4ELNS1_3repE0EEENS1_30default_config_static_selectorELNS0_4arch9wavefront6targetE0EEEvT1_.num_named_barrier, 0
	.set _ZN7rocprim17ROCPRIM_400000_NS6detail17trampoline_kernelINS0_14default_configENS1_33run_length_encode_config_selectorIijNS0_4plusIjEEEEZZNS1_33reduce_by_key_impl_wrapped_configILNS1_25lookback_scan_determinismE0ES3_S7_PKiNS0_17constant_iteratorIjlEEPiPlSF_S6_NS0_8equal_toIiEEEE10hipError_tPvRmT2_T3_mT4_T5_T6_T7_T8_P12ihipStream_tbENKUlT_T0_E_clISt17integral_constantIbLb0EESZ_EEDaSU_SV_EUlSU_E_NS1_11comp_targetILNS1_3genE10ELNS1_11target_archE1200ELNS1_3gpuE4ELNS1_3repE0EEENS1_30default_config_static_selectorELNS0_4arch9wavefront6targetE0EEEvT1_.private_seg_size, 0
	.set _ZN7rocprim17ROCPRIM_400000_NS6detail17trampoline_kernelINS0_14default_configENS1_33run_length_encode_config_selectorIijNS0_4plusIjEEEEZZNS1_33reduce_by_key_impl_wrapped_configILNS1_25lookback_scan_determinismE0ES3_S7_PKiNS0_17constant_iteratorIjlEEPiPlSF_S6_NS0_8equal_toIiEEEE10hipError_tPvRmT2_T3_mT4_T5_T6_T7_T8_P12ihipStream_tbENKUlT_T0_E_clISt17integral_constantIbLb0EESZ_EEDaSU_SV_EUlSU_E_NS1_11comp_targetILNS1_3genE10ELNS1_11target_archE1200ELNS1_3gpuE4ELNS1_3repE0EEENS1_30default_config_static_selectorELNS0_4arch9wavefront6targetE0EEEvT1_.uses_vcc, 0
	.set _ZN7rocprim17ROCPRIM_400000_NS6detail17trampoline_kernelINS0_14default_configENS1_33run_length_encode_config_selectorIijNS0_4plusIjEEEEZZNS1_33reduce_by_key_impl_wrapped_configILNS1_25lookback_scan_determinismE0ES3_S7_PKiNS0_17constant_iteratorIjlEEPiPlSF_S6_NS0_8equal_toIiEEEE10hipError_tPvRmT2_T3_mT4_T5_T6_T7_T8_P12ihipStream_tbENKUlT_T0_E_clISt17integral_constantIbLb0EESZ_EEDaSU_SV_EUlSU_E_NS1_11comp_targetILNS1_3genE10ELNS1_11target_archE1200ELNS1_3gpuE4ELNS1_3repE0EEENS1_30default_config_static_selectorELNS0_4arch9wavefront6targetE0EEEvT1_.uses_flat_scratch, 0
	.set _ZN7rocprim17ROCPRIM_400000_NS6detail17trampoline_kernelINS0_14default_configENS1_33run_length_encode_config_selectorIijNS0_4plusIjEEEEZZNS1_33reduce_by_key_impl_wrapped_configILNS1_25lookback_scan_determinismE0ES3_S7_PKiNS0_17constant_iteratorIjlEEPiPlSF_S6_NS0_8equal_toIiEEEE10hipError_tPvRmT2_T3_mT4_T5_T6_T7_T8_P12ihipStream_tbENKUlT_T0_E_clISt17integral_constantIbLb0EESZ_EEDaSU_SV_EUlSU_E_NS1_11comp_targetILNS1_3genE10ELNS1_11target_archE1200ELNS1_3gpuE4ELNS1_3repE0EEENS1_30default_config_static_selectorELNS0_4arch9wavefront6targetE0EEEvT1_.has_dyn_sized_stack, 0
	.set _ZN7rocprim17ROCPRIM_400000_NS6detail17trampoline_kernelINS0_14default_configENS1_33run_length_encode_config_selectorIijNS0_4plusIjEEEEZZNS1_33reduce_by_key_impl_wrapped_configILNS1_25lookback_scan_determinismE0ES3_S7_PKiNS0_17constant_iteratorIjlEEPiPlSF_S6_NS0_8equal_toIiEEEE10hipError_tPvRmT2_T3_mT4_T5_T6_T7_T8_P12ihipStream_tbENKUlT_T0_E_clISt17integral_constantIbLb0EESZ_EEDaSU_SV_EUlSU_E_NS1_11comp_targetILNS1_3genE10ELNS1_11target_archE1200ELNS1_3gpuE4ELNS1_3repE0EEENS1_30default_config_static_selectorELNS0_4arch9wavefront6targetE0EEEvT1_.has_recursion, 0
	.set _ZN7rocprim17ROCPRIM_400000_NS6detail17trampoline_kernelINS0_14default_configENS1_33run_length_encode_config_selectorIijNS0_4plusIjEEEEZZNS1_33reduce_by_key_impl_wrapped_configILNS1_25lookback_scan_determinismE0ES3_S7_PKiNS0_17constant_iteratorIjlEEPiPlSF_S6_NS0_8equal_toIiEEEE10hipError_tPvRmT2_T3_mT4_T5_T6_T7_T8_P12ihipStream_tbENKUlT_T0_E_clISt17integral_constantIbLb0EESZ_EEDaSU_SV_EUlSU_E_NS1_11comp_targetILNS1_3genE10ELNS1_11target_archE1200ELNS1_3gpuE4ELNS1_3repE0EEENS1_30default_config_static_selectorELNS0_4arch9wavefront6targetE0EEEvT1_.has_indirect_call, 0
	.section	.AMDGPU.csdata,"",@progbits
; Kernel info:
; codeLenInByte = 0
; TotalNumSgprs: 0
; NumVgprs: 0
; ScratchSize: 0
; MemoryBound: 0
; FloatMode: 240
; IeeeMode: 1
; LDSByteSize: 0 bytes/workgroup (compile time only)
; SGPRBlocks: 0
; VGPRBlocks: 0
; NumSGPRsForWavesPerEU: 1
; NumVGPRsForWavesPerEU: 1
; NamedBarCnt: 0
; Occupancy: 16
; WaveLimiterHint : 0
; COMPUTE_PGM_RSRC2:SCRATCH_EN: 0
; COMPUTE_PGM_RSRC2:USER_SGPR: 2
; COMPUTE_PGM_RSRC2:TRAP_HANDLER: 0
; COMPUTE_PGM_RSRC2:TGID_X_EN: 1
; COMPUTE_PGM_RSRC2:TGID_Y_EN: 0
; COMPUTE_PGM_RSRC2:TGID_Z_EN: 0
; COMPUTE_PGM_RSRC2:TIDIG_COMP_CNT: 0
	.section	.text._ZN7rocprim17ROCPRIM_400000_NS6detail17trampoline_kernelINS0_14default_configENS1_33run_length_encode_config_selectorIijNS0_4plusIjEEEEZZNS1_33reduce_by_key_impl_wrapped_configILNS1_25lookback_scan_determinismE0ES3_S7_PKiNS0_17constant_iteratorIjlEEPiPlSF_S6_NS0_8equal_toIiEEEE10hipError_tPvRmT2_T3_mT4_T5_T6_T7_T8_P12ihipStream_tbENKUlT_T0_E_clISt17integral_constantIbLb0EESZ_EEDaSU_SV_EUlSU_E_NS1_11comp_targetILNS1_3genE9ELNS1_11target_archE1100ELNS1_3gpuE3ELNS1_3repE0EEENS1_30default_config_static_selectorELNS0_4arch9wavefront6targetE0EEEvT1_,"axG",@progbits,_ZN7rocprim17ROCPRIM_400000_NS6detail17trampoline_kernelINS0_14default_configENS1_33run_length_encode_config_selectorIijNS0_4plusIjEEEEZZNS1_33reduce_by_key_impl_wrapped_configILNS1_25lookback_scan_determinismE0ES3_S7_PKiNS0_17constant_iteratorIjlEEPiPlSF_S6_NS0_8equal_toIiEEEE10hipError_tPvRmT2_T3_mT4_T5_T6_T7_T8_P12ihipStream_tbENKUlT_T0_E_clISt17integral_constantIbLb0EESZ_EEDaSU_SV_EUlSU_E_NS1_11comp_targetILNS1_3genE9ELNS1_11target_archE1100ELNS1_3gpuE3ELNS1_3repE0EEENS1_30default_config_static_selectorELNS0_4arch9wavefront6targetE0EEEvT1_,comdat
	.protected	_ZN7rocprim17ROCPRIM_400000_NS6detail17trampoline_kernelINS0_14default_configENS1_33run_length_encode_config_selectorIijNS0_4plusIjEEEEZZNS1_33reduce_by_key_impl_wrapped_configILNS1_25lookback_scan_determinismE0ES3_S7_PKiNS0_17constant_iteratorIjlEEPiPlSF_S6_NS0_8equal_toIiEEEE10hipError_tPvRmT2_T3_mT4_T5_T6_T7_T8_P12ihipStream_tbENKUlT_T0_E_clISt17integral_constantIbLb0EESZ_EEDaSU_SV_EUlSU_E_NS1_11comp_targetILNS1_3genE9ELNS1_11target_archE1100ELNS1_3gpuE3ELNS1_3repE0EEENS1_30default_config_static_selectorELNS0_4arch9wavefront6targetE0EEEvT1_ ; -- Begin function _ZN7rocprim17ROCPRIM_400000_NS6detail17trampoline_kernelINS0_14default_configENS1_33run_length_encode_config_selectorIijNS0_4plusIjEEEEZZNS1_33reduce_by_key_impl_wrapped_configILNS1_25lookback_scan_determinismE0ES3_S7_PKiNS0_17constant_iteratorIjlEEPiPlSF_S6_NS0_8equal_toIiEEEE10hipError_tPvRmT2_T3_mT4_T5_T6_T7_T8_P12ihipStream_tbENKUlT_T0_E_clISt17integral_constantIbLb0EESZ_EEDaSU_SV_EUlSU_E_NS1_11comp_targetILNS1_3genE9ELNS1_11target_archE1100ELNS1_3gpuE3ELNS1_3repE0EEENS1_30default_config_static_selectorELNS0_4arch9wavefront6targetE0EEEvT1_
	.globl	_ZN7rocprim17ROCPRIM_400000_NS6detail17trampoline_kernelINS0_14default_configENS1_33run_length_encode_config_selectorIijNS0_4plusIjEEEEZZNS1_33reduce_by_key_impl_wrapped_configILNS1_25lookback_scan_determinismE0ES3_S7_PKiNS0_17constant_iteratorIjlEEPiPlSF_S6_NS0_8equal_toIiEEEE10hipError_tPvRmT2_T3_mT4_T5_T6_T7_T8_P12ihipStream_tbENKUlT_T0_E_clISt17integral_constantIbLb0EESZ_EEDaSU_SV_EUlSU_E_NS1_11comp_targetILNS1_3genE9ELNS1_11target_archE1100ELNS1_3gpuE3ELNS1_3repE0EEENS1_30default_config_static_selectorELNS0_4arch9wavefront6targetE0EEEvT1_
	.p2align	8
	.type	_ZN7rocprim17ROCPRIM_400000_NS6detail17trampoline_kernelINS0_14default_configENS1_33run_length_encode_config_selectorIijNS0_4plusIjEEEEZZNS1_33reduce_by_key_impl_wrapped_configILNS1_25lookback_scan_determinismE0ES3_S7_PKiNS0_17constant_iteratorIjlEEPiPlSF_S6_NS0_8equal_toIiEEEE10hipError_tPvRmT2_T3_mT4_T5_T6_T7_T8_P12ihipStream_tbENKUlT_T0_E_clISt17integral_constantIbLb0EESZ_EEDaSU_SV_EUlSU_E_NS1_11comp_targetILNS1_3genE9ELNS1_11target_archE1100ELNS1_3gpuE3ELNS1_3repE0EEENS1_30default_config_static_selectorELNS0_4arch9wavefront6targetE0EEEvT1_,@function
_ZN7rocprim17ROCPRIM_400000_NS6detail17trampoline_kernelINS0_14default_configENS1_33run_length_encode_config_selectorIijNS0_4plusIjEEEEZZNS1_33reduce_by_key_impl_wrapped_configILNS1_25lookback_scan_determinismE0ES3_S7_PKiNS0_17constant_iteratorIjlEEPiPlSF_S6_NS0_8equal_toIiEEEE10hipError_tPvRmT2_T3_mT4_T5_T6_T7_T8_P12ihipStream_tbENKUlT_T0_E_clISt17integral_constantIbLb0EESZ_EEDaSU_SV_EUlSU_E_NS1_11comp_targetILNS1_3genE9ELNS1_11target_archE1100ELNS1_3gpuE3ELNS1_3repE0EEENS1_30default_config_static_selectorELNS0_4arch9wavefront6targetE0EEEvT1_: ; @_ZN7rocprim17ROCPRIM_400000_NS6detail17trampoline_kernelINS0_14default_configENS1_33run_length_encode_config_selectorIijNS0_4plusIjEEEEZZNS1_33reduce_by_key_impl_wrapped_configILNS1_25lookback_scan_determinismE0ES3_S7_PKiNS0_17constant_iteratorIjlEEPiPlSF_S6_NS0_8equal_toIiEEEE10hipError_tPvRmT2_T3_mT4_T5_T6_T7_T8_P12ihipStream_tbENKUlT_T0_E_clISt17integral_constantIbLb0EESZ_EEDaSU_SV_EUlSU_E_NS1_11comp_targetILNS1_3genE9ELNS1_11target_archE1100ELNS1_3gpuE3ELNS1_3repE0EEENS1_30default_config_static_selectorELNS0_4arch9wavefront6targetE0EEEvT1_
; %bb.0:
	.section	.rodata,"a",@progbits
	.p2align	6, 0x0
	.amdhsa_kernel _ZN7rocprim17ROCPRIM_400000_NS6detail17trampoline_kernelINS0_14default_configENS1_33run_length_encode_config_selectorIijNS0_4plusIjEEEEZZNS1_33reduce_by_key_impl_wrapped_configILNS1_25lookback_scan_determinismE0ES3_S7_PKiNS0_17constant_iteratorIjlEEPiPlSF_S6_NS0_8equal_toIiEEEE10hipError_tPvRmT2_T3_mT4_T5_T6_T7_T8_P12ihipStream_tbENKUlT_T0_E_clISt17integral_constantIbLb0EESZ_EEDaSU_SV_EUlSU_E_NS1_11comp_targetILNS1_3genE9ELNS1_11target_archE1100ELNS1_3gpuE3ELNS1_3repE0EEENS1_30default_config_static_selectorELNS0_4arch9wavefront6targetE0EEEvT1_
		.amdhsa_group_segment_fixed_size 0
		.amdhsa_private_segment_fixed_size 0
		.amdhsa_kernarg_size 128
		.amdhsa_user_sgpr_count 2
		.amdhsa_user_sgpr_dispatch_ptr 0
		.amdhsa_user_sgpr_queue_ptr 0
		.amdhsa_user_sgpr_kernarg_segment_ptr 1
		.amdhsa_user_sgpr_dispatch_id 0
		.amdhsa_user_sgpr_kernarg_preload_length 0
		.amdhsa_user_sgpr_kernarg_preload_offset 0
		.amdhsa_user_sgpr_private_segment_size 0
		.amdhsa_wavefront_size32 1
		.amdhsa_uses_dynamic_stack 0
		.amdhsa_enable_private_segment 0
		.amdhsa_system_sgpr_workgroup_id_x 1
		.amdhsa_system_sgpr_workgroup_id_y 0
		.amdhsa_system_sgpr_workgroup_id_z 0
		.amdhsa_system_sgpr_workgroup_info 0
		.amdhsa_system_vgpr_workitem_id 0
		.amdhsa_next_free_vgpr 1
		.amdhsa_next_free_sgpr 1
		.amdhsa_named_barrier_count 0
		.amdhsa_reserve_vcc 0
		.amdhsa_float_round_mode_32 0
		.amdhsa_float_round_mode_16_64 0
		.amdhsa_float_denorm_mode_32 3
		.amdhsa_float_denorm_mode_16_64 3
		.amdhsa_fp16_overflow 0
		.amdhsa_memory_ordered 1
		.amdhsa_forward_progress 1
		.amdhsa_inst_pref_size 0
		.amdhsa_round_robin_scheduling 0
		.amdhsa_exception_fp_ieee_invalid_op 0
		.amdhsa_exception_fp_denorm_src 0
		.amdhsa_exception_fp_ieee_div_zero 0
		.amdhsa_exception_fp_ieee_overflow 0
		.amdhsa_exception_fp_ieee_underflow 0
		.amdhsa_exception_fp_ieee_inexact 0
		.amdhsa_exception_int_div_zero 0
	.end_amdhsa_kernel
	.section	.text._ZN7rocprim17ROCPRIM_400000_NS6detail17trampoline_kernelINS0_14default_configENS1_33run_length_encode_config_selectorIijNS0_4plusIjEEEEZZNS1_33reduce_by_key_impl_wrapped_configILNS1_25lookback_scan_determinismE0ES3_S7_PKiNS0_17constant_iteratorIjlEEPiPlSF_S6_NS0_8equal_toIiEEEE10hipError_tPvRmT2_T3_mT4_T5_T6_T7_T8_P12ihipStream_tbENKUlT_T0_E_clISt17integral_constantIbLb0EESZ_EEDaSU_SV_EUlSU_E_NS1_11comp_targetILNS1_3genE9ELNS1_11target_archE1100ELNS1_3gpuE3ELNS1_3repE0EEENS1_30default_config_static_selectorELNS0_4arch9wavefront6targetE0EEEvT1_,"axG",@progbits,_ZN7rocprim17ROCPRIM_400000_NS6detail17trampoline_kernelINS0_14default_configENS1_33run_length_encode_config_selectorIijNS0_4plusIjEEEEZZNS1_33reduce_by_key_impl_wrapped_configILNS1_25lookback_scan_determinismE0ES3_S7_PKiNS0_17constant_iteratorIjlEEPiPlSF_S6_NS0_8equal_toIiEEEE10hipError_tPvRmT2_T3_mT4_T5_T6_T7_T8_P12ihipStream_tbENKUlT_T0_E_clISt17integral_constantIbLb0EESZ_EEDaSU_SV_EUlSU_E_NS1_11comp_targetILNS1_3genE9ELNS1_11target_archE1100ELNS1_3gpuE3ELNS1_3repE0EEENS1_30default_config_static_selectorELNS0_4arch9wavefront6targetE0EEEvT1_,comdat
.Lfunc_end449:
	.size	_ZN7rocprim17ROCPRIM_400000_NS6detail17trampoline_kernelINS0_14default_configENS1_33run_length_encode_config_selectorIijNS0_4plusIjEEEEZZNS1_33reduce_by_key_impl_wrapped_configILNS1_25lookback_scan_determinismE0ES3_S7_PKiNS0_17constant_iteratorIjlEEPiPlSF_S6_NS0_8equal_toIiEEEE10hipError_tPvRmT2_T3_mT4_T5_T6_T7_T8_P12ihipStream_tbENKUlT_T0_E_clISt17integral_constantIbLb0EESZ_EEDaSU_SV_EUlSU_E_NS1_11comp_targetILNS1_3genE9ELNS1_11target_archE1100ELNS1_3gpuE3ELNS1_3repE0EEENS1_30default_config_static_selectorELNS0_4arch9wavefront6targetE0EEEvT1_, .Lfunc_end449-_ZN7rocprim17ROCPRIM_400000_NS6detail17trampoline_kernelINS0_14default_configENS1_33run_length_encode_config_selectorIijNS0_4plusIjEEEEZZNS1_33reduce_by_key_impl_wrapped_configILNS1_25lookback_scan_determinismE0ES3_S7_PKiNS0_17constant_iteratorIjlEEPiPlSF_S6_NS0_8equal_toIiEEEE10hipError_tPvRmT2_T3_mT4_T5_T6_T7_T8_P12ihipStream_tbENKUlT_T0_E_clISt17integral_constantIbLb0EESZ_EEDaSU_SV_EUlSU_E_NS1_11comp_targetILNS1_3genE9ELNS1_11target_archE1100ELNS1_3gpuE3ELNS1_3repE0EEENS1_30default_config_static_selectorELNS0_4arch9wavefront6targetE0EEEvT1_
                                        ; -- End function
	.set _ZN7rocprim17ROCPRIM_400000_NS6detail17trampoline_kernelINS0_14default_configENS1_33run_length_encode_config_selectorIijNS0_4plusIjEEEEZZNS1_33reduce_by_key_impl_wrapped_configILNS1_25lookback_scan_determinismE0ES3_S7_PKiNS0_17constant_iteratorIjlEEPiPlSF_S6_NS0_8equal_toIiEEEE10hipError_tPvRmT2_T3_mT4_T5_T6_T7_T8_P12ihipStream_tbENKUlT_T0_E_clISt17integral_constantIbLb0EESZ_EEDaSU_SV_EUlSU_E_NS1_11comp_targetILNS1_3genE9ELNS1_11target_archE1100ELNS1_3gpuE3ELNS1_3repE0EEENS1_30default_config_static_selectorELNS0_4arch9wavefront6targetE0EEEvT1_.num_vgpr, 0
	.set _ZN7rocprim17ROCPRIM_400000_NS6detail17trampoline_kernelINS0_14default_configENS1_33run_length_encode_config_selectorIijNS0_4plusIjEEEEZZNS1_33reduce_by_key_impl_wrapped_configILNS1_25lookback_scan_determinismE0ES3_S7_PKiNS0_17constant_iteratorIjlEEPiPlSF_S6_NS0_8equal_toIiEEEE10hipError_tPvRmT2_T3_mT4_T5_T6_T7_T8_P12ihipStream_tbENKUlT_T0_E_clISt17integral_constantIbLb0EESZ_EEDaSU_SV_EUlSU_E_NS1_11comp_targetILNS1_3genE9ELNS1_11target_archE1100ELNS1_3gpuE3ELNS1_3repE0EEENS1_30default_config_static_selectorELNS0_4arch9wavefront6targetE0EEEvT1_.num_agpr, 0
	.set _ZN7rocprim17ROCPRIM_400000_NS6detail17trampoline_kernelINS0_14default_configENS1_33run_length_encode_config_selectorIijNS0_4plusIjEEEEZZNS1_33reduce_by_key_impl_wrapped_configILNS1_25lookback_scan_determinismE0ES3_S7_PKiNS0_17constant_iteratorIjlEEPiPlSF_S6_NS0_8equal_toIiEEEE10hipError_tPvRmT2_T3_mT4_T5_T6_T7_T8_P12ihipStream_tbENKUlT_T0_E_clISt17integral_constantIbLb0EESZ_EEDaSU_SV_EUlSU_E_NS1_11comp_targetILNS1_3genE9ELNS1_11target_archE1100ELNS1_3gpuE3ELNS1_3repE0EEENS1_30default_config_static_selectorELNS0_4arch9wavefront6targetE0EEEvT1_.numbered_sgpr, 0
	.set _ZN7rocprim17ROCPRIM_400000_NS6detail17trampoline_kernelINS0_14default_configENS1_33run_length_encode_config_selectorIijNS0_4plusIjEEEEZZNS1_33reduce_by_key_impl_wrapped_configILNS1_25lookback_scan_determinismE0ES3_S7_PKiNS0_17constant_iteratorIjlEEPiPlSF_S6_NS0_8equal_toIiEEEE10hipError_tPvRmT2_T3_mT4_T5_T6_T7_T8_P12ihipStream_tbENKUlT_T0_E_clISt17integral_constantIbLb0EESZ_EEDaSU_SV_EUlSU_E_NS1_11comp_targetILNS1_3genE9ELNS1_11target_archE1100ELNS1_3gpuE3ELNS1_3repE0EEENS1_30default_config_static_selectorELNS0_4arch9wavefront6targetE0EEEvT1_.num_named_barrier, 0
	.set _ZN7rocprim17ROCPRIM_400000_NS6detail17trampoline_kernelINS0_14default_configENS1_33run_length_encode_config_selectorIijNS0_4plusIjEEEEZZNS1_33reduce_by_key_impl_wrapped_configILNS1_25lookback_scan_determinismE0ES3_S7_PKiNS0_17constant_iteratorIjlEEPiPlSF_S6_NS0_8equal_toIiEEEE10hipError_tPvRmT2_T3_mT4_T5_T6_T7_T8_P12ihipStream_tbENKUlT_T0_E_clISt17integral_constantIbLb0EESZ_EEDaSU_SV_EUlSU_E_NS1_11comp_targetILNS1_3genE9ELNS1_11target_archE1100ELNS1_3gpuE3ELNS1_3repE0EEENS1_30default_config_static_selectorELNS0_4arch9wavefront6targetE0EEEvT1_.private_seg_size, 0
	.set _ZN7rocprim17ROCPRIM_400000_NS6detail17trampoline_kernelINS0_14default_configENS1_33run_length_encode_config_selectorIijNS0_4plusIjEEEEZZNS1_33reduce_by_key_impl_wrapped_configILNS1_25lookback_scan_determinismE0ES3_S7_PKiNS0_17constant_iteratorIjlEEPiPlSF_S6_NS0_8equal_toIiEEEE10hipError_tPvRmT2_T3_mT4_T5_T6_T7_T8_P12ihipStream_tbENKUlT_T0_E_clISt17integral_constantIbLb0EESZ_EEDaSU_SV_EUlSU_E_NS1_11comp_targetILNS1_3genE9ELNS1_11target_archE1100ELNS1_3gpuE3ELNS1_3repE0EEENS1_30default_config_static_selectorELNS0_4arch9wavefront6targetE0EEEvT1_.uses_vcc, 0
	.set _ZN7rocprim17ROCPRIM_400000_NS6detail17trampoline_kernelINS0_14default_configENS1_33run_length_encode_config_selectorIijNS0_4plusIjEEEEZZNS1_33reduce_by_key_impl_wrapped_configILNS1_25lookback_scan_determinismE0ES3_S7_PKiNS0_17constant_iteratorIjlEEPiPlSF_S6_NS0_8equal_toIiEEEE10hipError_tPvRmT2_T3_mT4_T5_T6_T7_T8_P12ihipStream_tbENKUlT_T0_E_clISt17integral_constantIbLb0EESZ_EEDaSU_SV_EUlSU_E_NS1_11comp_targetILNS1_3genE9ELNS1_11target_archE1100ELNS1_3gpuE3ELNS1_3repE0EEENS1_30default_config_static_selectorELNS0_4arch9wavefront6targetE0EEEvT1_.uses_flat_scratch, 0
	.set _ZN7rocprim17ROCPRIM_400000_NS6detail17trampoline_kernelINS0_14default_configENS1_33run_length_encode_config_selectorIijNS0_4plusIjEEEEZZNS1_33reduce_by_key_impl_wrapped_configILNS1_25lookback_scan_determinismE0ES3_S7_PKiNS0_17constant_iteratorIjlEEPiPlSF_S6_NS0_8equal_toIiEEEE10hipError_tPvRmT2_T3_mT4_T5_T6_T7_T8_P12ihipStream_tbENKUlT_T0_E_clISt17integral_constantIbLb0EESZ_EEDaSU_SV_EUlSU_E_NS1_11comp_targetILNS1_3genE9ELNS1_11target_archE1100ELNS1_3gpuE3ELNS1_3repE0EEENS1_30default_config_static_selectorELNS0_4arch9wavefront6targetE0EEEvT1_.has_dyn_sized_stack, 0
	.set _ZN7rocprim17ROCPRIM_400000_NS6detail17trampoline_kernelINS0_14default_configENS1_33run_length_encode_config_selectorIijNS0_4plusIjEEEEZZNS1_33reduce_by_key_impl_wrapped_configILNS1_25lookback_scan_determinismE0ES3_S7_PKiNS0_17constant_iteratorIjlEEPiPlSF_S6_NS0_8equal_toIiEEEE10hipError_tPvRmT2_T3_mT4_T5_T6_T7_T8_P12ihipStream_tbENKUlT_T0_E_clISt17integral_constantIbLb0EESZ_EEDaSU_SV_EUlSU_E_NS1_11comp_targetILNS1_3genE9ELNS1_11target_archE1100ELNS1_3gpuE3ELNS1_3repE0EEENS1_30default_config_static_selectorELNS0_4arch9wavefront6targetE0EEEvT1_.has_recursion, 0
	.set _ZN7rocprim17ROCPRIM_400000_NS6detail17trampoline_kernelINS0_14default_configENS1_33run_length_encode_config_selectorIijNS0_4plusIjEEEEZZNS1_33reduce_by_key_impl_wrapped_configILNS1_25lookback_scan_determinismE0ES3_S7_PKiNS0_17constant_iteratorIjlEEPiPlSF_S6_NS0_8equal_toIiEEEE10hipError_tPvRmT2_T3_mT4_T5_T6_T7_T8_P12ihipStream_tbENKUlT_T0_E_clISt17integral_constantIbLb0EESZ_EEDaSU_SV_EUlSU_E_NS1_11comp_targetILNS1_3genE9ELNS1_11target_archE1100ELNS1_3gpuE3ELNS1_3repE0EEENS1_30default_config_static_selectorELNS0_4arch9wavefront6targetE0EEEvT1_.has_indirect_call, 0
	.section	.AMDGPU.csdata,"",@progbits
; Kernel info:
; codeLenInByte = 0
; TotalNumSgprs: 0
; NumVgprs: 0
; ScratchSize: 0
; MemoryBound: 0
; FloatMode: 240
; IeeeMode: 1
; LDSByteSize: 0 bytes/workgroup (compile time only)
; SGPRBlocks: 0
; VGPRBlocks: 0
; NumSGPRsForWavesPerEU: 1
; NumVGPRsForWavesPerEU: 1
; NamedBarCnt: 0
; Occupancy: 16
; WaveLimiterHint : 0
; COMPUTE_PGM_RSRC2:SCRATCH_EN: 0
; COMPUTE_PGM_RSRC2:USER_SGPR: 2
; COMPUTE_PGM_RSRC2:TRAP_HANDLER: 0
; COMPUTE_PGM_RSRC2:TGID_X_EN: 1
; COMPUTE_PGM_RSRC2:TGID_Y_EN: 0
; COMPUTE_PGM_RSRC2:TGID_Z_EN: 0
; COMPUTE_PGM_RSRC2:TIDIG_COMP_CNT: 0
	.section	.text._ZN7rocprim17ROCPRIM_400000_NS6detail17trampoline_kernelINS0_14default_configENS1_33run_length_encode_config_selectorIijNS0_4plusIjEEEEZZNS1_33reduce_by_key_impl_wrapped_configILNS1_25lookback_scan_determinismE0ES3_S7_PKiNS0_17constant_iteratorIjlEEPiPlSF_S6_NS0_8equal_toIiEEEE10hipError_tPvRmT2_T3_mT4_T5_T6_T7_T8_P12ihipStream_tbENKUlT_T0_E_clISt17integral_constantIbLb0EESZ_EEDaSU_SV_EUlSU_E_NS1_11comp_targetILNS1_3genE8ELNS1_11target_archE1030ELNS1_3gpuE2ELNS1_3repE0EEENS1_30default_config_static_selectorELNS0_4arch9wavefront6targetE0EEEvT1_,"axG",@progbits,_ZN7rocprim17ROCPRIM_400000_NS6detail17trampoline_kernelINS0_14default_configENS1_33run_length_encode_config_selectorIijNS0_4plusIjEEEEZZNS1_33reduce_by_key_impl_wrapped_configILNS1_25lookback_scan_determinismE0ES3_S7_PKiNS0_17constant_iteratorIjlEEPiPlSF_S6_NS0_8equal_toIiEEEE10hipError_tPvRmT2_T3_mT4_T5_T6_T7_T8_P12ihipStream_tbENKUlT_T0_E_clISt17integral_constantIbLb0EESZ_EEDaSU_SV_EUlSU_E_NS1_11comp_targetILNS1_3genE8ELNS1_11target_archE1030ELNS1_3gpuE2ELNS1_3repE0EEENS1_30default_config_static_selectorELNS0_4arch9wavefront6targetE0EEEvT1_,comdat
	.protected	_ZN7rocprim17ROCPRIM_400000_NS6detail17trampoline_kernelINS0_14default_configENS1_33run_length_encode_config_selectorIijNS0_4plusIjEEEEZZNS1_33reduce_by_key_impl_wrapped_configILNS1_25lookback_scan_determinismE0ES3_S7_PKiNS0_17constant_iteratorIjlEEPiPlSF_S6_NS0_8equal_toIiEEEE10hipError_tPvRmT2_T3_mT4_T5_T6_T7_T8_P12ihipStream_tbENKUlT_T0_E_clISt17integral_constantIbLb0EESZ_EEDaSU_SV_EUlSU_E_NS1_11comp_targetILNS1_3genE8ELNS1_11target_archE1030ELNS1_3gpuE2ELNS1_3repE0EEENS1_30default_config_static_selectorELNS0_4arch9wavefront6targetE0EEEvT1_ ; -- Begin function _ZN7rocprim17ROCPRIM_400000_NS6detail17trampoline_kernelINS0_14default_configENS1_33run_length_encode_config_selectorIijNS0_4plusIjEEEEZZNS1_33reduce_by_key_impl_wrapped_configILNS1_25lookback_scan_determinismE0ES3_S7_PKiNS0_17constant_iteratorIjlEEPiPlSF_S6_NS0_8equal_toIiEEEE10hipError_tPvRmT2_T3_mT4_T5_T6_T7_T8_P12ihipStream_tbENKUlT_T0_E_clISt17integral_constantIbLb0EESZ_EEDaSU_SV_EUlSU_E_NS1_11comp_targetILNS1_3genE8ELNS1_11target_archE1030ELNS1_3gpuE2ELNS1_3repE0EEENS1_30default_config_static_selectorELNS0_4arch9wavefront6targetE0EEEvT1_
	.globl	_ZN7rocprim17ROCPRIM_400000_NS6detail17trampoline_kernelINS0_14default_configENS1_33run_length_encode_config_selectorIijNS0_4plusIjEEEEZZNS1_33reduce_by_key_impl_wrapped_configILNS1_25lookback_scan_determinismE0ES3_S7_PKiNS0_17constant_iteratorIjlEEPiPlSF_S6_NS0_8equal_toIiEEEE10hipError_tPvRmT2_T3_mT4_T5_T6_T7_T8_P12ihipStream_tbENKUlT_T0_E_clISt17integral_constantIbLb0EESZ_EEDaSU_SV_EUlSU_E_NS1_11comp_targetILNS1_3genE8ELNS1_11target_archE1030ELNS1_3gpuE2ELNS1_3repE0EEENS1_30default_config_static_selectorELNS0_4arch9wavefront6targetE0EEEvT1_
	.p2align	8
	.type	_ZN7rocprim17ROCPRIM_400000_NS6detail17trampoline_kernelINS0_14default_configENS1_33run_length_encode_config_selectorIijNS0_4plusIjEEEEZZNS1_33reduce_by_key_impl_wrapped_configILNS1_25lookback_scan_determinismE0ES3_S7_PKiNS0_17constant_iteratorIjlEEPiPlSF_S6_NS0_8equal_toIiEEEE10hipError_tPvRmT2_T3_mT4_T5_T6_T7_T8_P12ihipStream_tbENKUlT_T0_E_clISt17integral_constantIbLb0EESZ_EEDaSU_SV_EUlSU_E_NS1_11comp_targetILNS1_3genE8ELNS1_11target_archE1030ELNS1_3gpuE2ELNS1_3repE0EEENS1_30default_config_static_selectorELNS0_4arch9wavefront6targetE0EEEvT1_,@function
_ZN7rocprim17ROCPRIM_400000_NS6detail17trampoline_kernelINS0_14default_configENS1_33run_length_encode_config_selectorIijNS0_4plusIjEEEEZZNS1_33reduce_by_key_impl_wrapped_configILNS1_25lookback_scan_determinismE0ES3_S7_PKiNS0_17constant_iteratorIjlEEPiPlSF_S6_NS0_8equal_toIiEEEE10hipError_tPvRmT2_T3_mT4_T5_T6_T7_T8_P12ihipStream_tbENKUlT_T0_E_clISt17integral_constantIbLb0EESZ_EEDaSU_SV_EUlSU_E_NS1_11comp_targetILNS1_3genE8ELNS1_11target_archE1030ELNS1_3gpuE2ELNS1_3repE0EEENS1_30default_config_static_selectorELNS0_4arch9wavefront6targetE0EEEvT1_: ; @_ZN7rocprim17ROCPRIM_400000_NS6detail17trampoline_kernelINS0_14default_configENS1_33run_length_encode_config_selectorIijNS0_4plusIjEEEEZZNS1_33reduce_by_key_impl_wrapped_configILNS1_25lookback_scan_determinismE0ES3_S7_PKiNS0_17constant_iteratorIjlEEPiPlSF_S6_NS0_8equal_toIiEEEE10hipError_tPvRmT2_T3_mT4_T5_T6_T7_T8_P12ihipStream_tbENKUlT_T0_E_clISt17integral_constantIbLb0EESZ_EEDaSU_SV_EUlSU_E_NS1_11comp_targetILNS1_3genE8ELNS1_11target_archE1030ELNS1_3gpuE2ELNS1_3repE0EEENS1_30default_config_static_selectorELNS0_4arch9wavefront6targetE0EEEvT1_
; %bb.0:
	.section	.rodata,"a",@progbits
	.p2align	6, 0x0
	.amdhsa_kernel _ZN7rocprim17ROCPRIM_400000_NS6detail17trampoline_kernelINS0_14default_configENS1_33run_length_encode_config_selectorIijNS0_4plusIjEEEEZZNS1_33reduce_by_key_impl_wrapped_configILNS1_25lookback_scan_determinismE0ES3_S7_PKiNS0_17constant_iteratorIjlEEPiPlSF_S6_NS0_8equal_toIiEEEE10hipError_tPvRmT2_T3_mT4_T5_T6_T7_T8_P12ihipStream_tbENKUlT_T0_E_clISt17integral_constantIbLb0EESZ_EEDaSU_SV_EUlSU_E_NS1_11comp_targetILNS1_3genE8ELNS1_11target_archE1030ELNS1_3gpuE2ELNS1_3repE0EEENS1_30default_config_static_selectorELNS0_4arch9wavefront6targetE0EEEvT1_
		.amdhsa_group_segment_fixed_size 0
		.amdhsa_private_segment_fixed_size 0
		.amdhsa_kernarg_size 128
		.amdhsa_user_sgpr_count 2
		.amdhsa_user_sgpr_dispatch_ptr 0
		.amdhsa_user_sgpr_queue_ptr 0
		.amdhsa_user_sgpr_kernarg_segment_ptr 1
		.amdhsa_user_sgpr_dispatch_id 0
		.amdhsa_user_sgpr_kernarg_preload_length 0
		.amdhsa_user_sgpr_kernarg_preload_offset 0
		.amdhsa_user_sgpr_private_segment_size 0
		.amdhsa_wavefront_size32 1
		.amdhsa_uses_dynamic_stack 0
		.amdhsa_enable_private_segment 0
		.amdhsa_system_sgpr_workgroup_id_x 1
		.amdhsa_system_sgpr_workgroup_id_y 0
		.amdhsa_system_sgpr_workgroup_id_z 0
		.amdhsa_system_sgpr_workgroup_info 0
		.amdhsa_system_vgpr_workitem_id 0
		.amdhsa_next_free_vgpr 1
		.amdhsa_next_free_sgpr 1
		.amdhsa_named_barrier_count 0
		.amdhsa_reserve_vcc 0
		.amdhsa_float_round_mode_32 0
		.amdhsa_float_round_mode_16_64 0
		.amdhsa_float_denorm_mode_32 3
		.amdhsa_float_denorm_mode_16_64 3
		.amdhsa_fp16_overflow 0
		.amdhsa_memory_ordered 1
		.amdhsa_forward_progress 1
		.amdhsa_inst_pref_size 0
		.amdhsa_round_robin_scheduling 0
		.amdhsa_exception_fp_ieee_invalid_op 0
		.amdhsa_exception_fp_denorm_src 0
		.amdhsa_exception_fp_ieee_div_zero 0
		.amdhsa_exception_fp_ieee_overflow 0
		.amdhsa_exception_fp_ieee_underflow 0
		.amdhsa_exception_fp_ieee_inexact 0
		.amdhsa_exception_int_div_zero 0
	.end_amdhsa_kernel
	.section	.text._ZN7rocprim17ROCPRIM_400000_NS6detail17trampoline_kernelINS0_14default_configENS1_33run_length_encode_config_selectorIijNS0_4plusIjEEEEZZNS1_33reduce_by_key_impl_wrapped_configILNS1_25lookback_scan_determinismE0ES3_S7_PKiNS0_17constant_iteratorIjlEEPiPlSF_S6_NS0_8equal_toIiEEEE10hipError_tPvRmT2_T3_mT4_T5_T6_T7_T8_P12ihipStream_tbENKUlT_T0_E_clISt17integral_constantIbLb0EESZ_EEDaSU_SV_EUlSU_E_NS1_11comp_targetILNS1_3genE8ELNS1_11target_archE1030ELNS1_3gpuE2ELNS1_3repE0EEENS1_30default_config_static_selectorELNS0_4arch9wavefront6targetE0EEEvT1_,"axG",@progbits,_ZN7rocprim17ROCPRIM_400000_NS6detail17trampoline_kernelINS0_14default_configENS1_33run_length_encode_config_selectorIijNS0_4plusIjEEEEZZNS1_33reduce_by_key_impl_wrapped_configILNS1_25lookback_scan_determinismE0ES3_S7_PKiNS0_17constant_iteratorIjlEEPiPlSF_S6_NS0_8equal_toIiEEEE10hipError_tPvRmT2_T3_mT4_T5_T6_T7_T8_P12ihipStream_tbENKUlT_T0_E_clISt17integral_constantIbLb0EESZ_EEDaSU_SV_EUlSU_E_NS1_11comp_targetILNS1_3genE8ELNS1_11target_archE1030ELNS1_3gpuE2ELNS1_3repE0EEENS1_30default_config_static_selectorELNS0_4arch9wavefront6targetE0EEEvT1_,comdat
.Lfunc_end450:
	.size	_ZN7rocprim17ROCPRIM_400000_NS6detail17trampoline_kernelINS0_14default_configENS1_33run_length_encode_config_selectorIijNS0_4plusIjEEEEZZNS1_33reduce_by_key_impl_wrapped_configILNS1_25lookback_scan_determinismE0ES3_S7_PKiNS0_17constant_iteratorIjlEEPiPlSF_S6_NS0_8equal_toIiEEEE10hipError_tPvRmT2_T3_mT4_T5_T6_T7_T8_P12ihipStream_tbENKUlT_T0_E_clISt17integral_constantIbLb0EESZ_EEDaSU_SV_EUlSU_E_NS1_11comp_targetILNS1_3genE8ELNS1_11target_archE1030ELNS1_3gpuE2ELNS1_3repE0EEENS1_30default_config_static_selectorELNS0_4arch9wavefront6targetE0EEEvT1_, .Lfunc_end450-_ZN7rocprim17ROCPRIM_400000_NS6detail17trampoline_kernelINS0_14default_configENS1_33run_length_encode_config_selectorIijNS0_4plusIjEEEEZZNS1_33reduce_by_key_impl_wrapped_configILNS1_25lookback_scan_determinismE0ES3_S7_PKiNS0_17constant_iteratorIjlEEPiPlSF_S6_NS0_8equal_toIiEEEE10hipError_tPvRmT2_T3_mT4_T5_T6_T7_T8_P12ihipStream_tbENKUlT_T0_E_clISt17integral_constantIbLb0EESZ_EEDaSU_SV_EUlSU_E_NS1_11comp_targetILNS1_3genE8ELNS1_11target_archE1030ELNS1_3gpuE2ELNS1_3repE0EEENS1_30default_config_static_selectorELNS0_4arch9wavefront6targetE0EEEvT1_
                                        ; -- End function
	.set _ZN7rocprim17ROCPRIM_400000_NS6detail17trampoline_kernelINS0_14default_configENS1_33run_length_encode_config_selectorIijNS0_4plusIjEEEEZZNS1_33reduce_by_key_impl_wrapped_configILNS1_25lookback_scan_determinismE0ES3_S7_PKiNS0_17constant_iteratorIjlEEPiPlSF_S6_NS0_8equal_toIiEEEE10hipError_tPvRmT2_T3_mT4_T5_T6_T7_T8_P12ihipStream_tbENKUlT_T0_E_clISt17integral_constantIbLb0EESZ_EEDaSU_SV_EUlSU_E_NS1_11comp_targetILNS1_3genE8ELNS1_11target_archE1030ELNS1_3gpuE2ELNS1_3repE0EEENS1_30default_config_static_selectorELNS0_4arch9wavefront6targetE0EEEvT1_.num_vgpr, 0
	.set _ZN7rocprim17ROCPRIM_400000_NS6detail17trampoline_kernelINS0_14default_configENS1_33run_length_encode_config_selectorIijNS0_4plusIjEEEEZZNS1_33reduce_by_key_impl_wrapped_configILNS1_25lookback_scan_determinismE0ES3_S7_PKiNS0_17constant_iteratorIjlEEPiPlSF_S6_NS0_8equal_toIiEEEE10hipError_tPvRmT2_T3_mT4_T5_T6_T7_T8_P12ihipStream_tbENKUlT_T0_E_clISt17integral_constantIbLb0EESZ_EEDaSU_SV_EUlSU_E_NS1_11comp_targetILNS1_3genE8ELNS1_11target_archE1030ELNS1_3gpuE2ELNS1_3repE0EEENS1_30default_config_static_selectorELNS0_4arch9wavefront6targetE0EEEvT1_.num_agpr, 0
	.set _ZN7rocprim17ROCPRIM_400000_NS6detail17trampoline_kernelINS0_14default_configENS1_33run_length_encode_config_selectorIijNS0_4plusIjEEEEZZNS1_33reduce_by_key_impl_wrapped_configILNS1_25lookback_scan_determinismE0ES3_S7_PKiNS0_17constant_iteratorIjlEEPiPlSF_S6_NS0_8equal_toIiEEEE10hipError_tPvRmT2_T3_mT4_T5_T6_T7_T8_P12ihipStream_tbENKUlT_T0_E_clISt17integral_constantIbLb0EESZ_EEDaSU_SV_EUlSU_E_NS1_11comp_targetILNS1_3genE8ELNS1_11target_archE1030ELNS1_3gpuE2ELNS1_3repE0EEENS1_30default_config_static_selectorELNS0_4arch9wavefront6targetE0EEEvT1_.numbered_sgpr, 0
	.set _ZN7rocprim17ROCPRIM_400000_NS6detail17trampoline_kernelINS0_14default_configENS1_33run_length_encode_config_selectorIijNS0_4plusIjEEEEZZNS1_33reduce_by_key_impl_wrapped_configILNS1_25lookback_scan_determinismE0ES3_S7_PKiNS0_17constant_iteratorIjlEEPiPlSF_S6_NS0_8equal_toIiEEEE10hipError_tPvRmT2_T3_mT4_T5_T6_T7_T8_P12ihipStream_tbENKUlT_T0_E_clISt17integral_constantIbLb0EESZ_EEDaSU_SV_EUlSU_E_NS1_11comp_targetILNS1_3genE8ELNS1_11target_archE1030ELNS1_3gpuE2ELNS1_3repE0EEENS1_30default_config_static_selectorELNS0_4arch9wavefront6targetE0EEEvT1_.num_named_barrier, 0
	.set _ZN7rocprim17ROCPRIM_400000_NS6detail17trampoline_kernelINS0_14default_configENS1_33run_length_encode_config_selectorIijNS0_4plusIjEEEEZZNS1_33reduce_by_key_impl_wrapped_configILNS1_25lookback_scan_determinismE0ES3_S7_PKiNS0_17constant_iteratorIjlEEPiPlSF_S6_NS0_8equal_toIiEEEE10hipError_tPvRmT2_T3_mT4_T5_T6_T7_T8_P12ihipStream_tbENKUlT_T0_E_clISt17integral_constantIbLb0EESZ_EEDaSU_SV_EUlSU_E_NS1_11comp_targetILNS1_3genE8ELNS1_11target_archE1030ELNS1_3gpuE2ELNS1_3repE0EEENS1_30default_config_static_selectorELNS0_4arch9wavefront6targetE0EEEvT1_.private_seg_size, 0
	.set _ZN7rocprim17ROCPRIM_400000_NS6detail17trampoline_kernelINS0_14default_configENS1_33run_length_encode_config_selectorIijNS0_4plusIjEEEEZZNS1_33reduce_by_key_impl_wrapped_configILNS1_25lookback_scan_determinismE0ES3_S7_PKiNS0_17constant_iteratorIjlEEPiPlSF_S6_NS0_8equal_toIiEEEE10hipError_tPvRmT2_T3_mT4_T5_T6_T7_T8_P12ihipStream_tbENKUlT_T0_E_clISt17integral_constantIbLb0EESZ_EEDaSU_SV_EUlSU_E_NS1_11comp_targetILNS1_3genE8ELNS1_11target_archE1030ELNS1_3gpuE2ELNS1_3repE0EEENS1_30default_config_static_selectorELNS0_4arch9wavefront6targetE0EEEvT1_.uses_vcc, 0
	.set _ZN7rocprim17ROCPRIM_400000_NS6detail17trampoline_kernelINS0_14default_configENS1_33run_length_encode_config_selectorIijNS0_4plusIjEEEEZZNS1_33reduce_by_key_impl_wrapped_configILNS1_25lookback_scan_determinismE0ES3_S7_PKiNS0_17constant_iteratorIjlEEPiPlSF_S6_NS0_8equal_toIiEEEE10hipError_tPvRmT2_T3_mT4_T5_T6_T7_T8_P12ihipStream_tbENKUlT_T0_E_clISt17integral_constantIbLb0EESZ_EEDaSU_SV_EUlSU_E_NS1_11comp_targetILNS1_3genE8ELNS1_11target_archE1030ELNS1_3gpuE2ELNS1_3repE0EEENS1_30default_config_static_selectorELNS0_4arch9wavefront6targetE0EEEvT1_.uses_flat_scratch, 0
	.set _ZN7rocprim17ROCPRIM_400000_NS6detail17trampoline_kernelINS0_14default_configENS1_33run_length_encode_config_selectorIijNS0_4plusIjEEEEZZNS1_33reduce_by_key_impl_wrapped_configILNS1_25lookback_scan_determinismE0ES3_S7_PKiNS0_17constant_iteratorIjlEEPiPlSF_S6_NS0_8equal_toIiEEEE10hipError_tPvRmT2_T3_mT4_T5_T6_T7_T8_P12ihipStream_tbENKUlT_T0_E_clISt17integral_constantIbLb0EESZ_EEDaSU_SV_EUlSU_E_NS1_11comp_targetILNS1_3genE8ELNS1_11target_archE1030ELNS1_3gpuE2ELNS1_3repE0EEENS1_30default_config_static_selectorELNS0_4arch9wavefront6targetE0EEEvT1_.has_dyn_sized_stack, 0
	.set _ZN7rocprim17ROCPRIM_400000_NS6detail17trampoline_kernelINS0_14default_configENS1_33run_length_encode_config_selectorIijNS0_4plusIjEEEEZZNS1_33reduce_by_key_impl_wrapped_configILNS1_25lookback_scan_determinismE0ES3_S7_PKiNS0_17constant_iteratorIjlEEPiPlSF_S6_NS0_8equal_toIiEEEE10hipError_tPvRmT2_T3_mT4_T5_T6_T7_T8_P12ihipStream_tbENKUlT_T0_E_clISt17integral_constantIbLb0EESZ_EEDaSU_SV_EUlSU_E_NS1_11comp_targetILNS1_3genE8ELNS1_11target_archE1030ELNS1_3gpuE2ELNS1_3repE0EEENS1_30default_config_static_selectorELNS0_4arch9wavefront6targetE0EEEvT1_.has_recursion, 0
	.set _ZN7rocprim17ROCPRIM_400000_NS6detail17trampoline_kernelINS0_14default_configENS1_33run_length_encode_config_selectorIijNS0_4plusIjEEEEZZNS1_33reduce_by_key_impl_wrapped_configILNS1_25lookback_scan_determinismE0ES3_S7_PKiNS0_17constant_iteratorIjlEEPiPlSF_S6_NS0_8equal_toIiEEEE10hipError_tPvRmT2_T3_mT4_T5_T6_T7_T8_P12ihipStream_tbENKUlT_T0_E_clISt17integral_constantIbLb0EESZ_EEDaSU_SV_EUlSU_E_NS1_11comp_targetILNS1_3genE8ELNS1_11target_archE1030ELNS1_3gpuE2ELNS1_3repE0EEENS1_30default_config_static_selectorELNS0_4arch9wavefront6targetE0EEEvT1_.has_indirect_call, 0
	.section	.AMDGPU.csdata,"",@progbits
; Kernel info:
; codeLenInByte = 0
; TotalNumSgprs: 0
; NumVgprs: 0
; ScratchSize: 0
; MemoryBound: 0
; FloatMode: 240
; IeeeMode: 1
; LDSByteSize: 0 bytes/workgroup (compile time only)
; SGPRBlocks: 0
; VGPRBlocks: 0
; NumSGPRsForWavesPerEU: 1
; NumVGPRsForWavesPerEU: 1
; NamedBarCnt: 0
; Occupancy: 16
; WaveLimiterHint : 0
; COMPUTE_PGM_RSRC2:SCRATCH_EN: 0
; COMPUTE_PGM_RSRC2:USER_SGPR: 2
; COMPUTE_PGM_RSRC2:TRAP_HANDLER: 0
; COMPUTE_PGM_RSRC2:TGID_X_EN: 1
; COMPUTE_PGM_RSRC2:TGID_Y_EN: 0
; COMPUTE_PGM_RSRC2:TGID_Z_EN: 0
; COMPUTE_PGM_RSRC2:TIDIG_COMP_CNT: 0
	.section	.text._ZN7rocprim17ROCPRIM_400000_NS6detail17trampoline_kernelINS0_14default_configENS1_33run_length_encode_config_selectorIijNS0_4plusIjEEEEZZNS1_33reduce_by_key_impl_wrapped_configILNS1_25lookback_scan_determinismE0ES3_S7_PKiNS0_17constant_iteratorIjlEEPiPlSF_S6_NS0_8equal_toIiEEEE10hipError_tPvRmT2_T3_mT4_T5_T6_T7_T8_P12ihipStream_tbENKUlT_T0_E_clISt17integral_constantIbLb1EESZ_EEDaSU_SV_EUlSU_E_NS1_11comp_targetILNS1_3genE0ELNS1_11target_archE4294967295ELNS1_3gpuE0ELNS1_3repE0EEENS1_30default_config_static_selectorELNS0_4arch9wavefront6targetE0EEEvT1_,"axG",@progbits,_ZN7rocprim17ROCPRIM_400000_NS6detail17trampoline_kernelINS0_14default_configENS1_33run_length_encode_config_selectorIijNS0_4plusIjEEEEZZNS1_33reduce_by_key_impl_wrapped_configILNS1_25lookback_scan_determinismE0ES3_S7_PKiNS0_17constant_iteratorIjlEEPiPlSF_S6_NS0_8equal_toIiEEEE10hipError_tPvRmT2_T3_mT4_T5_T6_T7_T8_P12ihipStream_tbENKUlT_T0_E_clISt17integral_constantIbLb1EESZ_EEDaSU_SV_EUlSU_E_NS1_11comp_targetILNS1_3genE0ELNS1_11target_archE4294967295ELNS1_3gpuE0ELNS1_3repE0EEENS1_30default_config_static_selectorELNS0_4arch9wavefront6targetE0EEEvT1_,comdat
	.protected	_ZN7rocprim17ROCPRIM_400000_NS6detail17trampoline_kernelINS0_14default_configENS1_33run_length_encode_config_selectorIijNS0_4plusIjEEEEZZNS1_33reduce_by_key_impl_wrapped_configILNS1_25lookback_scan_determinismE0ES3_S7_PKiNS0_17constant_iteratorIjlEEPiPlSF_S6_NS0_8equal_toIiEEEE10hipError_tPvRmT2_T3_mT4_T5_T6_T7_T8_P12ihipStream_tbENKUlT_T0_E_clISt17integral_constantIbLb1EESZ_EEDaSU_SV_EUlSU_E_NS1_11comp_targetILNS1_3genE0ELNS1_11target_archE4294967295ELNS1_3gpuE0ELNS1_3repE0EEENS1_30default_config_static_selectorELNS0_4arch9wavefront6targetE0EEEvT1_ ; -- Begin function _ZN7rocprim17ROCPRIM_400000_NS6detail17trampoline_kernelINS0_14default_configENS1_33run_length_encode_config_selectorIijNS0_4plusIjEEEEZZNS1_33reduce_by_key_impl_wrapped_configILNS1_25lookback_scan_determinismE0ES3_S7_PKiNS0_17constant_iteratorIjlEEPiPlSF_S6_NS0_8equal_toIiEEEE10hipError_tPvRmT2_T3_mT4_T5_T6_T7_T8_P12ihipStream_tbENKUlT_T0_E_clISt17integral_constantIbLb1EESZ_EEDaSU_SV_EUlSU_E_NS1_11comp_targetILNS1_3genE0ELNS1_11target_archE4294967295ELNS1_3gpuE0ELNS1_3repE0EEENS1_30default_config_static_selectorELNS0_4arch9wavefront6targetE0EEEvT1_
	.globl	_ZN7rocprim17ROCPRIM_400000_NS6detail17trampoline_kernelINS0_14default_configENS1_33run_length_encode_config_selectorIijNS0_4plusIjEEEEZZNS1_33reduce_by_key_impl_wrapped_configILNS1_25lookback_scan_determinismE0ES3_S7_PKiNS0_17constant_iteratorIjlEEPiPlSF_S6_NS0_8equal_toIiEEEE10hipError_tPvRmT2_T3_mT4_T5_T6_T7_T8_P12ihipStream_tbENKUlT_T0_E_clISt17integral_constantIbLb1EESZ_EEDaSU_SV_EUlSU_E_NS1_11comp_targetILNS1_3genE0ELNS1_11target_archE4294967295ELNS1_3gpuE0ELNS1_3repE0EEENS1_30default_config_static_selectorELNS0_4arch9wavefront6targetE0EEEvT1_
	.p2align	8
	.type	_ZN7rocprim17ROCPRIM_400000_NS6detail17trampoline_kernelINS0_14default_configENS1_33run_length_encode_config_selectorIijNS0_4plusIjEEEEZZNS1_33reduce_by_key_impl_wrapped_configILNS1_25lookback_scan_determinismE0ES3_S7_PKiNS0_17constant_iteratorIjlEEPiPlSF_S6_NS0_8equal_toIiEEEE10hipError_tPvRmT2_T3_mT4_T5_T6_T7_T8_P12ihipStream_tbENKUlT_T0_E_clISt17integral_constantIbLb1EESZ_EEDaSU_SV_EUlSU_E_NS1_11comp_targetILNS1_3genE0ELNS1_11target_archE4294967295ELNS1_3gpuE0ELNS1_3repE0EEENS1_30default_config_static_selectorELNS0_4arch9wavefront6targetE0EEEvT1_,@function
_ZN7rocprim17ROCPRIM_400000_NS6detail17trampoline_kernelINS0_14default_configENS1_33run_length_encode_config_selectorIijNS0_4plusIjEEEEZZNS1_33reduce_by_key_impl_wrapped_configILNS1_25lookback_scan_determinismE0ES3_S7_PKiNS0_17constant_iteratorIjlEEPiPlSF_S6_NS0_8equal_toIiEEEE10hipError_tPvRmT2_T3_mT4_T5_T6_T7_T8_P12ihipStream_tbENKUlT_T0_E_clISt17integral_constantIbLb1EESZ_EEDaSU_SV_EUlSU_E_NS1_11comp_targetILNS1_3genE0ELNS1_11target_archE4294967295ELNS1_3gpuE0ELNS1_3repE0EEENS1_30default_config_static_selectorELNS0_4arch9wavefront6targetE0EEEvT1_: ; @_ZN7rocprim17ROCPRIM_400000_NS6detail17trampoline_kernelINS0_14default_configENS1_33run_length_encode_config_selectorIijNS0_4plusIjEEEEZZNS1_33reduce_by_key_impl_wrapped_configILNS1_25lookback_scan_determinismE0ES3_S7_PKiNS0_17constant_iteratorIjlEEPiPlSF_S6_NS0_8equal_toIiEEEE10hipError_tPvRmT2_T3_mT4_T5_T6_T7_T8_P12ihipStream_tbENKUlT_T0_E_clISt17integral_constantIbLb1EESZ_EEDaSU_SV_EUlSU_E_NS1_11comp_targetILNS1_3genE0ELNS1_11target_archE4294967295ELNS1_3gpuE0ELNS1_3repE0EEENS1_30default_config_static_selectorELNS0_4arch9wavefront6targetE0EEEvT1_
; %bb.0:
	s_endpgm
	.section	.rodata,"a",@progbits
	.p2align	6, 0x0
	.amdhsa_kernel _ZN7rocprim17ROCPRIM_400000_NS6detail17trampoline_kernelINS0_14default_configENS1_33run_length_encode_config_selectorIijNS0_4plusIjEEEEZZNS1_33reduce_by_key_impl_wrapped_configILNS1_25lookback_scan_determinismE0ES3_S7_PKiNS0_17constant_iteratorIjlEEPiPlSF_S6_NS0_8equal_toIiEEEE10hipError_tPvRmT2_T3_mT4_T5_T6_T7_T8_P12ihipStream_tbENKUlT_T0_E_clISt17integral_constantIbLb1EESZ_EEDaSU_SV_EUlSU_E_NS1_11comp_targetILNS1_3genE0ELNS1_11target_archE4294967295ELNS1_3gpuE0ELNS1_3repE0EEENS1_30default_config_static_selectorELNS0_4arch9wavefront6targetE0EEEvT1_
		.amdhsa_group_segment_fixed_size 0
		.amdhsa_private_segment_fixed_size 0
		.amdhsa_kernarg_size 128
		.amdhsa_user_sgpr_count 2
		.amdhsa_user_sgpr_dispatch_ptr 0
		.amdhsa_user_sgpr_queue_ptr 0
		.amdhsa_user_sgpr_kernarg_segment_ptr 1
		.amdhsa_user_sgpr_dispatch_id 0
		.amdhsa_user_sgpr_kernarg_preload_length 0
		.amdhsa_user_sgpr_kernarg_preload_offset 0
		.amdhsa_user_sgpr_private_segment_size 0
		.amdhsa_wavefront_size32 1
		.amdhsa_uses_dynamic_stack 0
		.amdhsa_enable_private_segment 0
		.amdhsa_system_sgpr_workgroup_id_x 1
		.amdhsa_system_sgpr_workgroup_id_y 0
		.amdhsa_system_sgpr_workgroup_id_z 0
		.amdhsa_system_sgpr_workgroup_info 0
		.amdhsa_system_vgpr_workitem_id 0
		.amdhsa_next_free_vgpr 1
		.amdhsa_next_free_sgpr 1
		.amdhsa_named_barrier_count 0
		.amdhsa_reserve_vcc 0
		.amdhsa_float_round_mode_32 0
		.amdhsa_float_round_mode_16_64 0
		.amdhsa_float_denorm_mode_32 3
		.amdhsa_float_denorm_mode_16_64 3
		.amdhsa_fp16_overflow 0
		.amdhsa_memory_ordered 1
		.amdhsa_forward_progress 1
		.amdhsa_inst_pref_size 1
		.amdhsa_round_robin_scheduling 0
		.amdhsa_exception_fp_ieee_invalid_op 0
		.amdhsa_exception_fp_denorm_src 0
		.amdhsa_exception_fp_ieee_div_zero 0
		.amdhsa_exception_fp_ieee_overflow 0
		.amdhsa_exception_fp_ieee_underflow 0
		.amdhsa_exception_fp_ieee_inexact 0
		.amdhsa_exception_int_div_zero 0
	.end_amdhsa_kernel
	.section	.text._ZN7rocprim17ROCPRIM_400000_NS6detail17trampoline_kernelINS0_14default_configENS1_33run_length_encode_config_selectorIijNS0_4plusIjEEEEZZNS1_33reduce_by_key_impl_wrapped_configILNS1_25lookback_scan_determinismE0ES3_S7_PKiNS0_17constant_iteratorIjlEEPiPlSF_S6_NS0_8equal_toIiEEEE10hipError_tPvRmT2_T3_mT4_T5_T6_T7_T8_P12ihipStream_tbENKUlT_T0_E_clISt17integral_constantIbLb1EESZ_EEDaSU_SV_EUlSU_E_NS1_11comp_targetILNS1_3genE0ELNS1_11target_archE4294967295ELNS1_3gpuE0ELNS1_3repE0EEENS1_30default_config_static_selectorELNS0_4arch9wavefront6targetE0EEEvT1_,"axG",@progbits,_ZN7rocprim17ROCPRIM_400000_NS6detail17trampoline_kernelINS0_14default_configENS1_33run_length_encode_config_selectorIijNS0_4plusIjEEEEZZNS1_33reduce_by_key_impl_wrapped_configILNS1_25lookback_scan_determinismE0ES3_S7_PKiNS0_17constant_iteratorIjlEEPiPlSF_S6_NS0_8equal_toIiEEEE10hipError_tPvRmT2_T3_mT4_T5_T6_T7_T8_P12ihipStream_tbENKUlT_T0_E_clISt17integral_constantIbLb1EESZ_EEDaSU_SV_EUlSU_E_NS1_11comp_targetILNS1_3genE0ELNS1_11target_archE4294967295ELNS1_3gpuE0ELNS1_3repE0EEENS1_30default_config_static_selectorELNS0_4arch9wavefront6targetE0EEEvT1_,comdat
.Lfunc_end451:
	.size	_ZN7rocprim17ROCPRIM_400000_NS6detail17trampoline_kernelINS0_14default_configENS1_33run_length_encode_config_selectorIijNS0_4plusIjEEEEZZNS1_33reduce_by_key_impl_wrapped_configILNS1_25lookback_scan_determinismE0ES3_S7_PKiNS0_17constant_iteratorIjlEEPiPlSF_S6_NS0_8equal_toIiEEEE10hipError_tPvRmT2_T3_mT4_T5_T6_T7_T8_P12ihipStream_tbENKUlT_T0_E_clISt17integral_constantIbLb1EESZ_EEDaSU_SV_EUlSU_E_NS1_11comp_targetILNS1_3genE0ELNS1_11target_archE4294967295ELNS1_3gpuE0ELNS1_3repE0EEENS1_30default_config_static_selectorELNS0_4arch9wavefront6targetE0EEEvT1_, .Lfunc_end451-_ZN7rocprim17ROCPRIM_400000_NS6detail17trampoline_kernelINS0_14default_configENS1_33run_length_encode_config_selectorIijNS0_4plusIjEEEEZZNS1_33reduce_by_key_impl_wrapped_configILNS1_25lookback_scan_determinismE0ES3_S7_PKiNS0_17constant_iteratorIjlEEPiPlSF_S6_NS0_8equal_toIiEEEE10hipError_tPvRmT2_T3_mT4_T5_T6_T7_T8_P12ihipStream_tbENKUlT_T0_E_clISt17integral_constantIbLb1EESZ_EEDaSU_SV_EUlSU_E_NS1_11comp_targetILNS1_3genE0ELNS1_11target_archE4294967295ELNS1_3gpuE0ELNS1_3repE0EEENS1_30default_config_static_selectorELNS0_4arch9wavefront6targetE0EEEvT1_
                                        ; -- End function
	.set _ZN7rocprim17ROCPRIM_400000_NS6detail17trampoline_kernelINS0_14default_configENS1_33run_length_encode_config_selectorIijNS0_4plusIjEEEEZZNS1_33reduce_by_key_impl_wrapped_configILNS1_25lookback_scan_determinismE0ES3_S7_PKiNS0_17constant_iteratorIjlEEPiPlSF_S6_NS0_8equal_toIiEEEE10hipError_tPvRmT2_T3_mT4_T5_T6_T7_T8_P12ihipStream_tbENKUlT_T0_E_clISt17integral_constantIbLb1EESZ_EEDaSU_SV_EUlSU_E_NS1_11comp_targetILNS1_3genE0ELNS1_11target_archE4294967295ELNS1_3gpuE0ELNS1_3repE0EEENS1_30default_config_static_selectorELNS0_4arch9wavefront6targetE0EEEvT1_.num_vgpr, 0
	.set _ZN7rocprim17ROCPRIM_400000_NS6detail17trampoline_kernelINS0_14default_configENS1_33run_length_encode_config_selectorIijNS0_4plusIjEEEEZZNS1_33reduce_by_key_impl_wrapped_configILNS1_25lookback_scan_determinismE0ES3_S7_PKiNS0_17constant_iteratorIjlEEPiPlSF_S6_NS0_8equal_toIiEEEE10hipError_tPvRmT2_T3_mT4_T5_T6_T7_T8_P12ihipStream_tbENKUlT_T0_E_clISt17integral_constantIbLb1EESZ_EEDaSU_SV_EUlSU_E_NS1_11comp_targetILNS1_3genE0ELNS1_11target_archE4294967295ELNS1_3gpuE0ELNS1_3repE0EEENS1_30default_config_static_selectorELNS0_4arch9wavefront6targetE0EEEvT1_.num_agpr, 0
	.set _ZN7rocprim17ROCPRIM_400000_NS6detail17trampoline_kernelINS0_14default_configENS1_33run_length_encode_config_selectorIijNS0_4plusIjEEEEZZNS1_33reduce_by_key_impl_wrapped_configILNS1_25lookback_scan_determinismE0ES3_S7_PKiNS0_17constant_iteratorIjlEEPiPlSF_S6_NS0_8equal_toIiEEEE10hipError_tPvRmT2_T3_mT4_T5_T6_T7_T8_P12ihipStream_tbENKUlT_T0_E_clISt17integral_constantIbLb1EESZ_EEDaSU_SV_EUlSU_E_NS1_11comp_targetILNS1_3genE0ELNS1_11target_archE4294967295ELNS1_3gpuE0ELNS1_3repE0EEENS1_30default_config_static_selectorELNS0_4arch9wavefront6targetE0EEEvT1_.numbered_sgpr, 0
	.set _ZN7rocprim17ROCPRIM_400000_NS6detail17trampoline_kernelINS0_14default_configENS1_33run_length_encode_config_selectorIijNS0_4plusIjEEEEZZNS1_33reduce_by_key_impl_wrapped_configILNS1_25lookback_scan_determinismE0ES3_S7_PKiNS0_17constant_iteratorIjlEEPiPlSF_S6_NS0_8equal_toIiEEEE10hipError_tPvRmT2_T3_mT4_T5_T6_T7_T8_P12ihipStream_tbENKUlT_T0_E_clISt17integral_constantIbLb1EESZ_EEDaSU_SV_EUlSU_E_NS1_11comp_targetILNS1_3genE0ELNS1_11target_archE4294967295ELNS1_3gpuE0ELNS1_3repE0EEENS1_30default_config_static_selectorELNS0_4arch9wavefront6targetE0EEEvT1_.num_named_barrier, 0
	.set _ZN7rocprim17ROCPRIM_400000_NS6detail17trampoline_kernelINS0_14default_configENS1_33run_length_encode_config_selectorIijNS0_4plusIjEEEEZZNS1_33reduce_by_key_impl_wrapped_configILNS1_25lookback_scan_determinismE0ES3_S7_PKiNS0_17constant_iteratorIjlEEPiPlSF_S6_NS0_8equal_toIiEEEE10hipError_tPvRmT2_T3_mT4_T5_T6_T7_T8_P12ihipStream_tbENKUlT_T0_E_clISt17integral_constantIbLb1EESZ_EEDaSU_SV_EUlSU_E_NS1_11comp_targetILNS1_3genE0ELNS1_11target_archE4294967295ELNS1_3gpuE0ELNS1_3repE0EEENS1_30default_config_static_selectorELNS0_4arch9wavefront6targetE0EEEvT1_.private_seg_size, 0
	.set _ZN7rocprim17ROCPRIM_400000_NS6detail17trampoline_kernelINS0_14default_configENS1_33run_length_encode_config_selectorIijNS0_4plusIjEEEEZZNS1_33reduce_by_key_impl_wrapped_configILNS1_25lookback_scan_determinismE0ES3_S7_PKiNS0_17constant_iteratorIjlEEPiPlSF_S6_NS0_8equal_toIiEEEE10hipError_tPvRmT2_T3_mT4_T5_T6_T7_T8_P12ihipStream_tbENKUlT_T0_E_clISt17integral_constantIbLb1EESZ_EEDaSU_SV_EUlSU_E_NS1_11comp_targetILNS1_3genE0ELNS1_11target_archE4294967295ELNS1_3gpuE0ELNS1_3repE0EEENS1_30default_config_static_selectorELNS0_4arch9wavefront6targetE0EEEvT1_.uses_vcc, 0
	.set _ZN7rocprim17ROCPRIM_400000_NS6detail17trampoline_kernelINS0_14default_configENS1_33run_length_encode_config_selectorIijNS0_4plusIjEEEEZZNS1_33reduce_by_key_impl_wrapped_configILNS1_25lookback_scan_determinismE0ES3_S7_PKiNS0_17constant_iteratorIjlEEPiPlSF_S6_NS0_8equal_toIiEEEE10hipError_tPvRmT2_T3_mT4_T5_T6_T7_T8_P12ihipStream_tbENKUlT_T0_E_clISt17integral_constantIbLb1EESZ_EEDaSU_SV_EUlSU_E_NS1_11comp_targetILNS1_3genE0ELNS1_11target_archE4294967295ELNS1_3gpuE0ELNS1_3repE0EEENS1_30default_config_static_selectorELNS0_4arch9wavefront6targetE0EEEvT1_.uses_flat_scratch, 0
	.set _ZN7rocprim17ROCPRIM_400000_NS6detail17trampoline_kernelINS0_14default_configENS1_33run_length_encode_config_selectorIijNS0_4plusIjEEEEZZNS1_33reduce_by_key_impl_wrapped_configILNS1_25lookback_scan_determinismE0ES3_S7_PKiNS0_17constant_iteratorIjlEEPiPlSF_S6_NS0_8equal_toIiEEEE10hipError_tPvRmT2_T3_mT4_T5_T6_T7_T8_P12ihipStream_tbENKUlT_T0_E_clISt17integral_constantIbLb1EESZ_EEDaSU_SV_EUlSU_E_NS1_11comp_targetILNS1_3genE0ELNS1_11target_archE4294967295ELNS1_3gpuE0ELNS1_3repE0EEENS1_30default_config_static_selectorELNS0_4arch9wavefront6targetE0EEEvT1_.has_dyn_sized_stack, 0
	.set _ZN7rocprim17ROCPRIM_400000_NS6detail17trampoline_kernelINS0_14default_configENS1_33run_length_encode_config_selectorIijNS0_4plusIjEEEEZZNS1_33reduce_by_key_impl_wrapped_configILNS1_25lookback_scan_determinismE0ES3_S7_PKiNS0_17constant_iteratorIjlEEPiPlSF_S6_NS0_8equal_toIiEEEE10hipError_tPvRmT2_T3_mT4_T5_T6_T7_T8_P12ihipStream_tbENKUlT_T0_E_clISt17integral_constantIbLb1EESZ_EEDaSU_SV_EUlSU_E_NS1_11comp_targetILNS1_3genE0ELNS1_11target_archE4294967295ELNS1_3gpuE0ELNS1_3repE0EEENS1_30default_config_static_selectorELNS0_4arch9wavefront6targetE0EEEvT1_.has_recursion, 0
	.set _ZN7rocprim17ROCPRIM_400000_NS6detail17trampoline_kernelINS0_14default_configENS1_33run_length_encode_config_selectorIijNS0_4plusIjEEEEZZNS1_33reduce_by_key_impl_wrapped_configILNS1_25lookback_scan_determinismE0ES3_S7_PKiNS0_17constant_iteratorIjlEEPiPlSF_S6_NS0_8equal_toIiEEEE10hipError_tPvRmT2_T3_mT4_T5_T6_T7_T8_P12ihipStream_tbENKUlT_T0_E_clISt17integral_constantIbLb1EESZ_EEDaSU_SV_EUlSU_E_NS1_11comp_targetILNS1_3genE0ELNS1_11target_archE4294967295ELNS1_3gpuE0ELNS1_3repE0EEENS1_30default_config_static_selectorELNS0_4arch9wavefront6targetE0EEEvT1_.has_indirect_call, 0
	.section	.AMDGPU.csdata,"",@progbits
; Kernel info:
; codeLenInByte = 4
; TotalNumSgprs: 0
; NumVgprs: 0
; ScratchSize: 0
; MemoryBound: 0
; FloatMode: 240
; IeeeMode: 1
; LDSByteSize: 0 bytes/workgroup (compile time only)
; SGPRBlocks: 0
; VGPRBlocks: 0
; NumSGPRsForWavesPerEU: 1
; NumVGPRsForWavesPerEU: 1
; NamedBarCnt: 0
; Occupancy: 16
; WaveLimiterHint : 0
; COMPUTE_PGM_RSRC2:SCRATCH_EN: 0
; COMPUTE_PGM_RSRC2:USER_SGPR: 2
; COMPUTE_PGM_RSRC2:TRAP_HANDLER: 0
; COMPUTE_PGM_RSRC2:TGID_X_EN: 1
; COMPUTE_PGM_RSRC2:TGID_Y_EN: 0
; COMPUTE_PGM_RSRC2:TGID_Z_EN: 0
; COMPUTE_PGM_RSRC2:TIDIG_COMP_CNT: 0
	.section	.text._ZN7rocprim17ROCPRIM_400000_NS6detail17trampoline_kernelINS0_14default_configENS1_33run_length_encode_config_selectorIijNS0_4plusIjEEEEZZNS1_33reduce_by_key_impl_wrapped_configILNS1_25lookback_scan_determinismE0ES3_S7_PKiNS0_17constant_iteratorIjlEEPiPlSF_S6_NS0_8equal_toIiEEEE10hipError_tPvRmT2_T3_mT4_T5_T6_T7_T8_P12ihipStream_tbENKUlT_T0_E_clISt17integral_constantIbLb1EESZ_EEDaSU_SV_EUlSU_E_NS1_11comp_targetILNS1_3genE5ELNS1_11target_archE942ELNS1_3gpuE9ELNS1_3repE0EEENS1_30default_config_static_selectorELNS0_4arch9wavefront6targetE0EEEvT1_,"axG",@progbits,_ZN7rocprim17ROCPRIM_400000_NS6detail17trampoline_kernelINS0_14default_configENS1_33run_length_encode_config_selectorIijNS0_4plusIjEEEEZZNS1_33reduce_by_key_impl_wrapped_configILNS1_25lookback_scan_determinismE0ES3_S7_PKiNS0_17constant_iteratorIjlEEPiPlSF_S6_NS0_8equal_toIiEEEE10hipError_tPvRmT2_T3_mT4_T5_T6_T7_T8_P12ihipStream_tbENKUlT_T0_E_clISt17integral_constantIbLb1EESZ_EEDaSU_SV_EUlSU_E_NS1_11comp_targetILNS1_3genE5ELNS1_11target_archE942ELNS1_3gpuE9ELNS1_3repE0EEENS1_30default_config_static_selectorELNS0_4arch9wavefront6targetE0EEEvT1_,comdat
	.protected	_ZN7rocprim17ROCPRIM_400000_NS6detail17trampoline_kernelINS0_14default_configENS1_33run_length_encode_config_selectorIijNS0_4plusIjEEEEZZNS1_33reduce_by_key_impl_wrapped_configILNS1_25lookback_scan_determinismE0ES3_S7_PKiNS0_17constant_iteratorIjlEEPiPlSF_S6_NS0_8equal_toIiEEEE10hipError_tPvRmT2_T3_mT4_T5_T6_T7_T8_P12ihipStream_tbENKUlT_T0_E_clISt17integral_constantIbLb1EESZ_EEDaSU_SV_EUlSU_E_NS1_11comp_targetILNS1_3genE5ELNS1_11target_archE942ELNS1_3gpuE9ELNS1_3repE0EEENS1_30default_config_static_selectorELNS0_4arch9wavefront6targetE0EEEvT1_ ; -- Begin function _ZN7rocprim17ROCPRIM_400000_NS6detail17trampoline_kernelINS0_14default_configENS1_33run_length_encode_config_selectorIijNS0_4plusIjEEEEZZNS1_33reduce_by_key_impl_wrapped_configILNS1_25lookback_scan_determinismE0ES3_S7_PKiNS0_17constant_iteratorIjlEEPiPlSF_S6_NS0_8equal_toIiEEEE10hipError_tPvRmT2_T3_mT4_T5_T6_T7_T8_P12ihipStream_tbENKUlT_T0_E_clISt17integral_constantIbLb1EESZ_EEDaSU_SV_EUlSU_E_NS1_11comp_targetILNS1_3genE5ELNS1_11target_archE942ELNS1_3gpuE9ELNS1_3repE0EEENS1_30default_config_static_selectorELNS0_4arch9wavefront6targetE0EEEvT1_
	.globl	_ZN7rocprim17ROCPRIM_400000_NS6detail17trampoline_kernelINS0_14default_configENS1_33run_length_encode_config_selectorIijNS0_4plusIjEEEEZZNS1_33reduce_by_key_impl_wrapped_configILNS1_25lookback_scan_determinismE0ES3_S7_PKiNS0_17constant_iteratorIjlEEPiPlSF_S6_NS0_8equal_toIiEEEE10hipError_tPvRmT2_T3_mT4_T5_T6_T7_T8_P12ihipStream_tbENKUlT_T0_E_clISt17integral_constantIbLb1EESZ_EEDaSU_SV_EUlSU_E_NS1_11comp_targetILNS1_3genE5ELNS1_11target_archE942ELNS1_3gpuE9ELNS1_3repE0EEENS1_30default_config_static_selectorELNS0_4arch9wavefront6targetE0EEEvT1_
	.p2align	8
	.type	_ZN7rocprim17ROCPRIM_400000_NS6detail17trampoline_kernelINS0_14default_configENS1_33run_length_encode_config_selectorIijNS0_4plusIjEEEEZZNS1_33reduce_by_key_impl_wrapped_configILNS1_25lookback_scan_determinismE0ES3_S7_PKiNS0_17constant_iteratorIjlEEPiPlSF_S6_NS0_8equal_toIiEEEE10hipError_tPvRmT2_T3_mT4_T5_T6_T7_T8_P12ihipStream_tbENKUlT_T0_E_clISt17integral_constantIbLb1EESZ_EEDaSU_SV_EUlSU_E_NS1_11comp_targetILNS1_3genE5ELNS1_11target_archE942ELNS1_3gpuE9ELNS1_3repE0EEENS1_30default_config_static_selectorELNS0_4arch9wavefront6targetE0EEEvT1_,@function
_ZN7rocprim17ROCPRIM_400000_NS6detail17trampoline_kernelINS0_14default_configENS1_33run_length_encode_config_selectorIijNS0_4plusIjEEEEZZNS1_33reduce_by_key_impl_wrapped_configILNS1_25lookback_scan_determinismE0ES3_S7_PKiNS0_17constant_iteratorIjlEEPiPlSF_S6_NS0_8equal_toIiEEEE10hipError_tPvRmT2_T3_mT4_T5_T6_T7_T8_P12ihipStream_tbENKUlT_T0_E_clISt17integral_constantIbLb1EESZ_EEDaSU_SV_EUlSU_E_NS1_11comp_targetILNS1_3genE5ELNS1_11target_archE942ELNS1_3gpuE9ELNS1_3repE0EEENS1_30default_config_static_selectorELNS0_4arch9wavefront6targetE0EEEvT1_: ; @_ZN7rocprim17ROCPRIM_400000_NS6detail17trampoline_kernelINS0_14default_configENS1_33run_length_encode_config_selectorIijNS0_4plusIjEEEEZZNS1_33reduce_by_key_impl_wrapped_configILNS1_25lookback_scan_determinismE0ES3_S7_PKiNS0_17constant_iteratorIjlEEPiPlSF_S6_NS0_8equal_toIiEEEE10hipError_tPvRmT2_T3_mT4_T5_T6_T7_T8_P12ihipStream_tbENKUlT_T0_E_clISt17integral_constantIbLb1EESZ_EEDaSU_SV_EUlSU_E_NS1_11comp_targetILNS1_3genE5ELNS1_11target_archE942ELNS1_3gpuE9ELNS1_3repE0EEENS1_30default_config_static_selectorELNS0_4arch9wavefront6targetE0EEEvT1_
; %bb.0:
	.section	.rodata,"a",@progbits
	.p2align	6, 0x0
	.amdhsa_kernel _ZN7rocprim17ROCPRIM_400000_NS6detail17trampoline_kernelINS0_14default_configENS1_33run_length_encode_config_selectorIijNS0_4plusIjEEEEZZNS1_33reduce_by_key_impl_wrapped_configILNS1_25lookback_scan_determinismE0ES3_S7_PKiNS0_17constant_iteratorIjlEEPiPlSF_S6_NS0_8equal_toIiEEEE10hipError_tPvRmT2_T3_mT4_T5_T6_T7_T8_P12ihipStream_tbENKUlT_T0_E_clISt17integral_constantIbLb1EESZ_EEDaSU_SV_EUlSU_E_NS1_11comp_targetILNS1_3genE5ELNS1_11target_archE942ELNS1_3gpuE9ELNS1_3repE0EEENS1_30default_config_static_selectorELNS0_4arch9wavefront6targetE0EEEvT1_
		.amdhsa_group_segment_fixed_size 0
		.amdhsa_private_segment_fixed_size 0
		.amdhsa_kernarg_size 128
		.amdhsa_user_sgpr_count 2
		.amdhsa_user_sgpr_dispatch_ptr 0
		.amdhsa_user_sgpr_queue_ptr 0
		.amdhsa_user_sgpr_kernarg_segment_ptr 1
		.amdhsa_user_sgpr_dispatch_id 0
		.amdhsa_user_sgpr_kernarg_preload_length 0
		.amdhsa_user_sgpr_kernarg_preload_offset 0
		.amdhsa_user_sgpr_private_segment_size 0
		.amdhsa_wavefront_size32 1
		.amdhsa_uses_dynamic_stack 0
		.amdhsa_enable_private_segment 0
		.amdhsa_system_sgpr_workgroup_id_x 1
		.amdhsa_system_sgpr_workgroup_id_y 0
		.amdhsa_system_sgpr_workgroup_id_z 0
		.amdhsa_system_sgpr_workgroup_info 0
		.amdhsa_system_vgpr_workitem_id 0
		.amdhsa_next_free_vgpr 1
		.amdhsa_next_free_sgpr 1
		.amdhsa_named_barrier_count 0
		.amdhsa_reserve_vcc 0
		.amdhsa_float_round_mode_32 0
		.amdhsa_float_round_mode_16_64 0
		.amdhsa_float_denorm_mode_32 3
		.amdhsa_float_denorm_mode_16_64 3
		.amdhsa_fp16_overflow 0
		.amdhsa_memory_ordered 1
		.amdhsa_forward_progress 1
		.amdhsa_inst_pref_size 0
		.amdhsa_round_robin_scheduling 0
		.amdhsa_exception_fp_ieee_invalid_op 0
		.amdhsa_exception_fp_denorm_src 0
		.amdhsa_exception_fp_ieee_div_zero 0
		.amdhsa_exception_fp_ieee_overflow 0
		.amdhsa_exception_fp_ieee_underflow 0
		.amdhsa_exception_fp_ieee_inexact 0
		.amdhsa_exception_int_div_zero 0
	.end_amdhsa_kernel
	.section	.text._ZN7rocprim17ROCPRIM_400000_NS6detail17trampoline_kernelINS0_14default_configENS1_33run_length_encode_config_selectorIijNS0_4plusIjEEEEZZNS1_33reduce_by_key_impl_wrapped_configILNS1_25lookback_scan_determinismE0ES3_S7_PKiNS0_17constant_iteratorIjlEEPiPlSF_S6_NS0_8equal_toIiEEEE10hipError_tPvRmT2_T3_mT4_T5_T6_T7_T8_P12ihipStream_tbENKUlT_T0_E_clISt17integral_constantIbLb1EESZ_EEDaSU_SV_EUlSU_E_NS1_11comp_targetILNS1_3genE5ELNS1_11target_archE942ELNS1_3gpuE9ELNS1_3repE0EEENS1_30default_config_static_selectorELNS0_4arch9wavefront6targetE0EEEvT1_,"axG",@progbits,_ZN7rocprim17ROCPRIM_400000_NS6detail17trampoline_kernelINS0_14default_configENS1_33run_length_encode_config_selectorIijNS0_4plusIjEEEEZZNS1_33reduce_by_key_impl_wrapped_configILNS1_25lookback_scan_determinismE0ES3_S7_PKiNS0_17constant_iteratorIjlEEPiPlSF_S6_NS0_8equal_toIiEEEE10hipError_tPvRmT2_T3_mT4_T5_T6_T7_T8_P12ihipStream_tbENKUlT_T0_E_clISt17integral_constantIbLb1EESZ_EEDaSU_SV_EUlSU_E_NS1_11comp_targetILNS1_3genE5ELNS1_11target_archE942ELNS1_3gpuE9ELNS1_3repE0EEENS1_30default_config_static_selectorELNS0_4arch9wavefront6targetE0EEEvT1_,comdat
.Lfunc_end452:
	.size	_ZN7rocprim17ROCPRIM_400000_NS6detail17trampoline_kernelINS0_14default_configENS1_33run_length_encode_config_selectorIijNS0_4plusIjEEEEZZNS1_33reduce_by_key_impl_wrapped_configILNS1_25lookback_scan_determinismE0ES3_S7_PKiNS0_17constant_iteratorIjlEEPiPlSF_S6_NS0_8equal_toIiEEEE10hipError_tPvRmT2_T3_mT4_T5_T6_T7_T8_P12ihipStream_tbENKUlT_T0_E_clISt17integral_constantIbLb1EESZ_EEDaSU_SV_EUlSU_E_NS1_11comp_targetILNS1_3genE5ELNS1_11target_archE942ELNS1_3gpuE9ELNS1_3repE0EEENS1_30default_config_static_selectorELNS0_4arch9wavefront6targetE0EEEvT1_, .Lfunc_end452-_ZN7rocprim17ROCPRIM_400000_NS6detail17trampoline_kernelINS0_14default_configENS1_33run_length_encode_config_selectorIijNS0_4plusIjEEEEZZNS1_33reduce_by_key_impl_wrapped_configILNS1_25lookback_scan_determinismE0ES3_S7_PKiNS0_17constant_iteratorIjlEEPiPlSF_S6_NS0_8equal_toIiEEEE10hipError_tPvRmT2_T3_mT4_T5_T6_T7_T8_P12ihipStream_tbENKUlT_T0_E_clISt17integral_constantIbLb1EESZ_EEDaSU_SV_EUlSU_E_NS1_11comp_targetILNS1_3genE5ELNS1_11target_archE942ELNS1_3gpuE9ELNS1_3repE0EEENS1_30default_config_static_selectorELNS0_4arch9wavefront6targetE0EEEvT1_
                                        ; -- End function
	.set _ZN7rocprim17ROCPRIM_400000_NS6detail17trampoline_kernelINS0_14default_configENS1_33run_length_encode_config_selectorIijNS0_4plusIjEEEEZZNS1_33reduce_by_key_impl_wrapped_configILNS1_25lookback_scan_determinismE0ES3_S7_PKiNS0_17constant_iteratorIjlEEPiPlSF_S6_NS0_8equal_toIiEEEE10hipError_tPvRmT2_T3_mT4_T5_T6_T7_T8_P12ihipStream_tbENKUlT_T0_E_clISt17integral_constantIbLb1EESZ_EEDaSU_SV_EUlSU_E_NS1_11comp_targetILNS1_3genE5ELNS1_11target_archE942ELNS1_3gpuE9ELNS1_3repE0EEENS1_30default_config_static_selectorELNS0_4arch9wavefront6targetE0EEEvT1_.num_vgpr, 0
	.set _ZN7rocprim17ROCPRIM_400000_NS6detail17trampoline_kernelINS0_14default_configENS1_33run_length_encode_config_selectorIijNS0_4plusIjEEEEZZNS1_33reduce_by_key_impl_wrapped_configILNS1_25lookback_scan_determinismE0ES3_S7_PKiNS0_17constant_iteratorIjlEEPiPlSF_S6_NS0_8equal_toIiEEEE10hipError_tPvRmT2_T3_mT4_T5_T6_T7_T8_P12ihipStream_tbENKUlT_T0_E_clISt17integral_constantIbLb1EESZ_EEDaSU_SV_EUlSU_E_NS1_11comp_targetILNS1_3genE5ELNS1_11target_archE942ELNS1_3gpuE9ELNS1_3repE0EEENS1_30default_config_static_selectorELNS0_4arch9wavefront6targetE0EEEvT1_.num_agpr, 0
	.set _ZN7rocprim17ROCPRIM_400000_NS6detail17trampoline_kernelINS0_14default_configENS1_33run_length_encode_config_selectorIijNS0_4plusIjEEEEZZNS1_33reduce_by_key_impl_wrapped_configILNS1_25lookback_scan_determinismE0ES3_S7_PKiNS0_17constant_iteratorIjlEEPiPlSF_S6_NS0_8equal_toIiEEEE10hipError_tPvRmT2_T3_mT4_T5_T6_T7_T8_P12ihipStream_tbENKUlT_T0_E_clISt17integral_constantIbLb1EESZ_EEDaSU_SV_EUlSU_E_NS1_11comp_targetILNS1_3genE5ELNS1_11target_archE942ELNS1_3gpuE9ELNS1_3repE0EEENS1_30default_config_static_selectorELNS0_4arch9wavefront6targetE0EEEvT1_.numbered_sgpr, 0
	.set _ZN7rocprim17ROCPRIM_400000_NS6detail17trampoline_kernelINS0_14default_configENS1_33run_length_encode_config_selectorIijNS0_4plusIjEEEEZZNS1_33reduce_by_key_impl_wrapped_configILNS1_25lookback_scan_determinismE0ES3_S7_PKiNS0_17constant_iteratorIjlEEPiPlSF_S6_NS0_8equal_toIiEEEE10hipError_tPvRmT2_T3_mT4_T5_T6_T7_T8_P12ihipStream_tbENKUlT_T0_E_clISt17integral_constantIbLb1EESZ_EEDaSU_SV_EUlSU_E_NS1_11comp_targetILNS1_3genE5ELNS1_11target_archE942ELNS1_3gpuE9ELNS1_3repE0EEENS1_30default_config_static_selectorELNS0_4arch9wavefront6targetE0EEEvT1_.num_named_barrier, 0
	.set _ZN7rocprim17ROCPRIM_400000_NS6detail17trampoline_kernelINS0_14default_configENS1_33run_length_encode_config_selectorIijNS0_4plusIjEEEEZZNS1_33reduce_by_key_impl_wrapped_configILNS1_25lookback_scan_determinismE0ES3_S7_PKiNS0_17constant_iteratorIjlEEPiPlSF_S6_NS0_8equal_toIiEEEE10hipError_tPvRmT2_T3_mT4_T5_T6_T7_T8_P12ihipStream_tbENKUlT_T0_E_clISt17integral_constantIbLb1EESZ_EEDaSU_SV_EUlSU_E_NS1_11comp_targetILNS1_3genE5ELNS1_11target_archE942ELNS1_3gpuE9ELNS1_3repE0EEENS1_30default_config_static_selectorELNS0_4arch9wavefront6targetE0EEEvT1_.private_seg_size, 0
	.set _ZN7rocprim17ROCPRIM_400000_NS6detail17trampoline_kernelINS0_14default_configENS1_33run_length_encode_config_selectorIijNS0_4plusIjEEEEZZNS1_33reduce_by_key_impl_wrapped_configILNS1_25lookback_scan_determinismE0ES3_S7_PKiNS0_17constant_iteratorIjlEEPiPlSF_S6_NS0_8equal_toIiEEEE10hipError_tPvRmT2_T3_mT4_T5_T6_T7_T8_P12ihipStream_tbENKUlT_T0_E_clISt17integral_constantIbLb1EESZ_EEDaSU_SV_EUlSU_E_NS1_11comp_targetILNS1_3genE5ELNS1_11target_archE942ELNS1_3gpuE9ELNS1_3repE0EEENS1_30default_config_static_selectorELNS0_4arch9wavefront6targetE0EEEvT1_.uses_vcc, 0
	.set _ZN7rocprim17ROCPRIM_400000_NS6detail17trampoline_kernelINS0_14default_configENS1_33run_length_encode_config_selectorIijNS0_4plusIjEEEEZZNS1_33reduce_by_key_impl_wrapped_configILNS1_25lookback_scan_determinismE0ES3_S7_PKiNS0_17constant_iteratorIjlEEPiPlSF_S6_NS0_8equal_toIiEEEE10hipError_tPvRmT2_T3_mT4_T5_T6_T7_T8_P12ihipStream_tbENKUlT_T0_E_clISt17integral_constantIbLb1EESZ_EEDaSU_SV_EUlSU_E_NS1_11comp_targetILNS1_3genE5ELNS1_11target_archE942ELNS1_3gpuE9ELNS1_3repE0EEENS1_30default_config_static_selectorELNS0_4arch9wavefront6targetE0EEEvT1_.uses_flat_scratch, 0
	.set _ZN7rocprim17ROCPRIM_400000_NS6detail17trampoline_kernelINS0_14default_configENS1_33run_length_encode_config_selectorIijNS0_4plusIjEEEEZZNS1_33reduce_by_key_impl_wrapped_configILNS1_25lookback_scan_determinismE0ES3_S7_PKiNS0_17constant_iteratorIjlEEPiPlSF_S6_NS0_8equal_toIiEEEE10hipError_tPvRmT2_T3_mT4_T5_T6_T7_T8_P12ihipStream_tbENKUlT_T0_E_clISt17integral_constantIbLb1EESZ_EEDaSU_SV_EUlSU_E_NS1_11comp_targetILNS1_3genE5ELNS1_11target_archE942ELNS1_3gpuE9ELNS1_3repE0EEENS1_30default_config_static_selectorELNS0_4arch9wavefront6targetE0EEEvT1_.has_dyn_sized_stack, 0
	.set _ZN7rocprim17ROCPRIM_400000_NS6detail17trampoline_kernelINS0_14default_configENS1_33run_length_encode_config_selectorIijNS0_4plusIjEEEEZZNS1_33reduce_by_key_impl_wrapped_configILNS1_25lookback_scan_determinismE0ES3_S7_PKiNS0_17constant_iteratorIjlEEPiPlSF_S6_NS0_8equal_toIiEEEE10hipError_tPvRmT2_T3_mT4_T5_T6_T7_T8_P12ihipStream_tbENKUlT_T0_E_clISt17integral_constantIbLb1EESZ_EEDaSU_SV_EUlSU_E_NS1_11comp_targetILNS1_3genE5ELNS1_11target_archE942ELNS1_3gpuE9ELNS1_3repE0EEENS1_30default_config_static_selectorELNS0_4arch9wavefront6targetE0EEEvT1_.has_recursion, 0
	.set _ZN7rocprim17ROCPRIM_400000_NS6detail17trampoline_kernelINS0_14default_configENS1_33run_length_encode_config_selectorIijNS0_4plusIjEEEEZZNS1_33reduce_by_key_impl_wrapped_configILNS1_25lookback_scan_determinismE0ES3_S7_PKiNS0_17constant_iteratorIjlEEPiPlSF_S6_NS0_8equal_toIiEEEE10hipError_tPvRmT2_T3_mT4_T5_T6_T7_T8_P12ihipStream_tbENKUlT_T0_E_clISt17integral_constantIbLb1EESZ_EEDaSU_SV_EUlSU_E_NS1_11comp_targetILNS1_3genE5ELNS1_11target_archE942ELNS1_3gpuE9ELNS1_3repE0EEENS1_30default_config_static_selectorELNS0_4arch9wavefront6targetE0EEEvT1_.has_indirect_call, 0
	.section	.AMDGPU.csdata,"",@progbits
; Kernel info:
; codeLenInByte = 0
; TotalNumSgprs: 0
; NumVgprs: 0
; ScratchSize: 0
; MemoryBound: 0
; FloatMode: 240
; IeeeMode: 1
; LDSByteSize: 0 bytes/workgroup (compile time only)
; SGPRBlocks: 0
; VGPRBlocks: 0
; NumSGPRsForWavesPerEU: 1
; NumVGPRsForWavesPerEU: 1
; NamedBarCnt: 0
; Occupancy: 16
; WaveLimiterHint : 0
; COMPUTE_PGM_RSRC2:SCRATCH_EN: 0
; COMPUTE_PGM_RSRC2:USER_SGPR: 2
; COMPUTE_PGM_RSRC2:TRAP_HANDLER: 0
; COMPUTE_PGM_RSRC2:TGID_X_EN: 1
; COMPUTE_PGM_RSRC2:TGID_Y_EN: 0
; COMPUTE_PGM_RSRC2:TGID_Z_EN: 0
; COMPUTE_PGM_RSRC2:TIDIG_COMP_CNT: 0
	.section	.text._ZN7rocprim17ROCPRIM_400000_NS6detail17trampoline_kernelINS0_14default_configENS1_33run_length_encode_config_selectorIijNS0_4plusIjEEEEZZNS1_33reduce_by_key_impl_wrapped_configILNS1_25lookback_scan_determinismE0ES3_S7_PKiNS0_17constant_iteratorIjlEEPiPlSF_S6_NS0_8equal_toIiEEEE10hipError_tPvRmT2_T3_mT4_T5_T6_T7_T8_P12ihipStream_tbENKUlT_T0_E_clISt17integral_constantIbLb1EESZ_EEDaSU_SV_EUlSU_E_NS1_11comp_targetILNS1_3genE4ELNS1_11target_archE910ELNS1_3gpuE8ELNS1_3repE0EEENS1_30default_config_static_selectorELNS0_4arch9wavefront6targetE0EEEvT1_,"axG",@progbits,_ZN7rocprim17ROCPRIM_400000_NS6detail17trampoline_kernelINS0_14default_configENS1_33run_length_encode_config_selectorIijNS0_4plusIjEEEEZZNS1_33reduce_by_key_impl_wrapped_configILNS1_25lookback_scan_determinismE0ES3_S7_PKiNS0_17constant_iteratorIjlEEPiPlSF_S6_NS0_8equal_toIiEEEE10hipError_tPvRmT2_T3_mT4_T5_T6_T7_T8_P12ihipStream_tbENKUlT_T0_E_clISt17integral_constantIbLb1EESZ_EEDaSU_SV_EUlSU_E_NS1_11comp_targetILNS1_3genE4ELNS1_11target_archE910ELNS1_3gpuE8ELNS1_3repE0EEENS1_30default_config_static_selectorELNS0_4arch9wavefront6targetE0EEEvT1_,comdat
	.protected	_ZN7rocprim17ROCPRIM_400000_NS6detail17trampoline_kernelINS0_14default_configENS1_33run_length_encode_config_selectorIijNS0_4plusIjEEEEZZNS1_33reduce_by_key_impl_wrapped_configILNS1_25lookback_scan_determinismE0ES3_S7_PKiNS0_17constant_iteratorIjlEEPiPlSF_S6_NS0_8equal_toIiEEEE10hipError_tPvRmT2_T3_mT4_T5_T6_T7_T8_P12ihipStream_tbENKUlT_T0_E_clISt17integral_constantIbLb1EESZ_EEDaSU_SV_EUlSU_E_NS1_11comp_targetILNS1_3genE4ELNS1_11target_archE910ELNS1_3gpuE8ELNS1_3repE0EEENS1_30default_config_static_selectorELNS0_4arch9wavefront6targetE0EEEvT1_ ; -- Begin function _ZN7rocprim17ROCPRIM_400000_NS6detail17trampoline_kernelINS0_14default_configENS1_33run_length_encode_config_selectorIijNS0_4plusIjEEEEZZNS1_33reduce_by_key_impl_wrapped_configILNS1_25lookback_scan_determinismE0ES3_S7_PKiNS0_17constant_iteratorIjlEEPiPlSF_S6_NS0_8equal_toIiEEEE10hipError_tPvRmT2_T3_mT4_T5_T6_T7_T8_P12ihipStream_tbENKUlT_T0_E_clISt17integral_constantIbLb1EESZ_EEDaSU_SV_EUlSU_E_NS1_11comp_targetILNS1_3genE4ELNS1_11target_archE910ELNS1_3gpuE8ELNS1_3repE0EEENS1_30default_config_static_selectorELNS0_4arch9wavefront6targetE0EEEvT1_
	.globl	_ZN7rocprim17ROCPRIM_400000_NS6detail17trampoline_kernelINS0_14default_configENS1_33run_length_encode_config_selectorIijNS0_4plusIjEEEEZZNS1_33reduce_by_key_impl_wrapped_configILNS1_25lookback_scan_determinismE0ES3_S7_PKiNS0_17constant_iteratorIjlEEPiPlSF_S6_NS0_8equal_toIiEEEE10hipError_tPvRmT2_T3_mT4_T5_T6_T7_T8_P12ihipStream_tbENKUlT_T0_E_clISt17integral_constantIbLb1EESZ_EEDaSU_SV_EUlSU_E_NS1_11comp_targetILNS1_3genE4ELNS1_11target_archE910ELNS1_3gpuE8ELNS1_3repE0EEENS1_30default_config_static_selectorELNS0_4arch9wavefront6targetE0EEEvT1_
	.p2align	8
	.type	_ZN7rocprim17ROCPRIM_400000_NS6detail17trampoline_kernelINS0_14default_configENS1_33run_length_encode_config_selectorIijNS0_4plusIjEEEEZZNS1_33reduce_by_key_impl_wrapped_configILNS1_25lookback_scan_determinismE0ES3_S7_PKiNS0_17constant_iteratorIjlEEPiPlSF_S6_NS0_8equal_toIiEEEE10hipError_tPvRmT2_T3_mT4_T5_T6_T7_T8_P12ihipStream_tbENKUlT_T0_E_clISt17integral_constantIbLb1EESZ_EEDaSU_SV_EUlSU_E_NS1_11comp_targetILNS1_3genE4ELNS1_11target_archE910ELNS1_3gpuE8ELNS1_3repE0EEENS1_30default_config_static_selectorELNS0_4arch9wavefront6targetE0EEEvT1_,@function
_ZN7rocprim17ROCPRIM_400000_NS6detail17trampoline_kernelINS0_14default_configENS1_33run_length_encode_config_selectorIijNS0_4plusIjEEEEZZNS1_33reduce_by_key_impl_wrapped_configILNS1_25lookback_scan_determinismE0ES3_S7_PKiNS0_17constant_iteratorIjlEEPiPlSF_S6_NS0_8equal_toIiEEEE10hipError_tPvRmT2_T3_mT4_T5_T6_T7_T8_P12ihipStream_tbENKUlT_T0_E_clISt17integral_constantIbLb1EESZ_EEDaSU_SV_EUlSU_E_NS1_11comp_targetILNS1_3genE4ELNS1_11target_archE910ELNS1_3gpuE8ELNS1_3repE0EEENS1_30default_config_static_selectorELNS0_4arch9wavefront6targetE0EEEvT1_: ; @_ZN7rocprim17ROCPRIM_400000_NS6detail17trampoline_kernelINS0_14default_configENS1_33run_length_encode_config_selectorIijNS0_4plusIjEEEEZZNS1_33reduce_by_key_impl_wrapped_configILNS1_25lookback_scan_determinismE0ES3_S7_PKiNS0_17constant_iteratorIjlEEPiPlSF_S6_NS0_8equal_toIiEEEE10hipError_tPvRmT2_T3_mT4_T5_T6_T7_T8_P12ihipStream_tbENKUlT_T0_E_clISt17integral_constantIbLb1EESZ_EEDaSU_SV_EUlSU_E_NS1_11comp_targetILNS1_3genE4ELNS1_11target_archE910ELNS1_3gpuE8ELNS1_3repE0EEENS1_30default_config_static_selectorELNS0_4arch9wavefront6targetE0EEEvT1_
; %bb.0:
	.section	.rodata,"a",@progbits
	.p2align	6, 0x0
	.amdhsa_kernel _ZN7rocprim17ROCPRIM_400000_NS6detail17trampoline_kernelINS0_14default_configENS1_33run_length_encode_config_selectorIijNS0_4plusIjEEEEZZNS1_33reduce_by_key_impl_wrapped_configILNS1_25lookback_scan_determinismE0ES3_S7_PKiNS0_17constant_iteratorIjlEEPiPlSF_S6_NS0_8equal_toIiEEEE10hipError_tPvRmT2_T3_mT4_T5_T6_T7_T8_P12ihipStream_tbENKUlT_T0_E_clISt17integral_constantIbLb1EESZ_EEDaSU_SV_EUlSU_E_NS1_11comp_targetILNS1_3genE4ELNS1_11target_archE910ELNS1_3gpuE8ELNS1_3repE0EEENS1_30default_config_static_selectorELNS0_4arch9wavefront6targetE0EEEvT1_
		.amdhsa_group_segment_fixed_size 0
		.amdhsa_private_segment_fixed_size 0
		.amdhsa_kernarg_size 128
		.amdhsa_user_sgpr_count 2
		.amdhsa_user_sgpr_dispatch_ptr 0
		.amdhsa_user_sgpr_queue_ptr 0
		.amdhsa_user_sgpr_kernarg_segment_ptr 1
		.amdhsa_user_sgpr_dispatch_id 0
		.amdhsa_user_sgpr_kernarg_preload_length 0
		.amdhsa_user_sgpr_kernarg_preload_offset 0
		.amdhsa_user_sgpr_private_segment_size 0
		.amdhsa_wavefront_size32 1
		.amdhsa_uses_dynamic_stack 0
		.amdhsa_enable_private_segment 0
		.amdhsa_system_sgpr_workgroup_id_x 1
		.amdhsa_system_sgpr_workgroup_id_y 0
		.amdhsa_system_sgpr_workgroup_id_z 0
		.amdhsa_system_sgpr_workgroup_info 0
		.amdhsa_system_vgpr_workitem_id 0
		.amdhsa_next_free_vgpr 1
		.amdhsa_next_free_sgpr 1
		.amdhsa_named_barrier_count 0
		.amdhsa_reserve_vcc 0
		.amdhsa_float_round_mode_32 0
		.amdhsa_float_round_mode_16_64 0
		.amdhsa_float_denorm_mode_32 3
		.amdhsa_float_denorm_mode_16_64 3
		.amdhsa_fp16_overflow 0
		.amdhsa_memory_ordered 1
		.amdhsa_forward_progress 1
		.amdhsa_inst_pref_size 0
		.amdhsa_round_robin_scheduling 0
		.amdhsa_exception_fp_ieee_invalid_op 0
		.amdhsa_exception_fp_denorm_src 0
		.amdhsa_exception_fp_ieee_div_zero 0
		.amdhsa_exception_fp_ieee_overflow 0
		.amdhsa_exception_fp_ieee_underflow 0
		.amdhsa_exception_fp_ieee_inexact 0
		.amdhsa_exception_int_div_zero 0
	.end_amdhsa_kernel
	.section	.text._ZN7rocprim17ROCPRIM_400000_NS6detail17trampoline_kernelINS0_14default_configENS1_33run_length_encode_config_selectorIijNS0_4plusIjEEEEZZNS1_33reduce_by_key_impl_wrapped_configILNS1_25lookback_scan_determinismE0ES3_S7_PKiNS0_17constant_iteratorIjlEEPiPlSF_S6_NS0_8equal_toIiEEEE10hipError_tPvRmT2_T3_mT4_T5_T6_T7_T8_P12ihipStream_tbENKUlT_T0_E_clISt17integral_constantIbLb1EESZ_EEDaSU_SV_EUlSU_E_NS1_11comp_targetILNS1_3genE4ELNS1_11target_archE910ELNS1_3gpuE8ELNS1_3repE0EEENS1_30default_config_static_selectorELNS0_4arch9wavefront6targetE0EEEvT1_,"axG",@progbits,_ZN7rocprim17ROCPRIM_400000_NS6detail17trampoline_kernelINS0_14default_configENS1_33run_length_encode_config_selectorIijNS0_4plusIjEEEEZZNS1_33reduce_by_key_impl_wrapped_configILNS1_25lookback_scan_determinismE0ES3_S7_PKiNS0_17constant_iteratorIjlEEPiPlSF_S6_NS0_8equal_toIiEEEE10hipError_tPvRmT2_T3_mT4_T5_T6_T7_T8_P12ihipStream_tbENKUlT_T0_E_clISt17integral_constantIbLb1EESZ_EEDaSU_SV_EUlSU_E_NS1_11comp_targetILNS1_3genE4ELNS1_11target_archE910ELNS1_3gpuE8ELNS1_3repE0EEENS1_30default_config_static_selectorELNS0_4arch9wavefront6targetE0EEEvT1_,comdat
.Lfunc_end453:
	.size	_ZN7rocprim17ROCPRIM_400000_NS6detail17trampoline_kernelINS0_14default_configENS1_33run_length_encode_config_selectorIijNS0_4plusIjEEEEZZNS1_33reduce_by_key_impl_wrapped_configILNS1_25lookback_scan_determinismE0ES3_S7_PKiNS0_17constant_iteratorIjlEEPiPlSF_S6_NS0_8equal_toIiEEEE10hipError_tPvRmT2_T3_mT4_T5_T6_T7_T8_P12ihipStream_tbENKUlT_T0_E_clISt17integral_constantIbLb1EESZ_EEDaSU_SV_EUlSU_E_NS1_11comp_targetILNS1_3genE4ELNS1_11target_archE910ELNS1_3gpuE8ELNS1_3repE0EEENS1_30default_config_static_selectorELNS0_4arch9wavefront6targetE0EEEvT1_, .Lfunc_end453-_ZN7rocprim17ROCPRIM_400000_NS6detail17trampoline_kernelINS0_14default_configENS1_33run_length_encode_config_selectorIijNS0_4plusIjEEEEZZNS1_33reduce_by_key_impl_wrapped_configILNS1_25lookback_scan_determinismE0ES3_S7_PKiNS0_17constant_iteratorIjlEEPiPlSF_S6_NS0_8equal_toIiEEEE10hipError_tPvRmT2_T3_mT4_T5_T6_T7_T8_P12ihipStream_tbENKUlT_T0_E_clISt17integral_constantIbLb1EESZ_EEDaSU_SV_EUlSU_E_NS1_11comp_targetILNS1_3genE4ELNS1_11target_archE910ELNS1_3gpuE8ELNS1_3repE0EEENS1_30default_config_static_selectorELNS0_4arch9wavefront6targetE0EEEvT1_
                                        ; -- End function
	.set _ZN7rocprim17ROCPRIM_400000_NS6detail17trampoline_kernelINS0_14default_configENS1_33run_length_encode_config_selectorIijNS0_4plusIjEEEEZZNS1_33reduce_by_key_impl_wrapped_configILNS1_25lookback_scan_determinismE0ES3_S7_PKiNS0_17constant_iteratorIjlEEPiPlSF_S6_NS0_8equal_toIiEEEE10hipError_tPvRmT2_T3_mT4_T5_T6_T7_T8_P12ihipStream_tbENKUlT_T0_E_clISt17integral_constantIbLb1EESZ_EEDaSU_SV_EUlSU_E_NS1_11comp_targetILNS1_3genE4ELNS1_11target_archE910ELNS1_3gpuE8ELNS1_3repE0EEENS1_30default_config_static_selectorELNS0_4arch9wavefront6targetE0EEEvT1_.num_vgpr, 0
	.set _ZN7rocprim17ROCPRIM_400000_NS6detail17trampoline_kernelINS0_14default_configENS1_33run_length_encode_config_selectorIijNS0_4plusIjEEEEZZNS1_33reduce_by_key_impl_wrapped_configILNS1_25lookback_scan_determinismE0ES3_S7_PKiNS0_17constant_iteratorIjlEEPiPlSF_S6_NS0_8equal_toIiEEEE10hipError_tPvRmT2_T3_mT4_T5_T6_T7_T8_P12ihipStream_tbENKUlT_T0_E_clISt17integral_constantIbLb1EESZ_EEDaSU_SV_EUlSU_E_NS1_11comp_targetILNS1_3genE4ELNS1_11target_archE910ELNS1_3gpuE8ELNS1_3repE0EEENS1_30default_config_static_selectorELNS0_4arch9wavefront6targetE0EEEvT1_.num_agpr, 0
	.set _ZN7rocprim17ROCPRIM_400000_NS6detail17trampoline_kernelINS0_14default_configENS1_33run_length_encode_config_selectorIijNS0_4plusIjEEEEZZNS1_33reduce_by_key_impl_wrapped_configILNS1_25lookback_scan_determinismE0ES3_S7_PKiNS0_17constant_iteratorIjlEEPiPlSF_S6_NS0_8equal_toIiEEEE10hipError_tPvRmT2_T3_mT4_T5_T6_T7_T8_P12ihipStream_tbENKUlT_T0_E_clISt17integral_constantIbLb1EESZ_EEDaSU_SV_EUlSU_E_NS1_11comp_targetILNS1_3genE4ELNS1_11target_archE910ELNS1_3gpuE8ELNS1_3repE0EEENS1_30default_config_static_selectorELNS0_4arch9wavefront6targetE0EEEvT1_.numbered_sgpr, 0
	.set _ZN7rocprim17ROCPRIM_400000_NS6detail17trampoline_kernelINS0_14default_configENS1_33run_length_encode_config_selectorIijNS0_4plusIjEEEEZZNS1_33reduce_by_key_impl_wrapped_configILNS1_25lookback_scan_determinismE0ES3_S7_PKiNS0_17constant_iteratorIjlEEPiPlSF_S6_NS0_8equal_toIiEEEE10hipError_tPvRmT2_T3_mT4_T5_T6_T7_T8_P12ihipStream_tbENKUlT_T0_E_clISt17integral_constantIbLb1EESZ_EEDaSU_SV_EUlSU_E_NS1_11comp_targetILNS1_3genE4ELNS1_11target_archE910ELNS1_3gpuE8ELNS1_3repE0EEENS1_30default_config_static_selectorELNS0_4arch9wavefront6targetE0EEEvT1_.num_named_barrier, 0
	.set _ZN7rocprim17ROCPRIM_400000_NS6detail17trampoline_kernelINS0_14default_configENS1_33run_length_encode_config_selectorIijNS0_4plusIjEEEEZZNS1_33reduce_by_key_impl_wrapped_configILNS1_25lookback_scan_determinismE0ES3_S7_PKiNS0_17constant_iteratorIjlEEPiPlSF_S6_NS0_8equal_toIiEEEE10hipError_tPvRmT2_T3_mT4_T5_T6_T7_T8_P12ihipStream_tbENKUlT_T0_E_clISt17integral_constantIbLb1EESZ_EEDaSU_SV_EUlSU_E_NS1_11comp_targetILNS1_3genE4ELNS1_11target_archE910ELNS1_3gpuE8ELNS1_3repE0EEENS1_30default_config_static_selectorELNS0_4arch9wavefront6targetE0EEEvT1_.private_seg_size, 0
	.set _ZN7rocprim17ROCPRIM_400000_NS6detail17trampoline_kernelINS0_14default_configENS1_33run_length_encode_config_selectorIijNS0_4plusIjEEEEZZNS1_33reduce_by_key_impl_wrapped_configILNS1_25lookback_scan_determinismE0ES3_S7_PKiNS0_17constant_iteratorIjlEEPiPlSF_S6_NS0_8equal_toIiEEEE10hipError_tPvRmT2_T3_mT4_T5_T6_T7_T8_P12ihipStream_tbENKUlT_T0_E_clISt17integral_constantIbLb1EESZ_EEDaSU_SV_EUlSU_E_NS1_11comp_targetILNS1_3genE4ELNS1_11target_archE910ELNS1_3gpuE8ELNS1_3repE0EEENS1_30default_config_static_selectorELNS0_4arch9wavefront6targetE0EEEvT1_.uses_vcc, 0
	.set _ZN7rocprim17ROCPRIM_400000_NS6detail17trampoline_kernelINS0_14default_configENS1_33run_length_encode_config_selectorIijNS0_4plusIjEEEEZZNS1_33reduce_by_key_impl_wrapped_configILNS1_25lookback_scan_determinismE0ES3_S7_PKiNS0_17constant_iteratorIjlEEPiPlSF_S6_NS0_8equal_toIiEEEE10hipError_tPvRmT2_T3_mT4_T5_T6_T7_T8_P12ihipStream_tbENKUlT_T0_E_clISt17integral_constantIbLb1EESZ_EEDaSU_SV_EUlSU_E_NS1_11comp_targetILNS1_3genE4ELNS1_11target_archE910ELNS1_3gpuE8ELNS1_3repE0EEENS1_30default_config_static_selectorELNS0_4arch9wavefront6targetE0EEEvT1_.uses_flat_scratch, 0
	.set _ZN7rocprim17ROCPRIM_400000_NS6detail17trampoline_kernelINS0_14default_configENS1_33run_length_encode_config_selectorIijNS0_4plusIjEEEEZZNS1_33reduce_by_key_impl_wrapped_configILNS1_25lookback_scan_determinismE0ES3_S7_PKiNS0_17constant_iteratorIjlEEPiPlSF_S6_NS0_8equal_toIiEEEE10hipError_tPvRmT2_T3_mT4_T5_T6_T7_T8_P12ihipStream_tbENKUlT_T0_E_clISt17integral_constantIbLb1EESZ_EEDaSU_SV_EUlSU_E_NS1_11comp_targetILNS1_3genE4ELNS1_11target_archE910ELNS1_3gpuE8ELNS1_3repE0EEENS1_30default_config_static_selectorELNS0_4arch9wavefront6targetE0EEEvT1_.has_dyn_sized_stack, 0
	.set _ZN7rocprim17ROCPRIM_400000_NS6detail17trampoline_kernelINS0_14default_configENS1_33run_length_encode_config_selectorIijNS0_4plusIjEEEEZZNS1_33reduce_by_key_impl_wrapped_configILNS1_25lookback_scan_determinismE0ES3_S7_PKiNS0_17constant_iteratorIjlEEPiPlSF_S6_NS0_8equal_toIiEEEE10hipError_tPvRmT2_T3_mT4_T5_T6_T7_T8_P12ihipStream_tbENKUlT_T0_E_clISt17integral_constantIbLb1EESZ_EEDaSU_SV_EUlSU_E_NS1_11comp_targetILNS1_3genE4ELNS1_11target_archE910ELNS1_3gpuE8ELNS1_3repE0EEENS1_30default_config_static_selectorELNS0_4arch9wavefront6targetE0EEEvT1_.has_recursion, 0
	.set _ZN7rocprim17ROCPRIM_400000_NS6detail17trampoline_kernelINS0_14default_configENS1_33run_length_encode_config_selectorIijNS0_4plusIjEEEEZZNS1_33reduce_by_key_impl_wrapped_configILNS1_25lookback_scan_determinismE0ES3_S7_PKiNS0_17constant_iteratorIjlEEPiPlSF_S6_NS0_8equal_toIiEEEE10hipError_tPvRmT2_T3_mT4_T5_T6_T7_T8_P12ihipStream_tbENKUlT_T0_E_clISt17integral_constantIbLb1EESZ_EEDaSU_SV_EUlSU_E_NS1_11comp_targetILNS1_3genE4ELNS1_11target_archE910ELNS1_3gpuE8ELNS1_3repE0EEENS1_30default_config_static_selectorELNS0_4arch9wavefront6targetE0EEEvT1_.has_indirect_call, 0
	.section	.AMDGPU.csdata,"",@progbits
; Kernel info:
; codeLenInByte = 0
; TotalNumSgprs: 0
; NumVgprs: 0
; ScratchSize: 0
; MemoryBound: 0
; FloatMode: 240
; IeeeMode: 1
; LDSByteSize: 0 bytes/workgroup (compile time only)
; SGPRBlocks: 0
; VGPRBlocks: 0
; NumSGPRsForWavesPerEU: 1
; NumVGPRsForWavesPerEU: 1
; NamedBarCnt: 0
; Occupancy: 16
; WaveLimiterHint : 0
; COMPUTE_PGM_RSRC2:SCRATCH_EN: 0
; COMPUTE_PGM_RSRC2:USER_SGPR: 2
; COMPUTE_PGM_RSRC2:TRAP_HANDLER: 0
; COMPUTE_PGM_RSRC2:TGID_X_EN: 1
; COMPUTE_PGM_RSRC2:TGID_Y_EN: 0
; COMPUTE_PGM_RSRC2:TGID_Z_EN: 0
; COMPUTE_PGM_RSRC2:TIDIG_COMP_CNT: 0
	.section	.text._ZN7rocprim17ROCPRIM_400000_NS6detail17trampoline_kernelINS0_14default_configENS1_33run_length_encode_config_selectorIijNS0_4plusIjEEEEZZNS1_33reduce_by_key_impl_wrapped_configILNS1_25lookback_scan_determinismE0ES3_S7_PKiNS0_17constant_iteratorIjlEEPiPlSF_S6_NS0_8equal_toIiEEEE10hipError_tPvRmT2_T3_mT4_T5_T6_T7_T8_P12ihipStream_tbENKUlT_T0_E_clISt17integral_constantIbLb1EESZ_EEDaSU_SV_EUlSU_E_NS1_11comp_targetILNS1_3genE3ELNS1_11target_archE908ELNS1_3gpuE7ELNS1_3repE0EEENS1_30default_config_static_selectorELNS0_4arch9wavefront6targetE0EEEvT1_,"axG",@progbits,_ZN7rocprim17ROCPRIM_400000_NS6detail17trampoline_kernelINS0_14default_configENS1_33run_length_encode_config_selectorIijNS0_4plusIjEEEEZZNS1_33reduce_by_key_impl_wrapped_configILNS1_25lookback_scan_determinismE0ES3_S7_PKiNS0_17constant_iteratorIjlEEPiPlSF_S6_NS0_8equal_toIiEEEE10hipError_tPvRmT2_T3_mT4_T5_T6_T7_T8_P12ihipStream_tbENKUlT_T0_E_clISt17integral_constantIbLb1EESZ_EEDaSU_SV_EUlSU_E_NS1_11comp_targetILNS1_3genE3ELNS1_11target_archE908ELNS1_3gpuE7ELNS1_3repE0EEENS1_30default_config_static_selectorELNS0_4arch9wavefront6targetE0EEEvT1_,comdat
	.protected	_ZN7rocprim17ROCPRIM_400000_NS6detail17trampoline_kernelINS0_14default_configENS1_33run_length_encode_config_selectorIijNS0_4plusIjEEEEZZNS1_33reduce_by_key_impl_wrapped_configILNS1_25lookback_scan_determinismE0ES3_S7_PKiNS0_17constant_iteratorIjlEEPiPlSF_S6_NS0_8equal_toIiEEEE10hipError_tPvRmT2_T3_mT4_T5_T6_T7_T8_P12ihipStream_tbENKUlT_T0_E_clISt17integral_constantIbLb1EESZ_EEDaSU_SV_EUlSU_E_NS1_11comp_targetILNS1_3genE3ELNS1_11target_archE908ELNS1_3gpuE7ELNS1_3repE0EEENS1_30default_config_static_selectorELNS0_4arch9wavefront6targetE0EEEvT1_ ; -- Begin function _ZN7rocprim17ROCPRIM_400000_NS6detail17trampoline_kernelINS0_14default_configENS1_33run_length_encode_config_selectorIijNS0_4plusIjEEEEZZNS1_33reduce_by_key_impl_wrapped_configILNS1_25lookback_scan_determinismE0ES3_S7_PKiNS0_17constant_iteratorIjlEEPiPlSF_S6_NS0_8equal_toIiEEEE10hipError_tPvRmT2_T3_mT4_T5_T6_T7_T8_P12ihipStream_tbENKUlT_T0_E_clISt17integral_constantIbLb1EESZ_EEDaSU_SV_EUlSU_E_NS1_11comp_targetILNS1_3genE3ELNS1_11target_archE908ELNS1_3gpuE7ELNS1_3repE0EEENS1_30default_config_static_selectorELNS0_4arch9wavefront6targetE0EEEvT1_
	.globl	_ZN7rocprim17ROCPRIM_400000_NS6detail17trampoline_kernelINS0_14default_configENS1_33run_length_encode_config_selectorIijNS0_4plusIjEEEEZZNS1_33reduce_by_key_impl_wrapped_configILNS1_25lookback_scan_determinismE0ES3_S7_PKiNS0_17constant_iteratorIjlEEPiPlSF_S6_NS0_8equal_toIiEEEE10hipError_tPvRmT2_T3_mT4_T5_T6_T7_T8_P12ihipStream_tbENKUlT_T0_E_clISt17integral_constantIbLb1EESZ_EEDaSU_SV_EUlSU_E_NS1_11comp_targetILNS1_3genE3ELNS1_11target_archE908ELNS1_3gpuE7ELNS1_3repE0EEENS1_30default_config_static_selectorELNS0_4arch9wavefront6targetE0EEEvT1_
	.p2align	8
	.type	_ZN7rocprim17ROCPRIM_400000_NS6detail17trampoline_kernelINS0_14default_configENS1_33run_length_encode_config_selectorIijNS0_4plusIjEEEEZZNS1_33reduce_by_key_impl_wrapped_configILNS1_25lookback_scan_determinismE0ES3_S7_PKiNS0_17constant_iteratorIjlEEPiPlSF_S6_NS0_8equal_toIiEEEE10hipError_tPvRmT2_T3_mT4_T5_T6_T7_T8_P12ihipStream_tbENKUlT_T0_E_clISt17integral_constantIbLb1EESZ_EEDaSU_SV_EUlSU_E_NS1_11comp_targetILNS1_3genE3ELNS1_11target_archE908ELNS1_3gpuE7ELNS1_3repE0EEENS1_30default_config_static_selectorELNS0_4arch9wavefront6targetE0EEEvT1_,@function
_ZN7rocprim17ROCPRIM_400000_NS6detail17trampoline_kernelINS0_14default_configENS1_33run_length_encode_config_selectorIijNS0_4plusIjEEEEZZNS1_33reduce_by_key_impl_wrapped_configILNS1_25lookback_scan_determinismE0ES3_S7_PKiNS0_17constant_iteratorIjlEEPiPlSF_S6_NS0_8equal_toIiEEEE10hipError_tPvRmT2_T3_mT4_T5_T6_T7_T8_P12ihipStream_tbENKUlT_T0_E_clISt17integral_constantIbLb1EESZ_EEDaSU_SV_EUlSU_E_NS1_11comp_targetILNS1_3genE3ELNS1_11target_archE908ELNS1_3gpuE7ELNS1_3repE0EEENS1_30default_config_static_selectorELNS0_4arch9wavefront6targetE0EEEvT1_: ; @_ZN7rocprim17ROCPRIM_400000_NS6detail17trampoline_kernelINS0_14default_configENS1_33run_length_encode_config_selectorIijNS0_4plusIjEEEEZZNS1_33reduce_by_key_impl_wrapped_configILNS1_25lookback_scan_determinismE0ES3_S7_PKiNS0_17constant_iteratorIjlEEPiPlSF_S6_NS0_8equal_toIiEEEE10hipError_tPvRmT2_T3_mT4_T5_T6_T7_T8_P12ihipStream_tbENKUlT_T0_E_clISt17integral_constantIbLb1EESZ_EEDaSU_SV_EUlSU_E_NS1_11comp_targetILNS1_3genE3ELNS1_11target_archE908ELNS1_3gpuE7ELNS1_3repE0EEENS1_30default_config_static_selectorELNS0_4arch9wavefront6targetE0EEEvT1_
; %bb.0:
	.section	.rodata,"a",@progbits
	.p2align	6, 0x0
	.amdhsa_kernel _ZN7rocprim17ROCPRIM_400000_NS6detail17trampoline_kernelINS0_14default_configENS1_33run_length_encode_config_selectorIijNS0_4plusIjEEEEZZNS1_33reduce_by_key_impl_wrapped_configILNS1_25lookback_scan_determinismE0ES3_S7_PKiNS0_17constant_iteratorIjlEEPiPlSF_S6_NS0_8equal_toIiEEEE10hipError_tPvRmT2_T3_mT4_T5_T6_T7_T8_P12ihipStream_tbENKUlT_T0_E_clISt17integral_constantIbLb1EESZ_EEDaSU_SV_EUlSU_E_NS1_11comp_targetILNS1_3genE3ELNS1_11target_archE908ELNS1_3gpuE7ELNS1_3repE0EEENS1_30default_config_static_selectorELNS0_4arch9wavefront6targetE0EEEvT1_
		.amdhsa_group_segment_fixed_size 0
		.amdhsa_private_segment_fixed_size 0
		.amdhsa_kernarg_size 128
		.amdhsa_user_sgpr_count 2
		.amdhsa_user_sgpr_dispatch_ptr 0
		.amdhsa_user_sgpr_queue_ptr 0
		.amdhsa_user_sgpr_kernarg_segment_ptr 1
		.amdhsa_user_sgpr_dispatch_id 0
		.amdhsa_user_sgpr_kernarg_preload_length 0
		.amdhsa_user_sgpr_kernarg_preload_offset 0
		.amdhsa_user_sgpr_private_segment_size 0
		.amdhsa_wavefront_size32 1
		.amdhsa_uses_dynamic_stack 0
		.amdhsa_enable_private_segment 0
		.amdhsa_system_sgpr_workgroup_id_x 1
		.amdhsa_system_sgpr_workgroup_id_y 0
		.amdhsa_system_sgpr_workgroup_id_z 0
		.amdhsa_system_sgpr_workgroup_info 0
		.amdhsa_system_vgpr_workitem_id 0
		.amdhsa_next_free_vgpr 1
		.amdhsa_next_free_sgpr 1
		.amdhsa_named_barrier_count 0
		.amdhsa_reserve_vcc 0
		.amdhsa_float_round_mode_32 0
		.amdhsa_float_round_mode_16_64 0
		.amdhsa_float_denorm_mode_32 3
		.amdhsa_float_denorm_mode_16_64 3
		.amdhsa_fp16_overflow 0
		.amdhsa_memory_ordered 1
		.amdhsa_forward_progress 1
		.amdhsa_inst_pref_size 0
		.amdhsa_round_robin_scheduling 0
		.amdhsa_exception_fp_ieee_invalid_op 0
		.amdhsa_exception_fp_denorm_src 0
		.amdhsa_exception_fp_ieee_div_zero 0
		.amdhsa_exception_fp_ieee_overflow 0
		.amdhsa_exception_fp_ieee_underflow 0
		.amdhsa_exception_fp_ieee_inexact 0
		.amdhsa_exception_int_div_zero 0
	.end_amdhsa_kernel
	.section	.text._ZN7rocprim17ROCPRIM_400000_NS6detail17trampoline_kernelINS0_14default_configENS1_33run_length_encode_config_selectorIijNS0_4plusIjEEEEZZNS1_33reduce_by_key_impl_wrapped_configILNS1_25lookback_scan_determinismE0ES3_S7_PKiNS0_17constant_iteratorIjlEEPiPlSF_S6_NS0_8equal_toIiEEEE10hipError_tPvRmT2_T3_mT4_T5_T6_T7_T8_P12ihipStream_tbENKUlT_T0_E_clISt17integral_constantIbLb1EESZ_EEDaSU_SV_EUlSU_E_NS1_11comp_targetILNS1_3genE3ELNS1_11target_archE908ELNS1_3gpuE7ELNS1_3repE0EEENS1_30default_config_static_selectorELNS0_4arch9wavefront6targetE0EEEvT1_,"axG",@progbits,_ZN7rocprim17ROCPRIM_400000_NS6detail17trampoline_kernelINS0_14default_configENS1_33run_length_encode_config_selectorIijNS0_4plusIjEEEEZZNS1_33reduce_by_key_impl_wrapped_configILNS1_25lookback_scan_determinismE0ES3_S7_PKiNS0_17constant_iteratorIjlEEPiPlSF_S6_NS0_8equal_toIiEEEE10hipError_tPvRmT2_T3_mT4_T5_T6_T7_T8_P12ihipStream_tbENKUlT_T0_E_clISt17integral_constantIbLb1EESZ_EEDaSU_SV_EUlSU_E_NS1_11comp_targetILNS1_3genE3ELNS1_11target_archE908ELNS1_3gpuE7ELNS1_3repE0EEENS1_30default_config_static_selectorELNS0_4arch9wavefront6targetE0EEEvT1_,comdat
.Lfunc_end454:
	.size	_ZN7rocprim17ROCPRIM_400000_NS6detail17trampoline_kernelINS0_14default_configENS1_33run_length_encode_config_selectorIijNS0_4plusIjEEEEZZNS1_33reduce_by_key_impl_wrapped_configILNS1_25lookback_scan_determinismE0ES3_S7_PKiNS0_17constant_iteratorIjlEEPiPlSF_S6_NS0_8equal_toIiEEEE10hipError_tPvRmT2_T3_mT4_T5_T6_T7_T8_P12ihipStream_tbENKUlT_T0_E_clISt17integral_constantIbLb1EESZ_EEDaSU_SV_EUlSU_E_NS1_11comp_targetILNS1_3genE3ELNS1_11target_archE908ELNS1_3gpuE7ELNS1_3repE0EEENS1_30default_config_static_selectorELNS0_4arch9wavefront6targetE0EEEvT1_, .Lfunc_end454-_ZN7rocprim17ROCPRIM_400000_NS6detail17trampoline_kernelINS0_14default_configENS1_33run_length_encode_config_selectorIijNS0_4plusIjEEEEZZNS1_33reduce_by_key_impl_wrapped_configILNS1_25lookback_scan_determinismE0ES3_S7_PKiNS0_17constant_iteratorIjlEEPiPlSF_S6_NS0_8equal_toIiEEEE10hipError_tPvRmT2_T3_mT4_T5_T6_T7_T8_P12ihipStream_tbENKUlT_T0_E_clISt17integral_constantIbLb1EESZ_EEDaSU_SV_EUlSU_E_NS1_11comp_targetILNS1_3genE3ELNS1_11target_archE908ELNS1_3gpuE7ELNS1_3repE0EEENS1_30default_config_static_selectorELNS0_4arch9wavefront6targetE0EEEvT1_
                                        ; -- End function
	.set _ZN7rocprim17ROCPRIM_400000_NS6detail17trampoline_kernelINS0_14default_configENS1_33run_length_encode_config_selectorIijNS0_4plusIjEEEEZZNS1_33reduce_by_key_impl_wrapped_configILNS1_25lookback_scan_determinismE0ES3_S7_PKiNS0_17constant_iteratorIjlEEPiPlSF_S6_NS0_8equal_toIiEEEE10hipError_tPvRmT2_T3_mT4_T5_T6_T7_T8_P12ihipStream_tbENKUlT_T0_E_clISt17integral_constantIbLb1EESZ_EEDaSU_SV_EUlSU_E_NS1_11comp_targetILNS1_3genE3ELNS1_11target_archE908ELNS1_3gpuE7ELNS1_3repE0EEENS1_30default_config_static_selectorELNS0_4arch9wavefront6targetE0EEEvT1_.num_vgpr, 0
	.set _ZN7rocprim17ROCPRIM_400000_NS6detail17trampoline_kernelINS0_14default_configENS1_33run_length_encode_config_selectorIijNS0_4plusIjEEEEZZNS1_33reduce_by_key_impl_wrapped_configILNS1_25lookback_scan_determinismE0ES3_S7_PKiNS0_17constant_iteratorIjlEEPiPlSF_S6_NS0_8equal_toIiEEEE10hipError_tPvRmT2_T3_mT4_T5_T6_T7_T8_P12ihipStream_tbENKUlT_T0_E_clISt17integral_constantIbLb1EESZ_EEDaSU_SV_EUlSU_E_NS1_11comp_targetILNS1_3genE3ELNS1_11target_archE908ELNS1_3gpuE7ELNS1_3repE0EEENS1_30default_config_static_selectorELNS0_4arch9wavefront6targetE0EEEvT1_.num_agpr, 0
	.set _ZN7rocprim17ROCPRIM_400000_NS6detail17trampoline_kernelINS0_14default_configENS1_33run_length_encode_config_selectorIijNS0_4plusIjEEEEZZNS1_33reduce_by_key_impl_wrapped_configILNS1_25lookback_scan_determinismE0ES3_S7_PKiNS0_17constant_iteratorIjlEEPiPlSF_S6_NS0_8equal_toIiEEEE10hipError_tPvRmT2_T3_mT4_T5_T6_T7_T8_P12ihipStream_tbENKUlT_T0_E_clISt17integral_constantIbLb1EESZ_EEDaSU_SV_EUlSU_E_NS1_11comp_targetILNS1_3genE3ELNS1_11target_archE908ELNS1_3gpuE7ELNS1_3repE0EEENS1_30default_config_static_selectorELNS0_4arch9wavefront6targetE0EEEvT1_.numbered_sgpr, 0
	.set _ZN7rocprim17ROCPRIM_400000_NS6detail17trampoline_kernelINS0_14default_configENS1_33run_length_encode_config_selectorIijNS0_4plusIjEEEEZZNS1_33reduce_by_key_impl_wrapped_configILNS1_25lookback_scan_determinismE0ES3_S7_PKiNS0_17constant_iteratorIjlEEPiPlSF_S6_NS0_8equal_toIiEEEE10hipError_tPvRmT2_T3_mT4_T5_T6_T7_T8_P12ihipStream_tbENKUlT_T0_E_clISt17integral_constantIbLb1EESZ_EEDaSU_SV_EUlSU_E_NS1_11comp_targetILNS1_3genE3ELNS1_11target_archE908ELNS1_3gpuE7ELNS1_3repE0EEENS1_30default_config_static_selectorELNS0_4arch9wavefront6targetE0EEEvT1_.num_named_barrier, 0
	.set _ZN7rocprim17ROCPRIM_400000_NS6detail17trampoline_kernelINS0_14default_configENS1_33run_length_encode_config_selectorIijNS0_4plusIjEEEEZZNS1_33reduce_by_key_impl_wrapped_configILNS1_25lookback_scan_determinismE0ES3_S7_PKiNS0_17constant_iteratorIjlEEPiPlSF_S6_NS0_8equal_toIiEEEE10hipError_tPvRmT2_T3_mT4_T5_T6_T7_T8_P12ihipStream_tbENKUlT_T0_E_clISt17integral_constantIbLb1EESZ_EEDaSU_SV_EUlSU_E_NS1_11comp_targetILNS1_3genE3ELNS1_11target_archE908ELNS1_3gpuE7ELNS1_3repE0EEENS1_30default_config_static_selectorELNS0_4arch9wavefront6targetE0EEEvT1_.private_seg_size, 0
	.set _ZN7rocprim17ROCPRIM_400000_NS6detail17trampoline_kernelINS0_14default_configENS1_33run_length_encode_config_selectorIijNS0_4plusIjEEEEZZNS1_33reduce_by_key_impl_wrapped_configILNS1_25lookback_scan_determinismE0ES3_S7_PKiNS0_17constant_iteratorIjlEEPiPlSF_S6_NS0_8equal_toIiEEEE10hipError_tPvRmT2_T3_mT4_T5_T6_T7_T8_P12ihipStream_tbENKUlT_T0_E_clISt17integral_constantIbLb1EESZ_EEDaSU_SV_EUlSU_E_NS1_11comp_targetILNS1_3genE3ELNS1_11target_archE908ELNS1_3gpuE7ELNS1_3repE0EEENS1_30default_config_static_selectorELNS0_4arch9wavefront6targetE0EEEvT1_.uses_vcc, 0
	.set _ZN7rocprim17ROCPRIM_400000_NS6detail17trampoline_kernelINS0_14default_configENS1_33run_length_encode_config_selectorIijNS0_4plusIjEEEEZZNS1_33reduce_by_key_impl_wrapped_configILNS1_25lookback_scan_determinismE0ES3_S7_PKiNS0_17constant_iteratorIjlEEPiPlSF_S6_NS0_8equal_toIiEEEE10hipError_tPvRmT2_T3_mT4_T5_T6_T7_T8_P12ihipStream_tbENKUlT_T0_E_clISt17integral_constantIbLb1EESZ_EEDaSU_SV_EUlSU_E_NS1_11comp_targetILNS1_3genE3ELNS1_11target_archE908ELNS1_3gpuE7ELNS1_3repE0EEENS1_30default_config_static_selectorELNS0_4arch9wavefront6targetE0EEEvT1_.uses_flat_scratch, 0
	.set _ZN7rocprim17ROCPRIM_400000_NS6detail17trampoline_kernelINS0_14default_configENS1_33run_length_encode_config_selectorIijNS0_4plusIjEEEEZZNS1_33reduce_by_key_impl_wrapped_configILNS1_25lookback_scan_determinismE0ES3_S7_PKiNS0_17constant_iteratorIjlEEPiPlSF_S6_NS0_8equal_toIiEEEE10hipError_tPvRmT2_T3_mT4_T5_T6_T7_T8_P12ihipStream_tbENKUlT_T0_E_clISt17integral_constantIbLb1EESZ_EEDaSU_SV_EUlSU_E_NS1_11comp_targetILNS1_3genE3ELNS1_11target_archE908ELNS1_3gpuE7ELNS1_3repE0EEENS1_30default_config_static_selectorELNS0_4arch9wavefront6targetE0EEEvT1_.has_dyn_sized_stack, 0
	.set _ZN7rocprim17ROCPRIM_400000_NS6detail17trampoline_kernelINS0_14default_configENS1_33run_length_encode_config_selectorIijNS0_4plusIjEEEEZZNS1_33reduce_by_key_impl_wrapped_configILNS1_25lookback_scan_determinismE0ES3_S7_PKiNS0_17constant_iteratorIjlEEPiPlSF_S6_NS0_8equal_toIiEEEE10hipError_tPvRmT2_T3_mT4_T5_T6_T7_T8_P12ihipStream_tbENKUlT_T0_E_clISt17integral_constantIbLb1EESZ_EEDaSU_SV_EUlSU_E_NS1_11comp_targetILNS1_3genE3ELNS1_11target_archE908ELNS1_3gpuE7ELNS1_3repE0EEENS1_30default_config_static_selectorELNS0_4arch9wavefront6targetE0EEEvT1_.has_recursion, 0
	.set _ZN7rocprim17ROCPRIM_400000_NS6detail17trampoline_kernelINS0_14default_configENS1_33run_length_encode_config_selectorIijNS0_4plusIjEEEEZZNS1_33reduce_by_key_impl_wrapped_configILNS1_25lookback_scan_determinismE0ES3_S7_PKiNS0_17constant_iteratorIjlEEPiPlSF_S6_NS0_8equal_toIiEEEE10hipError_tPvRmT2_T3_mT4_T5_T6_T7_T8_P12ihipStream_tbENKUlT_T0_E_clISt17integral_constantIbLb1EESZ_EEDaSU_SV_EUlSU_E_NS1_11comp_targetILNS1_3genE3ELNS1_11target_archE908ELNS1_3gpuE7ELNS1_3repE0EEENS1_30default_config_static_selectorELNS0_4arch9wavefront6targetE0EEEvT1_.has_indirect_call, 0
	.section	.AMDGPU.csdata,"",@progbits
; Kernel info:
; codeLenInByte = 0
; TotalNumSgprs: 0
; NumVgprs: 0
; ScratchSize: 0
; MemoryBound: 0
; FloatMode: 240
; IeeeMode: 1
; LDSByteSize: 0 bytes/workgroup (compile time only)
; SGPRBlocks: 0
; VGPRBlocks: 0
; NumSGPRsForWavesPerEU: 1
; NumVGPRsForWavesPerEU: 1
; NamedBarCnt: 0
; Occupancy: 16
; WaveLimiterHint : 0
; COMPUTE_PGM_RSRC2:SCRATCH_EN: 0
; COMPUTE_PGM_RSRC2:USER_SGPR: 2
; COMPUTE_PGM_RSRC2:TRAP_HANDLER: 0
; COMPUTE_PGM_RSRC2:TGID_X_EN: 1
; COMPUTE_PGM_RSRC2:TGID_Y_EN: 0
; COMPUTE_PGM_RSRC2:TGID_Z_EN: 0
; COMPUTE_PGM_RSRC2:TIDIG_COMP_CNT: 0
	.section	.text._ZN7rocprim17ROCPRIM_400000_NS6detail17trampoline_kernelINS0_14default_configENS1_33run_length_encode_config_selectorIijNS0_4plusIjEEEEZZNS1_33reduce_by_key_impl_wrapped_configILNS1_25lookback_scan_determinismE0ES3_S7_PKiNS0_17constant_iteratorIjlEEPiPlSF_S6_NS0_8equal_toIiEEEE10hipError_tPvRmT2_T3_mT4_T5_T6_T7_T8_P12ihipStream_tbENKUlT_T0_E_clISt17integral_constantIbLb1EESZ_EEDaSU_SV_EUlSU_E_NS1_11comp_targetILNS1_3genE2ELNS1_11target_archE906ELNS1_3gpuE6ELNS1_3repE0EEENS1_30default_config_static_selectorELNS0_4arch9wavefront6targetE0EEEvT1_,"axG",@progbits,_ZN7rocprim17ROCPRIM_400000_NS6detail17trampoline_kernelINS0_14default_configENS1_33run_length_encode_config_selectorIijNS0_4plusIjEEEEZZNS1_33reduce_by_key_impl_wrapped_configILNS1_25lookback_scan_determinismE0ES3_S7_PKiNS0_17constant_iteratorIjlEEPiPlSF_S6_NS0_8equal_toIiEEEE10hipError_tPvRmT2_T3_mT4_T5_T6_T7_T8_P12ihipStream_tbENKUlT_T0_E_clISt17integral_constantIbLb1EESZ_EEDaSU_SV_EUlSU_E_NS1_11comp_targetILNS1_3genE2ELNS1_11target_archE906ELNS1_3gpuE6ELNS1_3repE0EEENS1_30default_config_static_selectorELNS0_4arch9wavefront6targetE0EEEvT1_,comdat
	.protected	_ZN7rocprim17ROCPRIM_400000_NS6detail17trampoline_kernelINS0_14default_configENS1_33run_length_encode_config_selectorIijNS0_4plusIjEEEEZZNS1_33reduce_by_key_impl_wrapped_configILNS1_25lookback_scan_determinismE0ES3_S7_PKiNS0_17constant_iteratorIjlEEPiPlSF_S6_NS0_8equal_toIiEEEE10hipError_tPvRmT2_T3_mT4_T5_T6_T7_T8_P12ihipStream_tbENKUlT_T0_E_clISt17integral_constantIbLb1EESZ_EEDaSU_SV_EUlSU_E_NS1_11comp_targetILNS1_3genE2ELNS1_11target_archE906ELNS1_3gpuE6ELNS1_3repE0EEENS1_30default_config_static_selectorELNS0_4arch9wavefront6targetE0EEEvT1_ ; -- Begin function _ZN7rocprim17ROCPRIM_400000_NS6detail17trampoline_kernelINS0_14default_configENS1_33run_length_encode_config_selectorIijNS0_4plusIjEEEEZZNS1_33reduce_by_key_impl_wrapped_configILNS1_25lookback_scan_determinismE0ES3_S7_PKiNS0_17constant_iteratorIjlEEPiPlSF_S6_NS0_8equal_toIiEEEE10hipError_tPvRmT2_T3_mT4_T5_T6_T7_T8_P12ihipStream_tbENKUlT_T0_E_clISt17integral_constantIbLb1EESZ_EEDaSU_SV_EUlSU_E_NS1_11comp_targetILNS1_3genE2ELNS1_11target_archE906ELNS1_3gpuE6ELNS1_3repE0EEENS1_30default_config_static_selectorELNS0_4arch9wavefront6targetE0EEEvT1_
	.globl	_ZN7rocprim17ROCPRIM_400000_NS6detail17trampoline_kernelINS0_14default_configENS1_33run_length_encode_config_selectorIijNS0_4plusIjEEEEZZNS1_33reduce_by_key_impl_wrapped_configILNS1_25lookback_scan_determinismE0ES3_S7_PKiNS0_17constant_iteratorIjlEEPiPlSF_S6_NS0_8equal_toIiEEEE10hipError_tPvRmT2_T3_mT4_T5_T6_T7_T8_P12ihipStream_tbENKUlT_T0_E_clISt17integral_constantIbLb1EESZ_EEDaSU_SV_EUlSU_E_NS1_11comp_targetILNS1_3genE2ELNS1_11target_archE906ELNS1_3gpuE6ELNS1_3repE0EEENS1_30default_config_static_selectorELNS0_4arch9wavefront6targetE0EEEvT1_
	.p2align	8
	.type	_ZN7rocprim17ROCPRIM_400000_NS6detail17trampoline_kernelINS0_14default_configENS1_33run_length_encode_config_selectorIijNS0_4plusIjEEEEZZNS1_33reduce_by_key_impl_wrapped_configILNS1_25lookback_scan_determinismE0ES3_S7_PKiNS0_17constant_iteratorIjlEEPiPlSF_S6_NS0_8equal_toIiEEEE10hipError_tPvRmT2_T3_mT4_T5_T6_T7_T8_P12ihipStream_tbENKUlT_T0_E_clISt17integral_constantIbLb1EESZ_EEDaSU_SV_EUlSU_E_NS1_11comp_targetILNS1_3genE2ELNS1_11target_archE906ELNS1_3gpuE6ELNS1_3repE0EEENS1_30default_config_static_selectorELNS0_4arch9wavefront6targetE0EEEvT1_,@function
_ZN7rocprim17ROCPRIM_400000_NS6detail17trampoline_kernelINS0_14default_configENS1_33run_length_encode_config_selectorIijNS0_4plusIjEEEEZZNS1_33reduce_by_key_impl_wrapped_configILNS1_25lookback_scan_determinismE0ES3_S7_PKiNS0_17constant_iteratorIjlEEPiPlSF_S6_NS0_8equal_toIiEEEE10hipError_tPvRmT2_T3_mT4_T5_T6_T7_T8_P12ihipStream_tbENKUlT_T0_E_clISt17integral_constantIbLb1EESZ_EEDaSU_SV_EUlSU_E_NS1_11comp_targetILNS1_3genE2ELNS1_11target_archE906ELNS1_3gpuE6ELNS1_3repE0EEENS1_30default_config_static_selectorELNS0_4arch9wavefront6targetE0EEEvT1_: ; @_ZN7rocprim17ROCPRIM_400000_NS6detail17trampoline_kernelINS0_14default_configENS1_33run_length_encode_config_selectorIijNS0_4plusIjEEEEZZNS1_33reduce_by_key_impl_wrapped_configILNS1_25lookback_scan_determinismE0ES3_S7_PKiNS0_17constant_iteratorIjlEEPiPlSF_S6_NS0_8equal_toIiEEEE10hipError_tPvRmT2_T3_mT4_T5_T6_T7_T8_P12ihipStream_tbENKUlT_T0_E_clISt17integral_constantIbLb1EESZ_EEDaSU_SV_EUlSU_E_NS1_11comp_targetILNS1_3genE2ELNS1_11target_archE906ELNS1_3gpuE6ELNS1_3repE0EEENS1_30default_config_static_selectorELNS0_4arch9wavefront6targetE0EEEvT1_
; %bb.0:
	.section	.rodata,"a",@progbits
	.p2align	6, 0x0
	.amdhsa_kernel _ZN7rocprim17ROCPRIM_400000_NS6detail17trampoline_kernelINS0_14default_configENS1_33run_length_encode_config_selectorIijNS0_4plusIjEEEEZZNS1_33reduce_by_key_impl_wrapped_configILNS1_25lookback_scan_determinismE0ES3_S7_PKiNS0_17constant_iteratorIjlEEPiPlSF_S6_NS0_8equal_toIiEEEE10hipError_tPvRmT2_T3_mT4_T5_T6_T7_T8_P12ihipStream_tbENKUlT_T0_E_clISt17integral_constantIbLb1EESZ_EEDaSU_SV_EUlSU_E_NS1_11comp_targetILNS1_3genE2ELNS1_11target_archE906ELNS1_3gpuE6ELNS1_3repE0EEENS1_30default_config_static_selectorELNS0_4arch9wavefront6targetE0EEEvT1_
		.amdhsa_group_segment_fixed_size 0
		.amdhsa_private_segment_fixed_size 0
		.amdhsa_kernarg_size 128
		.amdhsa_user_sgpr_count 2
		.amdhsa_user_sgpr_dispatch_ptr 0
		.amdhsa_user_sgpr_queue_ptr 0
		.amdhsa_user_sgpr_kernarg_segment_ptr 1
		.amdhsa_user_sgpr_dispatch_id 0
		.amdhsa_user_sgpr_kernarg_preload_length 0
		.amdhsa_user_sgpr_kernarg_preload_offset 0
		.amdhsa_user_sgpr_private_segment_size 0
		.amdhsa_wavefront_size32 1
		.amdhsa_uses_dynamic_stack 0
		.amdhsa_enable_private_segment 0
		.amdhsa_system_sgpr_workgroup_id_x 1
		.amdhsa_system_sgpr_workgroup_id_y 0
		.amdhsa_system_sgpr_workgroup_id_z 0
		.amdhsa_system_sgpr_workgroup_info 0
		.amdhsa_system_vgpr_workitem_id 0
		.amdhsa_next_free_vgpr 1
		.amdhsa_next_free_sgpr 1
		.amdhsa_named_barrier_count 0
		.amdhsa_reserve_vcc 0
		.amdhsa_float_round_mode_32 0
		.amdhsa_float_round_mode_16_64 0
		.amdhsa_float_denorm_mode_32 3
		.amdhsa_float_denorm_mode_16_64 3
		.amdhsa_fp16_overflow 0
		.amdhsa_memory_ordered 1
		.amdhsa_forward_progress 1
		.amdhsa_inst_pref_size 0
		.amdhsa_round_robin_scheduling 0
		.amdhsa_exception_fp_ieee_invalid_op 0
		.amdhsa_exception_fp_denorm_src 0
		.amdhsa_exception_fp_ieee_div_zero 0
		.amdhsa_exception_fp_ieee_overflow 0
		.amdhsa_exception_fp_ieee_underflow 0
		.amdhsa_exception_fp_ieee_inexact 0
		.amdhsa_exception_int_div_zero 0
	.end_amdhsa_kernel
	.section	.text._ZN7rocprim17ROCPRIM_400000_NS6detail17trampoline_kernelINS0_14default_configENS1_33run_length_encode_config_selectorIijNS0_4plusIjEEEEZZNS1_33reduce_by_key_impl_wrapped_configILNS1_25lookback_scan_determinismE0ES3_S7_PKiNS0_17constant_iteratorIjlEEPiPlSF_S6_NS0_8equal_toIiEEEE10hipError_tPvRmT2_T3_mT4_T5_T6_T7_T8_P12ihipStream_tbENKUlT_T0_E_clISt17integral_constantIbLb1EESZ_EEDaSU_SV_EUlSU_E_NS1_11comp_targetILNS1_3genE2ELNS1_11target_archE906ELNS1_3gpuE6ELNS1_3repE0EEENS1_30default_config_static_selectorELNS0_4arch9wavefront6targetE0EEEvT1_,"axG",@progbits,_ZN7rocprim17ROCPRIM_400000_NS6detail17trampoline_kernelINS0_14default_configENS1_33run_length_encode_config_selectorIijNS0_4plusIjEEEEZZNS1_33reduce_by_key_impl_wrapped_configILNS1_25lookback_scan_determinismE0ES3_S7_PKiNS0_17constant_iteratorIjlEEPiPlSF_S6_NS0_8equal_toIiEEEE10hipError_tPvRmT2_T3_mT4_T5_T6_T7_T8_P12ihipStream_tbENKUlT_T0_E_clISt17integral_constantIbLb1EESZ_EEDaSU_SV_EUlSU_E_NS1_11comp_targetILNS1_3genE2ELNS1_11target_archE906ELNS1_3gpuE6ELNS1_3repE0EEENS1_30default_config_static_selectorELNS0_4arch9wavefront6targetE0EEEvT1_,comdat
.Lfunc_end455:
	.size	_ZN7rocprim17ROCPRIM_400000_NS6detail17trampoline_kernelINS0_14default_configENS1_33run_length_encode_config_selectorIijNS0_4plusIjEEEEZZNS1_33reduce_by_key_impl_wrapped_configILNS1_25lookback_scan_determinismE0ES3_S7_PKiNS0_17constant_iteratorIjlEEPiPlSF_S6_NS0_8equal_toIiEEEE10hipError_tPvRmT2_T3_mT4_T5_T6_T7_T8_P12ihipStream_tbENKUlT_T0_E_clISt17integral_constantIbLb1EESZ_EEDaSU_SV_EUlSU_E_NS1_11comp_targetILNS1_3genE2ELNS1_11target_archE906ELNS1_3gpuE6ELNS1_3repE0EEENS1_30default_config_static_selectorELNS0_4arch9wavefront6targetE0EEEvT1_, .Lfunc_end455-_ZN7rocprim17ROCPRIM_400000_NS6detail17trampoline_kernelINS0_14default_configENS1_33run_length_encode_config_selectorIijNS0_4plusIjEEEEZZNS1_33reduce_by_key_impl_wrapped_configILNS1_25lookback_scan_determinismE0ES3_S7_PKiNS0_17constant_iteratorIjlEEPiPlSF_S6_NS0_8equal_toIiEEEE10hipError_tPvRmT2_T3_mT4_T5_T6_T7_T8_P12ihipStream_tbENKUlT_T0_E_clISt17integral_constantIbLb1EESZ_EEDaSU_SV_EUlSU_E_NS1_11comp_targetILNS1_3genE2ELNS1_11target_archE906ELNS1_3gpuE6ELNS1_3repE0EEENS1_30default_config_static_selectorELNS0_4arch9wavefront6targetE0EEEvT1_
                                        ; -- End function
	.set _ZN7rocprim17ROCPRIM_400000_NS6detail17trampoline_kernelINS0_14default_configENS1_33run_length_encode_config_selectorIijNS0_4plusIjEEEEZZNS1_33reduce_by_key_impl_wrapped_configILNS1_25lookback_scan_determinismE0ES3_S7_PKiNS0_17constant_iteratorIjlEEPiPlSF_S6_NS0_8equal_toIiEEEE10hipError_tPvRmT2_T3_mT4_T5_T6_T7_T8_P12ihipStream_tbENKUlT_T0_E_clISt17integral_constantIbLb1EESZ_EEDaSU_SV_EUlSU_E_NS1_11comp_targetILNS1_3genE2ELNS1_11target_archE906ELNS1_3gpuE6ELNS1_3repE0EEENS1_30default_config_static_selectorELNS0_4arch9wavefront6targetE0EEEvT1_.num_vgpr, 0
	.set _ZN7rocprim17ROCPRIM_400000_NS6detail17trampoline_kernelINS0_14default_configENS1_33run_length_encode_config_selectorIijNS0_4plusIjEEEEZZNS1_33reduce_by_key_impl_wrapped_configILNS1_25lookback_scan_determinismE0ES3_S7_PKiNS0_17constant_iteratorIjlEEPiPlSF_S6_NS0_8equal_toIiEEEE10hipError_tPvRmT2_T3_mT4_T5_T6_T7_T8_P12ihipStream_tbENKUlT_T0_E_clISt17integral_constantIbLb1EESZ_EEDaSU_SV_EUlSU_E_NS1_11comp_targetILNS1_3genE2ELNS1_11target_archE906ELNS1_3gpuE6ELNS1_3repE0EEENS1_30default_config_static_selectorELNS0_4arch9wavefront6targetE0EEEvT1_.num_agpr, 0
	.set _ZN7rocprim17ROCPRIM_400000_NS6detail17trampoline_kernelINS0_14default_configENS1_33run_length_encode_config_selectorIijNS0_4plusIjEEEEZZNS1_33reduce_by_key_impl_wrapped_configILNS1_25lookback_scan_determinismE0ES3_S7_PKiNS0_17constant_iteratorIjlEEPiPlSF_S6_NS0_8equal_toIiEEEE10hipError_tPvRmT2_T3_mT4_T5_T6_T7_T8_P12ihipStream_tbENKUlT_T0_E_clISt17integral_constantIbLb1EESZ_EEDaSU_SV_EUlSU_E_NS1_11comp_targetILNS1_3genE2ELNS1_11target_archE906ELNS1_3gpuE6ELNS1_3repE0EEENS1_30default_config_static_selectorELNS0_4arch9wavefront6targetE0EEEvT1_.numbered_sgpr, 0
	.set _ZN7rocprim17ROCPRIM_400000_NS6detail17trampoline_kernelINS0_14default_configENS1_33run_length_encode_config_selectorIijNS0_4plusIjEEEEZZNS1_33reduce_by_key_impl_wrapped_configILNS1_25lookback_scan_determinismE0ES3_S7_PKiNS0_17constant_iteratorIjlEEPiPlSF_S6_NS0_8equal_toIiEEEE10hipError_tPvRmT2_T3_mT4_T5_T6_T7_T8_P12ihipStream_tbENKUlT_T0_E_clISt17integral_constantIbLb1EESZ_EEDaSU_SV_EUlSU_E_NS1_11comp_targetILNS1_3genE2ELNS1_11target_archE906ELNS1_3gpuE6ELNS1_3repE0EEENS1_30default_config_static_selectorELNS0_4arch9wavefront6targetE0EEEvT1_.num_named_barrier, 0
	.set _ZN7rocprim17ROCPRIM_400000_NS6detail17trampoline_kernelINS0_14default_configENS1_33run_length_encode_config_selectorIijNS0_4plusIjEEEEZZNS1_33reduce_by_key_impl_wrapped_configILNS1_25lookback_scan_determinismE0ES3_S7_PKiNS0_17constant_iteratorIjlEEPiPlSF_S6_NS0_8equal_toIiEEEE10hipError_tPvRmT2_T3_mT4_T5_T6_T7_T8_P12ihipStream_tbENKUlT_T0_E_clISt17integral_constantIbLb1EESZ_EEDaSU_SV_EUlSU_E_NS1_11comp_targetILNS1_3genE2ELNS1_11target_archE906ELNS1_3gpuE6ELNS1_3repE0EEENS1_30default_config_static_selectorELNS0_4arch9wavefront6targetE0EEEvT1_.private_seg_size, 0
	.set _ZN7rocprim17ROCPRIM_400000_NS6detail17trampoline_kernelINS0_14default_configENS1_33run_length_encode_config_selectorIijNS0_4plusIjEEEEZZNS1_33reduce_by_key_impl_wrapped_configILNS1_25lookback_scan_determinismE0ES3_S7_PKiNS0_17constant_iteratorIjlEEPiPlSF_S6_NS0_8equal_toIiEEEE10hipError_tPvRmT2_T3_mT4_T5_T6_T7_T8_P12ihipStream_tbENKUlT_T0_E_clISt17integral_constantIbLb1EESZ_EEDaSU_SV_EUlSU_E_NS1_11comp_targetILNS1_3genE2ELNS1_11target_archE906ELNS1_3gpuE6ELNS1_3repE0EEENS1_30default_config_static_selectorELNS0_4arch9wavefront6targetE0EEEvT1_.uses_vcc, 0
	.set _ZN7rocprim17ROCPRIM_400000_NS6detail17trampoline_kernelINS0_14default_configENS1_33run_length_encode_config_selectorIijNS0_4plusIjEEEEZZNS1_33reduce_by_key_impl_wrapped_configILNS1_25lookback_scan_determinismE0ES3_S7_PKiNS0_17constant_iteratorIjlEEPiPlSF_S6_NS0_8equal_toIiEEEE10hipError_tPvRmT2_T3_mT4_T5_T6_T7_T8_P12ihipStream_tbENKUlT_T0_E_clISt17integral_constantIbLb1EESZ_EEDaSU_SV_EUlSU_E_NS1_11comp_targetILNS1_3genE2ELNS1_11target_archE906ELNS1_3gpuE6ELNS1_3repE0EEENS1_30default_config_static_selectorELNS0_4arch9wavefront6targetE0EEEvT1_.uses_flat_scratch, 0
	.set _ZN7rocprim17ROCPRIM_400000_NS6detail17trampoline_kernelINS0_14default_configENS1_33run_length_encode_config_selectorIijNS0_4plusIjEEEEZZNS1_33reduce_by_key_impl_wrapped_configILNS1_25lookback_scan_determinismE0ES3_S7_PKiNS0_17constant_iteratorIjlEEPiPlSF_S6_NS0_8equal_toIiEEEE10hipError_tPvRmT2_T3_mT4_T5_T6_T7_T8_P12ihipStream_tbENKUlT_T0_E_clISt17integral_constantIbLb1EESZ_EEDaSU_SV_EUlSU_E_NS1_11comp_targetILNS1_3genE2ELNS1_11target_archE906ELNS1_3gpuE6ELNS1_3repE0EEENS1_30default_config_static_selectorELNS0_4arch9wavefront6targetE0EEEvT1_.has_dyn_sized_stack, 0
	.set _ZN7rocprim17ROCPRIM_400000_NS6detail17trampoline_kernelINS0_14default_configENS1_33run_length_encode_config_selectorIijNS0_4plusIjEEEEZZNS1_33reduce_by_key_impl_wrapped_configILNS1_25lookback_scan_determinismE0ES3_S7_PKiNS0_17constant_iteratorIjlEEPiPlSF_S6_NS0_8equal_toIiEEEE10hipError_tPvRmT2_T3_mT4_T5_T6_T7_T8_P12ihipStream_tbENKUlT_T0_E_clISt17integral_constantIbLb1EESZ_EEDaSU_SV_EUlSU_E_NS1_11comp_targetILNS1_3genE2ELNS1_11target_archE906ELNS1_3gpuE6ELNS1_3repE0EEENS1_30default_config_static_selectorELNS0_4arch9wavefront6targetE0EEEvT1_.has_recursion, 0
	.set _ZN7rocprim17ROCPRIM_400000_NS6detail17trampoline_kernelINS0_14default_configENS1_33run_length_encode_config_selectorIijNS0_4plusIjEEEEZZNS1_33reduce_by_key_impl_wrapped_configILNS1_25lookback_scan_determinismE0ES3_S7_PKiNS0_17constant_iteratorIjlEEPiPlSF_S6_NS0_8equal_toIiEEEE10hipError_tPvRmT2_T3_mT4_T5_T6_T7_T8_P12ihipStream_tbENKUlT_T0_E_clISt17integral_constantIbLb1EESZ_EEDaSU_SV_EUlSU_E_NS1_11comp_targetILNS1_3genE2ELNS1_11target_archE906ELNS1_3gpuE6ELNS1_3repE0EEENS1_30default_config_static_selectorELNS0_4arch9wavefront6targetE0EEEvT1_.has_indirect_call, 0
	.section	.AMDGPU.csdata,"",@progbits
; Kernel info:
; codeLenInByte = 0
; TotalNumSgprs: 0
; NumVgprs: 0
; ScratchSize: 0
; MemoryBound: 0
; FloatMode: 240
; IeeeMode: 1
; LDSByteSize: 0 bytes/workgroup (compile time only)
; SGPRBlocks: 0
; VGPRBlocks: 0
; NumSGPRsForWavesPerEU: 1
; NumVGPRsForWavesPerEU: 1
; NamedBarCnt: 0
; Occupancy: 16
; WaveLimiterHint : 0
; COMPUTE_PGM_RSRC2:SCRATCH_EN: 0
; COMPUTE_PGM_RSRC2:USER_SGPR: 2
; COMPUTE_PGM_RSRC2:TRAP_HANDLER: 0
; COMPUTE_PGM_RSRC2:TGID_X_EN: 1
; COMPUTE_PGM_RSRC2:TGID_Y_EN: 0
; COMPUTE_PGM_RSRC2:TGID_Z_EN: 0
; COMPUTE_PGM_RSRC2:TIDIG_COMP_CNT: 0
	.section	.text._ZN7rocprim17ROCPRIM_400000_NS6detail17trampoline_kernelINS0_14default_configENS1_33run_length_encode_config_selectorIijNS0_4plusIjEEEEZZNS1_33reduce_by_key_impl_wrapped_configILNS1_25lookback_scan_determinismE0ES3_S7_PKiNS0_17constant_iteratorIjlEEPiPlSF_S6_NS0_8equal_toIiEEEE10hipError_tPvRmT2_T3_mT4_T5_T6_T7_T8_P12ihipStream_tbENKUlT_T0_E_clISt17integral_constantIbLb1EESZ_EEDaSU_SV_EUlSU_E_NS1_11comp_targetILNS1_3genE10ELNS1_11target_archE1201ELNS1_3gpuE5ELNS1_3repE0EEENS1_30default_config_static_selectorELNS0_4arch9wavefront6targetE0EEEvT1_,"axG",@progbits,_ZN7rocprim17ROCPRIM_400000_NS6detail17trampoline_kernelINS0_14default_configENS1_33run_length_encode_config_selectorIijNS0_4plusIjEEEEZZNS1_33reduce_by_key_impl_wrapped_configILNS1_25lookback_scan_determinismE0ES3_S7_PKiNS0_17constant_iteratorIjlEEPiPlSF_S6_NS0_8equal_toIiEEEE10hipError_tPvRmT2_T3_mT4_T5_T6_T7_T8_P12ihipStream_tbENKUlT_T0_E_clISt17integral_constantIbLb1EESZ_EEDaSU_SV_EUlSU_E_NS1_11comp_targetILNS1_3genE10ELNS1_11target_archE1201ELNS1_3gpuE5ELNS1_3repE0EEENS1_30default_config_static_selectorELNS0_4arch9wavefront6targetE0EEEvT1_,comdat
	.protected	_ZN7rocprim17ROCPRIM_400000_NS6detail17trampoline_kernelINS0_14default_configENS1_33run_length_encode_config_selectorIijNS0_4plusIjEEEEZZNS1_33reduce_by_key_impl_wrapped_configILNS1_25lookback_scan_determinismE0ES3_S7_PKiNS0_17constant_iteratorIjlEEPiPlSF_S6_NS0_8equal_toIiEEEE10hipError_tPvRmT2_T3_mT4_T5_T6_T7_T8_P12ihipStream_tbENKUlT_T0_E_clISt17integral_constantIbLb1EESZ_EEDaSU_SV_EUlSU_E_NS1_11comp_targetILNS1_3genE10ELNS1_11target_archE1201ELNS1_3gpuE5ELNS1_3repE0EEENS1_30default_config_static_selectorELNS0_4arch9wavefront6targetE0EEEvT1_ ; -- Begin function _ZN7rocprim17ROCPRIM_400000_NS6detail17trampoline_kernelINS0_14default_configENS1_33run_length_encode_config_selectorIijNS0_4plusIjEEEEZZNS1_33reduce_by_key_impl_wrapped_configILNS1_25lookback_scan_determinismE0ES3_S7_PKiNS0_17constant_iteratorIjlEEPiPlSF_S6_NS0_8equal_toIiEEEE10hipError_tPvRmT2_T3_mT4_T5_T6_T7_T8_P12ihipStream_tbENKUlT_T0_E_clISt17integral_constantIbLb1EESZ_EEDaSU_SV_EUlSU_E_NS1_11comp_targetILNS1_3genE10ELNS1_11target_archE1201ELNS1_3gpuE5ELNS1_3repE0EEENS1_30default_config_static_selectorELNS0_4arch9wavefront6targetE0EEEvT1_
	.globl	_ZN7rocprim17ROCPRIM_400000_NS6detail17trampoline_kernelINS0_14default_configENS1_33run_length_encode_config_selectorIijNS0_4plusIjEEEEZZNS1_33reduce_by_key_impl_wrapped_configILNS1_25lookback_scan_determinismE0ES3_S7_PKiNS0_17constant_iteratorIjlEEPiPlSF_S6_NS0_8equal_toIiEEEE10hipError_tPvRmT2_T3_mT4_T5_T6_T7_T8_P12ihipStream_tbENKUlT_T0_E_clISt17integral_constantIbLb1EESZ_EEDaSU_SV_EUlSU_E_NS1_11comp_targetILNS1_3genE10ELNS1_11target_archE1201ELNS1_3gpuE5ELNS1_3repE0EEENS1_30default_config_static_selectorELNS0_4arch9wavefront6targetE0EEEvT1_
	.p2align	8
	.type	_ZN7rocprim17ROCPRIM_400000_NS6detail17trampoline_kernelINS0_14default_configENS1_33run_length_encode_config_selectorIijNS0_4plusIjEEEEZZNS1_33reduce_by_key_impl_wrapped_configILNS1_25lookback_scan_determinismE0ES3_S7_PKiNS0_17constant_iteratorIjlEEPiPlSF_S6_NS0_8equal_toIiEEEE10hipError_tPvRmT2_T3_mT4_T5_T6_T7_T8_P12ihipStream_tbENKUlT_T0_E_clISt17integral_constantIbLb1EESZ_EEDaSU_SV_EUlSU_E_NS1_11comp_targetILNS1_3genE10ELNS1_11target_archE1201ELNS1_3gpuE5ELNS1_3repE0EEENS1_30default_config_static_selectorELNS0_4arch9wavefront6targetE0EEEvT1_,@function
_ZN7rocprim17ROCPRIM_400000_NS6detail17trampoline_kernelINS0_14default_configENS1_33run_length_encode_config_selectorIijNS0_4plusIjEEEEZZNS1_33reduce_by_key_impl_wrapped_configILNS1_25lookback_scan_determinismE0ES3_S7_PKiNS0_17constant_iteratorIjlEEPiPlSF_S6_NS0_8equal_toIiEEEE10hipError_tPvRmT2_T3_mT4_T5_T6_T7_T8_P12ihipStream_tbENKUlT_T0_E_clISt17integral_constantIbLb1EESZ_EEDaSU_SV_EUlSU_E_NS1_11comp_targetILNS1_3genE10ELNS1_11target_archE1201ELNS1_3gpuE5ELNS1_3repE0EEENS1_30default_config_static_selectorELNS0_4arch9wavefront6targetE0EEEvT1_: ; @_ZN7rocprim17ROCPRIM_400000_NS6detail17trampoline_kernelINS0_14default_configENS1_33run_length_encode_config_selectorIijNS0_4plusIjEEEEZZNS1_33reduce_by_key_impl_wrapped_configILNS1_25lookback_scan_determinismE0ES3_S7_PKiNS0_17constant_iteratorIjlEEPiPlSF_S6_NS0_8equal_toIiEEEE10hipError_tPvRmT2_T3_mT4_T5_T6_T7_T8_P12ihipStream_tbENKUlT_T0_E_clISt17integral_constantIbLb1EESZ_EEDaSU_SV_EUlSU_E_NS1_11comp_targetILNS1_3genE10ELNS1_11target_archE1201ELNS1_3gpuE5ELNS1_3repE0EEENS1_30default_config_static_selectorELNS0_4arch9wavefront6targetE0EEEvT1_
; %bb.0:
	.section	.rodata,"a",@progbits
	.p2align	6, 0x0
	.amdhsa_kernel _ZN7rocprim17ROCPRIM_400000_NS6detail17trampoline_kernelINS0_14default_configENS1_33run_length_encode_config_selectorIijNS0_4plusIjEEEEZZNS1_33reduce_by_key_impl_wrapped_configILNS1_25lookback_scan_determinismE0ES3_S7_PKiNS0_17constant_iteratorIjlEEPiPlSF_S6_NS0_8equal_toIiEEEE10hipError_tPvRmT2_T3_mT4_T5_T6_T7_T8_P12ihipStream_tbENKUlT_T0_E_clISt17integral_constantIbLb1EESZ_EEDaSU_SV_EUlSU_E_NS1_11comp_targetILNS1_3genE10ELNS1_11target_archE1201ELNS1_3gpuE5ELNS1_3repE0EEENS1_30default_config_static_selectorELNS0_4arch9wavefront6targetE0EEEvT1_
		.amdhsa_group_segment_fixed_size 0
		.amdhsa_private_segment_fixed_size 0
		.amdhsa_kernarg_size 128
		.amdhsa_user_sgpr_count 2
		.amdhsa_user_sgpr_dispatch_ptr 0
		.amdhsa_user_sgpr_queue_ptr 0
		.amdhsa_user_sgpr_kernarg_segment_ptr 1
		.amdhsa_user_sgpr_dispatch_id 0
		.amdhsa_user_sgpr_kernarg_preload_length 0
		.amdhsa_user_sgpr_kernarg_preload_offset 0
		.amdhsa_user_sgpr_private_segment_size 0
		.amdhsa_wavefront_size32 1
		.amdhsa_uses_dynamic_stack 0
		.amdhsa_enable_private_segment 0
		.amdhsa_system_sgpr_workgroup_id_x 1
		.amdhsa_system_sgpr_workgroup_id_y 0
		.amdhsa_system_sgpr_workgroup_id_z 0
		.amdhsa_system_sgpr_workgroup_info 0
		.amdhsa_system_vgpr_workitem_id 0
		.amdhsa_next_free_vgpr 1
		.amdhsa_next_free_sgpr 1
		.amdhsa_named_barrier_count 0
		.amdhsa_reserve_vcc 0
		.amdhsa_float_round_mode_32 0
		.amdhsa_float_round_mode_16_64 0
		.amdhsa_float_denorm_mode_32 3
		.amdhsa_float_denorm_mode_16_64 3
		.amdhsa_fp16_overflow 0
		.amdhsa_memory_ordered 1
		.amdhsa_forward_progress 1
		.amdhsa_inst_pref_size 0
		.amdhsa_round_robin_scheduling 0
		.amdhsa_exception_fp_ieee_invalid_op 0
		.amdhsa_exception_fp_denorm_src 0
		.amdhsa_exception_fp_ieee_div_zero 0
		.amdhsa_exception_fp_ieee_overflow 0
		.amdhsa_exception_fp_ieee_underflow 0
		.amdhsa_exception_fp_ieee_inexact 0
		.amdhsa_exception_int_div_zero 0
	.end_amdhsa_kernel
	.section	.text._ZN7rocprim17ROCPRIM_400000_NS6detail17trampoline_kernelINS0_14default_configENS1_33run_length_encode_config_selectorIijNS0_4plusIjEEEEZZNS1_33reduce_by_key_impl_wrapped_configILNS1_25lookback_scan_determinismE0ES3_S7_PKiNS0_17constant_iteratorIjlEEPiPlSF_S6_NS0_8equal_toIiEEEE10hipError_tPvRmT2_T3_mT4_T5_T6_T7_T8_P12ihipStream_tbENKUlT_T0_E_clISt17integral_constantIbLb1EESZ_EEDaSU_SV_EUlSU_E_NS1_11comp_targetILNS1_3genE10ELNS1_11target_archE1201ELNS1_3gpuE5ELNS1_3repE0EEENS1_30default_config_static_selectorELNS0_4arch9wavefront6targetE0EEEvT1_,"axG",@progbits,_ZN7rocprim17ROCPRIM_400000_NS6detail17trampoline_kernelINS0_14default_configENS1_33run_length_encode_config_selectorIijNS0_4plusIjEEEEZZNS1_33reduce_by_key_impl_wrapped_configILNS1_25lookback_scan_determinismE0ES3_S7_PKiNS0_17constant_iteratorIjlEEPiPlSF_S6_NS0_8equal_toIiEEEE10hipError_tPvRmT2_T3_mT4_T5_T6_T7_T8_P12ihipStream_tbENKUlT_T0_E_clISt17integral_constantIbLb1EESZ_EEDaSU_SV_EUlSU_E_NS1_11comp_targetILNS1_3genE10ELNS1_11target_archE1201ELNS1_3gpuE5ELNS1_3repE0EEENS1_30default_config_static_selectorELNS0_4arch9wavefront6targetE0EEEvT1_,comdat
.Lfunc_end456:
	.size	_ZN7rocprim17ROCPRIM_400000_NS6detail17trampoline_kernelINS0_14default_configENS1_33run_length_encode_config_selectorIijNS0_4plusIjEEEEZZNS1_33reduce_by_key_impl_wrapped_configILNS1_25lookback_scan_determinismE0ES3_S7_PKiNS0_17constant_iteratorIjlEEPiPlSF_S6_NS0_8equal_toIiEEEE10hipError_tPvRmT2_T3_mT4_T5_T6_T7_T8_P12ihipStream_tbENKUlT_T0_E_clISt17integral_constantIbLb1EESZ_EEDaSU_SV_EUlSU_E_NS1_11comp_targetILNS1_3genE10ELNS1_11target_archE1201ELNS1_3gpuE5ELNS1_3repE0EEENS1_30default_config_static_selectorELNS0_4arch9wavefront6targetE0EEEvT1_, .Lfunc_end456-_ZN7rocprim17ROCPRIM_400000_NS6detail17trampoline_kernelINS0_14default_configENS1_33run_length_encode_config_selectorIijNS0_4plusIjEEEEZZNS1_33reduce_by_key_impl_wrapped_configILNS1_25lookback_scan_determinismE0ES3_S7_PKiNS0_17constant_iteratorIjlEEPiPlSF_S6_NS0_8equal_toIiEEEE10hipError_tPvRmT2_T3_mT4_T5_T6_T7_T8_P12ihipStream_tbENKUlT_T0_E_clISt17integral_constantIbLb1EESZ_EEDaSU_SV_EUlSU_E_NS1_11comp_targetILNS1_3genE10ELNS1_11target_archE1201ELNS1_3gpuE5ELNS1_3repE0EEENS1_30default_config_static_selectorELNS0_4arch9wavefront6targetE0EEEvT1_
                                        ; -- End function
	.set _ZN7rocprim17ROCPRIM_400000_NS6detail17trampoline_kernelINS0_14default_configENS1_33run_length_encode_config_selectorIijNS0_4plusIjEEEEZZNS1_33reduce_by_key_impl_wrapped_configILNS1_25lookback_scan_determinismE0ES3_S7_PKiNS0_17constant_iteratorIjlEEPiPlSF_S6_NS0_8equal_toIiEEEE10hipError_tPvRmT2_T3_mT4_T5_T6_T7_T8_P12ihipStream_tbENKUlT_T0_E_clISt17integral_constantIbLb1EESZ_EEDaSU_SV_EUlSU_E_NS1_11comp_targetILNS1_3genE10ELNS1_11target_archE1201ELNS1_3gpuE5ELNS1_3repE0EEENS1_30default_config_static_selectorELNS0_4arch9wavefront6targetE0EEEvT1_.num_vgpr, 0
	.set _ZN7rocprim17ROCPRIM_400000_NS6detail17trampoline_kernelINS0_14default_configENS1_33run_length_encode_config_selectorIijNS0_4plusIjEEEEZZNS1_33reduce_by_key_impl_wrapped_configILNS1_25lookback_scan_determinismE0ES3_S7_PKiNS0_17constant_iteratorIjlEEPiPlSF_S6_NS0_8equal_toIiEEEE10hipError_tPvRmT2_T3_mT4_T5_T6_T7_T8_P12ihipStream_tbENKUlT_T0_E_clISt17integral_constantIbLb1EESZ_EEDaSU_SV_EUlSU_E_NS1_11comp_targetILNS1_3genE10ELNS1_11target_archE1201ELNS1_3gpuE5ELNS1_3repE0EEENS1_30default_config_static_selectorELNS0_4arch9wavefront6targetE0EEEvT1_.num_agpr, 0
	.set _ZN7rocprim17ROCPRIM_400000_NS6detail17trampoline_kernelINS0_14default_configENS1_33run_length_encode_config_selectorIijNS0_4plusIjEEEEZZNS1_33reduce_by_key_impl_wrapped_configILNS1_25lookback_scan_determinismE0ES3_S7_PKiNS0_17constant_iteratorIjlEEPiPlSF_S6_NS0_8equal_toIiEEEE10hipError_tPvRmT2_T3_mT4_T5_T6_T7_T8_P12ihipStream_tbENKUlT_T0_E_clISt17integral_constantIbLb1EESZ_EEDaSU_SV_EUlSU_E_NS1_11comp_targetILNS1_3genE10ELNS1_11target_archE1201ELNS1_3gpuE5ELNS1_3repE0EEENS1_30default_config_static_selectorELNS0_4arch9wavefront6targetE0EEEvT1_.numbered_sgpr, 0
	.set _ZN7rocprim17ROCPRIM_400000_NS6detail17trampoline_kernelINS0_14default_configENS1_33run_length_encode_config_selectorIijNS0_4plusIjEEEEZZNS1_33reduce_by_key_impl_wrapped_configILNS1_25lookback_scan_determinismE0ES3_S7_PKiNS0_17constant_iteratorIjlEEPiPlSF_S6_NS0_8equal_toIiEEEE10hipError_tPvRmT2_T3_mT4_T5_T6_T7_T8_P12ihipStream_tbENKUlT_T0_E_clISt17integral_constantIbLb1EESZ_EEDaSU_SV_EUlSU_E_NS1_11comp_targetILNS1_3genE10ELNS1_11target_archE1201ELNS1_3gpuE5ELNS1_3repE0EEENS1_30default_config_static_selectorELNS0_4arch9wavefront6targetE0EEEvT1_.num_named_barrier, 0
	.set _ZN7rocprim17ROCPRIM_400000_NS6detail17trampoline_kernelINS0_14default_configENS1_33run_length_encode_config_selectorIijNS0_4plusIjEEEEZZNS1_33reduce_by_key_impl_wrapped_configILNS1_25lookback_scan_determinismE0ES3_S7_PKiNS0_17constant_iteratorIjlEEPiPlSF_S6_NS0_8equal_toIiEEEE10hipError_tPvRmT2_T3_mT4_T5_T6_T7_T8_P12ihipStream_tbENKUlT_T0_E_clISt17integral_constantIbLb1EESZ_EEDaSU_SV_EUlSU_E_NS1_11comp_targetILNS1_3genE10ELNS1_11target_archE1201ELNS1_3gpuE5ELNS1_3repE0EEENS1_30default_config_static_selectorELNS0_4arch9wavefront6targetE0EEEvT1_.private_seg_size, 0
	.set _ZN7rocprim17ROCPRIM_400000_NS6detail17trampoline_kernelINS0_14default_configENS1_33run_length_encode_config_selectorIijNS0_4plusIjEEEEZZNS1_33reduce_by_key_impl_wrapped_configILNS1_25lookback_scan_determinismE0ES3_S7_PKiNS0_17constant_iteratorIjlEEPiPlSF_S6_NS0_8equal_toIiEEEE10hipError_tPvRmT2_T3_mT4_T5_T6_T7_T8_P12ihipStream_tbENKUlT_T0_E_clISt17integral_constantIbLb1EESZ_EEDaSU_SV_EUlSU_E_NS1_11comp_targetILNS1_3genE10ELNS1_11target_archE1201ELNS1_3gpuE5ELNS1_3repE0EEENS1_30default_config_static_selectorELNS0_4arch9wavefront6targetE0EEEvT1_.uses_vcc, 0
	.set _ZN7rocprim17ROCPRIM_400000_NS6detail17trampoline_kernelINS0_14default_configENS1_33run_length_encode_config_selectorIijNS0_4plusIjEEEEZZNS1_33reduce_by_key_impl_wrapped_configILNS1_25lookback_scan_determinismE0ES3_S7_PKiNS0_17constant_iteratorIjlEEPiPlSF_S6_NS0_8equal_toIiEEEE10hipError_tPvRmT2_T3_mT4_T5_T6_T7_T8_P12ihipStream_tbENKUlT_T0_E_clISt17integral_constantIbLb1EESZ_EEDaSU_SV_EUlSU_E_NS1_11comp_targetILNS1_3genE10ELNS1_11target_archE1201ELNS1_3gpuE5ELNS1_3repE0EEENS1_30default_config_static_selectorELNS0_4arch9wavefront6targetE0EEEvT1_.uses_flat_scratch, 0
	.set _ZN7rocprim17ROCPRIM_400000_NS6detail17trampoline_kernelINS0_14default_configENS1_33run_length_encode_config_selectorIijNS0_4plusIjEEEEZZNS1_33reduce_by_key_impl_wrapped_configILNS1_25lookback_scan_determinismE0ES3_S7_PKiNS0_17constant_iteratorIjlEEPiPlSF_S6_NS0_8equal_toIiEEEE10hipError_tPvRmT2_T3_mT4_T5_T6_T7_T8_P12ihipStream_tbENKUlT_T0_E_clISt17integral_constantIbLb1EESZ_EEDaSU_SV_EUlSU_E_NS1_11comp_targetILNS1_3genE10ELNS1_11target_archE1201ELNS1_3gpuE5ELNS1_3repE0EEENS1_30default_config_static_selectorELNS0_4arch9wavefront6targetE0EEEvT1_.has_dyn_sized_stack, 0
	.set _ZN7rocprim17ROCPRIM_400000_NS6detail17trampoline_kernelINS0_14default_configENS1_33run_length_encode_config_selectorIijNS0_4plusIjEEEEZZNS1_33reduce_by_key_impl_wrapped_configILNS1_25lookback_scan_determinismE0ES3_S7_PKiNS0_17constant_iteratorIjlEEPiPlSF_S6_NS0_8equal_toIiEEEE10hipError_tPvRmT2_T3_mT4_T5_T6_T7_T8_P12ihipStream_tbENKUlT_T0_E_clISt17integral_constantIbLb1EESZ_EEDaSU_SV_EUlSU_E_NS1_11comp_targetILNS1_3genE10ELNS1_11target_archE1201ELNS1_3gpuE5ELNS1_3repE0EEENS1_30default_config_static_selectorELNS0_4arch9wavefront6targetE0EEEvT1_.has_recursion, 0
	.set _ZN7rocprim17ROCPRIM_400000_NS6detail17trampoline_kernelINS0_14default_configENS1_33run_length_encode_config_selectorIijNS0_4plusIjEEEEZZNS1_33reduce_by_key_impl_wrapped_configILNS1_25lookback_scan_determinismE0ES3_S7_PKiNS0_17constant_iteratorIjlEEPiPlSF_S6_NS0_8equal_toIiEEEE10hipError_tPvRmT2_T3_mT4_T5_T6_T7_T8_P12ihipStream_tbENKUlT_T0_E_clISt17integral_constantIbLb1EESZ_EEDaSU_SV_EUlSU_E_NS1_11comp_targetILNS1_3genE10ELNS1_11target_archE1201ELNS1_3gpuE5ELNS1_3repE0EEENS1_30default_config_static_selectorELNS0_4arch9wavefront6targetE0EEEvT1_.has_indirect_call, 0
	.section	.AMDGPU.csdata,"",@progbits
; Kernel info:
; codeLenInByte = 0
; TotalNumSgprs: 0
; NumVgprs: 0
; ScratchSize: 0
; MemoryBound: 0
; FloatMode: 240
; IeeeMode: 1
; LDSByteSize: 0 bytes/workgroup (compile time only)
; SGPRBlocks: 0
; VGPRBlocks: 0
; NumSGPRsForWavesPerEU: 1
; NumVGPRsForWavesPerEU: 1
; NamedBarCnt: 0
; Occupancy: 16
; WaveLimiterHint : 0
; COMPUTE_PGM_RSRC2:SCRATCH_EN: 0
; COMPUTE_PGM_RSRC2:USER_SGPR: 2
; COMPUTE_PGM_RSRC2:TRAP_HANDLER: 0
; COMPUTE_PGM_RSRC2:TGID_X_EN: 1
; COMPUTE_PGM_RSRC2:TGID_Y_EN: 0
; COMPUTE_PGM_RSRC2:TGID_Z_EN: 0
; COMPUTE_PGM_RSRC2:TIDIG_COMP_CNT: 0
	.section	.text._ZN7rocprim17ROCPRIM_400000_NS6detail17trampoline_kernelINS0_14default_configENS1_33run_length_encode_config_selectorIijNS0_4plusIjEEEEZZNS1_33reduce_by_key_impl_wrapped_configILNS1_25lookback_scan_determinismE0ES3_S7_PKiNS0_17constant_iteratorIjlEEPiPlSF_S6_NS0_8equal_toIiEEEE10hipError_tPvRmT2_T3_mT4_T5_T6_T7_T8_P12ihipStream_tbENKUlT_T0_E_clISt17integral_constantIbLb1EESZ_EEDaSU_SV_EUlSU_E_NS1_11comp_targetILNS1_3genE10ELNS1_11target_archE1200ELNS1_3gpuE4ELNS1_3repE0EEENS1_30default_config_static_selectorELNS0_4arch9wavefront6targetE0EEEvT1_,"axG",@progbits,_ZN7rocprim17ROCPRIM_400000_NS6detail17trampoline_kernelINS0_14default_configENS1_33run_length_encode_config_selectorIijNS0_4plusIjEEEEZZNS1_33reduce_by_key_impl_wrapped_configILNS1_25lookback_scan_determinismE0ES3_S7_PKiNS0_17constant_iteratorIjlEEPiPlSF_S6_NS0_8equal_toIiEEEE10hipError_tPvRmT2_T3_mT4_T5_T6_T7_T8_P12ihipStream_tbENKUlT_T0_E_clISt17integral_constantIbLb1EESZ_EEDaSU_SV_EUlSU_E_NS1_11comp_targetILNS1_3genE10ELNS1_11target_archE1200ELNS1_3gpuE4ELNS1_3repE0EEENS1_30default_config_static_selectorELNS0_4arch9wavefront6targetE0EEEvT1_,comdat
	.protected	_ZN7rocprim17ROCPRIM_400000_NS6detail17trampoline_kernelINS0_14default_configENS1_33run_length_encode_config_selectorIijNS0_4plusIjEEEEZZNS1_33reduce_by_key_impl_wrapped_configILNS1_25lookback_scan_determinismE0ES3_S7_PKiNS0_17constant_iteratorIjlEEPiPlSF_S6_NS0_8equal_toIiEEEE10hipError_tPvRmT2_T3_mT4_T5_T6_T7_T8_P12ihipStream_tbENKUlT_T0_E_clISt17integral_constantIbLb1EESZ_EEDaSU_SV_EUlSU_E_NS1_11comp_targetILNS1_3genE10ELNS1_11target_archE1200ELNS1_3gpuE4ELNS1_3repE0EEENS1_30default_config_static_selectorELNS0_4arch9wavefront6targetE0EEEvT1_ ; -- Begin function _ZN7rocprim17ROCPRIM_400000_NS6detail17trampoline_kernelINS0_14default_configENS1_33run_length_encode_config_selectorIijNS0_4plusIjEEEEZZNS1_33reduce_by_key_impl_wrapped_configILNS1_25lookback_scan_determinismE0ES3_S7_PKiNS0_17constant_iteratorIjlEEPiPlSF_S6_NS0_8equal_toIiEEEE10hipError_tPvRmT2_T3_mT4_T5_T6_T7_T8_P12ihipStream_tbENKUlT_T0_E_clISt17integral_constantIbLb1EESZ_EEDaSU_SV_EUlSU_E_NS1_11comp_targetILNS1_3genE10ELNS1_11target_archE1200ELNS1_3gpuE4ELNS1_3repE0EEENS1_30default_config_static_selectorELNS0_4arch9wavefront6targetE0EEEvT1_
	.globl	_ZN7rocprim17ROCPRIM_400000_NS6detail17trampoline_kernelINS0_14default_configENS1_33run_length_encode_config_selectorIijNS0_4plusIjEEEEZZNS1_33reduce_by_key_impl_wrapped_configILNS1_25lookback_scan_determinismE0ES3_S7_PKiNS0_17constant_iteratorIjlEEPiPlSF_S6_NS0_8equal_toIiEEEE10hipError_tPvRmT2_T3_mT4_T5_T6_T7_T8_P12ihipStream_tbENKUlT_T0_E_clISt17integral_constantIbLb1EESZ_EEDaSU_SV_EUlSU_E_NS1_11comp_targetILNS1_3genE10ELNS1_11target_archE1200ELNS1_3gpuE4ELNS1_3repE0EEENS1_30default_config_static_selectorELNS0_4arch9wavefront6targetE0EEEvT1_
	.p2align	8
	.type	_ZN7rocprim17ROCPRIM_400000_NS6detail17trampoline_kernelINS0_14default_configENS1_33run_length_encode_config_selectorIijNS0_4plusIjEEEEZZNS1_33reduce_by_key_impl_wrapped_configILNS1_25lookback_scan_determinismE0ES3_S7_PKiNS0_17constant_iteratorIjlEEPiPlSF_S6_NS0_8equal_toIiEEEE10hipError_tPvRmT2_T3_mT4_T5_T6_T7_T8_P12ihipStream_tbENKUlT_T0_E_clISt17integral_constantIbLb1EESZ_EEDaSU_SV_EUlSU_E_NS1_11comp_targetILNS1_3genE10ELNS1_11target_archE1200ELNS1_3gpuE4ELNS1_3repE0EEENS1_30default_config_static_selectorELNS0_4arch9wavefront6targetE0EEEvT1_,@function
_ZN7rocprim17ROCPRIM_400000_NS6detail17trampoline_kernelINS0_14default_configENS1_33run_length_encode_config_selectorIijNS0_4plusIjEEEEZZNS1_33reduce_by_key_impl_wrapped_configILNS1_25lookback_scan_determinismE0ES3_S7_PKiNS0_17constant_iteratorIjlEEPiPlSF_S6_NS0_8equal_toIiEEEE10hipError_tPvRmT2_T3_mT4_T5_T6_T7_T8_P12ihipStream_tbENKUlT_T0_E_clISt17integral_constantIbLb1EESZ_EEDaSU_SV_EUlSU_E_NS1_11comp_targetILNS1_3genE10ELNS1_11target_archE1200ELNS1_3gpuE4ELNS1_3repE0EEENS1_30default_config_static_selectorELNS0_4arch9wavefront6targetE0EEEvT1_: ; @_ZN7rocprim17ROCPRIM_400000_NS6detail17trampoline_kernelINS0_14default_configENS1_33run_length_encode_config_selectorIijNS0_4plusIjEEEEZZNS1_33reduce_by_key_impl_wrapped_configILNS1_25lookback_scan_determinismE0ES3_S7_PKiNS0_17constant_iteratorIjlEEPiPlSF_S6_NS0_8equal_toIiEEEE10hipError_tPvRmT2_T3_mT4_T5_T6_T7_T8_P12ihipStream_tbENKUlT_T0_E_clISt17integral_constantIbLb1EESZ_EEDaSU_SV_EUlSU_E_NS1_11comp_targetILNS1_3genE10ELNS1_11target_archE1200ELNS1_3gpuE4ELNS1_3repE0EEENS1_30default_config_static_selectorELNS0_4arch9wavefront6targetE0EEEvT1_
; %bb.0:
	.section	.rodata,"a",@progbits
	.p2align	6, 0x0
	.amdhsa_kernel _ZN7rocprim17ROCPRIM_400000_NS6detail17trampoline_kernelINS0_14default_configENS1_33run_length_encode_config_selectorIijNS0_4plusIjEEEEZZNS1_33reduce_by_key_impl_wrapped_configILNS1_25lookback_scan_determinismE0ES3_S7_PKiNS0_17constant_iteratorIjlEEPiPlSF_S6_NS0_8equal_toIiEEEE10hipError_tPvRmT2_T3_mT4_T5_T6_T7_T8_P12ihipStream_tbENKUlT_T0_E_clISt17integral_constantIbLb1EESZ_EEDaSU_SV_EUlSU_E_NS1_11comp_targetILNS1_3genE10ELNS1_11target_archE1200ELNS1_3gpuE4ELNS1_3repE0EEENS1_30default_config_static_selectorELNS0_4arch9wavefront6targetE0EEEvT1_
		.amdhsa_group_segment_fixed_size 0
		.amdhsa_private_segment_fixed_size 0
		.amdhsa_kernarg_size 128
		.amdhsa_user_sgpr_count 2
		.amdhsa_user_sgpr_dispatch_ptr 0
		.amdhsa_user_sgpr_queue_ptr 0
		.amdhsa_user_sgpr_kernarg_segment_ptr 1
		.amdhsa_user_sgpr_dispatch_id 0
		.amdhsa_user_sgpr_kernarg_preload_length 0
		.amdhsa_user_sgpr_kernarg_preload_offset 0
		.amdhsa_user_sgpr_private_segment_size 0
		.amdhsa_wavefront_size32 1
		.amdhsa_uses_dynamic_stack 0
		.amdhsa_enable_private_segment 0
		.amdhsa_system_sgpr_workgroup_id_x 1
		.amdhsa_system_sgpr_workgroup_id_y 0
		.amdhsa_system_sgpr_workgroup_id_z 0
		.amdhsa_system_sgpr_workgroup_info 0
		.amdhsa_system_vgpr_workitem_id 0
		.amdhsa_next_free_vgpr 1
		.amdhsa_next_free_sgpr 1
		.amdhsa_named_barrier_count 0
		.amdhsa_reserve_vcc 0
		.amdhsa_float_round_mode_32 0
		.amdhsa_float_round_mode_16_64 0
		.amdhsa_float_denorm_mode_32 3
		.amdhsa_float_denorm_mode_16_64 3
		.amdhsa_fp16_overflow 0
		.amdhsa_memory_ordered 1
		.amdhsa_forward_progress 1
		.amdhsa_inst_pref_size 0
		.amdhsa_round_robin_scheduling 0
		.amdhsa_exception_fp_ieee_invalid_op 0
		.amdhsa_exception_fp_denorm_src 0
		.amdhsa_exception_fp_ieee_div_zero 0
		.amdhsa_exception_fp_ieee_overflow 0
		.amdhsa_exception_fp_ieee_underflow 0
		.amdhsa_exception_fp_ieee_inexact 0
		.amdhsa_exception_int_div_zero 0
	.end_amdhsa_kernel
	.section	.text._ZN7rocprim17ROCPRIM_400000_NS6detail17trampoline_kernelINS0_14default_configENS1_33run_length_encode_config_selectorIijNS0_4plusIjEEEEZZNS1_33reduce_by_key_impl_wrapped_configILNS1_25lookback_scan_determinismE0ES3_S7_PKiNS0_17constant_iteratorIjlEEPiPlSF_S6_NS0_8equal_toIiEEEE10hipError_tPvRmT2_T3_mT4_T5_T6_T7_T8_P12ihipStream_tbENKUlT_T0_E_clISt17integral_constantIbLb1EESZ_EEDaSU_SV_EUlSU_E_NS1_11comp_targetILNS1_3genE10ELNS1_11target_archE1200ELNS1_3gpuE4ELNS1_3repE0EEENS1_30default_config_static_selectorELNS0_4arch9wavefront6targetE0EEEvT1_,"axG",@progbits,_ZN7rocprim17ROCPRIM_400000_NS6detail17trampoline_kernelINS0_14default_configENS1_33run_length_encode_config_selectorIijNS0_4plusIjEEEEZZNS1_33reduce_by_key_impl_wrapped_configILNS1_25lookback_scan_determinismE0ES3_S7_PKiNS0_17constant_iteratorIjlEEPiPlSF_S6_NS0_8equal_toIiEEEE10hipError_tPvRmT2_T3_mT4_T5_T6_T7_T8_P12ihipStream_tbENKUlT_T0_E_clISt17integral_constantIbLb1EESZ_EEDaSU_SV_EUlSU_E_NS1_11comp_targetILNS1_3genE10ELNS1_11target_archE1200ELNS1_3gpuE4ELNS1_3repE0EEENS1_30default_config_static_selectorELNS0_4arch9wavefront6targetE0EEEvT1_,comdat
.Lfunc_end457:
	.size	_ZN7rocprim17ROCPRIM_400000_NS6detail17trampoline_kernelINS0_14default_configENS1_33run_length_encode_config_selectorIijNS0_4plusIjEEEEZZNS1_33reduce_by_key_impl_wrapped_configILNS1_25lookback_scan_determinismE0ES3_S7_PKiNS0_17constant_iteratorIjlEEPiPlSF_S6_NS0_8equal_toIiEEEE10hipError_tPvRmT2_T3_mT4_T5_T6_T7_T8_P12ihipStream_tbENKUlT_T0_E_clISt17integral_constantIbLb1EESZ_EEDaSU_SV_EUlSU_E_NS1_11comp_targetILNS1_3genE10ELNS1_11target_archE1200ELNS1_3gpuE4ELNS1_3repE0EEENS1_30default_config_static_selectorELNS0_4arch9wavefront6targetE0EEEvT1_, .Lfunc_end457-_ZN7rocprim17ROCPRIM_400000_NS6detail17trampoline_kernelINS0_14default_configENS1_33run_length_encode_config_selectorIijNS0_4plusIjEEEEZZNS1_33reduce_by_key_impl_wrapped_configILNS1_25lookback_scan_determinismE0ES3_S7_PKiNS0_17constant_iteratorIjlEEPiPlSF_S6_NS0_8equal_toIiEEEE10hipError_tPvRmT2_T3_mT4_T5_T6_T7_T8_P12ihipStream_tbENKUlT_T0_E_clISt17integral_constantIbLb1EESZ_EEDaSU_SV_EUlSU_E_NS1_11comp_targetILNS1_3genE10ELNS1_11target_archE1200ELNS1_3gpuE4ELNS1_3repE0EEENS1_30default_config_static_selectorELNS0_4arch9wavefront6targetE0EEEvT1_
                                        ; -- End function
	.set _ZN7rocprim17ROCPRIM_400000_NS6detail17trampoline_kernelINS0_14default_configENS1_33run_length_encode_config_selectorIijNS0_4plusIjEEEEZZNS1_33reduce_by_key_impl_wrapped_configILNS1_25lookback_scan_determinismE0ES3_S7_PKiNS0_17constant_iteratorIjlEEPiPlSF_S6_NS0_8equal_toIiEEEE10hipError_tPvRmT2_T3_mT4_T5_T6_T7_T8_P12ihipStream_tbENKUlT_T0_E_clISt17integral_constantIbLb1EESZ_EEDaSU_SV_EUlSU_E_NS1_11comp_targetILNS1_3genE10ELNS1_11target_archE1200ELNS1_3gpuE4ELNS1_3repE0EEENS1_30default_config_static_selectorELNS0_4arch9wavefront6targetE0EEEvT1_.num_vgpr, 0
	.set _ZN7rocprim17ROCPRIM_400000_NS6detail17trampoline_kernelINS0_14default_configENS1_33run_length_encode_config_selectorIijNS0_4plusIjEEEEZZNS1_33reduce_by_key_impl_wrapped_configILNS1_25lookback_scan_determinismE0ES3_S7_PKiNS0_17constant_iteratorIjlEEPiPlSF_S6_NS0_8equal_toIiEEEE10hipError_tPvRmT2_T3_mT4_T5_T6_T7_T8_P12ihipStream_tbENKUlT_T0_E_clISt17integral_constantIbLb1EESZ_EEDaSU_SV_EUlSU_E_NS1_11comp_targetILNS1_3genE10ELNS1_11target_archE1200ELNS1_3gpuE4ELNS1_3repE0EEENS1_30default_config_static_selectorELNS0_4arch9wavefront6targetE0EEEvT1_.num_agpr, 0
	.set _ZN7rocprim17ROCPRIM_400000_NS6detail17trampoline_kernelINS0_14default_configENS1_33run_length_encode_config_selectorIijNS0_4plusIjEEEEZZNS1_33reduce_by_key_impl_wrapped_configILNS1_25lookback_scan_determinismE0ES3_S7_PKiNS0_17constant_iteratorIjlEEPiPlSF_S6_NS0_8equal_toIiEEEE10hipError_tPvRmT2_T3_mT4_T5_T6_T7_T8_P12ihipStream_tbENKUlT_T0_E_clISt17integral_constantIbLb1EESZ_EEDaSU_SV_EUlSU_E_NS1_11comp_targetILNS1_3genE10ELNS1_11target_archE1200ELNS1_3gpuE4ELNS1_3repE0EEENS1_30default_config_static_selectorELNS0_4arch9wavefront6targetE0EEEvT1_.numbered_sgpr, 0
	.set _ZN7rocprim17ROCPRIM_400000_NS6detail17trampoline_kernelINS0_14default_configENS1_33run_length_encode_config_selectorIijNS0_4plusIjEEEEZZNS1_33reduce_by_key_impl_wrapped_configILNS1_25lookback_scan_determinismE0ES3_S7_PKiNS0_17constant_iteratorIjlEEPiPlSF_S6_NS0_8equal_toIiEEEE10hipError_tPvRmT2_T3_mT4_T5_T6_T7_T8_P12ihipStream_tbENKUlT_T0_E_clISt17integral_constantIbLb1EESZ_EEDaSU_SV_EUlSU_E_NS1_11comp_targetILNS1_3genE10ELNS1_11target_archE1200ELNS1_3gpuE4ELNS1_3repE0EEENS1_30default_config_static_selectorELNS0_4arch9wavefront6targetE0EEEvT1_.num_named_barrier, 0
	.set _ZN7rocprim17ROCPRIM_400000_NS6detail17trampoline_kernelINS0_14default_configENS1_33run_length_encode_config_selectorIijNS0_4plusIjEEEEZZNS1_33reduce_by_key_impl_wrapped_configILNS1_25lookback_scan_determinismE0ES3_S7_PKiNS0_17constant_iteratorIjlEEPiPlSF_S6_NS0_8equal_toIiEEEE10hipError_tPvRmT2_T3_mT4_T5_T6_T7_T8_P12ihipStream_tbENKUlT_T0_E_clISt17integral_constantIbLb1EESZ_EEDaSU_SV_EUlSU_E_NS1_11comp_targetILNS1_3genE10ELNS1_11target_archE1200ELNS1_3gpuE4ELNS1_3repE0EEENS1_30default_config_static_selectorELNS0_4arch9wavefront6targetE0EEEvT1_.private_seg_size, 0
	.set _ZN7rocprim17ROCPRIM_400000_NS6detail17trampoline_kernelINS0_14default_configENS1_33run_length_encode_config_selectorIijNS0_4plusIjEEEEZZNS1_33reduce_by_key_impl_wrapped_configILNS1_25lookback_scan_determinismE0ES3_S7_PKiNS0_17constant_iteratorIjlEEPiPlSF_S6_NS0_8equal_toIiEEEE10hipError_tPvRmT2_T3_mT4_T5_T6_T7_T8_P12ihipStream_tbENKUlT_T0_E_clISt17integral_constantIbLb1EESZ_EEDaSU_SV_EUlSU_E_NS1_11comp_targetILNS1_3genE10ELNS1_11target_archE1200ELNS1_3gpuE4ELNS1_3repE0EEENS1_30default_config_static_selectorELNS0_4arch9wavefront6targetE0EEEvT1_.uses_vcc, 0
	.set _ZN7rocprim17ROCPRIM_400000_NS6detail17trampoline_kernelINS0_14default_configENS1_33run_length_encode_config_selectorIijNS0_4plusIjEEEEZZNS1_33reduce_by_key_impl_wrapped_configILNS1_25lookback_scan_determinismE0ES3_S7_PKiNS0_17constant_iteratorIjlEEPiPlSF_S6_NS0_8equal_toIiEEEE10hipError_tPvRmT2_T3_mT4_T5_T6_T7_T8_P12ihipStream_tbENKUlT_T0_E_clISt17integral_constantIbLb1EESZ_EEDaSU_SV_EUlSU_E_NS1_11comp_targetILNS1_3genE10ELNS1_11target_archE1200ELNS1_3gpuE4ELNS1_3repE0EEENS1_30default_config_static_selectorELNS0_4arch9wavefront6targetE0EEEvT1_.uses_flat_scratch, 0
	.set _ZN7rocprim17ROCPRIM_400000_NS6detail17trampoline_kernelINS0_14default_configENS1_33run_length_encode_config_selectorIijNS0_4plusIjEEEEZZNS1_33reduce_by_key_impl_wrapped_configILNS1_25lookback_scan_determinismE0ES3_S7_PKiNS0_17constant_iteratorIjlEEPiPlSF_S6_NS0_8equal_toIiEEEE10hipError_tPvRmT2_T3_mT4_T5_T6_T7_T8_P12ihipStream_tbENKUlT_T0_E_clISt17integral_constantIbLb1EESZ_EEDaSU_SV_EUlSU_E_NS1_11comp_targetILNS1_3genE10ELNS1_11target_archE1200ELNS1_3gpuE4ELNS1_3repE0EEENS1_30default_config_static_selectorELNS0_4arch9wavefront6targetE0EEEvT1_.has_dyn_sized_stack, 0
	.set _ZN7rocprim17ROCPRIM_400000_NS6detail17trampoline_kernelINS0_14default_configENS1_33run_length_encode_config_selectorIijNS0_4plusIjEEEEZZNS1_33reduce_by_key_impl_wrapped_configILNS1_25lookback_scan_determinismE0ES3_S7_PKiNS0_17constant_iteratorIjlEEPiPlSF_S6_NS0_8equal_toIiEEEE10hipError_tPvRmT2_T3_mT4_T5_T6_T7_T8_P12ihipStream_tbENKUlT_T0_E_clISt17integral_constantIbLb1EESZ_EEDaSU_SV_EUlSU_E_NS1_11comp_targetILNS1_3genE10ELNS1_11target_archE1200ELNS1_3gpuE4ELNS1_3repE0EEENS1_30default_config_static_selectorELNS0_4arch9wavefront6targetE0EEEvT1_.has_recursion, 0
	.set _ZN7rocprim17ROCPRIM_400000_NS6detail17trampoline_kernelINS0_14default_configENS1_33run_length_encode_config_selectorIijNS0_4plusIjEEEEZZNS1_33reduce_by_key_impl_wrapped_configILNS1_25lookback_scan_determinismE0ES3_S7_PKiNS0_17constant_iteratorIjlEEPiPlSF_S6_NS0_8equal_toIiEEEE10hipError_tPvRmT2_T3_mT4_T5_T6_T7_T8_P12ihipStream_tbENKUlT_T0_E_clISt17integral_constantIbLb1EESZ_EEDaSU_SV_EUlSU_E_NS1_11comp_targetILNS1_3genE10ELNS1_11target_archE1200ELNS1_3gpuE4ELNS1_3repE0EEENS1_30default_config_static_selectorELNS0_4arch9wavefront6targetE0EEEvT1_.has_indirect_call, 0
	.section	.AMDGPU.csdata,"",@progbits
; Kernel info:
; codeLenInByte = 0
; TotalNumSgprs: 0
; NumVgprs: 0
; ScratchSize: 0
; MemoryBound: 0
; FloatMode: 240
; IeeeMode: 1
; LDSByteSize: 0 bytes/workgroup (compile time only)
; SGPRBlocks: 0
; VGPRBlocks: 0
; NumSGPRsForWavesPerEU: 1
; NumVGPRsForWavesPerEU: 1
; NamedBarCnt: 0
; Occupancy: 16
; WaveLimiterHint : 0
; COMPUTE_PGM_RSRC2:SCRATCH_EN: 0
; COMPUTE_PGM_RSRC2:USER_SGPR: 2
; COMPUTE_PGM_RSRC2:TRAP_HANDLER: 0
; COMPUTE_PGM_RSRC2:TGID_X_EN: 1
; COMPUTE_PGM_RSRC2:TGID_Y_EN: 0
; COMPUTE_PGM_RSRC2:TGID_Z_EN: 0
; COMPUTE_PGM_RSRC2:TIDIG_COMP_CNT: 0
	.section	.text._ZN7rocprim17ROCPRIM_400000_NS6detail17trampoline_kernelINS0_14default_configENS1_33run_length_encode_config_selectorIijNS0_4plusIjEEEEZZNS1_33reduce_by_key_impl_wrapped_configILNS1_25lookback_scan_determinismE0ES3_S7_PKiNS0_17constant_iteratorIjlEEPiPlSF_S6_NS0_8equal_toIiEEEE10hipError_tPvRmT2_T3_mT4_T5_T6_T7_T8_P12ihipStream_tbENKUlT_T0_E_clISt17integral_constantIbLb1EESZ_EEDaSU_SV_EUlSU_E_NS1_11comp_targetILNS1_3genE9ELNS1_11target_archE1100ELNS1_3gpuE3ELNS1_3repE0EEENS1_30default_config_static_selectorELNS0_4arch9wavefront6targetE0EEEvT1_,"axG",@progbits,_ZN7rocprim17ROCPRIM_400000_NS6detail17trampoline_kernelINS0_14default_configENS1_33run_length_encode_config_selectorIijNS0_4plusIjEEEEZZNS1_33reduce_by_key_impl_wrapped_configILNS1_25lookback_scan_determinismE0ES3_S7_PKiNS0_17constant_iteratorIjlEEPiPlSF_S6_NS0_8equal_toIiEEEE10hipError_tPvRmT2_T3_mT4_T5_T6_T7_T8_P12ihipStream_tbENKUlT_T0_E_clISt17integral_constantIbLb1EESZ_EEDaSU_SV_EUlSU_E_NS1_11comp_targetILNS1_3genE9ELNS1_11target_archE1100ELNS1_3gpuE3ELNS1_3repE0EEENS1_30default_config_static_selectorELNS0_4arch9wavefront6targetE0EEEvT1_,comdat
	.protected	_ZN7rocprim17ROCPRIM_400000_NS6detail17trampoline_kernelINS0_14default_configENS1_33run_length_encode_config_selectorIijNS0_4plusIjEEEEZZNS1_33reduce_by_key_impl_wrapped_configILNS1_25lookback_scan_determinismE0ES3_S7_PKiNS0_17constant_iteratorIjlEEPiPlSF_S6_NS0_8equal_toIiEEEE10hipError_tPvRmT2_T3_mT4_T5_T6_T7_T8_P12ihipStream_tbENKUlT_T0_E_clISt17integral_constantIbLb1EESZ_EEDaSU_SV_EUlSU_E_NS1_11comp_targetILNS1_3genE9ELNS1_11target_archE1100ELNS1_3gpuE3ELNS1_3repE0EEENS1_30default_config_static_selectorELNS0_4arch9wavefront6targetE0EEEvT1_ ; -- Begin function _ZN7rocprim17ROCPRIM_400000_NS6detail17trampoline_kernelINS0_14default_configENS1_33run_length_encode_config_selectorIijNS0_4plusIjEEEEZZNS1_33reduce_by_key_impl_wrapped_configILNS1_25lookback_scan_determinismE0ES3_S7_PKiNS0_17constant_iteratorIjlEEPiPlSF_S6_NS0_8equal_toIiEEEE10hipError_tPvRmT2_T3_mT4_T5_T6_T7_T8_P12ihipStream_tbENKUlT_T0_E_clISt17integral_constantIbLb1EESZ_EEDaSU_SV_EUlSU_E_NS1_11comp_targetILNS1_3genE9ELNS1_11target_archE1100ELNS1_3gpuE3ELNS1_3repE0EEENS1_30default_config_static_selectorELNS0_4arch9wavefront6targetE0EEEvT1_
	.globl	_ZN7rocprim17ROCPRIM_400000_NS6detail17trampoline_kernelINS0_14default_configENS1_33run_length_encode_config_selectorIijNS0_4plusIjEEEEZZNS1_33reduce_by_key_impl_wrapped_configILNS1_25lookback_scan_determinismE0ES3_S7_PKiNS0_17constant_iteratorIjlEEPiPlSF_S6_NS0_8equal_toIiEEEE10hipError_tPvRmT2_T3_mT4_T5_T6_T7_T8_P12ihipStream_tbENKUlT_T0_E_clISt17integral_constantIbLb1EESZ_EEDaSU_SV_EUlSU_E_NS1_11comp_targetILNS1_3genE9ELNS1_11target_archE1100ELNS1_3gpuE3ELNS1_3repE0EEENS1_30default_config_static_selectorELNS0_4arch9wavefront6targetE0EEEvT1_
	.p2align	8
	.type	_ZN7rocprim17ROCPRIM_400000_NS6detail17trampoline_kernelINS0_14default_configENS1_33run_length_encode_config_selectorIijNS0_4plusIjEEEEZZNS1_33reduce_by_key_impl_wrapped_configILNS1_25lookback_scan_determinismE0ES3_S7_PKiNS0_17constant_iteratorIjlEEPiPlSF_S6_NS0_8equal_toIiEEEE10hipError_tPvRmT2_T3_mT4_T5_T6_T7_T8_P12ihipStream_tbENKUlT_T0_E_clISt17integral_constantIbLb1EESZ_EEDaSU_SV_EUlSU_E_NS1_11comp_targetILNS1_3genE9ELNS1_11target_archE1100ELNS1_3gpuE3ELNS1_3repE0EEENS1_30default_config_static_selectorELNS0_4arch9wavefront6targetE0EEEvT1_,@function
_ZN7rocprim17ROCPRIM_400000_NS6detail17trampoline_kernelINS0_14default_configENS1_33run_length_encode_config_selectorIijNS0_4plusIjEEEEZZNS1_33reduce_by_key_impl_wrapped_configILNS1_25lookback_scan_determinismE0ES3_S7_PKiNS0_17constant_iteratorIjlEEPiPlSF_S6_NS0_8equal_toIiEEEE10hipError_tPvRmT2_T3_mT4_T5_T6_T7_T8_P12ihipStream_tbENKUlT_T0_E_clISt17integral_constantIbLb1EESZ_EEDaSU_SV_EUlSU_E_NS1_11comp_targetILNS1_3genE9ELNS1_11target_archE1100ELNS1_3gpuE3ELNS1_3repE0EEENS1_30default_config_static_selectorELNS0_4arch9wavefront6targetE0EEEvT1_: ; @_ZN7rocprim17ROCPRIM_400000_NS6detail17trampoline_kernelINS0_14default_configENS1_33run_length_encode_config_selectorIijNS0_4plusIjEEEEZZNS1_33reduce_by_key_impl_wrapped_configILNS1_25lookback_scan_determinismE0ES3_S7_PKiNS0_17constant_iteratorIjlEEPiPlSF_S6_NS0_8equal_toIiEEEE10hipError_tPvRmT2_T3_mT4_T5_T6_T7_T8_P12ihipStream_tbENKUlT_T0_E_clISt17integral_constantIbLb1EESZ_EEDaSU_SV_EUlSU_E_NS1_11comp_targetILNS1_3genE9ELNS1_11target_archE1100ELNS1_3gpuE3ELNS1_3repE0EEENS1_30default_config_static_selectorELNS0_4arch9wavefront6targetE0EEEvT1_
; %bb.0:
	.section	.rodata,"a",@progbits
	.p2align	6, 0x0
	.amdhsa_kernel _ZN7rocprim17ROCPRIM_400000_NS6detail17trampoline_kernelINS0_14default_configENS1_33run_length_encode_config_selectorIijNS0_4plusIjEEEEZZNS1_33reduce_by_key_impl_wrapped_configILNS1_25lookback_scan_determinismE0ES3_S7_PKiNS0_17constant_iteratorIjlEEPiPlSF_S6_NS0_8equal_toIiEEEE10hipError_tPvRmT2_T3_mT4_T5_T6_T7_T8_P12ihipStream_tbENKUlT_T0_E_clISt17integral_constantIbLb1EESZ_EEDaSU_SV_EUlSU_E_NS1_11comp_targetILNS1_3genE9ELNS1_11target_archE1100ELNS1_3gpuE3ELNS1_3repE0EEENS1_30default_config_static_selectorELNS0_4arch9wavefront6targetE0EEEvT1_
		.amdhsa_group_segment_fixed_size 0
		.amdhsa_private_segment_fixed_size 0
		.amdhsa_kernarg_size 128
		.amdhsa_user_sgpr_count 2
		.amdhsa_user_sgpr_dispatch_ptr 0
		.amdhsa_user_sgpr_queue_ptr 0
		.amdhsa_user_sgpr_kernarg_segment_ptr 1
		.amdhsa_user_sgpr_dispatch_id 0
		.amdhsa_user_sgpr_kernarg_preload_length 0
		.amdhsa_user_sgpr_kernarg_preload_offset 0
		.amdhsa_user_sgpr_private_segment_size 0
		.amdhsa_wavefront_size32 1
		.amdhsa_uses_dynamic_stack 0
		.amdhsa_enable_private_segment 0
		.amdhsa_system_sgpr_workgroup_id_x 1
		.amdhsa_system_sgpr_workgroup_id_y 0
		.amdhsa_system_sgpr_workgroup_id_z 0
		.amdhsa_system_sgpr_workgroup_info 0
		.amdhsa_system_vgpr_workitem_id 0
		.amdhsa_next_free_vgpr 1
		.amdhsa_next_free_sgpr 1
		.amdhsa_named_barrier_count 0
		.amdhsa_reserve_vcc 0
		.amdhsa_float_round_mode_32 0
		.amdhsa_float_round_mode_16_64 0
		.amdhsa_float_denorm_mode_32 3
		.amdhsa_float_denorm_mode_16_64 3
		.amdhsa_fp16_overflow 0
		.amdhsa_memory_ordered 1
		.amdhsa_forward_progress 1
		.amdhsa_inst_pref_size 0
		.amdhsa_round_robin_scheduling 0
		.amdhsa_exception_fp_ieee_invalid_op 0
		.amdhsa_exception_fp_denorm_src 0
		.amdhsa_exception_fp_ieee_div_zero 0
		.amdhsa_exception_fp_ieee_overflow 0
		.amdhsa_exception_fp_ieee_underflow 0
		.amdhsa_exception_fp_ieee_inexact 0
		.amdhsa_exception_int_div_zero 0
	.end_amdhsa_kernel
	.section	.text._ZN7rocprim17ROCPRIM_400000_NS6detail17trampoline_kernelINS0_14default_configENS1_33run_length_encode_config_selectorIijNS0_4plusIjEEEEZZNS1_33reduce_by_key_impl_wrapped_configILNS1_25lookback_scan_determinismE0ES3_S7_PKiNS0_17constant_iteratorIjlEEPiPlSF_S6_NS0_8equal_toIiEEEE10hipError_tPvRmT2_T3_mT4_T5_T6_T7_T8_P12ihipStream_tbENKUlT_T0_E_clISt17integral_constantIbLb1EESZ_EEDaSU_SV_EUlSU_E_NS1_11comp_targetILNS1_3genE9ELNS1_11target_archE1100ELNS1_3gpuE3ELNS1_3repE0EEENS1_30default_config_static_selectorELNS0_4arch9wavefront6targetE0EEEvT1_,"axG",@progbits,_ZN7rocprim17ROCPRIM_400000_NS6detail17trampoline_kernelINS0_14default_configENS1_33run_length_encode_config_selectorIijNS0_4plusIjEEEEZZNS1_33reduce_by_key_impl_wrapped_configILNS1_25lookback_scan_determinismE0ES3_S7_PKiNS0_17constant_iteratorIjlEEPiPlSF_S6_NS0_8equal_toIiEEEE10hipError_tPvRmT2_T3_mT4_T5_T6_T7_T8_P12ihipStream_tbENKUlT_T0_E_clISt17integral_constantIbLb1EESZ_EEDaSU_SV_EUlSU_E_NS1_11comp_targetILNS1_3genE9ELNS1_11target_archE1100ELNS1_3gpuE3ELNS1_3repE0EEENS1_30default_config_static_selectorELNS0_4arch9wavefront6targetE0EEEvT1_,comdat
.Lfunc_end458:
	.size	_ZN7rocprim17ROCPRIM_400000_NS6detail17trampoline_kernelINS0_14default_configENS1_33run_length_encode_config_selectorIijNS0_4plusIjEEEEZZNS1_33reduce_by_key_impl_wrapped_configILNS1_25lookback_scan_determinismE0ES3_S7_PKiNS0_17constant_iteratorIjlEEPiPlSF_S6_NS0_8equal_toIiEEEE10hipError_tPvRmT2_T3_mT4_T5_T6_T7_T8_P12ihipStream_tbENKUlT_T0_E_clISt17integral_constantIbLb1EESZ_EEDaSU_SV_EUlSU_E_NS1_11comp_targetILNS1_3genE9ELNS1_11target_archE1100ELNS1_3gpuE3ELNS1_3repE0EEENS1_30default_config_static_selectorELNS0_4arch9wavefront6targetE0EEEvT1_, .Lfunc_end458-_ZN7rocprim17ROCPRIM_400000_NS6detail17trampoline_kernelINS0_14default_configENS1_33run_length_encode_config_selectorIijNS0_4plusIjEEEEZZNS1_33reduce_by_key_impl_wrapped_configILNS1_25lookback_scan_determinismE0ES3_S7_PKiNS0_17constant_iteratorIjlEEPiPlSF_S6_NS0_8equal_toIiEEEE10hipError_tPvRmT2_T3_mT4_T5_T6_T7_T8_P12ihipStream_tbENKUlT_T0_E_clISt17integral_constantIbLb1EESZ_EEDaSU_SV_EUlSU_E_NS1_11comp_targetILNS1_3genE9ELNS1_11target_archE1100ELNS1_3gpuE3ELNS1_3repE0EEENS1_30default_config_static_selectorELNS0_4arch9wavefront6targetE0EEEvT1_
                                        ; -- End function
	.set _ZN7rocprim17ROCPRIM_400000_NS6detail17trampoline_kernelINS0_14default_configENS1_33run_length_encode_config_selectorIijNS0_4plusIjEEEEZZNS1_33reduce_by_key_impl_wrapped_configILNS1_25lookback_scan_determinismE0ES3_S7_PKiNS0_17constant_iteratorIjlEEPiPlSF_S6_NS0_8equal_toIiEEEE10hipError_tPvRmT2_T3_mT4_T5_T6_T7_T8_P12ihipStream_tbENKUlT_T0_E_clISt17integral_constantIbLb1EESZ_EEDaSU_SV_EUlSU_E_NS1_11comp_targetILNS1_3genE9ELNS1_11target_archE1100ELNS1_3gpuE3ELNS1_3repE0EEENS1_30default_config_static_selectorELNS0_4arch9wavefront6targetE0EEEvT1_.num_vgpr, 0
	.set _ZN7rocprim17ROCPRIM_400000_NS6detail17trampoline_kernelINS0_14default_configENS1_33run_length_encode_config_selectorIijNS0_4plusIjEEEEZZNS1_33reduce_by_key_impl_wrapped_configILNS1_25lookback_scan_determinismE0ES3_S7_PKiNS0_17constant_iteratorIjlEEPiPlSF_S6_NS0_8equal_toIiEEEE10hipError_tPvRmT2_T3_mT4_T5_T6_T7_T8_P12ihipStream_tbENKUlT_T0_E_clISt17integral_constantIbLb1EESZ_EEDaSU_SV_EUlSU_E_NS1_11comp_targetILNS1_3genE9ELNS1_11target_archE1100ELNS1_3gpuE3ELNS1_3repE0EEENS1_30default_config_static_selectorELNS0_4arch9wavefront6targetE0EEEvT1_.num_agpr, 0
	.set _ZN7rocprim17ROCPRIM_400000_NS6detail17trampoline_kernelINS0_14default_configENS1_33run_length_encode_config_selectorIijNS0_4plusIjEEEEZZNS1_33reduce_by_key_impl_wrapped_configILNS1_25lookback_scan_determinismE0ES3_S7_PKiNS0_17constant_iteratorIjlEEPiPlSF_S6_NS0_8equal_toIiEEEE10hipError_tPvRmT2_T3_mT4_T5_T6_T7_T8_P12ihipStream_tbENKUlT_T0_E_clISt17integral_constantIbLb1EESZ_EEDaSU_SV_EUlSU_E_NS1_11comp_targetILNS1_3genE9ELNS1_11target_archE1100ELNS1_3gpuE3ELNS1_3repE0EEENS1_30default_config_static_selectorELNS0_4arch9wavefront6targetE0EEEvT1_.numbered_sgpr, 0
	.set _ZN7rocprim17ROCPRIM_400000_NS6detail17trampoline_kernelINS0_14default_configENS1_33run_length_encode_config_selectorIijNS0_4plusIjEEEEZZNS1_33reduce_by_key_impl_wrapped_configILNS1_25lookback_scan_determinismE0ES3_S7_PKiNS0_17constant_iteratorIjlEEPiPlSF_S6_NS0_8equal_toIiEEEE10hipError_tPvRmT2_T3_mT4_T5_T6_T7_T8_P12ihipStream_tbENKUlT_T0_E_clISt17integral_constantIbLb1EESZ_EEDaSU_SV_EUlSU_E_NS1_11comp_targetILNS1_3genE9ELNS1_11target_archE1100ELNS1_3gpuE3ELNS1_3repE0EEENS1_30default_config_static_selectorELNS0_4arch9wavefront6targetE0EEEvT1_.num_named_barrier, 0
	.set _ZN7rocprim17ROCPRIM_400000_NS6detail17trampoline_kernelINS0_14default_configENS1_33run_length_encode_config_selectorIijNS0_4plusIjEEEEZZNS1_33reduce_by_key_impl_wrapped_configILNS1_25lookback_scan_determinismE0ES3_S7_PKiNS0_17constant_iteratorIjlEEPiPlSF_S6_NS0_8equal_toIiEEEE10hipError_tPvRmT2_T3_mT4_T5_T6_T7_T8_P12ihipStream_tbENKUlT_T0_E_clISt17integral_constantIbLb1EESZ_EEDaSU_SV_EUlSU_E_NS1_11comp_targetILNS1_3genE9ELNS1_11target_archE1100ELNS1_3gpuE3ELNS1_3repE0EEENS1_30default_config_static_selectorELNS0_4arch9wavefront6targetE0EEEvT1_.private_seg_size, 0
	.set _ZN7rocprim17ROCPRIM_400000_NS6detail17trampoline_kernelINS0_14default_configENS1_33run_length_encode_config_selectorIijNS0_4plusIjEEEEZZNS1_33reduce_by_key_impl_wrapped_configILNS1_25lookback_scan_determinismE0ES3_S7_PKiNS0_17constant_iteratorIjlEEPiPlSF_S6_NS0_8equal_toIiEEEE10hipError_tPvRmT2_T3_mT4_T5_T6_T7_T8_P12ihipStream_tbENKUlT_T0_E_clISt17integral_constantIbLb1EESZ_EEDaSU_SV_EUlSU_E_NS1_11comp_targetILNS1_3genE9ELNS1_11target_archE1100ELNS1_3gpuE3ELNS1_3repE0EEENS1_30default_config_static_selectorELNS0_4arch9wavefront6targetE0EEEvT1_.uses_vcc, 0
	.set _ZN7rocprim17ROCPRIM_400000_NS6detail17trampoline_kernelINS0_14default_configENS1_33run_length_encode_config_selectorIijNS0_4plusIjEEEEZZNS1_33reduce_by_key_impl_wrapped_configILNS1_25lookback_scan_determinismE0ES3_S7_PKiNS0_17constant_iteratorIjlEEPiPlSF_S6_NS0_8equal_toIiEEEE10hipError_tPvRmT2_T3_mT4_T5_T6_T7_T8_P12ihipStream_tbENKUlT_T0_E_clISt17integral_constantIbLb1EESZ_EEDaSU_SV_EUlSU_E_NS1_11comp_targetILNS1_3genE9ELNS1_11target_archE1100ELNS1_3gpuE3ELNS1_3repE0EEENS1_30default_config_static_selectorELNS0_4arch9wavefront6targetE0EEEvT1_.uses_flat_scratch, 0
	.set _ZN7rocprim17ROCPRIM_400000_NS6detail17trampoline_kernelINS0_14default_configENS1_33run_length_encode_config_selectorIijNS0_4plusIjEEEEZZNS1_33reduce_by_key_impl_wrapped_configILNS1_25lookback_scan_determinismE0ES3_S7_PKiNS0_17constant_iteratorIjlEEPiPlSF_S6_NS0_8equal_toIiEEEE10hipError_tPvRmT2_T3_mT4_T5_T6_T7_T8_P12ihipStream_tbENKUlT_T0_E_clISt17integral_constantIbLb1EESZ_EEDaSU_SV_EUlSU_E_NS1_11comp_targetILNS1_3genE9ELNS1_11target_archE1100ELNS1_3gpuE3ELNS1_3repE0EEENS1_30default_config_static_selectorELNS0_4arch9wavefront6targetE0EEEvT1_.has_dyn_sized_stack, 0
	.set _ZN7rocprim17ROCPRIM_400000_NS6detail17trampoline_kernelINS0_14default_configENS1_33run_length_encode_config_selectorIijNS0_4plusIjEEEEZZNS1_33reduce_by_key_impl_wrapped_configILNS1_25lookback_scan_determinismE0ES3_S7_PKiNS0_17constant_iteratorIjlEEPiPlSF_S6_NS0_8equal_toIiEEEE10hipError_tPvRmT2_T3_mT4_T5_T6_T7_T8_P12ihipStream_tbENKUlT_T0_E_clISt17integral_constantIbLb1EESZ_EEDaSU_SV_EUlSU_E_NS1_11comp_targetILNS1_3genE9ELNS1_11target_archE1100ELNS1_3gpuE3ELNS1_3repE0EEENS1_30default_config_static_selectorELNS0_4arch9wavefront6targetE0EEEvT1_.has_recursion, 0
	.set _ZN7rocprim17ROCPRIM_400000_NS6detail17trampoline_kernelINS0_14default_configENS1_33run_length_encode_config_selectorIijNS0_4plusIjEEEEZZNS1_33reduce_by_key_impl_wrapped_configILNS1_25lookback_scan_determinismE0ES3_S7_PKiNS0_17constant_iteratorIjlEEPiPlSF_S6_NS0_8equal_toIiEEEE10hipError_tPvRmT2_T3_mT4_T5_T6_T7_T8_P12ihipStream_tbENKUlT_T0_E_clISt17integral_constantIbLb1EESZ_EEDaSU_SV_EUlSU_E_NS1_11comp_targetILNS1_3genE9ELNS1_11target_archE1100ELNS1_3gpuE3ELNS1_3repE0EEENS1_30default_config_static_selectorELNS0_4arch9wavefront6targetE0EEEvT1_.has_indirect_call, 0
	.section	.AMDGPU.csdata,"",@progbits
; Kernel info:
; codeLenInByte = 0
; TotalNumSgprs: 0
; NumVgprs: 0
; ScratchSize: 0
; MemoryBound: 0
; FloatMode: 240
; IeeeMode: 1
; LDSByteSize: 0 bytes/workgroup (compile time only)
; SGPRBlocks: 0
; VGPRBlocks: 0
; NumSGPRsForWavesPerEU: 1
; NumVGPRsForWavesPerEU: 1
; NamedBarCnt: 0
; Occupancy: 16
; WaveLimiterHint : 0
; COMPUTE_PGM_RSRC2:SCRATCH_EN: 0
; COMPUTE_PGM_RSRC2:USER_SGPR: 2
; COMPUTE_PGM_RSRC2:TRAP_HANDLER: 0
; COMPUTE_PGM_RSRC2:TGID_X_EN: 1
; COMPUTE_PGM_RSRC2:TGID_Y_EN: 0
; COMPUTE_PGM_RSRC2:TGID_Z_EN: 0
; COMPUTE_PGM_RSRC2:TIDIG_COMP_CNT: 0
	.section	.text._ZN7rocprim17ROCPRIM_400000_NS6detail17trampoline_kernelINS0_14default_configENS1_33run_length_encode_config_selectorIijNS0_4plusIjEEEEZZNS1_33reduce_by_key_impl_wrapped_configILNS1_25lookback_scan_determinismE0ES3_S7_PKiNS0_17constant_iteratorIjlEEPiPlSF_S6_NS0_8equal_toIiEEEE10hipError_tPvRmT2_T3_mT4_T5_T6_T7_T8_P12ihipStream_tbENKUlT_T0_E_clISt17integral_constantIbLb1EESZ_EEDaSU_SV_EUlSU_E_NS1_11comp_targetILNS1_3genE8ELNS1_11target_archE1030ELNS1_3gpuE2ELNS1_3repE0EEENS1_30default_config_static_selectorELNS0_4arch9wavefront6targetE0EEEvT1_,"axG",@progbits,_ZN7rocprim17ROCPRIM_400000_NS6detail17trampoline_kernelINS0_14default_configENS1_33run_length_encode_config_selectorIijNS0_4plusIjEEEEZZNS1_33reduce_by_key_impl_wrapped_configILNS1_25lookback_scan_determinismE0ES3_S7_PKiNS0_17constant_iteratorIjlEEPiPlSF_S6_NS0_8equal_toIiEEEE10hipError_tPvRmT2_T3_mT4_T5_T6_T7_T8_P12ihipStream_tbENKUlT_T0_E_clISt17integral_constantIbLb1EESZ_EEDaSU_SV_EUlSU_E_NS1_11comp_targetILNS1_3genE8ELNS1_11target_archE1030ELNS1_3gpuE2ELNS1_3repE0EEENS1_30default_config_static_selectorELNS0_4arch9wavefront6targetE0EEEvT1_,comdat
	.protected	_ZN7rocprim17ROCPRIM_400000_NS6detail17trampoline_kernelINS0_14default_configENS1_33run_length_encode_config_selectorIijNS0_4plusIjEEEEZZNS1_33reduce_by_key_impl_wrapped_configILNS1_25lookback_scan_determinismE0ES3_S7_PKiNS0_17constant_iteratorIjlEEPiPlSF_S6_NS0_8equal_toIiEEEE10hipError_tPvRmT2_T3_mT4_T5_T6_T7_T8_P12ihipStream_tbENKUlT_T0_E_clISt17integral_constantIbLb1EESZ_EEDaSU_SV_EUlSU_E_NS1_11comp_targetILNS1_3genE8ELNS1_11target_archE1030ELNS1_3gpuE2ELNS1_3repE0EEENS1_30default_config_static_selectorELNS0_4arch9wavefront6targetE0EEEvT1_ ; -- Begin function _ZN7rocprim17ROCPRIM_400000_NS6detail17trampoline_kernelINS0_14default_configENS1_33run_length_encode_config_selectorIijNS0_4plusIjEEEEZZNS1_33reduce_by_key_impl_wrapped_configILNS1_25lookback_scan_determinismE0ES3_S7_PKiNS0_17constant_iteratorIjlEEPiPlSF_S6_NS0_8equal_toIiEEEE10hipError_tPvRmT2_T3_mT4_T5_T6_T7_T8_P12ihipStream_tbENKUlT_T0_E_clISt17integral_constantIbLb1EESZ_EEDaSU_SV_EUlSU_E_NS1_11comp_targetILNS1_3genE8ELNS1_11target_archE1030ELNS1_3gpuE2ELNS1_3repE0EEENS1_30default_config_static_selectorELNS0_4arch9wavefront6targetE0EEEvT1_
	.globl	_ZN7rocprim17ROCPRIM_400000_NS6detail17trampoline_kernelINS0_14default_configENS1_33run_length_encode_config_selectorIijNS0_4plusIjEEEEZZNS1_33reduce_by_key_impl_wrapped_configILNS1_25lookback_scan_determinismE0ES3_S7_PKiNS0_17constant_iteratorIjlEEPiPlSF_S6_NS0_8equal_toIiEEEE10hipError_tPvRmT2_T3_mT4_T5_T6_T7_T8_P12ihipStream_tbENKUlT_T0_E_clISt17integral_constantIbLb1EESZ_EEDaSU_SV_EUlSU_E_NS1_11comp_targetILNS1_3genE8ELNS1_11target_archE1030ELNS1_3gpuE2ELNS1_3repE0EEENS1_30default_config_static_selectorELNS0_4arch9wavefront6targetE0EEEvT1_
	.p2align	8
	.type	_ZN7rocprim17ROCPRIM_400000_NS6detail17trampoline_kernelINS0_14default_configENS1_33run_length_encode_config_selectorIijNS0_4plusIjEEEEZZNS1_33reduce_by_key_impl_wrapped_configILNS1_25lookback_scan_determinismE0ES3_S7_PKiNS0_17constant_iteratorIjlEEPiPlSF_S6_NS0_8equal_toIiEEEE10hipError_tPvRmT2_T3_mT4_T5_T6_T7_T8_P12ihipStream_tbENKUlT_T0_E_clISt17integral_constantIbLb1EESZ_EEDaSU_SV_EUlSU_E_NS1_11comp_targetILNS1_3genE8ELNS1_11target_archE1030ELNS1_3gpuE2ELNS1_3repE0EEENS1_30default_config_static_selectorELNS0_4arch9wavefront6targetE0EEEvT1_,@function
_ZN7rocprim17ROCPRIM_400000_NS6detail17trampoline_kernelINS0_14default_configENS1_33run_length_encode_config_selectorIijNS0_4plusIjEEEEZZNS1_33reduce_by_key_impl_wrapped_configILNS1_25lookback_scan_determinismE0ES3_S7_PKiNS0_17constant_iteratorIjlEEPiPlSF_S6_NS0_8equal_toIiEEEE10hipError_tPvRmT2_T3_mT4_T5_T6_T7_T8_P12ihipStream_tbENKUlT_T0_E_clISt17integral_constantIbLb1EESZ_EEDaSU_SV_EUlSU_E_NS1_11comp_targetILNS1_3genE8ELNS1_11target_archE1030ELNS1_3gpuE2ELNS1_3repE0EEENS1_30default_config_static_selectorELNS0_4arch9wavefront6targetE0EEEvT1_: ; @_ZN7rocprim17ROCPRIM_400000_NS6detail17trampoline_kernelINS0_14default_configENS1_33run_length_encode_config_selectorIijNS0_4plusIjEEEEZZNS1_33reduce_by_key_impl_wrapped_configILNS1_25lookback_scan_determinismE0ES3_S7_PKiNS0_17constant_iteratorIjlEEPiPlSF_S6_NS0_8equal_toIiEEEE10hipError_tPvRmT2_T3_mT4_T5_T6_T7_T8_P12ihipStream_tbENKUlT_T0_E_clISt17integral_constantIbLb1EESZ_EEDaSU_SV_EUlSU_E_NS1_11comp_targetILNS1_3genE8ELNS1_11target_archE1030ELNS1_3gpuE2ELNS1_3repE0EEENS1_30default_config_static_selectorELNS0_4arch9wavefront6targetE0EEEvT1_
; %bb.0:
	.section	.rodata,"a",@progbits
	.p2align	6, 0x0
	.amdhsa_kernel _ZN7rocprim17ROCPRIM_400000_NS6detail17trampoline_kernelINS0_14default_configENS1_33run_length_encode_config_selectorIijNS0_4plusIjEEEEZZNS1_33reduce_by_key_impl_wrapped_configILNS1_25lookback_scan_determinismE0ES3_S7_PKiNS0_17constant_iteratorIjlEEPiPlSF_S6_NS0_8equal_toIiEEEE10hipError_tPvRmT2_T3_mT4_T5_T6_T7_T8_P12ihipStream_tbENKUlT_T0_E_clISt17integral_constantIbLb1EESZ_EEDaSU_SV_EUlSU_E_NS1_11comp_targetILNS1_3genE8ELNS1_11target_archE1030ELNS1_3gpuE2ELNS1_3repE0EEENS1_30default_config_static_selectorELNS0_4arch9wavefront6targetE0EEEvT1_
		.amdhsa_group_segment_fixed_size 0
		.amdhsa_private_segment_fixed_size 0
		.amdhsa_kernarg_size 128
		.amdhsa_user_sgpr_count 2
		.amdhsa_user_sgpr_dispatch_ptr 0
		.amdhsa_user_sgpr_queue_ptr 0
		.amdhsa_user_sgpr_kernarg_segment_ptr 1
		.amdhsa_user_sgpr_dispatch_id 0
		.amdhsa_user_sgpr_kernarg_preload_length 0
		.amdhsa_user_sgpr_kernarg_preload_offset 0
		.amdhsa_user_sgpr_private_segment_size 0
		.amdhsa_wavefront_size32 1
		.amdhsa_uses_dynamic_stack 0
		.amdhsa_enable_private_segment 0
		.amdhsa_system_sgpr_workgroup_id_x 1
		.amdhsa_system_sgpr_workgroup_id_y 0
		.amdhsa_system_sgpr_workgroup_id_z 0
		.amdhsa_system_sgpr_workgroup_info 0
		.amdhsa_system_vgpr_workitem_id 0
		.amdhsa_next_free_vgpr 1
		.amdhsa_next_free_sgpr 1
		.amdhsa_named_barrier_count 0
		.amdhsa_reserve_vcc 0
		.amdhsa_float_round_mode_32 0
		.amdhsa_float_round_mode_16_64 0
		.amdhsa_float_denorm_mode_32 3
		.amdhsa_float_denorm_mode_16_64 3
		.amdhsa_fp16_overflow 0
		.amdhsa_memory_ordered 1
		.amdhsa_forward_progress 1
		.amdhsa_inst_pref_size 0
		.amdhsa_round_robin_scheduling 0
		.amdhsa_exception_fp_ieee_invalid_op 0
		.amdhsa_exception_fp_denorm_src 0
		.amdhsa_exception_fp_ieee_div_zero 0
		.amdhsa_exception_fp_ieee_overflow 0
		.amdhsa_exception_fp_ieee_underflow 0
		.amdhsa_exception_fp_ieee_inexact 0
		.amdhsa_exception_int_div_zero 0
	.end_amdhsa_kernel
	.section	.text._ZN7rocprim17ROCPRIM_400000_NS6detail17trampoline_kernelINS0_14default_configENS1_33run_length_encode_config_selectorIijNS0_4plusIjEEEEZZNS1_33reduce_by_key_impl_wrapped_configILNS1_25lookback_scan_determinismE0ES3_S7_PKiNS0_17constant_iteratorIjlEEPiPlSF_S6_NS0_8equal_toIiEEEE10hipError_tPvRmT2_T3_mT4_T5_T6_T7_T8_P12ihipStream_tbENKUlT_T0_E_clISt17integral_constantIbLb1EESZ_EEDaSU_SV_EUlSU_E_NS1_11comp_targetILNS1_3genE8ELNS1_11target_archE1030ELNS1_3gpuE2ELNS1_3repE0EEENS1_30default_config_static_selectorELNS0_4arch9wavefront6targetE0EEEvT1_,"axG",@progbits,_ZN7rocprim17ROCPRIM_400000_NS6detail17trampoline_kernelINS0_14default_configENS1_33run_length_encode_config_selectorIijNS0_4plusIjEEEEZZNS1_33reduce_by_key_impl_wrapped_configILNS1_25lookback_scan_determinismE0ES3_S7_PKiNS0_17constant_iteratorIjlEEPiPlSF_S6_NS0_8equal_toIiEEEE10hipError_tPvRmT2_T3_mT4_T5_T6_T7_T8_P12ihipStream_tbENKUlT_T0_E_clISt17integral_constantIbLb1EESZ_EEDaSU_SV_EUlSU_E_NS1_11comp_targetILNS1_3genE8ELNS1_11target_archE1030ELNS1_3gpuE2ELNS1_3repE0EEENS1_30default_config_static_selectorELNS0_4arch9wavefront6targetE0EEEvT1_,comdat
.Lfunc_end459:
	.size	_ZN7rocprim17ROCPRIM_400000_NS6detail17trampoline_kernelINS0_14default_configENS1_33run_length_encode_config_selectorIijNS0_4plusIjEEEEZZNS1_33reduce_by_key_impl_wrapped_configILNS1_25lookback_scan_determinismE0ES3_S7_PKiNS0_17constant_iteratorIjlEEPiPlSF_S6_NS0_8equal_toIiEEEE10hipError_tPvRmT2_T3_mT4_T5_T6_T7_T8_P12ihipStream_tbENKUlT_T0_E_clISt17integral_constantIbLb1EESZ_EEDaSU_SV_EUlSU_E_NS1_11comp_targetILNS1_3genE8ELNS1_11target_archE1030ELNS1_3gpuE2ELNS1_3repE0EEENS1_30default_config_static_selectorELNS0_4arch9wavefront6targetE0EEEvT1_, .Lfunc_end459-_ZN7rocprim17ROCPRIM_400000_NS6detail17trampoline_kernelINS0_14default_configENS1_33run_length_encode_config_selectorIijNS0_4plusIjEEEEZZNS1_33reduce_by_key_impl_wrapped_configILNS1_25lookback_scan_determinismE0ES3_S7_PKiNS0_17constant_iteratorIjlEEPiPlSF_S6_NS0_8equal_toIiEEEE10hipError_tPvRmT2_T3_mT4_T5_T6_T7_T8_P12ihipStream_tbENKUlT_T0_E_clISt17integral_constantIbLb1EESZ_EEDaSU_SV_EUlSU_E_NS1_11comp_targetILNS1_3genE8ELNS1_11target_archE1030ELNS1_3gpuE2ELNS1_3repE0EEENS1_30default_config_static_selectorELNS0_4arch9wavefront6targetE0EEEvT1_
                                        ; -- End function
	.set _ZN7rocprim17ROCPRIM_400000_NS6detail17trampoline_kernelINS0_14default_configENS1_33run_length_encode_config_selectorIijNS0_4plusIjEEEEZZNS1_33reduce_by_key_impl_wrapped_configILNS1_25lookback_scan_determinismE0ES3_S7_PKiNS0_17constant_iteratorIjlEEPiPlSF_S6_NS0_8equal_toIiEEEE10hipError_tPvRmT2_T3_mT4_T5_T6_T7_T8_P12ihipStream_tbENKUlT_T0_E_clISt17integral_constantIbLb1EESZ_EEDaSU_SV_EUlSU_E_NS1_11comp_targetILNS1_3genE8ELNS1_11target_archE1030ELNS1_3gpuE2ELNS1_3repE0EEENS1_30default_config_static_selectorELNS0_4arch9wavefront6targetE0EEEvT1_.num_vgpr, 0
	.set _ZN7rocprim17ROCPRIM_400000_NS6detail17trampoline_kernelINS0_14default_configENS1_33run_length_encode_config_selectorIijNS0_4plusIjEEEEZZNS1_33reduce_by_key_impl_wrapped_configILNS1_25lookback_scan_determinismE0ES3_S7_PKiNS0_17constant_iteratorIjlEEPiPlSF_S6_NS0_8equal_toIiEEEE10hipError_tPvRmT2_T3_mT4_T5_T6_T7_T8_P12ihipStream_tbENKUlT_T0_E_clISt17integral_constantIbLb1EESZ_EEDaSU_SV_EUlSU_E_NS1_11comp_targetILNS1_3genE8ELNS1_11target_archE1030ELNS1_3gpuE2ELNS1_3repE0EEENS1_30default_config_static_selectorELNS0_4arch9wavefront6targetE0EEEvT1_.num_agpr, 0
	.set _ZN7rocprim17ROCPRIM_400000_NS6detail17trampoline_kernelINS0_14default_configENS1_33run_length_encode_config_selectorIijNS0_4plusIjEEEEZZNS1_33reduce_by_key_impl_wrapped_configILNS1_25lookback_scan_determinismE0ES3_S7_PKiNS0_17constant_iteratorIjlEEPiPlSF_S6_NS0_8equal_toIiEEEE10hipError_tPvRmT2_T3_mT4_T5_T6_T7_T8_P12ihipStream_tbENKUlT_T0_E_clISt17integral_constantIbLb1EESZ_EEDaSU_SV_EUlSU_E_NS1_11comp_targetILNS1_3genE8ELNS1_11target_archE1030ELNS1_3gpuE2ELNS1_3repE0EEENS1_30default_config_static_selectorELNS0_4arch9wavefront6targetE0EEEvT1_.numbered_sgpr, 0
	.set _ZN7rocprim17ROCPRIM_400000_NS6detail17trampoline_kernelINS0_14default_configENS1_33run_length_encode_config_selectorIijNS0_4plusIjEEEEZZNS1_33reduce_by_key_impl_wrapped_configILNS1_25lookback_scan_determinismE0ES3_S7_PKiNS0_17constant_iteratorIjlEEPiPlSF_S6_NS0_8equal_toIiEEEE10hipError_tPvRmT2_T3_mT4_T5_T6_T7_T8_P12ihipStream_tbENKUlT_T0_E_clISt17integral_constantIbLb1EESZ_EEDaSU_SV_EUlSU_E_NS1_11comp_targetILNS1_3genE8ELNS1_11target_archE1030ELNS1_3gpuE2ELNS1_3repE0EEENS1_30default_config_static_selectorELNS0_4arch9wavefront6targetE0EEEvT1_.num_named_barrier, 0
	.set _ZN7rocprim17ROCPRIM_400000_NS6detail17trampoline_kernelINS0_14default_configENS1_33run_length_encode_config_selectorIijNS0_4plusIjEEEEZZNS1_33reduce_by_key_impl_wrapped_configILNS1_25lookback_scan_determinismE0ES3_S7_PKiNS0_17constant_iteratorIjlEEPiPlSF_S6_NS0_8equal_toIiEEEE10hipError_tPvRmT2_T3_mT4_T5_T6_T7_T8_P12ihipStream_tbENKUlT_T0_E_clISt17integral_constantIbLb1EESZ_EEDaSU_SV_EUlSU_E_NS1_11comp_targetILNS1_3genE8ELNS1_11target_archE1030ELNS1_3gpuE2ELNS1_3repE0EEENS1_30default_config_static_selectorELNS0_4arch9wavefront6targetE0EEEvT1_.private_seg_size, 0
	.set _ZN7rocprim17ROCPRIM_400000_NS6detail17trampoline_kernelINS0_14default_configENS1_33run_length_encode_config_selectorIijNS0_4plusIjEEEEZZNS1_33reduce_by_key_impl_wrapped_configILNS1_25lookback_scan_determinismE0ES3_S7_PKiNS0_17constant_iteratorIjlEEPiPlSF_S6_NS0_8equal_toIiEEEE10hipError_tPvRmT2_T3_mT4_T5_T6_T7_T8_P12ihipStream_tbENKUlT_T0_E_clISt17integral_constantIbLb1EESZ_EEDaSU_SV_EUlSU_E_NS1_11comp_targetILNS1_3genE8ELNS1_11target_archE1030ELNS1_3gpuE2ELNS1_3repE0EEENS1_30default_config_static_selectorELNS0_4arch9wavefront6targetE0EEEvT1_.uses_vcc, 0
	.set _ZN7rocprim17ROCPRIM_400000_NS6detail17trampoline_kernelINS0_14default_configENS1_33run_length_encode_config_selectorIijNS0_4plusIjEEEEZZNS1_33reduce_by_key_impl_wrapped_configILNS1_25lookback_scan_determinismE0ES3_S7_PKiNS0_17constant_iteratorIjlEEPiPlSF_S6_NS0_8equal_toIiEEEE10hipError_tPvRmT2_T3_mT4_T5_T6_T7_T8_P12ihipStream_tbENKUlT_T0_E_clISt17integral_constantIbLb1EESZ_EEDaSU_SV_EUlSU_E_NS1_11comp_targetILNS1_3genE8ELNS1_11target_archE1030ELNS1_3gpuE2ELNS1_3repE0EEENS1_30default_config_static_selectorELNS0_4arch9wavefront6targetE0EEEvT1_.uses_flat_scratch, 0
	.set _ZN7rocprim17ROCPRIM_400000_NS6detail17trampoline_kernelINS0_14default_configENS1_33run_length_encode_config_selectorIijNS0_4plusIjEEEEZZNS1_33reduce_by_key_impl_wrapped_configILNS1_25lookback_scan_determinismE0ES3_S7_PKiNS0_17constant_iteratorIjlEEPiPlSF_S6_NS0_8equal_toIiEEEE10hipError_tPvRmT2_T3_mT4_T5_T6_T7_T8_P12ihipStream_tbENKUlT_T0_E_clISt17integral_constantIbLb1EESZ_EEDaSU_SV_EUlSU_E_NS1_11comp_targetILNS1_3genE8ELNS1_11target_archE1030ELNS1_3gpuE2ELNS1_3repE0EEENS1_30default_config_static_selectorELNS0_4arch9wavefront6targetE0EEEvT1_.has_dyn_sized_stack, 0
	.set _ZN7rocprim17ROCPRIM_400000_NS6detail17trampoline_kernelINS0_14default_configENS1_33run_length_encode_config_selectorIijNS0_4plusIjEEEEZZNS1_33reduce_by_key_impl_wrapped_configILNS1_25lookback_scan_determinismE0ES3_S7_PKiNS0_17constant_iteratorIjlEEPiPlSF_S6_NS0_8equal_toIiEEEE10hipError_tPvRmT2_T3_mT4_T5_T6_T7_T8_P12ihipStream_tbENKUlT_T0_E_clISt17integral_constantIbLb1EESZ_EEDaSU_SV_EUlSU_E_NS1_11comp_targetILNS1_3genE8ELNS1_11target_archE1030ELNS1_3gpuE2ELNS1_3repE0EEENS1_30default_config_static_selectorELNS0_4arch9wavefront6targetE0EEEvT1_.has_recursion, 0
	.set _ZN7rocprim17ROCPRIM_400000_NS6detail17trampoline_kernelINS0_14default_configENS1_33run_length_encode_config_selectorIijNS0_4plusIjEEEEZZNS1_33reduce_by_key_impl_wrapped_configILNS1_25lookback_scan_determinismE0ES3_S7_PKiNS0_17constant_iteratorIjlEEPiPlSF_S6_NS0_8equal_toIiEEEE10hipError_tPvRmT2_T3_mT4_T5_T6_T7_T8_P12ihipStream_tbENKUlT_T0_E_clISt17integral_constantIbLb1EESZ_EEDaSU_SV_EUlSU_E_NS1_11comp_targetILNS1_3genE8ELNS1_11target_archE1030ELNS1_3gpuE2ELNS1_3repE0EEENS1_30default_config_static_selectorELNS0_4arch9wavefront6targetE0EEEvT1_.has_indirect_call, 0
	.section	.AMDGPU.csdata,"",@progbits
; Kernel info:
; codeLenInByte = 0
; TotalNumSgprs: 0
; NumVgprs: 0
; ScratchSize: 0
; MemoryBound: 0
; FloatMode: 240
; IeeeMode: 1
; LDSByteSize: 0 bytes/workgroup (compile time only)
; SGPRBlocks: 0
; VGPRBlocks: 0
; NumSGPRsForWavesPerEU: 1
; NumVGPRsForWavesPerEU: 1
; NamedBarCnt: 0
; Occupancy: 16
; WaveLimiterHint : 0
; COMPUTE_PGM_RSRC2:SCRATCH_EN: 0
; COMPUTE_PGM_RSRC2:USER_SGPR: 2
; COMPUTE_PGM_RSRC2:TRAP_HANDLER: 0
; COMPUTE_PGM_RSRC2:TGID_X_EN: 1
; COMPUTE_PGM_RSRC2:TGID_Y_EN: 0
; COMPUTE_PGM_RSRC2:TGID_Z_EN: 0
; COMPUTE_PGM_RSRC2:TIDIG_COMP_CNT: 0
	.section	.text._ZN7rocprim17ROCPRIM_400000_NS6detail17trampoline_kernelINS0_14default_configENS1_33run_length_encode_config_selectorIijNS0_4plusIjEEEEZZNS1_33reduce_by_key_impl_wrapped_configILNS1_25lookback_scan_determinismE0ES3_S7_PKiNS0_17constant_iteratorIjlEEPiPlSF_S6_NS0_8equal_toIiEEEE10hipError_tPvRmT2_T3_mT4_T5_T6_T7_T8_P12ihipStream_tbENKUlT_T0_E_clISt17integral_constantIbLb1EESY_IbLb0EEEEDaSU_SV_EUlSU_E_NS1_11comp_targetILNS1_3genE0ELNS1_11target_archE4294967295ELNS1_3gpuE0ELNS1_3repE0EEENS1_30default_config_static_selectorELNS0_4arch9wavefront6targetE0EEEvT1_,"axG",@progbits,_ZN7rocprim17ROCPRIM_400000_NS6detail17trampoline_kernelINS0_14default_configENS1_33run_length_encode_config_selectorIijNS0_4plusIjEEEEZZNS1_33reduce_by_key_impl_wrapped_configILNS1_25lookback_scan_determinismE0ES3_S7_PKiNS0_17constant_iteratorIjlEEPiPlSF_S6_NS0_8equal_toIiEEEE10hipError_tPvRmT2_T3_mT4_T5_T6_T7_T8_P12ihipStream_tbENKUlT_T0_E_clISt17integral_constantIbLb1EESY_IbLb0EEEEDaSU_SV_EUlSU_E_NS1_11comp_targetILNS1_3genE0ELNS1_11target_archE4294967295ELNS1_3gpuE0ELNS1_3repE0EEENS1_30default_config_static_selectorELNS0_4arch9wavefront6targetE0EEEvT1_,comdat
	.protected	_ZN7rocprim17ROCPRIM_400000_NS6detail17trampoline_kernelINS0_14default_configENS1_33run_length_encode_config_selectorIijNS0_4plusIjEEEEZZNS1_33reduce_by_key_impl_wrapped_configILNS1_25lookback_scan_determinismE0ES3_S7_PKiNS0_17constant_iteratorIjlEEPiPlSF_S6_NS0_8equal_toIiEEEE10hipError_tPvRmT2_T3_mT4_T5_T6_T7_T8_P12ihipStream_tbENKUlT_T0_E_clISt17integral_constantIbLb1EESY_IbLb0EEEEDaSU_SV_EUlSU_E_NS1_11comp_targetILNS1_3genE0ELNS1_11target_archE4294967295ELNS1_3gpuE0ELNS1_3repE0EEENS1_30default_config_static_selectorELNS0_4arch9wavefront6targetE0EEEvT1_ ; -- Begin function _ZN7rocprim17ROCPRIM_400000_NS6detail17trampoline_kernelINS0_14default_configENS1_33run_length_encode_config_selectorIijNS0_4plusIjEEEEZZNS1_33reduce_by_key_impl_wrapped_configILNS1_25lookback_scan_determinismE0ES3_S7_PKiNS0_17constant_iteratorIjlEEPiPlSF_S6_NS0_8equal_toIiEEEE10hipError_tPvRmT2_T3_mT4_T5_T6_T7_T8_P12ihipStream_tbENKUlT_T0_E_clISt17integral_constantIbLb1EESY_IbLb0EEEEDaSU_SV_EUlSU_E_NS1_11comp_targetILNS1_3genE0ELNS1_11target_archE4294967295ELNS1_3gpuE0ELNS1_3repE0EEENS1_30default_config_static_selectorELNS0_4arch9wavefront6targetE0EEEvT1_
	.globl	_ZN7rocprim17ROCPRIM_400000_NS6detail17trampoline_kernelINS0_14default_configENS1_33run_length_encode_config_selectorIijNS0_4plusIjEEEEZZNS1_33reduce_by_key_impl_wrapped_configILNS1_25lookback_scan_determinismE0ES3_S7_PKiNS0_17constant_iteratorIjlEEPiPlSF_S6_NS0_8equal_toIiEEEE10hipError_tPvRmT2_T3_mT4_T5_T6_T7_T8_P12ihipStream_tbENKUlT_T0_E_clISt17integral_constantIbLb1EESY_IbLb0EEEEDaSU_SV_EUlSU_E_NS1_11comp_targetILNS1_3genE0ELNS1_11target_archE4294967295ELNS1_3gpuE0ELNS1_3repE0EEENS1_30default_config_static_selectorELNS0_4arch9wavefront6targetE0EEEvT1_
	.p2align	8
	.type	_ZN7rocprim17ROCPRIM_400000_NS6detail17trampoline_kernelINS0_14default_configENS1_33run_length_encode_config_selectorIijNS0_4plusIjEEEEZZNS1_33reduce_by_key_impl_wrapped_configILNS1_25lookback_scan_determinismE0ES3_S7_PKiNS0_17constant_iteratorIjlEEPiPlSF_S6_NS0_8equal_toIiEEEE10hipError_tPvRmT2_T3_mT4_T5_T6_T7_T8_P12ihipStream_tbENKUlT_T0_E_clISt17integral_constantIbLb1EESY_IbLb0EEEEDaSU_SV_EUlSU_E_NS1_11comp_targetILNS1_3genE0ELNS1_11target_archE4294967295ELNS1_3gpuE0ELNS1_3repE0EEENS1_30default_config_static_selectorELNS0_4arch9wavefront6targetE0EEEvT1_,@function
_ZN7rocprim17ROCPRIM_400000_NS6detail17trampoline_kernelINS0_14default_configENS1_33run_length_encode_config_selectorIijNS0_4plusIjEEEEZZNS1_33reduce_by_key_impl_wrapped_configILNS1_25lookback_scan_determinismE0ES3_S7_PKiNS0_17constant_iteratorIjlEEPiPlSF_S6_NS0_8equal_toIiEEEE10hipError_tPvRmT2_T3_mT4_T5_T6_T7_T8_P12ihipStream_tbENKUlT_T0_E_clISt17integral_constantIbLb1EESY_IbLb0EEEEDaSU_SV_EUlSU_E_NS1_11comp_targetILNS1_3genE0ELNS1_11target_archE4294967295ELNS1_3gpuE0ELNS1_3repE0EEENS1_30default_config_static_selectorELNS0_4arch9wavefront6targetE0EEEvT1_: ; @_ZN7rocprim17ROCPRIM_400000_NS6detail17trampoline_kernelINS0_14default_configENS1_33run_length_encode_config_selectorIijNS0_4plusIjEEEEZZNS1_33reduce_by_key_impl_wrapped_configILNS1_25lookback_scan_determinismE0ES3_S7_PKiNS0_17constant_iteratorIjlEEPiPlSF_S6_NS0_8equal_toIiEEEE10hipError_tPvRmT2_T3_mT4_T5_T6_T7_T8_P12ihipStream_tbENKUlT_T0_E_clISt17integral_constantIbLb1EESY_IbLb0EEEEDaSU_SV_EUlSU_E_NS1_11comp_targetILNS1_3genE0ELNS1_11target_archE4294967295ELNS1_3gpuE0ELNS1_3repE0EEENS1_30default_config_static_selectorELNS0_4arch9wavefront6targetE0EEEvT1_
; %bb.0:
	s_endpgm
	.section	.rodata,"a",@progbits
	.p2align	6, 0x0
	.amdhsa_kernel _ZN7rocprim17ROCPRIM_400000_NS6detail17trampoline_kernelINS0_14default_configENS1_33run_length_encode_config_selectorIijNS0_4plusIjEEEEZZNS1_33reduce_by_key_impl_wrapped_configILNS1_25lookback_scan_determinismE0ES3_S7_PKiNS0_17constant_iteratorIjlEEPiPlSF_S6_NS0_8equal_toIiEEEE10hipError_tPvRmT2_T3_mT4_T5_T6_T7_T8_P12ihipStream_tbENKUlT_T0_E_clISt17integral_constantIbLb1EESY_IbLb0EEEEDaSU_SV_EUlSU_E_NS1_11comp_targetILNS1_3genE0ELNS1_11target_archE4294967295ELNS1_3gpuE0ELNS1_3repE0EEENS1_30default_config_static_selectorELNS0_4arch9wavefront6targetE0EEEvT1_
		.amdhsa_group_segment_fixed_size 0
		.amdhsa_private_segment_fixed_size 0
		.amdhsa_kernarg_size 128
		.amdhsa_user_sgpr_count 2
		.amdhsa_user_sgpr_dispatch_ptr 0
		.amdhsa_user_sgpr_queue_ptr 0
		.amdhsa_user_sgpr_kernarg_segment_ptr 1
		.amdhsa_user_sgpr_dispatch_id 0
		.amdhsa_user_sgpr_kernarg_preload_length 0
		.amdhsa_user_sgpr_kernarg_preload_offset 0
		.amdhsa_user_sgpr_private_segment_size 0
		.amdhsa_wavefront_size32 1
		.amdhsa_uses_dynamic_stack 0
		.amdhsa_enable_private_segment 0
		.amdhsa_system_sgpr_workgroup_id_x 1
		.amdhsa_system_sgpr_workgroup_id_y 0
		.amdhsa_system_sgpr_workgroup_id_z 0
		.amdhsa_system_sgpr_workgroup_info 0
		.amdhsa_system_vgpr_workitem_id 0
		.amdhsa_next_free_vgpr 1
		.amdhsa_next_free_sgpr 1
		.amdhsa_named_barrier_count 0
		.amdhsa_reserve_vcc 0
		.amdhsa_float_round_mode_32 0
		.amdhsa_float_round_mode_16_64 0
		.amdhsa_float_denorm_mode_32 3
		.amdhsa_float_denorm_mode_16_64 3
		.amdhsa_fp16_overflow 0
		.amdhsa_memory_ordered 1
		.amdhsa_forward_progress 1
		.amdhsa_inst_pref_size 1
		.amdhsa_round_robin_scheduling 0
		.amdhsa_exception_fp_ieee_invalid_op 0
		.amdhsa_exception_fp_denorm_src 0
		.amdhsa_exception_fp_ieee_div_zero 0
		.amdhsa_exception_fp_ieee_overflow 0
		.amdhsa_exception_fp_ieee_underflow 0
		.amdhsa_exception_fp_ieee_inexact 0
		.amdhsa_exception_int_div_zero 0
	.end_amdhsa_kernel
	.section	.text._ZN7rocprim17ROCPRIM_400000_NS6detail17trampoline_kernelINS0_14default_configENS1_33run_length_encode_config_selectorIijNS0_4plusIjEEEEZZNS1_33reduce_by_key_impl_wrapped_configILNS1_25lookback_scan_determinismE0ES3_S7_PKiNS0_17constant_iteratorIjlEEPiPlSF_S6_NS0_8equal_toIiEEEE10hipError_tPvRmT2_T3_mT4_T5_T6_T7_T8_P12ihipStream_tbENKUlT_T0_E_clISt17integral_constantIbLb1EESY_IbLb0EEEEDaSU_SV_EUlSU_E_NS1_11comp_targetILNS1_3genE0ELNS1_11target_archE4294967295ELNS1_3gpuE0ELNS1_3repE0EEENS1_30default_config_static_selectorELNS0_4arch9wavefront6targetE0EEEvT1_,"axG",@progbits,_ZN7rocprim17ROCPRIM_400000_NS6detail17trampoline_kernelINS0_14default_configENS1_33run_length_encode_config_selectorIijNS0_4plusIjEEEEZZNS1_33reduce_by_key_impl_wrapped_configILNS1_25lookback_scan_determinismE0ES3_S7_PKiNS0_17constant_iteratorIjlEEPiPlSF_S6_NS0_8equal_toIiEEEE10hipError_tPvRmT2_T3_mT4_T5_T6_T7_T8_P12ihipStream_tbENKUlT_T0_E_clISt17integral_constantIbLb1EESY_IbLb0EEEEDaSU_SV_EUlSU_E_NS1_11comp_targetILNS1_3genE0ELNS1_11target_archE4294967295ELNS1_3gpuE0ELNS1_3repE0EEENS1_30default_config_static_selectorELNS0_4arch9wavefront6targetE0EEEvT1_,comdat
.Lfunc_end460:
	.size	_ZN7rocprim17ROCPRIM_400000_NS6detail17trampoline_kernelINS0_14default_configENS1_33run_length_encode_config_selectorIijNS0_4plusIjEEEEZZNS1_33reduce_by_key_impl_wrapped_configILNS1_25lookback_scan_determinismE0ES3_S7_PKiNS0_17constant_iteratorIjlEEPiPlSF_S6_NS0_8equal_toIiEEEE10hipError_tPvRmT2_T3_mT4_T5_T6_T7_T8_P12ihipStream_tbENKUlT_T0_E_clISt17integral_constantIbLb1EESY_IbLb0EEEEDaSU_SV_EUlSU_E_NS1_11comp_targetILNS1_3genE0ELNS1_11target_archE4294967295ELNS1_3gpuE0ELNS1_3repE0EEENS1_30default_config_static_selectorELNS0_4arch9wavefront6targetE0EEEvT1_, .Lfunc_end460-_ZN7rocprim17ROCPRIM_400000_NS6detail17trampoline_kernelINS0_14default_configENS1_33run_length_encode_config_selectorIijNS0_4plusIjEEEEZZNS1_33reduce_by_key_impl_wrapped_configILNS1_25lookback_scan_determinismE0ES3_S7_PKiNS0_17constant_iteratorIjlEEPiPlSF_S6_NS0_8equal_toIiEEEE10hipError_tPvRmT2_T3_mT4_T5_T6_T7_T8_P12ihipStream_tbENKUlT_T0_E_clISt17integral_constantIbLb1EESY_IbLb0EEEEDaSU_SV_EUlSU_E_NS1_11comp_targetILNS1_3genE0ELNS1_11target_archE4294967295ELNS1_3gpuE0ELNS1_3repE0EEENS1_30default_config_static_selectorELNS0_4arch9wavefront6targetE0EEEvT1_
                                        ; -- End function
	.set _ZN7rocprim17ROCPRIM_400000_NS6detail17trampoline_kernelINS0_14default_configENS1_33run_length_encode_config_selectorIijNS0_4plusIjEEEEZZNS1_33reduce_by_key_impl_wrapped_configILNS1_25lookback_scan_determinismE0ES3_S7_PKiNS0_17constant_iteratorIjlEEPiPlSF_S6_NS0_8equal_toIiEEEE10hipError_tPvRmT2_T3_mT4_T5_T6_T7_T8_P12ihipStream_tbENKUlT_T0_E_clISt17integral_constantIbLb1EESY_IbLb0EEEEDaSU_SV_EUlSU_E_NS1_11comp_targetILNS1_3genE0ELNS1_11target_archE4294967295ELNS1_3gpuE0ELNS1_3repE0EEENS1_30default_config_static_selectorELNS0_4arch9wavefront6targetE0EEEvT1_.num_vgpr, 0
	.set _ZN7rocprim17ROCPRIM_400000_NS6detail17trampoline_kernelINS0_14default_configENS1_33run_length_encode_config_selectorIijNS0_4plusIjEEEEZZNS1_33reduce_by_key_impl_wrapped_configILNS1_25lookback_scan_determinismE0ES3_S7_PKiNS0_17constant_iteratorIjlEEPiPlSF_S6_NS0_8equal_toIiEEEE10hipError_tPvRmT2_T3_mT4_T5_T6_T7_T8_P12ihipStream_tbENKUlT_T0_E_clISt17integral_constantIbLb1EESY_IbLb0EEEEDaSU_SV_EUlSU_E_NS1_11comp_targetILNS1_3genE0ELNS1_11target_archE4294967295ELNS1_3gpuE0ELNS1_3repE0EEENS1_30default_config_static_selectorELNS0_4arch9wavefront6targetE0EEEvT1_.num_agpr, 0
	.set _ZN7rocprim17ROCPRIM_400000_NS6detail17trampoline_kernelINS0_14default_configENS1_33run_length_encode_config_selectorIijNS0_4plusIjEEEEZZNS1_33reduce_by_key_impl_wrapped_configILNS1_25lookback_scan_determinismE0ES3_S7_PKiNS0_17constant_iteratorIjlEEPiPlSF_S6_NS0_8equal_toIiEEEE10hipError_tPvRmT2_T3_mT4_T5_T6_T7_T8_P12ihipStream_tbENKUlT_T0_E_clISt17integral_constantIbLb1EESY_IbLb0EEEEDaSU_SV_EUlSU_E_NS1_11comp_targetILNS1_3genE0ELNS1_11target_archE4294967295ELNS1_3gpuE0ELNS1_3repE0EEENS1_30default_config_static_selectorELNS0_4arch9wavefront6targetE0EEEvT1_.numbered_sgpr, 0
	.set _ZN7rocprim17ROCPRIM_400000_NS6detail17trampoline_kernelINS0_14default_configENS1_33run_length_encode_config_selectorIijNS0_4plusIjEEEEZZNS1_33reduce_by_key_impl_wrapped_configILNS1_25lookback_scan_determinismE0ES3_S7_PKiNS0_17constant_iteratorIjlEEPiPlSF_S6_NS0_8equal_toIiEEEE10hipError_tPvRmT2_T3_mT4_T5_T6_T7_T8_P12ihipStream_tbENKUlT_T0_E_clISt17integral_constantIbLb1EESY_IbLb0EEEEDaSU_SV_EUlSU_E_NS1_11comp_targetILNS1_3genE0ELNS1_11target_archE4294967295ELNS1_3gpuE0ELNS1_3repE0EEENS1_30default_config_static_selectorELNS0_4arch9wavefront6targetE0EEEvT1_.num_named_barrier, 0
	.set _ZN7rocprim17ROCPRIM_400000_NS6detail17trampoline_kernelINS0_14default_configENS1_33run_length_encode_config_selectorIijNS0_4plusIjEEEEZZNS1_33reduce_by_key_impl_wrapped_configILNS1_25lookback_scan_determinismE0ES3_S7_PKiNS0_17constant_iteratorIjlEEPiPlSF_S6_NS0_8equal_toIiEEEE10hipError_tPvRmT2_T3_mT4_T5_T6_T7_T8_P12ihipStream_tbENKUlT_T0_E_clISt17integral_constantIbLb1EESY_IbLb0EEEEDaSU_SV_EUlSU_E_NS1_11comp_targetILNS1_3genE0ELNS1_11target_archE4294967295ELNS1_3gpuE0ELNS1_3repE0EEENS1_30default_config_static_selectorELNS0_4arch9wavefront6targetE0EEEvT1_.private_seg_size, 0
	.set _ZN7rocprim17ROCPRIM_400000_NS6detail17trampoline_kernelINS0_14default_configENS1_33run_length_encode_config_selectorIijNS0_4plusIjEEEEZZNS1_33reduce_by_key_impl_wrapped_configILNS1_25lookback_scan_determinismE0ES3_S7_PKiNS0_17constant_iteratorIjlEEPiPlSF_S6_NS0_8equal_toIiEEEE10hipError_tPvRmT2_T3_mT4_T5_T6_T7_T8_P12ihipStream_tbENKUlT_T0_E_clISt17integral_constantIbLb1EESY_IbLb0EEEEDaSU_SV_EUlSU_E_NS1_11comp_targetILNS1_3genE0ELNS1_11target_archE4294967295ELNS1_3gpuE0ELNS1_3repE0EEENS1_30default_config_static_selectorELNS0_4arch9wavefront6targetE0EEEvT1_.uses_vcc, 0
	.set _ZN7rocprim17ROCPRIM_400000_NS6detail17trampoline_kernelINS0_14default_configENS1_33run_length_encode_config_selectorIijNS0_4plusIjEEEEZZNS1_33reduce_by_key_impl_wrapped_configILNS1_25lookback_scan_determinismE0ES3_S7_PKiNS0_17constant_iteratorIjlEEPiPlSF_S6_NS0_8equal_toIiEEEE10hipError_tPvRmT2_T3_mT4_T5_T6_T7_T8_P12ihipStream_tbENKUlT_T0_E_clISt17integral_constantIbLb1EESY_IbLb0EEEEDaSU_SV_EUlSU_E_NS1_11comp_targetILNS1_3genE0ELNS1_11target_archE4294967295ELNS1_3gpuE0ELNS1_3repE0EEENS1_30default_config_static_selectorELNS0_4arch9wavefront6targetE0EEEvT1_.uses_flat_scratch, 0
	.set _ZN7rocprim17ROCPRIM_400000_NS6detail17trampoline_kernelINS0_14default_configENS1_33run_length_encode_config_selectorIijNS0_4plusIjEEEEZZNS1_33reduce_by_key_impl_wrapped_configILNS1_25lookback_scan_determinismE0ES3_S7_PKiNS0_17constant_iteratorIjlEEPiPlSF_S6_NS0_8equal_toIiEEEE10hipError_tPvRmT2_T3_mT4_T5_T6_T7_T8_P12ihipStream_tbENKUlT_T0_E_clISt17integral_constantIbLb1EESY_IbLb0EEEEDaSU_SV_EUlSU_E_NS1_11comp_targetILNS1_3genE0ELNS1_11target_archE4294967295ELNS1_3gpuE0ELNS1_3repE0EEENS1_30default_config_static_selectorELNS0_4arch9wavefront6targetE0EEEvT1_.has_dyn_sized_stack, 0
	.set _ZN7rocprim17ROCPRIM_400000_NS6detail17trampoline_kernelINS0_14default_configENS1_33run_length_encode_config_selectorIijNS0_4plusIjEEEEZZNS1_33reduce_by_key_impl_wrapped_configILNS1_25lookback_scan_determinismE0ES3_S7_PKiNS0_17constant_iteratorIjlEEPiPlSF_S6_NS0_8equal_toIiEEEE10hipError_tPvRmT2_T3_mT4_T5_T6_T7_T8_P12ihipStream_tbENKUlT_T0_E_clISt17integral_constantIbLb1EESY_IbLb0EEEEDaSU_SV_EUlSU_E_NS1_11comp_targetILNS1_3genE0ELNS1_11target_archE4294967295ELNS1_3gpuE0ELNS1_3repE0EEENS1_30default_config_static_selectorELNS0_4arch9wavefront6targetE0EEEvT1_.has_recursion, 0
	.set _ZN7rocprim17ROCPRIM_400000_NS6detail17trampoline_kernelINS0_14default_configENS1_33run_length_encode_config_selectorIijNS0_4plusIjEEEEZZNS1_33reduce_by_key_impl_wrapped_configILNS1_25lookback_scan_determinismE0ES3_S7_PKiNS0_17constant_iteratorIjlEEPiPlSF_S6_NS0_8equal_toIiEEEE10hipError_tPvRmT2_T3_mT4_T5_T6_T7_T8_P12ihipStream_tbENKUlT_T0_E_clISt17integral_constantIbLb1EESY_IbLb0EEEEDaSU_SV_EUlSU_E_NS1_11comp_targetILNS1_3genE0ELNS1_11target_archE4294967295ELNS1_3gpuE0ELNS1_3repE0EEENS1_30default_config_static_selectorELNS0_4arch9wavefront6targetE0EEEvT1_.has_indirect_call, 0
	.section	.AMDGPU.csdata,"",@progbits
; Kernel info:
; codeLenInByte = 4
; TotalNumSgprs: 0
; NumVgprs: 0
; ScratchSize: 0
; MemoryBound: 0
; FloatMode: 240
; IeeeMode: 1
; LDSByteSize: 0 bytes/workgroup (compile time only)
; SGPRBlocks: 0
; VGPRBlocks: 0
; NumSGPRsForWavesPerEU: 1
; NumVGPRsForWavesPerEU: 1
; NamedBarCnt: 0
; Occupancy: 16
; WaveLimiterHint : 0
; COMPUTE_PGM_RSRC2:SCRATCH_EN: 0
; COMPUTE_PGM_RSRC2:USER_SGPR: 2
; COMPUTE_PGM_RSRC2:TRAP_HANDLER: 0
; COMPUTE_PGM_RSRC2:TGID_X_EN: 1
; COMPUTE_PGM_RSRC2:TGID_Y_EN: 0
; COMPUTE_PGM_RSRC2:TGID_Z_EN: 0
; COMPUTE_PGM_RSRC2:TIDIG_COMP_CNT: 0
	.section	.text._ZN7rocprim17ROCPRIM_400000_NS6detail17trampoline_kernelINS0_14default_configENS1_33run_length_encode_config_selectorIijNS0_4plusIjEEEEZZNS1_33reduce_by_key_impl_wrapped_configILNS1_25lookback_scan_determinismE0ES3_S7_PKiNS0_17constant_iteratorIjlEEPiPlSF_S6_NS0_8equal_toIiEEEE10hipError_tPvRmT2_T3_mT4_T5_T6_T7_T8_P12ihipStream_tbENKUlT_T0_E_clISt17integral_constantIbLb1EESY_IbLb0EEEEDaSU_SV_EUlSU_E_NS1_11comp_targetILNS1_3genE5ELNS1_11target_archE942ELNS1_3gpuE9ELNS1_3repE0EEENS1_30default_config_static_selectorELNS0_4arch9wavefront6targetE0EEEvT1_,"axG",@progbits,_ZN7rocprim17ROCPRIM_400000_NS6detail17trampoline_kernelINS0_14default_configENS1_33run_length_encode_config_selectorIijNS0_4plusIjEEEEZZNS1_33reduce_by_key_impl_wrapped_configILNS1_25lookback_scan_determinismE0ES3_S7_PKiNS0_17constant_iteratorIjlEEPiPlSF_S6_NS0_8equal_toIiEEEE10hipError_tPvRmT2_T3_mT4_T5_T6_T7_T8_P12ihipStream_tbENKUlT_T0_E_clISt17integral_constantIbLb1EESY_IbLb0EEEEDaSU_SV_EUlSU_E_NS1_11comp_targetILNS1_3genE5ELNS1_11target_archE942ELNS1_3gpuE9ELNS1_3repE0EEENS1_30default_config_static_selectorELNS0_4arch9wavefront6targetE0EEEvT1_,comdat
	.protected	_ZN7rocprim17ROCPRIM_400000_NS6detail17trampoline_kernelINS0_14default_configENS1_33run_length_encode_config_selectorIijNS0_4plusIjEEEEZZNS1_33reduce_by_key_impl_wrapped_configILNS1_25lookback_scan_determinismE0ES3_S7_PKiNS0_17constant_iteratorIjlEEPiPlSF_S6_NS0_8equal_toIiEEEE10hipError_tPvRmT2_T3_mT4_T5_T6_T7_T8_P12ihipStream_tbENKUlT_T0_E_clISt17integral_constantIbLb1EESY_IbLb0EEEEDaSU_SV_EUlSU_E_NS1_11comp_targetILNS1_3genE5ELNS1_11target_archE942ELNS1_3gpuE9ELNS1_3repE0EEENS1_30default_config_static_selectorELNS0_4arch9wavefront6targetE0EEEvT1_ ; -- Begin function _ZN7rocprim17ROCPRIM_400000_NS6detail17trampoline_kernelINS0_14default_configENS1_33run_length_encode_config_selectorIijNS0_4plusIjEEEEZZNS1_33reduce_by_key_impl_wrapped_configILNS1_25lookback_scan_determinismE0ES3_S7_PKiNS0_17constant_iteratorIjlEEPiPlSF_S6_NS0_8equal_toIiEEEE10hipError_tPvRmT2_T3_mT4_T5_T6_T7_T8_P12ihipStream_tbENKUlT_T0_E_clISt17integral_constantIbLb1EESY_IbLb0EEEEDaSU_SV_EUlSU_E_NS1_11comp_targetILNS1_3genE5ELNS1_11target_archE942ELNS1_3gpuE9ELNS1_3repE0EEENS1_30default_config_static_selectorELNS0_4arch9wavefront6targetE0EEEvT1_
	.globl	_ZN7rocprim17ROCPRIM_400000_NS6detail17trampoline_kernelINS0_14default_configENS1_33run_length_encode_config_selectorIijNS0_4plusIjEEEEZZNS1_33reduce_by_key_impl_wrapped_configILNS1_25lookback_scan_determinismE0ES3_S7_PKiNS0_17constant_iteratorIjlEEPiPlSF_S6_NS0_8equal_toIiEEEE10hipError_tPvRmT2_T3_mT4_T5_T6_T7_T8_P12ihipStream_tbENKUlT_T0_E_clISt17integral_constantIbLb1EESY_IbLb0EEEEDaSU_SV_EUlSU_E_NS1_11comp_targetILNS1_3genE5ELNS1_11target_archE942ELNS1_3gpuE9ELNS1_3repE0EEENS1_30default_config_static_selectorELNS0_4arch9wavefront6targetE0EEEvT1_
	.p2align	8
	.type	_ZN7rocprim17ROCPRIM_400000_NS6detail17trampoline_kernelINS0_14default_configENS1_33run_length_encode_config_selectorIijNS0_4plusIjEEEEZZNS1_33reduce_by_key_impl_wrapped_configILNS1_25lookback_scan_determinismE0ES3_S7_PKiNS0_17constant_iteratorIjlEEPiPlSF_S6_NS0_8equal_toIiEEEE10hipError_tPvRmT2_T3_mT4_T5_T6_T7_T8_P12ihipStream_tbENKUlT_T0_E_clISt17integral_constantIbLb1EESY_IbLb0EEEEDaSU_SV_EUlSU_E_NS1_11comp_targetILNS1_3genE5ELNS1_11target_archE942ELNS1_3gpuE9ELNS1_3repE0EEENS1_30default_config_static_selectorELNS0_4arch9wavefront6targetE0EEEvT1_,@function
_ZN7rocprim17ROCPRIM_400000_NS6detail17trampoline_kernelINS0_14default_configENS1_33run_length_encode_config_selectorIijNS0_4plusIjEEEEZZNS1_33reduce_by_key_impl_wrapped_configILNS1_25lookback_scan_determinismE0ES3_S7_PKiNS0_17constant_iteratorIjlEEPiPlSF_S6_NS0_8equal_toIiEEEE10hipError_tPvRmT2_T3_mT4_T5_T6_T7_T8_P12ihipStream_tbENKUlT_T0_E_clISt17integral_constantIbLb1EESY_IbLb0EEEEDaSU_SV_EUlSU_E_NS1_11comp_targetILNS1_3genE5ELNS1_11target_archE942ELNS1_3gpuE9ELNS1_3repE0EEENS1_30default_config_static_selectorELNS0_4arch9wavefront6targetE0EEEvT1_: ; @_ZN7rocprim17ROCPRIM_400000_NS6detail17trampoline_kernelINS0_14default_configENS1_33run_length_encode_config_selectorIijNS0_4plusIjEEEEZZNS1_33reduce_by_key_impl_wrapped_configILNS1_25lookback_scan_determinismE0ES3_S7_PKiNS0_17constant_iteratorIjlEEPiPlSF_S6_NS0_8equal_toIiEEEE10hipError_tPvRmT2_T3_mT4_T5_T6_T7_T8_P12ihipStream_tbENKUlT_T0_E_clISt17integral_constantIbLb1EESY_IbLb0EEEEDaSU_SV_EUlSU_E_NS1_11comp_targetILNS1_3genE5ELNS1_11target_archE942ELNS1_3gpuE9ELNS1_3repE0EEENS1_30default_config_static_selectorELNS0_4arch9wavefront6targetE0EEEvT1_
; %bb.0:
	.section	.rodata,"a",@progbits
	.p2align	6, 0x0
	.amdhsa_kernel _ZN7rocprim17ROCPRIM_400000_NS6detail17trampoline_kernelINS0_14default_configENS1_33run_length_encode_config_selectorIijNS0_4plusIjEEEEZZNS1_33reduce_by_key_impl_wrapped_configILNS1_25lookback_scan_determinismE0ES3_S7_PKiNS0_17constant_iteratorIjlEEPiPlSF_S6_NS0_8equal_toIiEEEE10hipError_tPvRmT2_T3_mT4_T5_T6_T7_T8_P12ihipStream_tbENKUlT_T0_E_clISt17integral_constantIbLb1EESY_IbLb0EEEEDaSU_SV_EUlSU_E_NS1_11comp_targetILNS1_3genE5ELNS1_11target_archE942ELNS1_3gpuE9ELNS1_3repE0EEENS1_30default_config_static_selectorELNS0_4arch9wavefront6targetE0EEEvT1_
		.amdhsa_group_segment_fixed_size 0
		.amdhsa_private_segment_fixed_size 0
		.amdhsa_kernarg_size 128
		.amdhsa_user_sgpr_count 2
		.amdhsa_user_sgpr_dispatch_ptr 0
		.amdhsa_user_sgpr_queue_ptr 0
		.amdhsa_user_sgpr_kernarg_segment_ptr 1
		.amdhsa_user_sgpr_dispatch_id 0
		.amdhsa_user_sgpr_kernarg_preload_length 0
		.amdhsa_user_sgpr_kernarg_preload_offset 0
		.amdhsa_user_sgpr_private_segment_size 0
		.amdhsa_wavefront_size32 1
		.amdhsa_uses_dynamic_stack 0
		.amdhsa_enable_private_segment 0
		.amdhsa_system_sgpr_workgroup_id_x 1
		.amdhsa_system_sgpr_workgroup_id_y 0
		.amdhsa_system_sgpr_workgroup_id_z 0
		.amdhsa_system_sgpr_workgroup_info 0
		.amdhsa_system_vgpr_workitem_id 0
		.amdhsa_next_free_vgpr 1
		.amdhsa_next_free_sgpr 1
		.amdhsa_named_barrier_count 0
		.amdhsa_reserve_vcc 0
		.amdhsa_float_round_mode_32 0
		.amdhsa_float_round_mode_16_64 0
		.amdhsa_float_denorm_mode_32 3
		.amdhsa_float_denorm_mode_16_64 3
		.amdhsa_fp16_overflow 0
		.amdhsa_memory_ordered 1
		.amdhsa_forward_progress 1
		.amdhsa_inst_pref_size 0
		.amdhsa_round_robin_scheduling 0
		.amdhsa_exception_fp_ieee_invalid_op 0
		.amdhsa_exception_fp_denorm_src 0
		.amdhsa_exception_fp_ieee_div_zero 0
		.amdhsa_exception_fp_ieee_overflow 0
		.amdhsa_exception_fp_ieee_underflow 0
		.amdhsa_exception_fp_ieee_inexact 0
		.amdhsa_exception_int_div_zero 0
	.end_amdhsa_kernel
	.section	.text._ZN7rocprim17ROCPRIM_400000_NS6detail17trampoline_kernelINS0_14default_configENS1_33run_length_encode_config_selectorIijNS0_4plusIjEEEEZZNS1_33reduce_by_key_impl_wrapped_configILNS1_25lookback_scan_determinismE0ES3_S7_PKiNS0_17constant_iteratorIjlEEPiPlSF_S6_NS0_8equal_toIiEEEE10hipError_tPvRmT2_T3_mT4_T5_T6_T7_T8_P12ihipStream_tbENKUlT_T0_E_clISt17integral_constantIbLb1EESY_IbLb0EEEEDaSU_SV_EUlSU_E_NS1_11comp_targetILNS1_3genE5ELNS1_11target_archE942ELNS1_3gpuE9ELNS1_3repE0EEENS1_30default_config_static_selectorELNS0_4arch9wavefront6targetE0EEEvT1_,"axG",@progbits,_ZN7rocprim17ROCPRIM_400000_NS6detail17trampoline_kernelINS0_14default_configENS1_33run_length_encode_config_selectorIijNS0_4plusIjEEEEZZNS1_33reduce_by_key_impl_wrapped_configILNS1_25lookback_scan_determinismE0ES3_S7_PKiNS0_17constant_iteratorIjlEEPiPlSF_S6_NS0_8equal_toIiEEEE10hipError_tPvRmT2_T3_mT4_T5_T6_T7_T8_P12ihipStream_tbENKUlT_T0_E_clISt17integral_constantIbLb1EESY_IbLb0EEEEDaSU_SV_EUlSU_E_NS1_11comp_targetILNS1_3genE5ELNS1_11target_archE942ELNS1_3gpuE9ELNS1_3repE0EEENS1_30default_config_static_selectorELNS0_4arch9wavefront6targetE0EEEvT1_,comdat
.Lfunc_end461:
	.size	_ZN7rocprim17ROCPRIM_400000_NS6detail17trampoline_kernelINS0_14default_configENS1_33run_length_encode_config_selectorIijNS0_4plusIjEEEEZZNS1_33reduce_by_key_impl_wrapped_configILNS1_25lookback_scan_determinismE0ES3_S7_PKiNS0_17constant_iteratorIjlEEPiPlSF_S6_NS0_8equal_toIiEEEE10hipError_tPvRmT2_T3_mT4_T5_T6_T7_T8_P12ihipStream_tbENKUlT_T0_E_clISt17integral_constantIbLb1EESY_IbLb0EEEEDaSU_SV_EUlSU_E_NS1_11comp_targetILNS1_3genE5ELNS1_11target_archE942ELNS1_3gpuE9ELNS1_3repE0EEENS1_30default_config_static_selectorELNS0_4arch9wavefront6targetE0EEEvT1_, .Lfunc_end461-_ZN7rocprim17ROCPRIM_400000_NS6detail17trampoline_kernelINS0_14default_configENS1_33run_length_encode_config_selectorIijNS0_4plusIjEEEEZZNS1_33reduce_by_key_impl_wrapped_configILNS1_25lookback_scan_determinismE0ES3_S7_PKiNS0_17constant_iteratorIjlEEPiPlSF_S6_NS0_8equal_toIiEEEE10hipError_tPvRmT2_T3_mT4_T5_T6_T7_T8_P12ihipStream_tbENKUlT_T0_E_clISt17integral_constantIbLb1EESY_IbLb0EEEEDaSU_SV_EUlSU_E_NS1_11comp_targetILNS1_3genE5ELNS1_11target_archE942ELNS1_3gpuE9ELNS1_3repE0EEENS1_30default_config_static_selectorELNS0_4arch9wavefront6targetE0EEEvT1_
                                        ; -- End function
	.set _ZN7rocprim17ROCPRIM_400000_NS6detail17trampoline_kernelINS0_14default_configENS1_33run_length_encode_config_selectorIijNS0_4plusIjEEEEZZNS1_33reduce_by_key_impl_wrapped_configILNS1_25lookback_scan_determinismE0ES3_S7_PKiNS0_17constant_iteratorIjlEEPiPlSF_S6_NS0_8equal_toIiEEEE10hipError_tPvRmT2_T3_mT4_T5_T6_T7_T8_P12ihipStream_tbENKUlT_T0_E_clISt17integral_constantIbLb1EESY_IbLb0EEEEDaSU_SV_EUlSU_E_NS1_11comp_targetILNS1_3genE5ELNS1_11target_archE942ELNS1_3gpuE9ELNS1_3repE0EEENS1_30default_config_static_selectorELNS0_4arch9wavefront6targetE0EEEvT1_.num_vgpr, 0
	.set _ZN7rocprim17ROCPRIM_400000_NS6detail17trampoline_kernelINS0_14default_configENS1_33run_length_encode_config_selectorIijNS0_4plusIjEEEEZZNS1_33reduce_by_key_impl_wrapped_configILNS1_25lookback_scan_determinismE0ES3_S7_PKiNS0_17constant_iteratorIjlEEPiPlSF_S6_NS0_8equal_toIiEEEE10hipError_tPvRmT2_T3_mT4_T5_T6_T7_T8_P12ihipStream_tbENKUlT_T0_E_clISt17integral_constantIbLb1EESY_IbLb0EEEEDaSU_SV_EUlSU_E_NS1_11comp_targetILNS1_3genE5ELNS1_11target_archE942ELNS1_3gpuE9ELNS1_3repE0EEENS1_30default_config_static_selectorELNS0_4arch9wavefront6targetE0EEEvT1_.num_agpr, 0
	.set _ZN7rocprim17ROCPRIM_400000_NS6detail17trampoline_kernelINS0_14default_configENS1_33run_length_encode_config_selectorIijNS0_4plusIjEEEEZZNS1_33reduce_by_key_impl_wrapped_configILNS1_25lookback_scan_determinismE0ES3_S7_PKiNS0_17constant_iteratorIjlEEPiPlSF_S6_NS0_8equal_toIiEEEE10hipError_tPvRmT2_T3_mT4_T5_T6_T7_T8_P12ihipStream_tbENKUlT_T0_E_clISt17integral_constantIbLb1EESY_IbLb0EEEEDaSU_SV_EUlSU_E_NS1_11comp_targetILNS1_3genE5ELNS1_11target_archE942ELNS1_3gpuE9ELNS1_3repE0EEENS1_30default_config_static_selectorELNS0_4arch9wavefront6targetE0EEEvT1_.numbered_sgpr, 0
	.set _ZN7rocprim17ROCPRIM_400000_NS6detail17trampoline_kernelINS0_14default_configENS1_33run_length_encode_config_selectorIijNS0_4plusIjEEEEZZNS1_33reduce_by_key_impl_wrapped_configILNS1_25lookback_scan_determinismE0ES3_S7_PKiNS0_17constant_iteratorIjlEEPiPlSF_S6_NS0_8equal_toIiEEEE10hipError_tPvRmT2_T3_mT4_T5_T6_T7_T8_P12ihipStream_tbENKUlT_T0_E_clISt17integral_constantIbLb1EESY_IbLb0EEEEDaSU_SV_EUlSU_E_NS1_11comp_targetILNS1_3genE5ELNS1_11target_archE942ELNS1_3gpuE9ELNS1_3repE0EEENS1_30default_config_static_selectorELNS0_4arch9wavefront6targetE0EEEvT1_.num_named_barrier, 0
	.set _ZN7rocprim17ROCPRIM_400000_NS6detail17trampoline_kernelINS0_14default_configENS1_33run_length_encode_config_selectorIijNS0_4plusIjEEEEZZNS1_33reduce_by_key_impl_wrapped_configILNS1_25lookback_scan_determinismE0ES3_S7_PKiNS0_17constant_iteratorIjlEEPiPlSF_S6_NS0_8equal_toIiEEEE10hipError_tPvRmT2_T3_mT4_T5_T6_T7_T8_P12ihipStream_tbENKUlT_T0_E_clISt17integral_constantIbLb1EESY_IbLb0EEEEDaSU_SV_EUlSU_E_NS1_11comp_targetILNS1_3genE5ELNS1_11target_archE942ELNS1_3gpuE9ELNS1_3repE0EEENS1_30default_config_static_selectorELNS0_4arch9wavefront6targetE0EEEvT1_.private_seg_size, 0
	.set _ZN7rocprim17ROCPRIM_400000_NS6detail17trampoline_kernelINS0_14default_configENS1_33run_length_encode_config_selectorIijNS0_4plusIjEEEEZZNS1_33reduce_by_key_impl_wrapped_configILNS1_25lookback_scan_determinismE0ES3_S7_PKiNS0_17constant_iteratorIjlEEPiPlSF_S6_NS0_8equal_toIiEEEE10hipError_tPvRmT2_T3_mT4_T5_T6_T7_T8_P12ihipStream_tbENKUlT_T0_E_clISt17integral_constantIbLb1EESY_IbLb0EEEEDaSU_SV_EUlSU_E_NS1_11comp_targetILNS1_3genE5ELNS1_11target_archE942ELNS1_3gpuE9ELNS1_3repE0EEENS1_30default_config_static_selectorELNS0_4arch9wavefront6targetE0EEEvT1_.uses_vcc, 0
	.set _ZN7rocprim17ROCPRIM_400000_NS6detail17trampoline_kernelINS0_14default_configENS1_33run_length_encode_config_selectorIijNS0_4plusIjEEEEZZNS1_33reduce_by_key_impl_wrapped_configILNS1_25lookback_scan_determinismE0ES3_S7_PKiNS0_17constant_iteratorIjlEEPiPlSF_S6_NS0_8equal_toIiEEEE10hipError_tPvRmT2_T3_mT4_T5_T6_T7_T8_P12ihipStream_tbENKUlT_T0_E_clISt17integral_constantIbLb1EESY_IbLb0EEEEDaSU_SV_EUlSU_E_NS1_11comp_targetILNS1_3genE5ELNS1_11target_archE942ELNS1_3gpuE9ELNS1_3repE0EEENS1_30default_config_static_selectorELNS0_4arch9wavefront6targetE0EEEvT1_.uses_flat_scratch, 0
	.set _ZN7rocprim17ROCPRIM_400000_NS6detail17trampoline_kernelINS0_14default_configENS1_33run_length_encode_config_selectorIijNS0_4plusIjEEEEZZNS1_33reduce_by_key_impl_wrapped_configILNS1_25lookback_scan_determinismE0ES3_S7_PKiNS0_17constant_iteratorIjlEEPiPlSF_S6_NS0_8equal_toIiEEEE10hipError_tPvRmT2_T3_mT4_T5_T6_T7_T8_P12ihipStream_tbENKUlT_T0_E_clISt17integral_constantIbLb1EESY_IbLb0EEEEDaSU_SV_EUlSU_E_NS1_11comp_targetILNS1_3genE5ELNS1_11target_archE942ELNS1_3gpuE9ELNS1_3repE0EEENS1_30default_config_static_selectorELNS0_4arch9wavefront6targetE0EEEvT1_.has_dyn_sized_stack, 0
	.set _ZN7rocprim17ROCPRIM_400000_NS6detail17trampoline_kernelINS0_14default_configENS1_33run_length_encode_config_selectorIijNS0_4plusIjEEEEZZNS1_33reduce_by_key_impl_wrapped_configILNS1_25lookback_scan_determinismE0ES3_S7_PKiNS0_17constant_iteratorIjlEEPiPlSF_S6_NS0_8equal_toIiEEEE10hipError_tPvRmT2_T3_mT4_T5_T6_T7_T8_P12ihipStream_tbENKUlT_T0_E_clISt17integral_constantIbLb1EESY_IbLb0EEEEDaSU_SV_EUlSU_E_NS1_11comp_targetILNS1_3genE5ELNS1_11target_archE942ELNS1_3gpuE9ELNS1_3repE0EEENS1_30default_config_static_selectorELNS0_4arch9wavefront6targetE0EEEvT1_.has_recursion, 0
	.set _ZN7rocprim17ROCPRIM_400000_NS6detail17trampoline_kernelINS0_14default_configENS1_33run_length_encode_config_selectorIijNS0_4plusIjEEEEZZNS1_33reduce_by_key_impl_wrapped_configILNS1_25lookback_scan_determinismE0ES3_S7_PKiNS0_17constant_iteratorIjlEEPiPlSF_S6_NS0_8equal_toIiEEEE10hipError_tPvRmT2_T3_mT4_T5_T6_T7_T8_P12ihipStream_tbENKUlT_T0_E_clISt17integral_constantIbLb1EESY_IbLb0EEEEDaSU_SV_EUlSU_E_NS1_11comp_targetILNS1_3genE5ELNS1_11target_archE942ELNS1_3gpuE9ELNS1_3repE0EEENS1_30default_config_static_selectorELNS0_4arch9wavefront6targetE0EEEvT1_.has_indirect_call, 0
	.section	.AMDGPU.csdata,"",@progbits
; Kernel info:
; codeLenInByte = 0
; TotalNumSgprs: 0
; NumVgprs: 0
; ScratchSize: 0
; MemoryBound: 0
; FloatMode: 240
; IeeeMode: 1
; LDSByteSize: 0 bytes/workgroup (compile time only)
; SGPRBlocks: 0
; VGPRBlocks: 0
; NumSGPRsForWavesPerEU: 1
; NumVGPRsForWavesPerEU: 1
; NamedBarCnt: 0
; Occupancy: 16
; WaveLimiterHint : 0
; COMPUTE_PGM_RSRC2:SCRATCH_EN: 0
; COMPUTE_PGM_RSRC2:USER_SGPR: 2
; COMPUTE_PGM_RSRC2:TRAP_HANDLER: 0
; COMPUTE_PGM_RSRC2:TGID_X_EN: 1
; COMPUTE_PGM_RSRC2:TGID_Y_EN: 0
; COMPUTE_PGM_RSRC2:TGID_Z_EN: 0
; COMPUTE_PGM_RSRC2:TIDIG_COMP_CNT: 0
	.section	.text._ZN7rocprim17ROCPRIM_400000_NS6detail17trampoline_kernelINS0_14default_configENS1_33run_length_encode_config_selectorIijNS0_4plusIjEEEEZZNS1_33reduce_by_key_impl_wrapped_configILNS1_25lookback_scan_determinismE0ES3_S7_PKiNS0_17constant_iteratorIjlEEPiPlSF_S6_NS0_8equal_toIiEEEE10hipError_tPvRmT2_T3_mT4_T5_T6_T7_T8_P12ihipStream_tbENKUlT_T0_E_clISt17integral_constantIbLb1EESY_IbLb0EEEEDaSU_SV_EUlSU_E_NS1_11comp_targetILNS1_3genE4ELNS1_11target_archE910ELNS1_3gpuE8ELNS1_3repE0EEENS1_30default_config_static_selectorELNS0_4arch9wavefront6targetE0EEEvT1_,"axG",@progbits,_ZN7rocprim17ROCPRIM_400000_NS6detail17trampoline_kernelINS0_14default_configENS1_33run_length_encode_config_selectorIijNS0_4plusIjEEEEZZNS1_33reduce_by_key_impl_wrapped_configILNS1_25lookback_scan_determinismE0ES3_S7_PKiNS0_17constant_iteratorIjlEEPiPlSF_S6_NS0_8equal_toIiEEEE10hipError_tPvRmT2_T3_mT4_T5_T6_T7_T8_P12ihipStream_tbENKUlT_T0_E_clISt17integral_constantIbLb1EESY_IbLb0EEEEDaSU_SV_EUlSU_E_NS1_11comp_targetILNS1_3genE4ELNS1_11target_archE910ELNS1_3gpuE8ELNS1_3repE0EEENS1_30default_config_static_selectorELNS0_4arch9wavefront6targetE0EEEvT1_,comdat
	.protected	_ZN7rocprim17ROCPRIM_400000_NS6detail17trampoline_kernelINS0_14default_configENS1_33run_length_encode_config_selectorIijNS0_4plusIjEEEEZZNS1_33reduce_by_key_impl_wrapped_configILNS1_25lookback_scan_determinismE0ES3_S7_PKiNS0_17constant_iteratorIjlEEPiPlSF_S6_NS0_8equal_toIiEEEE10hipError_tPvRmT2_T3_mT4_T5_T6_T7_T8_P12ihipStream_tbENKUlT_T0_E_clISt17integral_constantIbLb1EESY_IbLb0EEEEDaSU_SV_EUlSU_E_NS1_11comp_targetILNS1_3genE4ELNS1_11target_archE910ELNS1_3gpuE8ELNS1_3repE0EEENS1_30default_config_static_selectorELNS0_4arch9wavefront6targetE0EEEvT1_ ; -- Begin function _ZN7rocprim17ROCPRIM_400000_NS6detail17trampoline_kernelINS0_14default_configENS1_33run_length_encode_config_selectorIijNS0_4plusIjEEEEZZNS1_33reduce_by_key_impl_wrapped_configILNS1_25lookback_scan_determinismE0ES3_S7_PKiNS0_17constant_iteratorIjlEEPiPlSF_S6_NS0_8equal_toIiEEEE10hipError_tPvRmT2_T3_mT4_T5_T6_T7_T8_P12ihipStream_tbENKUlT_T0_E_clISt17integral_constantIbLb1EESY_IbLb0EEEEDaSU_SV_EUlSU_E_NS1_11comp_targetILNS1_3genE4ELNS1_11target_archE910ELNS1_3gpuE8ELNS1_3repE0EEENS1_30default_config_static_selectorELNS0_4arch9wavefront6targetE0EEEvT1_
	.globl	_ZN7rocprim17ROCPRIM_400000_NS6detail17trampoline_kernelINS0_14default_configENS1_33run_length_encode_config_selectorIijNS0_4plusIjEEEEZZNS1_33reduce_by_key_impl_wrapped_configILNS1_25lookback_scan_determinismE0ES3_S7_PKiNS0_17constant_iteratorIjlEEPiPlSF_S6_NS0_8equal_toIiEEEE10hipError_tPvRmT2_T3_mT4_T5_T6_T7_T8_P12ihipStream_tbENKUlT_T0_E_clISt17integral_constantIbLb1EESY_IbLb0EEEEDaSU_SV_EUlSU_E_NS1_11comp_targetILNS1_3genE4ELNS1_11target_archE910ELNS1_3gpuE8ELNS1_3repE0EEENS1_30default_config_static_selectorELNS0_4arch9wavefront6targetE0EEEvT1_
	.p2align	8
	.type	_ZN7rocprim17ROCPRIM_400000_NS6detail17trampoline_kernelINS0_14default_configENS1_33run_length_encode_config_selectorIijNS0_4plusIjEEEEZZNS1_33reduce_by_key_impl_wrapped_configILNS1_25lookback_scan_determinismE0ES3_S7_PKiNS0_17constant_iteratorIjlEEPiPlSF_S6_NS0_8equal_toIiEEEE10hipError_tPvRmT2_T3_mT4_T5_T6_T7_T8_P12ihipStream_tbENKUlT_T0_E_clISt17integral_constantIbLb1EESY_IbLb0EEEEDaSU_SV_EUlSU_E_NS1_11comp_targetILNS1_3genE4ELNS1_11target_archE910ELNS1_3gpuE8ELNS1_3repE0EEENS1_30default_config_static_selectorELNS0_4arch9wavefront6targetE0EEEvT1_,@function
_ZN7rocprim17ROCPRIM_400000_NS6detail17trampoline_kernelINS0_14default_configENS1_33run_length_encode_config_selectorIijNS0_4plusIjEEEEZZNS1_33reduce_by_key_impl_wrapped_configILNS1_25lookback_scan_determinismE0ES3_S7_PKiNS0_17constant_iteratorIjlEEPiPlSF_S6_NS0_8equal_toIiEEEE10hipError_tPvRmT2_T3_mT4_T5_T6_T7_T8_P12ihipStream_tbENKUlT_T0_E_clISt17integral_constantIbLb1EESY_IbLb0EEEEDaSU_SV_EUlSU_E_NS1_11comp_targetILNS1_3genE4ELNS1_11target_archE910ELNS1_3gpuE8ELNS1_3repE0EEENS1_30default_config_static_selectorELNS0_4arch9wavefront6targetE0EEEvT1_: ; @_ZN7rocprim17ROCPRIM_400000_NS6detail17trampoline_kernelINS0_14default_configENS1_33run_length_encode_config_selectorIijNS0_4plusIjEEEEZZNS1_33reduce_by_key_impl_wrapped_configILNS1_25lookback_scan_determinismE0ES3_S7_PKiNS0_17constant_iteratorIjlEEPiPlSF_S6_NS0_8equal_toIiEEEE10hipError_tPvRmT2_T3_mT4_T5_T6_T7_T8_P12ihipStream_tbENKUlT_T0_E_clISt17integral_constantIbLb1EESY_IbLb0EEEEDaSU_SV_EUlSU_E_NS1_11comp_targetILNS1_3genE4ELNS1_11target_archE910ELNS1_3gpuE8ELNS1_3repE0EEENS1_30default_config_static_selectorELNS0_4arch9wavefront6targetE0EEEvT1_
; %bb.0:
	.section	.rodata,"a",@progbits
	.p2align	6, 0x0
	.amdhsa_kernel _ZN7rocprim17ROCPRIM_400000_NS6detail17trampoline_kernelINS0_14default_configENS1_33run_length_encode_config_selectorIijNS0_4plusIjEEEEZZNS1_33reduce_by_key_impl_wrapped_configILNS1_25lookback_scan_determinismE0ES3_S7_PKiNS0_17constant_iteratorIjlEEPiPlSF_S6_NS0_8equal_toIiEEEE10hipError_tPvRmT2_T3_mT4_T5_T6_T7_T8_P12ihipStream_tbENKUlT_T0_E_clISt17integral_constantIbLb1EESY_IbLb0EEEEDaSU_SV_EUlSU_E_NS1_11comp_targetILNS1_3genE4ELNS1_11target_archE910ELNS1_3gpuE8ELNS1_3repE0EEENS1_30default_config_static_selectorELNS0_4arch9wavefront6targetE0EEEvT1_
		.amdhsa_group_segment_fixed_size 0
		.amdhsa_private_segment_fixed_size 0
		.amdhsa_kernarg_size 128
		.amdhsa_user_sgpr_count 2
		.amdhsa_user_sgpr_dispatch_ptr 0
		.amdhsa_user_sgpr_queue_ptr 0
		.amdhsa_user_sgpr_kernarg_segment_ptr 1
		.amdhsa_user_sgpr_dispatch_id 0
		.amdhsa_user_sgpr_kernarg_preload_length 0
		.amdhsa_user_sgpr_kernarg_preload_offset 0
		.amdhsa_user_sgpr_private_segment_size 0
		.amdhsa_wavefront_size32 1
		.amdhsa_uses_dynamic_stack 0
		.amdhsa_enable_private_segment 0
		.amdhsa_system_sgpr_workgroup_id_x 1
		.amdhsa_system_sgpr_workgroup_id_y 0
		.amdhsa_system_sgpr_workgroup_id_z 0
		.amdhsa_system_sgpr_workgroup_info 0
		.amdhsa_system_vgpr_workitem_id 0
		.amdhsa_next_free_vgpr 1
		.amdhsa_next_free_sgpr 1
		.amdhsa_named_barrier_count 0
		.amdhsa_reserve_vcc 0
		.amdhsa_float_round_mode_32 0
		.amdhsa_float_round_mode_16_64 0
		.amdhsa_float_denorm_mode_32 3
		.amdhsa_float_denorm_mode_16_64 3
		.amdhsa_fp16_overflow 0
		.amdhsa_memory_ordered 1
		.amdhsa_forward_progress 1
		.amdhsa_inst_pref_size 0
		.amdhsa_round_robin_scheduling 0
		.amdhsa_exception_fp_ieee_invalid_op 0
		.amdhsa_exception_fp_denorm_src 0
		.amdhsa_exception_fp_ieee_div_zero 0
		.amdhsa_exception_fp_ieee_overflow 0
		.amdhsa_exception_fp_ieee_underflow 0
		.amdhsa_exception_fp_ieee_inexact 0
		.amdhsa_exception_int_div_zero 0
	.end_amdhsa_kernel
	.section	.text._ZN7rocprim17ROCPRIM_400000_NS6detail17trampoline_kernelINS0_14default_configENS1_33run_length_encode_config_selectorIijNS0_4plusIjEEEEZZNS1_33reduce_by_key_impl_wrapped_configILNS1_25lookback_scan_determinismE0ES3_S7_PKiNS0_17constant_iteratorIjlEEPiPlSF_S6_NS0_8equal_toIiEEEE10hipError_tPvRmT2_T3_mT4_T5_T6_T7_T8_P12ihipStream_tbENKUlT_T0_E_clISt17integral_constantIbLb1EESY_IbLb0EEEEDaSU_SV_EUlSU_E_NS1_11comp_targetILNS1_3genE4ELNS1_11target_archE910ELNS1_3gpuE8ELNS1_3repE0EEENS1_30default_config_static_selectorELNS0_4arch9wavefront6targetE0EEEvT1_,"axG",@progbits,_ZN7rocprim17ROCPRIM_400000_NS6detail17trampoline_kernelINS0_14default_configENS1_33run_length_encode_config_selectorIijNS0_4plusIjEEEEZZNS1_33reduce_by_key_impl_wrapped_configILNS1_25lookback_scan_determinismE0ES3_S7_PKiNS0_17constant_iteratorIjlEEPiPlSF_S6_NS0_8equal_toIiEEEE10hipError_tPvRmT2_T3_mT4_T5_T6_T7_T8_P12ihipStream_tbENKUlT_T0_E_clISt17integral_constantIbLb1EESY_IbLb0EEEEDaSU_SV_EUlSU_E_NS1_11comp_targetILNS1_3genE4ELNS1_11target_archE910ELNS1_3gpuE8ELNS1_3repE0EEENS1_30default_config_static_selectorELNS0_4arch9wavefront6targetE0EEEvT1_,comdat
.Lfunc_end462:
	.size	_ZN7rocprim17ROCPRIM_400000_NS6detail17trampoline_kernelINS0_14default_configENS1_33run_length_encode_config_selectorIijNS0_4plusIjEEEEZZNS1_33reduce_by_key_impl_wrapped_configILNS1_25lookback_scan_determinismE0ES3_S7_PKiNS0_17constant_iteratorIjlEEPiPlSF_S6_NS0_8equal_toIiEEEE10hipError_tPvRmT2_T3_mT4_T5_T6_T7_T8_P12ihipStream_tbENKUlT_T0_E_clISt17integral_constantIbLb1EESY_IbLb0EEEEDaSU_SV_EUlSU_E_NS1_11comp_targetILNS1_3genE4ELNS1_11target_archE910ELNS1_3gpuE8ELNS1_3repE0EEENS1_30default_config_static_selectorELNS0_4arch9wavefront6targetE0EEEvT1_, .Lfunc_end462-_ZN7rocprim17ROCPRIM_400000_NS6detail17trampoline_kernelINS0_14default_configENS1_33run_length_encode_config_selectorIijNS0_4plusIjEEEEZZNS1_33reduce_by_key_impl_wrapped_configILNS1_25lookback_scan_determinismE0ES3_S7_PKiNS0_17constant_iteratorIjlEEPiPlSF_S6_NS0_8equal_toIiEEEE10hipError_tPvRmT2_T3_mT4_T5_T6_T7_T8_P12ihipStream_tbENKUlT_T0_E_clISt17integral_constantIbLb1EESY_IbLb0EEEEDaSU_SV_EUlSU_E_NS1_11comp_targetILNS1_3genE4ELNS1_11target_archE910ELNS1_3gpuE8ELNS1_3repE0EEENS1_30default_config_static_selectorELNS0_4arch9wavefront6targetE0EEEvT1_
                                        ; -- End function
	.set _ZN7rocprim17ROCPRIM_400000_NS6detail17trampoline_kernelINS0_14default_configENS1_33run_length_encode_config_selectorIijNS0_4plusIjEEEEZZNS1_33reduce_by_key_impl_wrapped_configILNS1_25lookback_scan_determinismE0ES3_S7_PKiNS0_17constant_iteratorIjlEEPiPlSF_S6_NS0_8equal_toIiEEEE10hipError_tPvRmT2_T3_mT4_T5_T6_T7_T8_P12ihipStream_tbENKUlT_T0_E_clISt17integral_constantIbLb1EESY_IbLb0EEEEDaSU_SV_EUlSU_E_NS1_11comp_targetILNS1_3genE4ELNS1_11target_archE910ELNS1_3gpuE8ELNS1_3repE0EEENS1_30default_config_static_selectorELNS0_4arch9wavefront6targetE0EEEvT1_.num_vgpr, 0
	.set _ZN7rocprim17ROCPRIM_400000_NS6detail17trampoline_kernelINS0_14default_configENS1_33run_length_encode_config_selectorIijNS0_4plusIjEEEEZZNS1_33reduce_by_key_impl_wrapped_configILNS1_25lookback_scan_determinismE0ES3_S7_PKiNS0_17constant_iteratorIjlEEPiPlSF_S6_NS0_8equal_toIiEEEE10hipError_tPvRmT2_T3_mT4_T5_T6_T7_T8_P12ihipStream_tbENKUlT_T0_E_clISt17integral_constantIbLb1EESY_IbLb0EEEEDaSU_SV_EUlSU_E_NS1_11comp_targetILNS1_3genE4ELNS1_11target_archE910ELNS1_3gpuE8ELNS1_3repE0EEENS1_30default_config_static_selectorELNS0_4arch9wavefront6targetE0EEEvT1_.num_agpr, 0
	.set _ZN7rocprim17ROCPRIM_400000_NS6detail17trampoline_kernelINS0_14default_configENS1_33run_length_encode_config_selectorIijNS0_4plusIjEEEEZZNS1_33reduce_by_key_impl_wrapped_configILNS1_25lookback_scan_determinismE0ES3_S7_PKiNS0_17constant_iteratorIjlEEPiPlSF_S6_NS0_8equal_toIiEEEE10hipError_tPvRmT2_T3_mT4_T5_T6_T7_T8_P12ihipStream_tbENKUlT_T0_E_clISt17integral_constantIbLb1EESY_IbLb0EEEEDaSU_SV_EUlSU_E_NS1_11comp_targetILNS1_3genE4ELNS1_11target_archE910ELNS1_3gpuE8ELNS1_3repE0EEENS1_30default_config_static_selectorELNS0_4arch9wavefront6targetE0EEEvT1_.numbered_sgpr, 0
	.set _ZN7rocprim17ROCPRIM_400000_NS6detail17trampoline_kernelINS0_14default_configENS1_33run_length_encode_config_selectorIijNS0_4plusIjEEEEZZNS1_33reduce_by_key_impl_wrapped_configILNS1_25lookback_scan_determinismE0ES3_S7_PKiNS0_17constant_iteratorIjlEEPiPlSF_S6_NS0_8equal_toIiEEEE10hipError_tPvRmT2_T3_mT4_T5_T6_T7_T8_P12ihipStream_tbENKUlT_T0_E_clISt17integral_constantIbLb1EESY_IbLb0EEEEDaSU_SV_EUlSU_E_NS1_11comp_targetILNS1_3genE4ELNS1_11target_archE910ELNS1_3gpuE8ELNS1_3repE0EEENS1_30default_config_static_selectorELNS0_4arch9wavefront6targetE0EEEvT1_.num_named_barrier, 0
	.set _ZN7rocprim17ROCPRIM_400000_NS6detail17trampoline_kernelINS0_14default_configENS1_33run_length_encode_config_selectorIijNS0_4plusIjEEEEZZNS1_33reduce_by_key_impl_wrapped_configILNS1_25lookback_scan_determinismE0ES3_S7_PKiNS0_17constant_iteratorIjlEEPiPlSF_S6_NS0_8equal_toIiEEEE10hipError_tPvRmT2_T3_mT4_T5_T6_T7_T8_P12ihipStream_tbENKUlT_T0_E_clISt17integral_constantIbLb1EESY_IbLb0EEEEDaSU_SV_EUlSU_E_NS1_11comp_targetILNS1_3genE4ELNS1_11target_archE910ELNS1_3gpuE8ELNS1_3repE0EEENS1_30default_config_static_selectorELNS0_4arch9wavefront6targetE0EEEvT1_.private_seg_size, 0
	.set _ZN7rocprim17ROCPRIM_400000_NS6detail17trampoline_kernelINS0_14default_configENS1_33run_length_encode_config_selectorIijNS0_4plusIjEEEEZZNS1_33reduce_by_key_impl_wrapped_configILNS1_25lookback_scan_determinismE0ES3_S7_PKiNS0_17constant_iteratorIjlEEPiPlSF_S6_NS0_8equal_toIiEEEE10hipError_tPvRmT2_T3_mT4_T5_T6_T7_T8_P12ihipStream_tbENKUlT_T0_E_clISt17integral_constantIbLb1EESY_IbLb0EEEEDaSU_SV_EUlSU_E_NS1_11comp_targetILNS1_3genE4ELNS1_11target_archE910ELNS1_3gpuE8ELNS1_3repE0EEENS1_30default_config_static_selectorELNS0_4arch9wavefront6targetE0EEEvT1_.uses_vcc, 0
	.set _ZN7rocprim17ROCPRIM_400000_NS6detail17trampoline_kernelINS0_14default_configENS1_33run_length_encode_config_selectorIijNS0_4plusIjEEEEZZNS1_33reduce_by_key_impl_wrapped_configILNS1_25lookback_scan_determinismE0ES3_S7_PKiNS0_17constant_iteratorIjlEEPiPlSF_S6_NS0_8equal_toIiEEEE10hipError_tPvRmT2_T3_mT4_T5_T6_T7_T8_P12ihipStream_tbENKUlT_T0_E_clISt17integral_constantIbLb1EESY_IbLb0EEEEDaSU_SV_EUlSU_E_NS1_11comp_targetILNS1_3genE4ELNS1_11target_archE910ELNS1_3gpuE8ELNS1_3repE0EEENS1_30default_config_static_selectorELNS0_4arch9wavefront6targetE0EEEvT1_.uses_flat_scratch, 0
	.set _ZN7rocprim17ROCPRIM_400000_NS6detail17trampoline_kernelINS0_14default_configENS1_33run_length_encode_config_selectorIijNS0_4plusIjEEEEZZNS1_33reduce_by_key_impl_wrapped_configILNS1_25lookback_scan_determinismE0ES3_S7_PKiNS0_17constant_iteratorIjlEEPiPlSF_S6_NS0_8equal_toIiEEEE10hipError_tPvRmT2_T3_mT4_T5_T6_T7_T8_P12ihipStream_tbENKUlT_T0_E_clISt17integral_constantIbLb1EESY_IbLb0EEEEDaSU_SV_EUlSU_E_NS1_11comp_targetILNS1_3genE4ELNS1_11target_archE910ELNS1_3gpuE8ELNS1_3repE0EEENS1_30default_config_static_selectorELNS0_4arch9wavefront6targetE0EEEvT1_.has_dyn_sized_stack, 0
	.set _ZN7rocprim17ROCPRIM_400000_NS6detail17trampoline_kernelINS0_14default_configENS1_33run_length_encode_config_selectorIijNS0_4plusIjEEEEZZNS1_33reduce_by_key_impl_wrapped_configILNS1_25lookback_scan_determinismE0ES3_S7_PKiNS0_17constant_iteratorIjlEEPiPlSF_S6_NS0_8equal_toIiEEEE10hipError_tPvRmT2_T3_mT4_T5_T6_T7_T8_P12ihipStream_tbENKUlT_T0_E_clISt17integral_constantIbLb1EESY_IbLb0EEEEDaSU_SV_EUlSU_E_NS1_11comp_targetILNS1_3genE4ELNS1_11target_archE910ELNS1_3gpuE8ELNS1_3repE0EEENS1_30default_config_static_selectorELNS0_4arch9wavefront6targetE0EEEvT1_.has_recursion, 0
	.set _ZN7rocprim17ROCPRIM_400000_NS6detail17trampoline_kernelINS0_14default_configENS1_33run_length_encode_config_selectorIijNS0_4plusIjEEEEZZNS1_33reduce_by_key_impl_wrapped_configILNS1_25lookback_scan_determinismE0ES3_S7_PKiNS0_17constant_iteratorIjlEEPiPlSF_S6_NS0_8equal_toIiEEEE10hipError_tPvRmT2_T3_mT4_T5_T6_T7_T8_P12ihipStream_tbENKUlT_T0_E_clISt17integral_constantIbLb1EESY_IbLb0EEEEDaSU_SV_EUlSU_E_NS1_11comp_targetILNS1_3genE4ELNS1_11target_archE910ELNS1_3gpuE8ELNS1_3repE0EEENS1_30default_config_static_selectorELNS0_4arch9wavefront6targetE0EEEvT1_.has_indirect_call, 0
	.section	.AMDGPU.csdata,"",@progbits
; Kernel info:
; codeLenInByte = 0
; TotalNumSgprs: 0
; NumVgprs: 0
; ScratchSize: 0
; MemoryBound: 0
; FloatMode: 240
; IeeeMode: 1
; LDSByteSize: 0 bytes/workgroup (compile time only)
; SGPRBlocks: 0
; VGPRBlocks: 0
; NumSGPRsForWavesPerEU: 1
; NumVGPRsForWavesPerEU: 1
; NamedBarCnt: 0
; Occupancy: 16
; WaveLimiterHint : 0
; COMPUTE_PGM_RSRC2:SCRATCH_EN: 0
; COMPUTE_PGM_RSRC2:USER_SGPR: 2
; COMPUTE_PGM_RSRC2:TRAP_HANDLER: 0
; COMPUTE_PGM_RSRC2:TGID_X_EN: 1
; COMPUTE_PGM_RSRC2:TGID_Y_EN: 0
; COMPUTE_PGM_RSRC2:TGID_Z_EN: 0
; COMPUTE_PGM_RSRC2:TIDIG_COMP_CNT: 0
	.section	.text._ZN7rocprim17ROCPRIM_400000_NS6detail17trampoline_kernelINS0_14default_configENS1_33run_length_encode_config_selectorIijNS0_4plusIjEEEEZZNS1_33reduce_by_key_impl_wrapped_configILNS1_25lookback_scan_determinismE0ES3_S7_PKiNS0_17constant_iteratorIjlEEPiPlSF_S6_NS0_8equal_toIiEEEE10hipError_tPvRmT2_T3_mT4_T5_T6_T7_T8_P12ihipStream_tbENKUlT_T0_E_clISt17integral_constantIbLb1EESY_IbLb0EEEEDaSU_SV_EUlSU_E_NS1_11comp_targetILNS1_3genE3ELNS1_11target_archE908ELNS1_3gpuE7ELNS1_3repE0EEENS1_30default_config_static_selectorELNS0_4arch9wavefront6targetE0EEEvT1_,"axG",@progbits,_ZN7rocprim17ROCPRIM_400000_NS6detail17trampoline_kernelINS0_14default_configENS1_33run_length_encode_config_selectorIijNS0_4plusIjEEEEZZNS1_33reduce_by_key_impl_wrapped_configILNS1_25lookback_scan_determinismE0ES3_S7_PKiNS0_17constant_iteratorIjlEEPiPlSF_S6_NS0_8equal_toIiEEEE10hipError_tPvRmT2_T3_mT4_T5_T6_T7_T8_P12ihipStream_tbENKUlT_T0_E_clISt17integral_constantIbLb1EESY_IbLb0EEEEDaSU_SV_EUlSU_E_NS1_11comp_targetILNS1_3genE3ELNS1_11target_archE908ELNS1_3gpuE7ELNS1_3repE0EEENS1_30default_config_static_selectorELNS0_4arch9wavefront6targetE0EEEvT1_,comdat
	.protected	_ZN7rocprim17ROCPRIM_400000_NS6detail17trampoline_kernelINS0_14default_configENS1_33run_length_encode_config_selectorIijNS0_4plusIjEEEEZZNS1_33reduce_by_key_impl_wrapped_configILNS1_25lookback_scan_determinismE0ES3_S7_PKiNS0_17constant_iteratorIjlEEPiPlSF_S6_NS0_8equal_toIiEEEE10hipError_tPvRmT2_T3_mT4_T5_T6_T7_T8_P12ihipStream_tbENKUlT_T0_E_clISt17integral_constantIbLb1EESY_IbLb0EEEEDaSU_SV_EUlSU_E_NS1_11comp_targetILNS1_3genE3ELNS1_11target_archE908ELNS1_3gpuE7ELNS1_3repE0EEENS1_30default_config_static_selectorELNS0_4arch9wavefront6targetE0EEEvT1_ ; -- Begin function _ZN7rocprim17ROCPRIM_400000_NS6detail17trampoline_kernelINS0_14default_configENS1_33run_length_encode_config_selectorIijNS0_4plusIjEEEEZZNS1_33reduce_by_key_impl_wrapped_configILNS1_25lookback_scan_determinismE0ES3_S7_PKiNS0_17constant_iteratorIjlEEPiPlSF_S6_NS0_8equal_toIiEEEE10hipError_tPvRmT2_T3_mT4_T5_T6_T7_T8_P12ihipStream_tbENKUlT_T0_E_clISt17integral_constantIbLb1EESY_IbLb0EEEEDaSU_SV_EUlSU_E_NS1_11comp_targetILNS1_3genE3ELNS1_11target_archE908ELNS1_3gpuE7ELNS1_3repE0EEENS1_30default_config_static_selectorELNS0_4arch9wavefront6targetE0EEEvT1_
	.globl	_ZN7rocprim17ROCPRIM_400000_NS6detail17trampoline_kernelINS0_14default_configENS1_33run_length_encode_config_selectorIijNS0_4plusIjEEEEZZNS1_33reduce_by_key_impl_wrapped_configILNS1_25lookback_scan_determinismE0ES3_S7_PKiNS0_17constant_iteratorIjlEEPiPlSF_S6_NS0_8equal_toIiEEEE10hipError_tPvRmT2_T3_mT4_T5_T6_T7_T8_P12ihipStream_tbENKUlT_T0_E_clISt17integral_constantIbLb1EESY_IbLb0EEEEDaSU_SV_EUlSU_E_NS1_11comp_targetILNS1_3genE3ELNS1_11target_archE908ELNS1_3gpuE7ELNS1_3repE0EEENS1_30default_config_static_selectorELNS0_4arch9wavefront6targetE0EEEvT1_
	.p2align	8
	.type	_ZN7rocprim17ROCPRIM_400000_NS6detail17trampoline_kernelINS0_14default_configENS1_33run_length_encode_config_selectorIijNS0_4plusIjEEEEZZNS1_33reduce_by_key_impl_wrapped_configILNS1_25lookback_scan_determinismE0ES3_S7_PKiNS0_17constant_iteratorIjlEEPiPlSF_S6_NS0_8equal_toIiEEEE10hipError_tPvRmT2_T3_mT4_T5_T6_T7_T8_P12ihipStream_tbENKUlT_T0_E_clISt17integral_constantIbLb1EESY_IbLb0EEEEDaSU_SV_EUlSU_E_NS1_11comp_targetILNS1_3genE3ELNS1_11target_archE908ELNS1_3gpuE7ELNS1_3repE0EEENS1_30default_config_static_selectorELNS0_4arch9wavefront6targetE0EEEvT1_,@function
_ZN7rocprim17ROCPRIM_400000_NS6detail17trampoline_kernelINS0_14default_configENS1_33run_length_encode_config_selectorIijNS0_4plusIjEEEEZZNS1_33reduce_by_key_impl_wrapped_configILNS1_25lookback_scan_determinismE0ES3_S7_PKiNS0_17constant_iteratorIjlEEPiPlSF_S6_NS0_8equal_toIiEEEE10hipError_tPvRmT2_T3_mT4_T5_T6_T7_T8_P12ihipStream_tbENKUlT_T0_E_clISt17integral_constantIbLb1EESY_IbLb0EEEEDaSU_SV_EUlSU_E_NS1_11comp_targetILNS1_3genE3ELNS1_11target_archE908ELNS1_3gpuE7ELNS1_3repE0EEENS1_30default_config_static_selectorELNS0_4arch9wavefront6targetE0EEEvT1_: ; @_ZN7rocprim17ROCPRIM_400000_NS6detail17trampoline_kernelINS0_14default_configENS1_33run_length_encode_config_selectorIijNS0_4plusIjEEEEZZNS1_33reduce_by_key_impl_wrapped_configILNS1_25lookback_scan_determinismE0ES3_S7_PKiNS0_17constant_iteratorIjlEEPiPlSF_S6_NS0_8equal_toIiEEEE10hipError_tPvRmT2_T3_mT4_T5_T6_T7_T8_P12ihipStream_tbENKUlT_T0_E_clISt17integral_constantIbLb1EESY_IbLb0EEEEDaSU_SV_EUlSU_E_NS1_11comp_targetILNS1_3genE3ELNS1_11target_archE908ELNS1_3gpuE7ELNS1_3repE0EEENS1_30default_config_static_selectorELNS0_4arch9wavefront6targetE0EEEvT1_
; %bb.0:
	.section	.rodata,"a",@progbits
	.p2align	6, 0x0
	.amdhsa_kernel _ZN7rocprim17ROCPRIM_400000_NS6detail17trampoline_kernelINS0_14default_configENS1_33run_length_encode_config_selectorIijNS0_4plusIjEEEEZZNS1_33reduce_by_key_impl_wrapped_configILNS1_25lookback_scan_determinismE0ES3_S7_PKiNS0_17constant_iteratorIjlEEPiPlSF_S6_NS0_8equal_toIiEEEE10hipError_tPvRmT2_T3_mT4_T5_T6_T7_T8_P12ihipStream_tbENKUlT_T0_E_clISt17integral_constantIbLb1EESY_IbLb0EEEEDaSU_SV_EUlSU_E_NS1_11comp_targetILNS1_3genE3ELNS1_11target_archE908ELNS1_3gpuE7ELNS1_3repE0EEENS1_30default_config_static_selectorELNS0_4arch9wavefront6targetE0EEEvT1_
		.amdhsa_group_segment_fixed_size 0
		.amdhsa_private_segment_fixed_size 0
		.amdhsa_kernarg_size 128
		.amdhsa_user_sgpr_count 2
		.amdhsa_user_sgpr_dispatch_ptr 0
		.amdhsa_user_sgpr_queue_ptr 0
		.amdhsa_user_sgpr_kernarg_segment_ptr 1
		.amdhsa_user_sgpr_dispatch_id 0
		.amdhsa_user_sgpr_kernarg_preload_length 0
		.amdhsa_user_sgpr_kernarg_preload_offset 0
		.amdhsa_user_sgpr_private_segment_size 0
		.amdhsa_wavefront_size32 1
		.amdhsa_uses_dynamic_stack 0
		.amdhsa_enable_private_segment 0
		.amdhsa_system_sgpr_workgroup_id_x 1
		.amdhsa_system_sgpr_workgroup_id_y 0
		.amdhsa_system_sgpr_workgroup_id_z 0
		.amdhsa_system_sgpr_workgroup_info 0
		.amdhsa_system_vgpr_workitem_id 0
		.amdhsa_next_free_vgpr 1
		.amdhsa_next_free_sgpr 1
		.amdhsa_named_barrier_count 0
		.amdhsa_reserve_vcc 0
		.amdhsa_float_round_mode_32 0
		.amdhsa_float_round_mode_16_64 0
		.amdhsa_float_denorm_mode_32 3
		.amdhsa_float_denorm_mode_16_64 3
		.amdhsa_fp16_overflow 0
		.amdhsa_memory_ordered 1
		.amdhsa_forward_progress 1
		.amdhsa_inst_pref_size 0
		.amdhsa_round_robin_scheduling 0
		.amdhsa_exception_fp_ieee_invalid_op 0
		.amdhsa_exception_fp_denorm_src 0
		.amdhsa_exception_fp_ieee_div_zero 0
		.amdhsa_exception_fp_ieee_overflow 0
		.amdhsa_exception_fp_ieee_underflow 0
		.amdhsa_exception_fp_ieee_inexact 0
		.amdhsa_exception_int_div_zero 0
	.end_amdhsa_kernel
	.section	.text._ZN7rocprim17ROCPRIM_400000_NS6detail17trampoline_kernelINS0_14default_configENS1_33run_length_encode_config_selectorIijNS0_4plusIjEEEEZZNS1_33reduce_by_key_impl_wrapped_configILNS1_25lookback_scan_determinismE0ES3_S7_PKiNS0_17constant_iteratorIjlEEPiPlSF_S6_NS0_8equal_toIiEEEE10hipError_tPvRmT2_T3_mT4_T5_T6_T7_T8_P12ihipStream_tbENKUlT_T0_E_clISt17integral_constantIbLb1EESY_IbLb0EEEEDaSU_SV_EUlSU_E_NS1_11comp_targetILNS1_3genE3ELNS1_11target_archE908ELNS1_3gpuE7ELNS1_3repE0EEENS1_30default_config_static_selectorELNS0_4arch9wavefront6targetE0EEEvT1_,"axG",@progbits,_ZN7rocprim17ROCPRIM_400000_NS6detail17trampoline_kernelINS0_14default_configENS1_33run_length_encode_config_selectorIijNS0_4plusIjEEEEZZNS1_33reduce_by_key_impl_wrapped_configILNS1_25lookback_scan_determinismE0ES3_S7_PKiNS0_17constant_iteratorIjlEEPiPlSF_S6_NS0_8equal_toIiEEEE10hipError_tPvRmT2_T3_mT4_T5_T6_T7_T8_P12ihipStream_tbENKUlT_T0_E_clISt17integral_constantIbLb1EESY_IbLb0EEEEDaSU_SV_EUlSU_E_NS1_11comp_targetILNS1_3genE3ELNS1_11target_archE908ELNS1_3gpuE7ELNS1_3repE0EEENS1_30default_config_static_selectorELNS0_4arch9wavefront6targetE0EEEvT1_,comdat
.Lfunc_end463:
	.size	_ZN7rocprim17ROCPRIM_400000_NS6detail17trampoline_kernelINS0_14default_configENS1_33run_length_encode_config_selectorIijNS0_4plusIjEEEEZZNS1_33reduce_by_key_impl_wrapped_configILNS1_25lookback_scan_determinismE0ES3_S7_PKiNS0_17constant_iteratorIjlEEPiPlSF_S6_NS0_8equal_toIiEEEE10hipError_tPvRmT2_T3_mT4_T5_T6_T7_T8_P12ihipStream_tbENKUlT_T0_E_clISt17integral_constantIbLb1EESY_IbLb0EEEEDaSU_SV_EUlSU_E_NS1_11comp_targetILNS1_3genE3ELNS1_11target_archE908ELNS1_3gpuE7ELNS1_3repE0EEENS1_30default_config_static_selectorELNS0_4arch9wavefront6targetE0EEEvT1_, .Lfunc_end463-_ZN7rocprim17ROCPRIM_400000_NS6detail17trampoline_kernelINS0_14default_configENS1_33run_length_encode_config_selectorIijNS0_4plusIjEEEEZZNS1_33reduce_by_key_impl_wrapped_configILNS1_25lookback_scan_determinismE0ES3_S7_PKiNS0_17constant_iteratorIjlEEPiPlSF_S6_NS0_8equal_toIiEEEE10hipError_tPvRmT2_T3_mT4_T5_T6_T7_T8_P12ihipStream_tbENKUlT_T0_E_clISt17integral_constantIbLb1EESY_IbLb0EEEEDaSU_SV_EUlSU_E_NS1_11comp_targetILNS1_3genE3ELNS1_11target_archE908ELNS1_3gpuE7ELNS1_3repE0EEENS1_30default_config_static_selectorELNS0_4arch9wavefront6targetE0EEEvT1_
                                        ; -- End function
	.set _ZN7rocprim17ROCPRIM_400000_NS6detail17trampoline_kernelINS0_14default_configENS1_33run_length_encode_config_selectorIijNS0_4plusIjEEEEZZNS1_33reduce_by_key_impl_wrapped_configILNS1_25lookback_scan_determinismE0ES3_S7_PKiNS0_17constant_iteratorIjlEEPiPlSF_S6_NS0_8equal_toIiEEEE10hipError_tPvRmT2_T3_mT4_T5_T6_T7_T8_P12ihipStream_tbENKUlT_T0_E_clISt17integral_constantIbLb1EESY_IbLb0EEEEDaSU_SV_EUlSU_E_NS1_11comp_targetILNS1_3genE3ELNS1_11target_archE908ELNS1_3gpuE7ELNS1_3repE0EEENS1_30default_config_static_selectorELNS0_4arch9wavefront6targetE0EEEvT1_.num_vgpr, 0
	.set _ZN7rocprim17ROCPRIM_400000_NS6detail17trampoline_kernelINS0_14default_configENS1_33run_length_encode_config_selectorIijNS0_4plusIjEEEEZZNS1_33reduce_by_key_impl_wrapped_configILNS1_25lookback_scan_determinismE0ES3_S7_PKiNS0_17constant_iteratorIjlEEPiPlSF_S6_NS0_8equal_toIiEEEE10hipError_tPvRmT2_T3_mT4_T5_T6_T7_T8_P12ihipStream_tbENKUlT_T0_E_clISt17integral_constantIbLb1EESY_IbLb0EEEEDaSU_SV_EUlSU_E_NS1_11comp_targetILNS1_3genE3ELNS1_11target_archE908ELNS1_3gpuE7ELNS1_3repE0EEENS1_30default_config_static_selectorELNS0_4arch9wavefront6targetE0EEEvT1_.num_agpr, 0
	.set _ZN7rocprim17ROCPRIM_400000_NS6detail17trampoline_kernelINS0_14default_configENS1_33run_length_encode_config_selectorIijNS0_4plusIjEEEEZZNS1_33reduce_by_key_impl_wrapped_configILNS1_25lookback_scan_determinismE0ES3_S7_PKiNS0_17constant_iteratorIjlEEPiPlSF_S6_NS0_8equal_toIiEEEE10hipError_tPvRmT2_T3_mT4_T5_T6_T7_T8_P12ihipStream_tbENKUlT_T0_E_clISt17integral_constantIbLb1EESY_IbLb0EEEEDaSU_SV_EUlSU_E_NS1_11comp_targetILNS1_3genE3ELNS1_11target_archE908ELNS1_3gpuE7ELNS1_3repE0EEENS1_30default_config_static_selectorELNS0_4arch9wavefront6targetE0EEEvT1_.numbered_sgpr, 0
	.set _ZN7rocprim17ROCPRIM_400000_NS6detail17trampoline_kernelINS0_14default_configENS1_33run_length_encode_config_selectorIijNS0_4plusIjEEEEZZNS1_33reduce_by_key_impl_wrapped_configILNS1_25lookback_scan_determinismE0ES3_S7_PKiNS0_17constant_iteratorIjlEEPiPlSF_S6_NS0_8equal_toIiEEEE10hipError_tPvRmT2_T3_mT4_T5_T6_T7_T8_P12ihipStream_tbENKUlT_T0_E_clISt17integral_constantIbLb1EESY_IbLb0EEEEDaSU_SV_EUlSU_E_NS1_11comp_targetILNS1_3genE3ELNS1_11target_archE908ELNS1_3gpuE7ELNS1_3repE0EEENS1_30default_config_static_selectorELNS0_4arch9wavefront6targetE0EEEvT1_.num_named_barrier, 0
	.set _ZN7rocprim17ROCPRIM_400000_NS6detail17trampoline_kernelINS0_14default_configENS1_33run_length_encode_config_selectorIijNS0_4plusIjEEEEZZNS1_33reduce_by_key_impl_wrapped_configILNS1_25lookback_scan_determinismE0ES3_S7_PKiNS0_17constant_iteratorIjlEEPiPlSF_S6_NS0_8equal_toIiEEEE10hipError_tPvRmT2_T3_mT4_T5_T6_T7_T8_P12ihipStream_tbENKUlT_T0_E_clISt17integral_constantIbLb1EESY_IbLb0EEEEDaSU_SV_EUlSU_E_NS1_11comp_targetILNS1_3genE3ELNS1_11target_archE908ELNS1_3gpuE7ELNS1_3repE0EEENS1_30default_config_static_selectorELNS0_4arch9wavefront6targetE0EEEvT1_.private_seg_size, 0
	.set _ZN7rocprim17ROCPRIM_400000_NS6detail17trampoline_kernelINS0_14default_configENS1_33run_length_encode_config_selectorIijNS0_4plusIjEEEEZZNS1_33reduce_by_key_impl_wrapped_configILNS1_25lookback_scan_determinismE0ES3_S7_PKiNS0_17constant_iteratorIjlEEPiPlSF_S6_NS0_8equal_toIiEEEE10hipError_tPvRmT2_T3_mT4_T5_T6_T7_T8_P12ihipStream_tbENKUlT_T0_E_clISt17integral_constantIbLb1EESY_IbLb0EEEEDaSU_SV_EUlSU_E_NS1_11comp_targetILNS1_3genE3ELNS1_11target_archE908ELNS1_3gpuE7ELNS1_3repE0EEENS1_30default_config_static_selectorELNS0_4arch9wavefront6targetE0EEEvT1_.uses_vcc, 0
	.set _ZN7rocprim17ROCPRIM_400000_NS6detail17trampoline_kernelINS0_14default_configENS1_33run_length_encode_config_selectorIijNS0_4plusIjEEEEZZNS1_33reduce_by_key_impl_wrapped_configILNS1_25lookback_scan_determinismE0ES3_S7_PKiNS0_17constant_iteratorIjlEEPiPlSF_S6_NS0_8equal_toIiEEEE10hipError_tPvRmT2_T3_mT4_T5_T6_T7_T8_P12ihipStream_tbENKUlT_T0_E_clISt17integral_constantIbLb1EESY_IbLb0EEEEDaSU_SV_EUlSU_E_NS1_11comp_targetILNS1_3genE3ELNS1_11target_archE908ELNS1_3gpuE7ELNS1_3repE0EEENS1_30default_config_static_selectorELNS0_4arch9wavefront6targetE0EEEvT1_.uses_flat_scratch, 0
	.set _ZN7rocprim17ROCPRIM_400000_NS6detail17trampoline_kernelINS0_14default_configENS1_33run_length_encode_config_selectorIijNS0_4plusIjEEEEZZNS1_33reduce_by_key_impl_wrapped_configILNS1_25lookback_scan_determinismE0ES3_S7_PKiNS0_17constant_iteratorIjlEEPiPlSF_S6_NS0_8equal_toIiEEEE10hipError_tPvRmT2_T3_mT4_T5_T6_T7_T8_P12ihipStream_tbENKUlT_T0_E_clISt17integral_constantIbLb1EESY_IbLb0EEEEDaSU_SV_EUlSU_E_NS1_11comp_targetILNS1_3genE3ELNS1_11target_archE908ELNS1_3gpuE7ELNS1_3repE0EEENS1_30default_config_static_selectorELNS0_4arch9wavefront6targetE0EEEvT1_.has_dyn_sized_stack, 0
	.set _ZN7rocprim17ROCPRIM_400000_NS6detail17trampoline_kernelINS0_14default_configENS1_33run_length_encode_config_selectorIijNS0_4plusIjEEEEZZNS1_33reduce_by_key_impl_wrapped_configILNS1_25lookback_scan_determinismE0ES3_S7_PKiNS0_17constant_iteratorIjlEEPiPlSF_S6_NS0_8equal_toIiEEEE10hipError_tPvRmT2_T3_mT4_T5_T6_T7_T8_P12ihipStream_tbENKUlT_T0_E_clISt17integral_constantIbLb1EESY_IbLb0EEEEDaSU_SV_EUlSU_E_NS1_11comp_targetILNS1_3genE3ELNS1_11target_archE908ELNS1_3gpuE7ELNS1_3repE0EEENS1_30default_config_static_selectorELNS0_4arch9wavefront6targetE0EEEvT1_.has_recursion, 0
	.set _ZN7rocprim17ROCPRIM_400000_NS6detail17trampoline_kernelINS0_14default_configENS1_33run_length_encode_config_selectorIijNS0_4plusIjEEEEZZNS1_33reduce_by_key_impl_wrapped_configILNS1_25lookback_scan_determinismE0ES3_S7_PKiNS0_17constant_iteratorIjlEEPiPlSF_S6_NS0_8equal_toIiEEEE10hipError_tPvRmT2_T3_mT4_T5_T6_T7_T8_P12ihipStream_tbENKUlT_T0_E_clISt17integral_constantIbLb1EESY_IbLb0EEEEDaSU_SV_EUlSU_E_NS1_11comp_targetILNS1_3genE3ELNS1_11target_archE908ELNS1_3gpuE7ELNS1_3repE0EEENS1_30default_config_static_selectorELNS0_4arch9wavefront6targetE0EEEvT1_.has_indirect_call, 0
	.section	.AMDGPU.csdata,"",@progbits
; Kernel info:
; codeLenInByte = 0
; TotalNumSgprs: 0
; NumVgprs: 0
; ScratchSize: 0
; MemoryBound: 0
; FloatMode: 240
; IeeeMode: 1
; LDSByteSize: 0 bytes/workgroup (compile time only)
; SGPRBlocks: 0
; VGPRBlocks: 0
; NumSGPRsForWavesPerEU: 1
; NumVGPRsForWavesPerEU: 1
; NamedBarCnt: 0
; Occupancy: 16
; WaveLimiterHint : 0
; COMPUTE_PGM_RSRC2:SCRATCH_EN: 0
; COMPUTE_PGM_RSRC2:USER_SGPR: 2
; COMPUTE_PGM_RSRC2:TRAP_HANDLER: 0
; COMPUTE_PGM_RSRC2:TGID_X_EN: 1
; COMPUTE_PGM_RSRC2:TGID_Y_EN: 0
; COMPUTE_PGM_RSRC2:TGID_Z_EN: 0
; COMPUTE_PGM_RSRC2:TIDIG_COMP_CNT: 0
	.section	.text._ZN7rocprim17ROCPRIM_400000_NS6detail17trampoline_kernelINS0_14default_configENS1_33run_length_encode_config_selectorIijNS0_4plusIjEEEEZZNS1_33reduce_by_key_impl_wrapped_configILNS1_25lookback_scan_determinismE0ES3_S7_PKiNS0_17constant_iteratorIjlEEPiPlSF_S6_NS0_8equal_toIiEEEE10hipError_tPvRmT2_T3_mT4_T5_T6_T7_T8_P12ihipStream_tbENKUlT_T0_E_clISt17integral_constantIbLb1EESY_IbLb0EEEEDaSU_SV_EUlSU_E_NS1_11comp_targetILNS1_3genE2ELNS1_11target_archE906ELNS1_3gpuE6ELNS1_3repE0EEENS1_30default_config_static_selectorELNS0_4arch9wavefront6targetE0EEEvT1_,"axG",@progbits,_ZN7rocprim17ROCPRIM_400000_NS6detail17trampoline_kernelINS0_14default_configENS1_33run_length_encode_config_selectorIijNS0_4plusIjEEEEZZNS1_33reduce_by_key_impl_wrapped_configILNS1_25lookback_scan_determinismE0ES3_S7_PKiNS0_17constant_iteratorIjlEEPiPlSF_S6_NS0_8equal_toIiEEEE10hipError_tPvRmT2_T3_mT4_T5_T6_T7_T8_P12ihipStream_tbENKUlT_T0_E_clISt17integral_constantIbLb1EESY_IbLb0EEEEDaSU_SV_EUlSU_E_NS1_11comp_targetILNS1_3genE2ELNS1_11target_archE906ELNS1_3gpuE6ELNS1_3repE0EEENS1_30default_config_static_selectorELNS0_4arch9wavefront6targetE0EEEvT1_,comdat
	.protected	_ZN7rocprim17ROCPRIM_400000_NS6detail17trampoline_kernelINS0_14default_configENS1_33run_length_encode_config_selectorIijNS0_4plusIjEEEEZZNS1_33reduce_by_key_impl_wrapped_configILNS1_25lookback_scan_determinismE0ES3_S7_PKiNS0_17constant_iteratorIjlEEPiPlSF_S6_NS0_8equal_toIiEEEE10hipError_tPvRmT2_T3_mT4_T5_T6_T7_T8_P12ihipStream_tbENKUlT_T0_E_clISt17integral_constantIbLb1EESY_IbLb0EEEEDaSU_SV_EUlSU_E_NS1_11comp_targetILNS1_3genE2ELNS1_11target_archE906ELNS1_3gpuE6ELNS1_3repE0EEENS1_30default_config_static_selectorELNS0_4arch9wavefront6targetE0EEEvT1_ ; -- Begin function _ZN7rocprim17ROCPRIM_400000_NS6detail17trampoline_kernelINS0_14default_configENS1_33run_length_encode_config_selectorIijNS0_4plusIjEEEEZZNS1_33reduce_by_key_impl_wrapped_configILNS1_25lookback_scan_determinismE0ES3_S7_PKiNS0_17constant_iteratorIjlEEPiPlSF_S6_NS0_8equal_toIiEEEE10hipError_tPvRmT2_T3_mT4_T5_T6_T7_T8_P12ihipStream_tbENKUlT_T0_E_clISt17integral_constantIbLb1EESY_IbLb0EEEEDaSU_SV_EUlSU_E_NS1_11comp_targetILNS1_3genE2ELNS1_11target_archE906ELNS1_3gpuE6ELNS1_3repE0EEENS1_30default_config_static_selectorELNS0_4arch9wavefront6targetE0EEEvT1_
	.globl	_ZN7rocprim17ROCPRIM_400000_NS6detail17trampoline_kernelINS0_14default_configENS1_33run_length_encode_config_selectorIijNS0_4plusIjEEEEZZNS1_33reduce_by_key_impl_wrapped_configILNS1_25lookback_scan_determinismE0ES3_S7_PKiNS0_17constant_iteratorIjlEEPiPlSF_S6_NS0_8equal_toIiEEEE10hipError_tPvRmT2_T3_mT4_T5_T6_T7_T8_P12ihipStream_tbENKUlT_T0_E_clISt17integral_constantIbLb1EESY_IbLb0EEEEDaSU_SV_EUlSU_E_NS1_11comp_targetILNS1_3genE2ELNS1_11target_archE906ELNS1_3gpuE6ELNS1_3repE0EEENS1_30default_config_static_selectorELNS0_4arch9wavefront6targetE0EEEvT1_
	.p2align	8
	.type	_ZN7rocprim17ROCPRIM_400000_NS6detail17trampoline_kernelINS0_14default_configENS1_33run_length_encode_config_selectorIijNS0_4plusIjEEEEZZNS1_33reduce_by_key_impl_wrapped_configILNS1_25lookback_scan_determinismE0ES3_S7_PKiNS0_17constant_iteratorIjlEEPiPlSF_S6_NS0_8equal_toIiEEEE10hipError_tPvRmT2_T3_mT4_T5_T6_T7_T8_P12ihipStream_tbENKUlT_T0_E_clISt17integral_constantIbLb1EESY_IbLb0EEEEDaSU_SV_EUlSU_E_NS1_11comp_targetILNS1_3genE2ELNS1_11target_archE906ELNS1_3gpuE6ELNS1_3repE0EEENS1_30default_config_static_selectorELNS0_4arch9wavefront6targetE0EEEvT1_,@function
_ZN7rocprim17ROCPRIM_400000_NS6detail17trampoline_kernelINS0_14default_configENS1_33run_length_encode_config_selectorIijNS0_4plusIjEEEEZZNS1_33reduce_by_key_impl_wrapped_configILNS1_25lookback_scan_determinismE0ES3_S7_PKiNS0_17constant_iteratorIjlEEPiPlSF_S6_NS0_8equal_toIiEEEE10hipError_tPvRmT2_T3_mT4_T5_T6_T7_T8_P12ihipStream_tbENKUlT_T0_E_clISt17integral_constantIbLb1EESY_IbLb0EEEEDaSU_SV_EUlSU_E_NS1_11comp_targetILNS1_3genE2ELNS1_11target_archE906ELNS1_3gpuE6ELNS1_3repE0EEENS1_30default_config_static_selectorELNS0_4arch9wavefront6targetE0EEEvT1_: ; @_ZN7rocprim17ROCPRIM_400000_NS6detail17trampoline_kernelINS0_14default_configENS1_33run_length_encode_config_selectorIijNS0_4plusIjEEEEZZNS1_33reduce_by_key_impl_wrapped_configILNS1_25lookback_scan_determinismE0ES3_S7_PKiNS0_17constant_iteratorIjlEEPiPlSF_S6_NS0_8equal_toIiEEEE10hipError_tPvRmT2_T3_mT4_T5_T6_T7_T8_P12ihipStream_tbENKUlT_T0_E_clISt17integral_constantIbLb1EESY_IbLb0EEEEDaSU_SV_EUlSU_E_NS1_11comp_targetILNS1_3genE2ELNS1_11target_archE906ELNS1_3gpuE6ELNS1_3repE0EEENS1_30default_config_static_selectorELNS0_4arch9wavefront6targetE0EEEvT1_
; %bb.0:
	.section	.rodata,"a",@progbits
	.p2align	6, 0x0
	.amdhsa_kernel _ZN7rocprim17ROCPRIM_400000_NS6detail17trampoline_kernelINS0_14default_configENS1_33run_length_encode_config_selectorIijNS0_4plusIjEEEEZZNS1_33reduce_by_key_impl_wrapped_configILNS1_25lookback_scan_determinismE0ES3_S7_PKiNS0_17constant_iteratorIjlEEPiPlSF_S6_NS0_8equal_toIiEEEE10hipError_tPvRmT2_T3_mT4_T5_T6_T7_T8_P12ihipStream_tbENKUlT_T0_E_clISt17integral_constantIbLb1EESY_IbLb0EEEEDaSU_SV_EUlSU_E_NS1_11comp_targetILNS1_3genE2ELNS1_11target_archE906ELNS1_3gpuE6ELNS1_3repE0EEENS1_30default_config_static_selectorELNS0_4arch9wavefront6targetE0EEEvT1_
		.amdhsa_group_segment_fixed_size 0
		.amdhsa_private_segment_fixed_size 0
		.amdhsa_kernarg_size 128
		.amdhsa_user_sgpr_count 2
		.amdhsa_user_sgpr_dispatch_ptr 0
		.amdhsa_user_sgpr_queue_ptr 0
		.amdhsa_user_sgpr_kernarg_segment_ptr 1
		.amdhsa_user_sgpr_dispatch_id 0
		.amdhsa_user_sgpr_kernarg_preload_length 0
		.amdhsa_user_sgpr_kernarg_preload_offset 0
		.amdhsa_user_sgpr_private_segment_size 0
		.amdhsa_wavefront_size32 1
		.amdhsa_uses_dynamic_stack 0
		.amdhsa_enable_private_segment 0
		.amdhsa_system_sgpr_workgroup_id_x 1
		.amdhsa_system_sgpr_workgroup_id_y 0
		.amdhsa_system_sgpr_workgroup_id_z 0
		.amdhsa_system_sgpr_workgroup_info 0
		.amdhsa_system_vgpr_workitem_id 0
		.amdhsa_next_free_vgpr 1
		.amdhsa_next_free_sgpr 1
		.amdhsa_named_barrier_count 0
		.amdhsa_reserve_vcc 0
		.amdhsa_float_round_mode_32 0
		.amdhsa_float_round_mode_16_64 0
		.amdhsa_float_denorm_mode_32 3
		.amdhsa_float_denorm_mode_16_64 3
		.amdhsa_fp16_overflow 0
		.amdhsa_memory_ordered 1
		.amdhsa_forward_progress 1
		.amdhsa_inst_pref_size 0
		.amdhsa_round_robin_scheduling 0
		.amdhsa_exception_fp_ieee_invalid_op 0
		.amdhsa_exception_fp_denorm_src 0
		.amdhsa_exception_fp_ieee_div_zero 0
		.amdhsa_exception_fp_ieee_overflow 0
		.amdhsa_exception_fp_ieee_underflow 0
		.amdhsa_exception_fp_ieee_inexact 0
		.amdhsa_exception_int_div_zero 0
	.end_amdhsa_kernel
	.section	.text._ZN7rocprim17ROCPRIM_400000_NS6detail17trampoline_kernelINS0_14default_configENS1_33run_length_encode_config_selectorIijNS0_4plusIjEEEEZZNS1_33reduce_by_key_impl_wrapped_configILNS1_25lookback_scan_determinismE0ES3_S7_PKiNS0_17constant_iteratorIjlEEPiPlSF_S6_NS0_8equal_toIiEEEE10hipError_tPvRmT2_T3_mT4_T5_T6_T7_T8_P12ihipStream_tbENKUlT_T0_E_clISt17integral_constantIbLb1EESY_IbLb0EEEEDaSU_SV_EUlSU_E_NS1_11comp_targetILNS1_3genE2ELNS1_11target_archE906ELNS1_3gpuE6ELNS1_3repE0EEENS1_30default_config_static_selectorELNS0_4arch9wavefront6targetE0EEEvT1_,"axG",@progbits,_ZN7rocprim17ROCPRIM_400000_NS6detail17trampoline_kernelINS0_14default_configENS1_33run_length_encode_config_selectorIijNS0_4plusIjEEEEZZNS1_33reduce_by_key_impl_wrapped_configILNS1_25lookback_scan_determinismE0ES3_S7_PKiNS0_17constant_iteratorIjlEEPiPlSF_S6_NS0_8equal_toIiEEEE10hipError_tPvRmT2_T3_mT4_T5_T6_T7_T8_P12ihipStream_tbENKUlT_T0_E_clISt17integral_constantIbLb1EESY_IbLb0EEEEDaSU_SV_EUlSU_E_NS1_11comp_targetILNS1_3genE2ELNS1_11target_archE906ELNS1_3gpuE6ELNS1_3repE0EEENS1_30default_config_static_selectorELNS0_4arch9wavefront6targetE0EEEvT1_,comdat
.Lfunc_end464:
	.size	_ZN7rocprim17ROCPRIM_400000_NS6detail17trampoline_kernelINS0_14default_configENS1_33run_length_encode_config_selectorIijNS0_4plusIjEEEEZZNS1_33reduce_by_key_impl_wrapped_configILNS1_25lookback_scan_determinismE0ES3_S7_PKiNS0_17constant_iteratorIjlEEPiPlSF_S6_NS0_8equal_toIiEEEE10hipError_tPvRmT2_T3_mT4_T5_T6_T7_T8_P12ihipStream_tbENKUlT_T0_E_clISt17integral_constantIbLb1EESY_IbLb0EEEEDaSU_SV_EUlSU_E_NS1_11comp_targetILNS1_3genE2ELNS1_11target_archE906ELNS1_3gpuE6ELNS1_3repE0EEENS1_30default_config_static_selectorELNS0_4arch9wavefront6targetE0EEEvT1_, .Lfunc_end464-_ZN7rocprim17ROCPRIM_400000_NS6detail17trampoline_kernelINS0_14default_configENS1_33run_length_encode_config_selectorIijNS0_4plusIjEEEEZZNS1_33reduce_by_key_impl_wrapped_configILNS1_25lookback_scan_determinismE0ES3_S7_PKiNS0_17constant_iteratorIjlEEPiPlSF_S6_NS0_8equal_toIiEEEE10hipError_tPvRmT2_T3_mT4_T5_T6_T7_T8_P12ihipStream_tbENKUlT_T0_E_clISt17integral_constantIbLb1EESY_IbLb0EEEEDaSU_SV_EUlSU_E_NS1_11comp_targetILNS1_3genE2ELNS1_11target_archE906ELNS1_3gpuE6ELNS1_3repE0EEENS1_30default_config_static_selectorELNS0_4arch9wavefront6targetE0EEEvT1_
                                        ; -- End function
	.set _ZN7rocprim17ROCPRIM_400000_NS6detail17trampoline_kernelINS0_14default_configENS1_33run_length_encode_config_selectorIijNS0_4plusIjEEEEZZNS1_33reduce_by_key_impl_wrapped_configILNS1_25lookback_scan_determinismE0ES3_S7_PKiNS0_17constant_iteratorIjlEEPiPlSF_S6_NS0_8equal_toIiEEEE10hipError_tPvRmT2_T3_mT4_T5_T6_T7_T8_P12ihipStream_tbENKUlT_T0_E_clISt17integral_constantIbLb1EESY_IbLb0EEEEDaSU_SV_EUlSU_E_NS1_11comp_targetILNS1_3genE2ELNS1_11target_archE906ELNS1_3gpuE6ELNS1_3repE0EEENS1_30default_config_static_selectorELNS0_4arch9wavefront6targetE0EEEvT1_.num_vgpr, 0
	.set _ZN7rocprim17ROCPRIM_400000_NS6detail17trampoline_kernelINS0_14default_configENS1_33run_length_encode_config_selectorIijNS0_4plusIjEEEEZZNS1_33reduce_by_key_impl_wrapped_configILNS1_25lookback_scan_determinismE0ES3_S7_PKiNS0_17constant_iteratorIjlEEPiPlSF_S6_NS0_8equal_toIiEEEE10hipError_tPvRmT2_T3_mT4_T5_T6_T7_T8_P12ihipStream_tbENKUlT_T0_E_clISt17integral_constantIbLb1EESY_IbLb0EEEEDaSU_SV_EUlSU_E_NS1_11comp_targetILNS1_3genE2ELNS1_11target_archE906ELNS1_3gpuE6ELNS1_3repE0EEENS1_30default_config_static_selectorELNS0_4arch9wavefront6targetE0EEEvT1_.num_agpr, 0
	.set _ZN7rocprim17ROCPRIM_400000_NS6detail17trampoline_kernelINS0_14default_configENS1_33run_length_encode_config_selectorIijNS0_4plusIjEEEEZZNS1_33reduce_by_key_impl_wrapped_configILNS1_25lookback_scan_determinismE0ES3_S7_PKiNS0_17constant_iteratorIjlEEPiPlSF_S6_NS0_8equal_toIiEEEE10hipError_tPvRmT2_T3_mT4_T5_T6_T7_T8_P12ihipStream_tbENKUlT_T0_E_clISt17integral_constantIbLb1EESY_IbLb0EEEEDaSU_SV_EUlSU_E_NS1_11comp_targetILNS1_3genE2ELNS1_11target_archE906ELNS1_3gpuE6ELNS1_3repE0EEENS1_30default_config_static_selectorELNS0_4arch9wavefront6targetE0EEEvT1_.numbered_sgpr, 0
	.set _ZN7rocprim17ROCPRIM_400000_NS6detail17trampoline_kernelINS0_14default_configENS1_33run_length_encode_config_selectorIijNS0_4plusIjEEEEZZNS1_33reduce_by_key_impl_wrapped_configILNS1_25lookback_scan_determinismE0ES3_S7_PKiNS0_17constant_iteratorIjlEEPiPlSF_S6_NS0_8equal_toIiEEEE10hipError_tPvRmT2_T3_mT4_T5_T6_T7_T8_P12ihipStream_tbENKUlT_T0_E_clISt17integral_constantIbLb1EESY_IbLb0EEEEDaSU_SV_EUlSU_E_NS1_11comp_targetILNS1_3genE2ELNS1_11target_archE906ELNS1_3gpuE6ELNS1_3repE0EEENS1_30default_config_static_selectorELNS0_4arch9wavefront6targetE0EEEvT1_.num_named_barrier, 0
	.set _ZN7rocprim17ROCPRIM_400000_NS6detail17trampoline_kernelINS0_14default_configENS1_33run_length_encode_config_selectorIijNS0_4plusIjEEEEZZNS1_33reduce_by_key_impl_wrapped_configILNS1_25lookback_scan_determinismE0ES3_S7_PKiNS0_17constant_iteratorIjlEEPiPlSF_S6_NS0_8equal_toIiEEEE10hipError_tPvRmT2_T3_mT4_T5_T6_T7_T8_P12ihipStream_tbENKUlT_T0_E_clISt17integral_constantIbLb1EESY_IbLb0EEEEDaSU_SV_EUlSU_E_NS1_11comp_targetILNS1_3genE2ELNS1_11target_archE906ELNS1_3gpuE6ELNS1_3repE0EEENS1_30default_config_static_selectorELNS0_4arch9wavefront6targetE0EEEvT1_.private_seg_size, 0
	.set _ZN7rocprim17ROCPRIM_400000_NS6detail17trampoline_kernelINS0_14default_configENS1_33run_length_encode_config_selectorIijNS0_4plusIjEEEEZZNS1_33reduce_by_key_impl_wrapped_configILNS1_25lookback_scan_determinismE0ES3_S7_PKiNS0_17constant_iteratorIjlEEPiPlSF_S6_NS0_8equal_toIiEEEE10hipError_tPvRmT2_T3_mT4_T5_T6_T7_T8_P12ihipStream_tbENKUlT_T0_E_clISt17integral_constantIbLb1EESY_IbLb0EEEEDaSU_SV_EUlSU_E_NS1_11comp_targetILNS1_3genE2ELNS1_11target_archE906ELNS1_3gpuE6ELNS1_3repE0EEENS1_30default_config_static_selectorELNS0_4arch9wavefront6targetE0EEEvT1_.uses_vcc, 0
	.set _ZN7rocprim17ROCPRIM_400000_NS6detail17trampoline_kernelINS0_14default_configENS1_33run_length_encode_config_selectorIijNS0_4plusIjEEEEZZNS1_33reduce_by_key_impl_wrapped_configILNS1_25lookback_scan_determinismE0ES3_S7_PKiNS0_17constant_iteratorIjlEEPiPlSF_S6_NS0_8equal_toIiEEEE10hipError_tPvRmT2_T3_mT4_T5_T6_T7_T8_P12ihipStream_tbENKUlT_T0_E_clISt17integral_constantIbLb1EESY_IbLb0EEEEDaSU_SV_EUlSU_E_NS1_11comp_targetILNS1_3genE2ELNS1_11target_archE906ELNS1_3gpuE6ELNS1_3repE0EEENS1_30default_config_static_selectorELNS0_4arch9wavefront6targetE0EEEvT1_.uses_flat_scratch, 0
	.set _ZN7rocprim17ROCPRIM_400000_NS6detail17trampoline_kernelINS0_14default_configENS1_33run_length_encode_config_selectorIijNS0_4plusIjEEEEZZNS1_33reduce_by_key_impl_wrapped_configILNS1_25lookback_scan_determinismE0ES3_S7_PKiNS0_17constant_iteratorIjlEEPiPlSF_S6_NS0_8equal_toIiEEEE10hipError_tPvRmT2_T3_mT4_T5_T6_T7_T8_P12ihipStream_tbENKUlT_T0_E_clISt17integral_constantIbLb1EESY_IbLb0EEEEDaSU_SV_EUlSU_E_NS1_11comp_targetILNS1_3genE2ELNS1_11target_archE906ELNS1_3gpuE6ELNS1_3repE0EEENS1_30default_config_static_selectorELNS0_4arch9wavefront6targetE0EEEvT1_.has_dyn_sized_stack, 0
	.set _ZN7rocprim17ROCPRIM_400000_NS6detail17trampoline_kernelINS0_14default_configENS1_33run_length_encode_config_selectorIijNS0_4plusIjEEEEZZNS1_33reduce_by_key_impl_wrapped_configILNS1_25lookback_scan_determinismE0ES3_S7_PKiNS0_17constant_iteratorIjlEEPiPlSF_S6_NS0_8equal_toIiEEEE10hipError_tPvRmT2_T3_mT4_T5_T6_T7_T8_P12ihipStream_tbENKUlT_T0_E_clISt17integral_constantIbLb1EESY_IbLb0EEEEDaSU_SV_EUlSU_E_NS1_11comp_targetILNS1_3genE2ELNS1_11target_archE906ELNS1_3gpuE6ELNS1_3repE0EEENS1_30default_config_static_selectorELNS0_4arch9wavefront6targetE0EEEvT1_.has_recursion, 0
	.set _ZN7rocprim17ROCPRIM_400000_NS6detail17trampoline_kernelINS0_14default_configENS1_33run_length_encode_config_selectorIijNS0_4plusIjEEEEZZNS1_33reduce_by_key_impl_wrapped_configILNS1_25lookback_scan_determinismE0ES3_S7_PKiNS0_17constant_iteratorIjlEEPiPlSF_S6_NS0_8equal_toIiEEEE10hipError_tPvRmT2_T3_mT4_T5_T6_T7_T8_P12ihipStream_tbENKUlT_T0_E_clISt17integral_constantIbLb1EESY_IbLb0EEEEDaSU_SV_EUlSU_E_NS1_11comp_targetILNS1_3genE2ELNS1_11target_archE906ELNS1_3gpuE6ELNS1_3repE0EEENS1_30default_config_static_selectorELNS0_4arch9wavefront6targetE0EEEvT1_.has_indirect_call, 0
	.section	.AMDGPU.csdata,"",@progbits
; Kernel info:
; codeLenInByte = 0
; TotalNumSgprs: 0
; NumVgprs: 0
; ScratchSize: 0
; MemoryBound: 0
; FloatMode: 240
; IeeeMode: 1
; LDSByteSize: 0 bytes/workgroup (compile time only)
; SGPRBlocks: 0
; VGPRBlocks: 0
; NumSGPRsForWavesPerEU: 1
; NumVGPRsForWavesPerEU: 1
; NamedBarCnt: 0
; Occupancy: 16
; WaveLimiterHint : 0
; COMPUTE_PGM_RSRC2:SCRATCH_EN: 0
; COMPUTE_PGM_RSRC2:USER_SGPR: 2
; COMPUTE_PGM_RSRC2:TRAP_HANDLER: 0
; COMPUTE_PGM_RSRC2:TGID_X_EN: 1
; COMPUTE_PGM_RSRC2:TGID_Y_EN: 0
; COMPUTE_PGM_RSRC2:TGID_Z_EN: 0
; COMPUTE_PGM_RSRC2:TIDIG_COMP_CNT: 0
	.section	.text._ZN7rocprim17ROCPRIM_400000_NS6detail17trampoline_kernelINS0_14default_configENS1_33run_length_encode_config_selectorIijNS0_4plusIjEEEEZZNS1_33reduce_by_key_impl_wrapped_configILNS1_25lookback_scan_determinismE0ES3_S7_PKiNS0_17constant_iteratorIjlEEPiPlSF_S6_NS0_8equal_toIiEEEE10hipError_tPvRmT2_T3_mT4_T5_T6_T7_T8_P12ihipStream_tbENKUlT_T0_E_clISt17integral_constantIbLb1EESY_IbLb0EEEEDaSU_SV_EUlSU_E_NS1_11comp_targetILNS1_3genE10ELNS1_11target_archE1201ELNS1_3gpuE5ELNS1_3repE0EEENS1_30default_config_static_selectorELNS0_4arch9wavefront6targetE0EEEvT1_,"axG",@progbits,_ZN7rocprim17ROCPRIM_400000_NS6detail17trampoline_kernelINS0_14default_configENS1_33run_length_encode_config_selectorIijNS0_4plusIjEEEEZZNS1_33reduce_by_key_impl_wrapped_configILNS1_25lookback_scan_determinismE0ES3_S7_PKiNS0_17constant_iteratorIjlEEPiPlSF_S6_NS0_8equal_toIiEEEE10hipError_tPvRmT2_T3_mT4_T5_T6_T7_T8_P12ihipStream_tbENKUlT_T0_E_clISt17integral_constantIbLb1EESY_IbLb0EEEEDaSU_SV_EUlSU_E_NS1_11comp_targetILNS1_3genE10ELNS1_11target_archE1201ELNS1_3gpuE5ELNS1_3repE0EEENS1_30default_config_static_selectorELNS0_4arch9wavefront6targetE0EEEvT1_,comdat
	.protected	_ZN7rocprim17ROCPRIM_400000_NS6detail17trampoline_kernelINS0_14default_configENS1_33run_length_encode_config_selectorIijNS0_4plusIjEEEEZZNS1_33reduce_by_key_impl_wrapped_configILNS1_25lookback_scan_determinismE0ES3_S7_PKiNS0_17constant_iteratorIjlEEPiPlSF_S6_NS0_8equal_toIiEEEE10hipError_tPvRmT2_T3_mT4_T5_T6_T7_T8_P12ihipStream_tbENKUlT_T0_E_clISt17integral_constantIbLb1EESY_IbLb0EEEEDaSU_SV_EUlSU_E_NS1_11comp_targetILNS1_3genE10ELNS1_11target_archE1201ELNS1_3gpuE5ELNS1_3repE0EEENS1_30default_config_static_selectorELNS0_4arch9wavefront6targetE0EEEvT1_ ; -- Begin function _ZN7rocprim17ROCPRIM_400000_NS6detail17trampoline_kernelINS0_14default_configENS1_33run_length_encode_config_selectorIijNS0_4plusIjEEEEZZNS1_33reduce_by_key_impl_wrapped_configILNS1_25lookback_scan_determinismE0ES3_S7_PKiNS0_17constant_iteratorIjlEEPiPlSF_S6_NS0_8equal_toIiEEEE10hipError_tPvRmT2_T3_mT4_T5_T6_T7_T8_P12ihipStream_tbENKUlT_T0_E_clISt17integral_constantIbLb1EESY_IbLb0EEEEDaSU_SV_EUlSU_E_NS1_11comp_targetILNS1_3genE10ELNS1_11target_archE1201ELNS1_3gpuE5ELNS1_3repE0EEENS1_30default_config_static_selectorELNS0_4arch9wavefront6targetE0EEEvT1_
	.globl	_ZN7rocprim17ROCPRIM_400000_NS6detail17trampoline_kernelINS0_14default_configENS1_33run_length_encode_config_selectorIijNS0_4plusIjEEEEZZNS1_33reduce_by_key_impl_wrapped_configILNS1_25lookback_scan_determinismE0ES3_S7_PKiNS0_17constant_iteratorIjlEEPiPlSF_S6_NS0_8equal_toIiEEEE10hipError_tPvRmT2_T3_mT4_T5_T6_T7_T8_P12ihipStream_tbENKUlT_T0_E_clISt17integral_constantIbLb1EESY_IbLb0EEEEDaSU_SV_EUlSU_E_NS1_11comp_targetILNS1_3genE10ELNS1_11target_archE1201ELNS1_3gpuE5ELNS1_3repE0EEENS1_30default_config_static_selectorELNS0_4arch9wavefront6targetE0EEEvT1_
	.p2align	8
	.type	_ZN7rocprim17ROCPRIM_400000_NS6detail17trampoline_kernelINS0_14default_configENS1_33run_length_encode_config_selectorIijNS0_4plusIjEEEEZZNS1_33reduce_by_key_impl_wrapped_configILNS1_25lookback_scan_determinismE0ES3_S7_PKiNS0_17constant_iteratorIjlEEPiPlSF_S6_NS0_8equal_toIiEEEE10hipError_tPvRmT2_T3_mT4_T5_T6_T7_T8_P12ihipStream_tbENKUlT_T0_E_clISt17integral_constantIbLb1EESY_IbLb0EEEEDaSU_SV_EUlSU_E_NS1_11comp_targetILNS1_3genE10ELNS1_11target_archE1201ELNS1_3gpuE5ELNS1_3repE0EEENS1_30default_config_static_selectorELNS0_4arch9wavefront6targetE0EEEvT1_,@function
_ZN7rocprim17ROCPRIM_400000_NS6detail17trampoline_kernelINS0_14default_configENS1_33run_length_encode_config_selectorIijNS0_4plusIjEEEEZZNS1_33reduce_by_key_impl_wrapped_configILNS1_25lookback_scan_determinismE0ES3_S7_PKiNS0_17constant_iteratorIjlEEPiPlSF_S6_NS0_8equal_toIiEEEE10hipError_tPvRmT2_T3_mT4_T5_T6_T7_T8_P12ihipStream_tbENKUlT_T0_E_clISt17integral_constantIbLb1EESY_IbLb0EEEEDaSU_SV_EUlSU_E_NS1_11comp_targetILNS1_3genE10ELNS1_11target_archE1201ELNS1_3gpuE5ELNS1_3repE0EEENS1_30default_config_static_selectorELNS0_4arch9wavefront6targetE0EEEvT1_: ; @_ZN7rocprim17ROCPRIM_400000_NS6detail17trampoline_kernelINS0_14default_configENS1_33run_length_encode_config_selectorIijNS0_4plusIjEEEEZZNS1_33reduce_by_key_impl_wrapped_configILNS1_25lookback_scan_determinismE0ES3_S7_PKiNS0_17constant_iteratorIjlEEPiPlSF_S6_NS0_8equal_toIiEEEE10hipError_tPvRmT2_T3_mT4_T5_T6_T7_T8_P12ihipStream_tbENKUlT_T0_E_clISt17integral_constantIbLb1EESY_IbLb0EEEEDaSU_SV_EUlSU_E_NS1_11comp_targetILNS1_3genE10ELNS1_11target_archE1201ELNS1_3gpuE5ELNS1_3repE0EEENS1_30default_config_static_selectorELNS0_4arch9wavefront6targetE0EEEvT1_
; %bb.0:
	.section	.rodata,"a",@progbits
	.p2align	6, 0x0
	.amdhsa_kernel _ZN7rocprim17ROCPRIM_400000_NS6detail17trampoline_kernelINS0_14default_configENS1_33run_length_encode_config_selectorIijNS0_4plusIjEEEEZZNS1_33reduce_by_key_impl_wrapped_configILNS1_25lookback_scan_determinismE0ES3_S7_PKiNS0_17constant_iteratorIjlEEPiPlSF_S6_NS0_8equal_toIiEEEE10hipError_tPvRmT2_T3_mT4_T5_T6_T7_T8_P12ihipStream_tbENKUlT_T0_E_clISt17integral_constantIbLb1EESY_IbLb0EEEEDaSU_SV_EUlSU_E_NS1_11comp_targetILNS1_3genE10ELNS1_11target_archE1201ELNS1_3gpuE5ELNS1_3repE0EEENS1_30default_config_static_selectorELNS0_4arch9wavefront6targetE0EEEvT1_
		.amdhsa_group_segment_fixed_size 0
		.amdhsa_private_segment_fixed_size 0
		.amdhsa_kernarg_size 128
		.amdhsa_user_sgpr_count 2
		.amdhsa_user_sgpr_dispatch_ptr 0
		.amdhsa_user_sgpr_queue_ptr 0
		.amdhsa_user_sgpr_kernarg_segment_ptr 1
		.amdhsa_user_sgpr_dispatch_id 0
		.amdhsa_user_sgpr_kernarg_preload_length 0
		.amdhsa_user_sgpr_kernarg_preload_offset 0
		.amdhsa_user_sgpr_private_segment_size 0
		.amdhsa_wavefront_size32 1
		.amdhsa_uses_dynamic_stack 0
		.amdhsa_enable_private_segment 0
		.amdhsa_system_sgpr_workgroup_id_x 1
		.amdhsa_system_sgpr_workgroup_id_y 0
		.amdhsa_system_sgpr_workgroup_id_z 0
		.amdhsa_system_sgpr_workgroup_info 0
		.amdhsa_system_vgpr_workitem_id 0
		.amdhsa_next_free_vgpr 1
		.amdhsa_next_free_sgpr 1
		.amdhsa_named_barrier_count 0
		.amdhsa_reserve_vcc 0
		.amdhsa_float_round_mode_32 0
		.amdhsa_float_round_mode_16_64 0
		.amdhsa_float_denorm_mode_32 3
		.amdhsa_float_denorm_mode_16_64 3
		.amdhsa_fp16_overflow 0
		.amdhsa_memory_ordered 1
		.amdhsa_forward_progress 1
		.amdhsa_inst_pref_size 0
		.amdhsa_round_robin_scheduling 0
		.amdhsa_exception_fp_ieee_invalid_op 0
		.amdhsa_exception_fp_denorm_src 0
		.amdhsa_exception_fp_ieee_div_zero 0
		.amdhsa_exception_fp_ieee_overflow 0
		.amdhsa_exception_fp_ieee_underflow 0
		.amdhsa_exception_fp_ieee_inexact 0
		.amdhsa_exception_int_div_zero 0
	.end_amdhsa_kernel
	.section	.text._ZN7rocprim17ROCPRIM_400000_NS6detail17trampoline_kernelINS0_14default_configENS1_33run_length_encode_config_selectorIijNS0_4plusIjEEEEZZNS1_33reduce_by_key_impl_wrapped_configILNS1_25lookback_scan_determinismE0ES3_S7_PKiNS0_17constant_iteratorIjlEEPiPlSF_S6_NS0_8equal_toIiEEEE10hipError_tPvRmT2_T3_mT4_T5_T6_T7_T8_P12ihipStream_tbENKUlT_T0_E_clISt17integral_constantIbLb1EESY_IbLb0EEEEDaSU_SV_EUlSU_E_NS1_11comp_targetILNS1_3genE10ELNS1_11target_archE1201ELNS1_3gpuE5ELNS1_3repE0EEENS1_30default_config_static_selectorELNS0_4arch9wavefront6targetE0EEEvT1_,"axG",@progbits,_ZN7rocprim17ROCPRIM_400000_NS6detail17trampoline_kernelINS0_14default_configENS1_33run_length_encode_config_selectorIijNS0_4plusIjEEEEZZNS1_33reduce_by_key_impl_wrapped_configILNS1_25lookback_scan_determinismE0ES3_S7_PKiNS0_17constant_iteratorIjlEEPiPlSF_S6_NS0_8equal_toIiEEEE10hipError_tPvRmT2_T3_mT4_T5_T6_T7_T8_P12ihipStream_tbENKUlT_T0_E_clISt17integral_constantIbLb1EESY_IbLb0EEEEDaSU_SV_EUlSU_E_NS1_11comp_targetILNS1_3genE10ELNS1_11target_archE1201ELNS1_3gpuE5ELNS1_3repE0EEENS1_30default_config_static_selectorELNS0_4arch9wavefront6targetE0EEEvT1_,comdat
.Lfunc_end465:
	.size	_ZN7rocprim17ROCPRIM_400000_NS6detail17trampoline_kernelINS0_14default_configENS1_33run_length_encode_config_selectorIijNS0_4plusIjEEEEZZNS1_33reduce_by_key_impl_wrapped_configILNS1_25lookback_scan_determinismE0ES3_S7_PKiNS0_17constant_iteratorIjlEEPiPlSF_S6_NS0_8equal_toIiEEEE10hipError_tPvRmT2_T3_mT4_T5_T6_T7_T8_P12ihipStream_tbENKUlT_T0_E_clISt17integral_constantIbLb1EESY_IbLb0EEEEDaSU_SV_EUlSU_E_NS1_11comp_targetILNS1_3genE10ELNS1_11target_archE1201ELNS1_3gpuE5ELNS1_3repE0EEENS1_30default_config_static_selectorELNS0_4arch9wavefront6targetE0EEEvT1_, .Lfunc_end465-_ZN7rocprim17ROCPRIM_400000_NS6detail17trampoline_kernelINS0_14default_configENS1_33run_length_encode_config_selectorIijNS0_4plusIjEEEEZZNS1_33reduce_by_key_impl_wrapped_configILNS1_25lookback_scan_determinismE0ES3_S7_PKiNS0_17constant_iteratorIjlEEPiPlSF_S6_NS0_8equal_toIiEEEE10hipError_tPvRmT2_T3_mT4_T5_T6_T7_T8_P12ihipStream_tbENKUlT_T0_E_clISt17integral_constantIbLb1EESY_IbLb0EEEEDaSU_SV_EUlSU_E_NS1_11comp_targetILNS1_3genE10ELNS1_11target_archE1201ELNS1_3gpuE5ELNS1_3repE0EEENS1_30default_config_static_selectorELNS0_4arch9wavefront6targetE0EEEvT1_
                                        ; -- End function
	.set _ZN7rocprim17ROCPRIM_400000_NS6detail17trampoline_kernelINS0_14default_configENS1_33run_length_encode_config_selectorIijNS0_4plusIjEEEEZZNS1_33reduce_by_key_impl_wrapped_configILNS1_25lookback_scan_determinismE0ES3_S7_PKiNS0_17constant_iteratorIjlEEPiPlSF_S6_NS0_8equal_toIiEEEE10hipError_tPvRmT2_T3_mT4_T5_T6_T7_T8_P12ihipStream_tbENKUlT_T0_E_clISt17integral_constantIbLb1EESY_IbLb0EEEEDaSU_SV_EUlSU_E_NS1_11comp_targetILNS1_3genE10ELNS1_11target_archE1201ELNS1_3gpuE5ELNS1_3repE0EEENS1_30default_config_static_selectorELNS0_4arch9wavefront6targetE0EEEvT1_.num_vgpr, 0
	.set _ZN7rocprim17ROCPRIM_400000_NS6detail17trampoline_kernelINS0_14default_configENS1_33run_length_encode_config_selectorIijNS0_4plusIjEEEEZZNS1_33reduce_by_key_impl_wrapped_configILNS1_25lookback_scan_determinismE0ES3_S7_PKiNS0_17constant_iteratorIjlEEPiPlSF_S6_NS0_8equal_toIiEEEE10hipError_tPvRmT2_T3_mT4_T5_T6_T7_T8_P12ihipStream_tbENKUlT_T0_E_clISt17integral_constantIbLb1EESY_IbLb0EEEEDaSU_SV_EUlSU_E_NS1_11comp_targetILNS1_3genE10ELNS1_11target_archE1201ELNS1_3gpuE5ELNS1_3repE0EEENS1_30default_config_static_selectorELNS0_4arch9wavefront6targetE0EEEvT1_.num_agpr, 0
	.set _ZN7rocprim17ROCPRIM_400000_NS6detail17trampoline_kernelINS0_14default_configENS1_33run_length_encode_config_selectorIijNS0_4plusIjEEEEZZNS1_33reduce_by_key_impl_wrapped_configILNS1_25lookback_scan_determinismE0ES3_S7_PKiNS0_17constant_iteratorIjlEEPiPlSF_S6_NS0_8equal_toIiEEEE10hipError_tPvRmT2_T3_mT4_T5_T6_T7_T8_P12ihipStream_tbENKUlT_T0_E_clISt17integral_constantIbLb1EESY_IbLb0EEEEDaSU_SV_EUlSU_E_NS1_11comp_targetILNS1_3genE10ELNS1_11target_archE1201ELNS1_3gpuE5ELNS1_3repE0EEENS1_30default_config_static_selectorELNS0_4arch9wavefront6targetE0EEEvT1_.numbered_sgpr, 0
	.set _ZN7rocprim17ROCPRIM_400000_NS6detail17trampoline_kernelINS0_14default_configENS1_33run_length_encode_config_selectorIijNS0_4plusIjEEEEZZNS1_33reduce_by_key_impl_wrapped_configILNS1_25lookback_scan_determinismE0ES3_S7_PKiNS0_17constant_iteratorIjlEEPiPlSF_S6_NS0_8equal_toIiEEEE10hipError_tPvRmT2_T3_mT4_T5_T6_T7_T8_P12ihipStream_tbENKUlT_T0_E_clISt17integral_constantIbLb1EESY_IbLb0EEEEDaSU_SV_EUlSU_E_NS1_11comp_targetILNS1_3genE10ELNS1_11target_archE1201ELNS1_3gpuE5ELNS1_3repE0EEENS1_30default_config_static_selectorELNS0_4arch9wavefront6targetE0EEEvT1_.num_named_barrier, 0
	.set _ZN7rocprim17ROCPRIM_400000_NS6detail17trampoline_kernelINS0_14default_configENS1_33run_length_encode_config_selectorIijNS0_4plusIjEEEEZZNS1_33reduce_by_key_impl_wrapped_configILNS1_25lookback_scan_determinismE0ES3_S7_PKiNS0_17constant_iteratorIjlEEPiPlSF_S6_NS0_8equal_toIiEEEE10hipError_tPvRmT2_T3_mT4_T5_T6_T7_T8_P12ihipStream_tbENKUlT_T0_E_clISt17integral_constantIbLb1EESY_IbLb0EEEEDaSU_SV_EUlSU_E_NS1_11comp_targetILNS1_3genE10ELNS1_11target_archE1201ELNS1_3gpuE5ELNS1_3repE0EEENS1_30default_config_static_selectorELNS0_4arch9wavefront6targetE0EEEvT1_.private_seg_size, 0
	.set _ZN7rocprim17ROCPRIM_400000_NS6detail17trampoline_kernelINS0_14default_configENS1_33run_length_encode_config_selectorIijNS0_4plusIjEEEEZZNS1_33reduce_by_key_impl_wrapped_configILNS1_25lookback_scan_determinismE0ES3_S7_PKiNS0_17constant_iteratorIjlEEPiPlSF_S6_NS0_8equal_toIiEEEE10hipError_tPvRmT2_T3_mT4_T5_T6_T7_T8_P12ihipStream_tbENKUlT_T0_E_clISt17integral_constantIbLb1EESY_IbLb0EEEEDaSU_SV_EUlSU_E_NS1_11comp_targetILNS1_3genE10ELNS1_11target_archE1201ELNS1_3gpuE5ELNS1_3repE0EEENS1_30default_config_static_selectorELNS0_4arch9wavefront6targetE0EEEvT1_.uses_vcc, 0
	.set _ZN7rocprim17ROCPRIM_400000_NS6detail17trampoline_kernelINS0_14default_configENS1_33run_length_encode_config_selectorIijNS0_4plusIjEEEEZZNS1_33reduce_by_key_impl_wrapped_configILNS1_25lookback_scan_determinismE0ES3_S7_PKiNS0_17constant_iteratorIjlEEPiPlSF_S6_NS0_8equal_toIiEEEE10hipError_tPvRmT2_T3_mT4_T5_T6_T7_T8_P12ihipStream_tbENKUlT_T0_E_clISt17integral_constantIbLb1EESY_IbLb0EEEEDaSU_SV_EUlSU_E_NS1_11comp_targetILNS1_3genE10ELNS1_11target_archE1201ELNS1_3gpuE5ELNS1_3repE0EEENS1_30default_config_static_selectorELNS0_4arch9wavefront6targetE0EEEvT1_.uses_flat_scratch, 0
	.set _ZN7rocprim17ROCPRIM_400000_NS6detail17trampoline_kernelINS0_14default_configENS1_33run_length_encode_config_selectorIijNS0_4plusIjEEEEZZNS1_33reduce_by_key_impl_wrapped_configILNS1_25lookback_scan_determinismE0ES3_S7_PKiNS0_17constant_iteratorIjlEEPiPlSF_S6_NS0_8equal_toIiEEEE10hipError_tPvRmT2_T3_mT4_T5_T6_T7_T8_P12ihipStream_tbENKUlT_T0_E_clISt17integral_constantIbLb1EESY_IbLb0EEEEDaSU_SV_EUlSU_E_NS1_11comp_targetILNS1_3genE10ELNS1_11target_archE1201ELNS1_3gpuE5ELNS1_3repE0EEENS1_30default_config_static_selectorELNS0_4arch9wavefront6targetE0EEEvT1_.has_dyn_sized_stack, 0
	.set _ZN7rocprim17ROCPRIM_400000_NS6detail17trampoline_kernelINS0_14default_configENS1_33run_length_encode_config_selectorIijNS0_4plusIjEEEEZZNS1_33reduce_by_key_impl_wrapped_configILNS1_25lookback_scan_determinismE0ES3_S7_PKiNS0_17constant_iteratorIjlEEPiPlSF_S6_NS0_8equal_toIiEEEE10hipError_tPvRmT2_T3_mT4_T5_T6_T7_T8_P12ihipStream_tbENKUlT_T0_E_clISt17integral_constantIbLb1EESY_IbLb0EEEEDaSU_SV_EUlSU_E_NS1_11comp_targetILNS1_3genE10ELNS1_11target_archE1201ELNS1_3gpuE5ELNS1_3repE0EEENS1_30default_config_static_selectorELNS0_4arch9wavefront6targetE0EEEvT1_.has_recursion, 0
	.set _ZN7rocprim17ROCPRIM_400000_NS6detail17trampoline_kernelINS0_14default_configENS1_33run_length_encode_config_selectorIijNS0_4plusIjEEEEZZNS1_33reduce_by_key_impl_wrapped_configILNS1_25lookback_scan_determinismE0ES3_S7_PKiNS0_17constant_iteratorIjlEEPiPlSF_S6_NS0_8equal_toIiEEEE10hipError_tPvRmT2_T3_mT4_T5_T6_T7_T8_P12ihipStream_tbENKUlT_T0_E_clISt17integral_constantIbLb1EESY_IbLb0EEEEDaSU_SV_EUlSU_E_NS1_11comp_targetILNS1_3genE10ELNS1_11target_archE1201ELNS1_3gpuE5ELNS1_3repE0EEENS1_30default_config_static_selectorELNS0_4arch9wavefront6targetE0EEEvT1_.has_indirect_call, 0
	.section	.AMDGPU.csdata,"",@progbits
; Kernel info:
; codeLenInByte = 0
; TotalNumSgprs: 0
; NumVgprs: 0
; ScratchSize: 0
; MemoryBound: 0
; FloatMode: 240
; IeeeMode: 1
; LDSByteSize: 0 bytes/workgroup (compile time only)
; SGPRBlocks: 0
; VGPRBlocks: 0
; NumSGPRsForWavesPerEU: 1
; NumVGPRsForWavesPerEU: 1
; NamedBarCnt: 0
; Occupancy: 16
; WaveLimiterHint : 0
; COMPUTE_PGM_RSRC2:SCRATCH_EN: 0
; COMPUTE_PGM_RSRC2:USER_SGPR: 2
; COMPUTE_PGM_RSRC2:TRAP_HANDLER: 0
; COMPUTE_PGM_RSRC2:TGID_X_EN: 1
; COMPUTE_PGM_RSRC2:TGID_Y_EN: 0
; COMPUTE_PGM_RSRC2:TGID_Z_EN: 0
; COMPUTE_PGM_RSRC2:TIDIG_COMP_CNT: 0
	.section	.text._ZN7rocprim17ROCPRIM_400000_NS6detail17trampoline_kernelINS0_14default_configENS1_33run_length_encode_config_selectorIijNS0_4plusIjEEEEZZNS1_33reduce_by_key_impl_wrapped_configILNS1_25lookback_scan_determinismE0ES3_S7_PKiNS0_17constant_iteratorIjlEEPiPlSF_S6_NS0_8equal_toIiEEEE10hipError_tPvRmT2_T3_mT4_T5_T6_T7_T8_P12ihipStream_tbENKUlT_T0_E_clISt17integral_constantIbLb1EESY_IbLb0EEEEDaSU_SV_EUlSU_E_NS1_11comp_targetILNS1_3genE10ELNS1_11target_archE1200ELNS1_3gpuE4ELNS1_3repE0EEENS1_30default_config_static_selectorELNS0_4arch9wavefront6targetE0EEEvT1_,"axG",@progbits,_ZN7rocprim17ROCPRIM_400000_NS6detail17trampoline_kernelINS0_14default_configENS1_33run_length_encode_config_selectorIijNS0_4plusIjEEEEZZNS1_33reduce_by_key_impl_wrapped_configILNS1_25lookback_scan_determinismE0ES3_S7_PKiNS0_17constant_iteratorIjlEEPiPlSF_S6_NS0_8equal_toIiEEEE10hipError_tPvRmT2_T3_mT4_T5_T6_T7_T8_P12ihipStream_tbENKUlT_T0_E_clISt17integral_constantIbLb1EESY_IbLb0EEEEDaSU_SV_EUlSU_E_NS1_11comp_targetILNS1_3genE10ELNS1_11target_archE1200ELNS1_3gpuE4ELNS1_3repE0EEENS1_30default_config_static_selectorELNS0_4arch9wavefront6targetE0EEEvT1_,comdat
	.protected	_ZN7rocprim17ROCPRIM_400000_NS6detail17trampoline_kernelINS0_14default_configENS1_33run_length_encode_config_selectorIijNS0_4plusIjEEEEZZNS1_33reduce_by_key_impl_wrapped_configILNS1_25lookback_scan_determinismE0ES3_S7_PKiNS0_17constant_iteratorIjlEEPiPlSF_S6_NS0_8equal_toIiEEEE10hipError_tPvRmT2_T3_mT4_T5_T6_T7_T8_P12ihipStream_tbENKUlT_T0_E_clISt17integral_constantIbLb1EESY_IbLb0EEEEDaSU_SV_EUlSU_E_NS1_11comp_targetILNS1_3genE10ELNS1_11target_archE1200ELNS1_3gpuE4ELNS1_3repE0EEENS1_30default_config_static_selectorELNS0_4arch9wavefront6targetE0EEEvT1_ ; -- Begin function _ZN7rocprim17ROCPRIM_400000_NS6detail17trampoline_kernelINS0_14default_configENS1_33run_length_encode_config_selectorIijNS0_4plusIjEEEEZZNS1_33reduce_by_key_impl_wrapped_configILNS1_25lookback_scan_determinismE0ES3_S7_PKiNS0_17constant_iteratorIjlEEPiPlSF_S6_NS0_8equal_toIiEEEE10hipError_tPvRmT2_T3_mT4_T5_T6_T7_T8_P12ihipStream_tbENKUlT_T0_E_clISt17integral_constantIbLb1EESY_IbLb0EEEEDaSU_SV_EUlSU_E_NS1_11comp_targetILNS1_3genE10ELNS1_11target_archE1200ELNS1_3gpuE4ELNS1_3repE0EEENS1_30default_config_static_selectorELNS0_4arch9wavefront6targetE0EEEvT1_
	.globl	_ZN7rocprim17ROCPRIM_400000_NS6detail17trampoline_kernelINS0_14default_configENS1_33run_length_encode_config_selectorIijNS0_4plusIjEEEEZZNS1_33reduce_by_key_impl_wrapped_configILNS1_25lookback_scan_determinismE0ES3_S7_PKiNS0_17constant_iteratorIjlEEPiPlSF_S6_NS0_8equal_toIiEEEE10hipError_tPvRmT2_T3_mT4_T5_T6_T7_T8_P12ihipStream_tbENKUlT_T0_E_clISt17integral_constantIbLb1EESY_IbLb0EEEEDaSU_SV_EUlSU_E_NS1_11comp_targetILNS1_3genE10ELNS1_11target_archE1200ELNS1_3gpuE4ELNS1_3repE0EEENS1_30default_config_static_selectorELNS0_4arch9wavefront6targetE0EEEvT1_
	.p2align	8
	.type	_ZN7rocprim17ROCPRIM_400000_NS6detail17trampoline_kernelINS0_14default_configENS1_33run_length_encode_config_selectorIijNS0_4plusIjEEEEZZNS1_33reduce_by_key_impl_wrapped_configILNS1_25lookback_scan_determinismE0ES3_S7_PKiNS0_17constant_iteratorIjlEEPiPlSF_S6_NS0_8equal_toIiEEEE10hipError_tPvRmT2_T3_mT4_T5_T6_T7_T8_P12ihipStream_tbENKUlT_T0_E_clISt17integral_constantIbLb1EESY_IbLb0EEEEDaSU_SV_EUlSU_E_NS1_11comp_targetILNS1_3genE10ELNS1_11target_archE1200ELNS1_3gpuE4ELNS1_3repE0EEENS1_30default_config_static_selectorELNS0_4arch9wavefront6targetE0EEEvT1_,@function
_ZN7rocprim17ROCPRIM_400000_NS6detail17trampoline_kernelINS0_14default_configENS1_33run_length_encode_config_selectorIijNS0_4plusIjEEEEZZNS1_33reduce_by_key_impl_wrapped_configILNS1_25lookback_scan_determinismE0ES3_S7_PKiNS0_17constant_iteratorIjlEEPiPlSF_S6_NS0_8equal_toIiEEEE10hipError_tPvRmT2_T3_mT4_T5_T6_T7_T8_P12ihipStream_tbENKUlT_T0_E_clISt17integral_constantIbLb1EESY_IbLb0EEEEDaSU_SV_EUlSU_E_NS1_11comp_targetILNS1_3genE10ELNS1_11target_archE1200ELNS1_3gpuE4ELNS1_3repE0EEENS1_30default_config_static_selectorELNS0_4arch9wavefront6targetE0EEEvT1_: ; @_ZN7rocprim17ROCPRIM_400000_NS6detail17trampoline_kernelINS0_14default_configENS1_33run_length_encode_config_selectorIijNS0_4plusIjEEEEZZNS1_33reduce_by_key_impl_wrapped_configILNS1_25lookback_scan_determinismE0ES3_S7_PKiNS0_17constant_iteratorIjlEEPiPlSF_S6_NS0_8equal_toIiEEEE10hipError_tPvRmT2_T3_mT4_T5_T6_T7_T8_P12ihipStream_tbENKUlT_T0_E_clISt17integral_constantIbLb1EESY_IbLb0EEEEDaSU_SV_EUlSU_E_NS1_11comp_targetILNS1_3genE10ELNS1_11target_archE1200ELNS1_3gpuE4ELNS1_3repE0EEENS1_30default_config_static_selectorELNS0_4arch9wavefront6targetE0EEEvT1_
; %bb.0:
	.section	.rodata,"a",@progbits
	.p2align	6, 0x0
	.amdhsa_kernel _ZN7rocprim17ROCPRIM_400000_NS6detail17trampoline_kernelINS0_14default_configENS1_33run_length_encode_config_selectorIijNS0_4plusIjEEEEZZNS1_33reduce_by_key_impl_wrapped_configILNS1_25lookback_scan_determinismE0ES3_S7_PKiNS0_17constant_iteratorIjlEEPiPlSF_S6_NS0_8equal_toIiEEEE10hipError_tPvRmT2_T3_mT4_T5_T6_T7_T8_P12ihipStream_tbENKUlT_T0_E_clISt17integral_constantIbLb1EESY_IbLb0EEEEDaSU_SV_EUlSU_E_NS1_11comp_targetILNS1_3genE10ELNS1_11target_archE1200ELNS1_3gpuE4ELNS1_3repE0EEENS1_30default_config_static_selectorELNS0_4arch9wavefront6targetE0EEEvT1_
		.amdhsa_group_segment_fixed_size 0
		.amdhsa_private_segment_fixed_size 0
		.amdhsa_kernarg_size 128
		.amdhsa_user_sgpr_count 2
		.amdhsa_user_sgpr_dispatch_ptr 0
		.amdhsa_user_sgpr_queue_ptr 0
		.amdhsa_user_sgpr_kernarg_segment_ptr 1
		.amdhsa_user_sgpr_dispatch_id 0
		.amdhsa_user_sgpr_kernarg_preload_length 0
		.amdhsa_user_sgpr_kernarg_preload_offset 0
		.amdhsa_user_sgpr_private_segment_size 0
		.amdhsa_wavefront_size32 1
		.amdhsa_uses_dynamic_stack 0
		.amdhsa_enable_private_segment 0
		.amdhsa_system_sgpr_workgroup_id_x 1
		.amdhsa_system_sgpr_workgroup_id_y 0
		.amdhsa_system_sgpr_workgroup_id_z 0
		.amdhsa_system_sgpr_workgroup_info 0
		.amdhsa_system_vgpr_workitem_id 0
		.amdhsa_next_free_vgpr 1
		.amdhsa_next_free_sgpr 1
		.amdhsa_named_barrier_count 0
		.amdhsa_reserve_vcc 0
		.amdhsa_float_round_mode_32 0
		.amdhsa_float_round_mode_16_64 0
		.amdhsa_float_denorm_mode_32 3
		.amdhsa_float_denorm_mode_16_64 3
		.amdhsa_fp16_overflow 0
		.amdhsa_memory_ordered 1
		.amdhsa_forward_progress 1
		.amdhsa_inst_pref_size 0
		.amdhsa_round_robin_scheduling 0
		.amdhsa_exception_fp_ieee_invalid_op 0
		.amdhsa_exception_fp_denorm_src 0
		.amdhsa_exception_fp_ieee_div_zero 0
		.amdhsa_exception_fp_ieee_overflow 0
		.amdhsa_exception_fp_ieee_underflow 0
		.amdhsa_exception_fp_ieee_inexact 0
		.amdhsa_exception_int_div_zero 0
	.end_amdhsa_kernel
	.section	.text._ZN7rocprim17ROCPRIM_400000_NS6detail17trampoline_kernelINS0_14default_configENS1_33run_length_encode_config_selectorIijNS0_4plusIjEEEEZZNS1_33reduce_by_key_impl_wrapped_configILNS1_25lookback_scan_determinismE0ES3_S7_PKiNS0_17constant_iteratorIjlEEPiPlSF_S6_NS0_8equal_toIiEEEE10hipError_tPvRmT2_T3_mT4_T5_T6_T7_T8_P12ihipStream_tbENKUlT_T0_E_clISt17integral_constantIbLb1EESY_IbLb0EEEEDaSU_SV_EUlSU_E_NS1_11comp_targetILNS1_3genE10ELNS1_11target_archE1200ELNS1_3gpuE4ELNS1_3repE0EEENS1_30default_config_static_selectorELNS0_4arch9wavefront6targetE0EEEvT1_,"axG",@progbits,_ZN7rocprim17ROCPRIM_400000_NS6detail17trampoline_kernelINS0_14default_configENS1_33run_length_encode_config_selectorIijNS0_4plusIjEEEEZZNS1_33reduce_by_key_impl_wrapped_configILNS1_25lookback_scan_determinismE0ES3_S7_PKiNS0_17constant_iteratorIjlEEPiPlSF_S6_NS0_8equal_toIiEEEE10hipError_tPvRmT2_T3_mT4_T5_T6_T7_T8_P12ihipStream_tbENKUlT_T0_E_clISt17integral_constantIbLb1EESY_IbLb0EEEEDaSU_SV_EUlSU_E_NS1_11comp_targetILNS1_3genE10ELNS1_11target_archE1200ELNS1_3gpuE4ELNS1_3repE0EEENS1_30default_config_static_selectorELNS0_4arch9wavefront6targetE0EEEvT1_,comdat
.Lfunc_end466:
	.size	_ZN7rocprim17ROCPRIM_400000_NS6detail17trampoline_kernelINS0_14default_configENS1_33run_length_encode_config_selectorIijNS0_4plusIjEEEEZZNS1_33reduce_by_key_impl_wrapped_configILNS1_25lookback_scan_determinismE0ES3_S7_PKiNS0_17constant_iteratorIjlEEPiPlSF_S6_NS0_8equal_toIiEEEE10hipError_tPvRmT2_T3_mT4_T5_T6_T7_T8_P12ihipStream_tbENKUlT_T0_E_clISt17integral_constantIbLb1EESY_IbLb0EEEEDaSU_SV_EUlSU_E_NS1_11comp_targetILNS1_3genE10ELNS1_11target_archE1200ELNS1_3gpuE4ELNS1_3repE0EEENS1_30default_config_static_selectorELNS0_4arch9wavefront6targetE0EEEvT1_, .Lfunc_end466-_ZN7rocprim17ROCPRIM_400000_NS6detail17trampoline_kernelINS0_14default_configENS1_33run_length_encode_config_selectorIijNS0_4plusIjEEEEZZNS1_33reduce_by_key_impl_wrapped_configILNS1_25lookback_scan_determinismE0ES3_S7_PKiNS0_17constant_iteratorIjlEEPiPlSF_S6_NS0_8equal_toIiEEEE10hipError_tPvRmT2_T3_mT4_T5_T6_T7_T8_P12ihipStream_tbENKUlT_T0_E_clISt17integral_constantIbLb1EESY_IbLb0EEEEDaSU_SV_EUlSU_E_NS1_11comp_targetILNS1_3genE10ELNS1_11target_archE1200ELNS1_3gpuE4ELNS1_3repE0EEENS1_30default_config_static_selectorELNS0_4arch9wavefront6targetE0EEEvT1_
                                        ; -- End function
	.set _ZN7rocprim17ROCPRIM_400000_NS6detail17trampoline_kernelINS0_14default_configENS1_33run_length_encode_config_selectorIijNS0_4plusIjEEEEZZNS1_33reduce_by_key_impl_wrapped_configILNS1_25lookback_scan_determinismE0ES3_S7_PKiNS0_17constant_iteratorIjlEEPiPlSF_S6_NS0_8equal_toIiEEEE10hipError_tPvRmT2_T3_mT4_T5_T6_T7_T8_P12ihipStream_tbENKUlT_T0_E_clISt17integral_constantIbLb1EESY_IbLb0EEEEDaSU_SV_EUlSU_E_NS1_11comp_targetILNS1_3genE10ELNS1_11target_archE1200ELNS1_3gpuE4ELNS1_3repE0EEENS1_30default_config_static_selectorELNS0_4arch9wavefront6targetE0EEEvT1_.num_vgpr, 0
	.set _ZN7rocprim17ROCPRIM_400000_NS6detail17trampoline_kernelINS0_14default_configENS1_33run_length_encode_config_selectorIijNS0_4plusIjEEEEZZNS1_33reduce_by_key_impl_wrapped_configILNS1_25lookback_scan_determinismE0ES3_S7_PKiNS0_17constant_iteratorIjlEEPiPlSF_S6_NS0_8equal_toIiEEEE10hipError_tPvRmT2_T3_mT4_T5_T6_T7_T8_P12ihipStream_tbENKUlT_T0_E_clISt17integral_constantIbLb1EESY_IbLb0EEEEDaSU_SV_EUlSU_E_NS1_11comp_targetILNS1_3genE10ELNS1_11target_archE1200ELNS1_3gpuE4ELNS1_3repE0EEENS1_30default_config_static_selectorELNS0_4arch9wavefront6targetE0EEEvT1_.num_agpr, 0
	.set _ZN7rocprim17ROCPRIM_400000_NS6detail17trampoline_kernelINS0_14default_configENS1_33run_length_encode_config_selectorIijNS0_4plusIjEEEEZZNS1_33reduce_by_key_impl_wrapped_configILNS1_25lookback_scan_determinismE0ES3_S7_PKiNS0_17constant_iteratorIjlEEPiPlSF_S6_NS0_8equal_toIiEEEE10hipError_tPvRmT2_T3_mT4_T5_T6_T7_T8_P12ihipStream_tbENKUlT_T0_E_clISt17integral_constantIbLb1EESY_IbLb0EEEEDaSU_SV_EUlSU_E_NS1_11comp_targetILNS1_3genE10ELNS1_11target_archE1200ELNS1_3gpuE4ELNS1_3repE0EEENS1_30default_config_static_selectorELNS0_4arch9wavefront6targetE0EEEvT1_.numbered_sgpr, 0
	.set _ZN7rocprim17ROCPRIM_400000_NS6detail17trampoline_kernelINS0_14default_configENS1_33run_length_encode_config_selectorIijNS0_4plusIjEEEEZZNS1_33reduce_by_key_impl_wrapped_configILNS1_25lookback_scan_determinismE0ES3_S7_PKiNS0_17constant_iteratorIjlEEPiPlSF_S6_NS0_8equal_toIiEEEE10hipError_tPvRmT2_T3_mT4_T5_T6_T7_T8_P12ihipStream_tbENKUlT_T0_E_clISt17integral_constantIbLb1EESY_IbLb0EEEEDaSU_SV_EUlSU_E_NS1_11comp_targetILNS1_3genE10ELNS1_11target_archE1200ELNS1_3gpuE4ELNS1_3repE0EEENS1_30default_config_static_selectorELNS0_4arch9wavefront6targetE0EEEvT1_.num_named_barrier, 0
	.set _ZN7rocprim17ROCPRIM_400000_NS6detail17trampoline_kernelINS0_14default_configENS1_33run_length_encode_config_selectorIijNS0_4plusIjEEEEZZNS1_33reduce_by_key_impl_wrapped_configILNS1_25lookback_scan_determinismE0ES3_S7_PKiNS0_17constant_iteratorIjlEEPiPlSF_S6_NS0_8equal_toIiEEEE10hipError_tPvRmT2_T3_mT4_T5_T6_T7_T8_P12ihipStream_tbENKUlT_T0_E_clISt17integral_constantIbLb1EESY_IbLb0EEEEDaSU_SV_EUlSU_E_NS1_11comp_targetILNS1_3genE10ELNS1_11target_archE1200ELNS1_3gpuE4ELNS1_3repE0EEENS1_30default_config_static_selectorELNS0_4arch9wavefront6targetE0EEEvT1_.private_seg_size, 0
	.set _ZN7rocprim17ROCPRIM_400000_NS6detail17trampoline_kernelINS0_14default_configENS1_33run_length_encode_config_selectorIijNS0_4plusIjEEEEZZNS1_33reduce_by_key_impl_wrapped_configILNS1_25lookback_scan_determinismE0ES3_S7_PKiNS0_17constant_iteratorIjlEEPiPlSF_S6_NS0_8equal_toIiEEEE10hipError_tPvRmT2_T3_mT4_T5_T6_T7_T8_P12ihipStream_tbENKUlT_T0_E_clISt17integral_constantIbLb1EESY_IbLb0EEEEDaSU_SV_EUlSU_E_NS1_11comp_targetILNS1_3genE10ELNS1_11target_archE1200ELNS1_3gpuE4ELNS1_3repE0EEENS1_30default_config_static_selectorELNS0_4arch9wavefront6targetE0EEEvT1_.uses_vcc, 0
	.set _ZN7rocprim17ROCPRIM_400000_NS6detail17trampoline_kernelINS0_14default_configENS1_33run_length_encode_config_selectorIijNS0_4plusIjEEEEZZNS1_33reduce_by_key_impl_wrapped_configILNS1_25lookback_scan_determinismE0ES3_S7_PKiNS0_17constant_iteratorIjlEEPiPlSF_S6_NS0_8equal_toIiEEEE10hipError_tPvRmT2_T3_mT4_T5_T6_T7_T8_P12ihipStream_tbENKUlT_T0_E_clISt17integral_constantIbLb1EESY_IbLb0EEEEDaSU_SV_EUlSU_E_NS1_11comp_targetILNS1_3genE10ELNS1_11target_archE1200ELNS1_3gpuE4ELNS1_3repE0EEENS1_30default_config_static_selectorELNS0_4arch9wavefront6targetE0EEEvT1_.uses_flat_scratch, 0
	.set _ZN7rocprim17ROCPRIM_400000_NS6detail17trampoline_kernelINS0_14default_configENS1_33run_length_encode_config_selectorIijNS0_4plusIjEEEEZZNS1_33reduce_by_key_impl_wrapped_configILNS1_25lookback_scan_determinismE0ES3_S7_PKiNS0_17constant_iteratorIjlEEPiPlSF_S6_NS0_8equal_toIiEEEE10hipError_tPvRmT2_T3_mT4_T5_T6_T7_T8_P12ihipStream_tbENKUlT_T0_E_clISt17integral_constantIbLb1EESY_IbLb0EEEEDaSU_SV_EUlSU_E_NS1_11comp_targetILNS1_3genE10ELNS1_11target_archE1200ELNS1_3gpuE4ELNS1_3repE0EEENS1_30default_config_static_selectorELNS0_4arch9wavefront6targetE0EEEvT1_.has_dyn_sized_stack, 0
	.set _ZN7rocprim17ROCPRIM_400000_NS6detail17trampoline_kernelINS0_14default_configENS1_33run_length_encode_config_selectorIijNS0_4plusIjEEEEZZNS1_33reduce_by_key_impl_wrapped_configILNS1_25lookback_scan_determinismE0ES3_S7_PKiNS0_17constant_iteratorIjlEEPiPlSF_S6_NS0_8equal_toIiEEEE10hipError_tPvRmT2_T3_mT4_T5_T6_T7_T8_P12ihipStream_tbENKUlT_T0_E_clISt17integral_constantIbLb1EESY_IbLb0EEEEDaSU_SV_EUlSU_E_NS1_11comp_targetILNS1_3genE10ELNS1_11target_archE1200ELNS1_3gpuE4ELNS1_3repE0EEENS1_30default_config_static_selectorELNS0_4arch9wavefront6targetE0EEEvT1_.has_recursion, 0
	.set _ZN7rocprim17ROCPRIM_400000_NS6detail17trampoline_kernelINS0_14default_configENS1_33run_length_encode_config_selectorIijNS0_4plusIjEEEEZZNS1_33reduce_by_key_impl_wrapped_configILNS1_25lookback_scan_determinismE0ES3_S7_PKiNS0_17constant_iteratorIjlEEPiPlSF_S6_NS0_8equal_toIiEEEE10hipError_tPvRmT2_T3_mT4_T5_T6_T7_T8_P12ihipStream_tbENKUlT_T0_E_clISt17integral_constantIbLb1EESY_IbLb0EEEEDaSU_SV_EUlSU_E_NS1_11comp_targetILNS1_3genE10ELNS1_11target_archE1200ELNS1_3gpuE4ELNS1_3repE0EEENS1_30default_config_static_selectorELNS0_4arch9wavefront6targetE0EEEvT1_.has_indirect_call, 0
	.section	.AMDGPU.csdata,"",@progbits
; Kernel info:
; codeLenInByte = 0
; TotalNumSgprs: 0
; NumVgprs: 0
; ScratchSize: 0
; MemoryBound: 0
; FloatMode: 240
; IeeeMode: 1
; LDSByteSize: 0 bytes/workgroup (compile time only)
; SGPRBlocks: 0
; VGPRBlocks: 0
; NumSGPRsForWavesPerEU: 1
; NumVGPRsForWavesPerEU: 1
; NamedBarCnt: 0
; Occupancy: 16
; WaveLimiterHint : 0
; COMPUTE_PGM_RSRC2:SCRATCH_EN: 0
; COMPUTE_PGM_RSRC2:USER_SGPR: 2
; COMPUTE_PGM_RSRC2:TRAP_HANDLER: 0
; COMPUTE_PGM_RSRC2:TGID_X_EN: 1
; COMPUTE_PGM_RSRC2:TGID_Y_EN: 0
; COMPUTE_PGM_RSRC2:TGID_Z_EN: 0
; COMPUTE_PGM_RSRC2:TIDIG_COMP_CNT: 0
	.section	.text._ZN7rocprim17ROCPRIM_400000_NS6detail17trampoline_kernelINS0_14default_configENS1_33run_length_encode_config_selectorIijNS0_4plusIjEEEEZZNS1_33reduce_by_key_impl_wrapped_configILNS1_25lookback_scan_determinismE0ES3_S7_PKiNS0_17constant_iteratorIjlEEPiPlSF_S6_NS0_8equal_toIiEEEE10hipError_tPvRmT2_T3_mT4_T5_T6_T7_T8_P12ihipStream_tbENKUlT_T0_E_clISt17integral_constantIbLb1EESY_IbLb0EEEEDaSU_SV_EUlSU_E_NS1_11comp_targetILNS1_3genE9ELNS1_11target_archE1100ELNS1_3gpuE3ELNS1_3repE0EEENS1_30default_config_static_selectorELNS0_4arch9wavefront6targetE0EEEvT1_,"axG",@progbits,_ZN7rocprim17ROCPRIM_400000_NS6detail17trampoline_kernelINS0_14default_configENS1_33run_length_encode_config_selectorIijNS0_4plusIjEEEEZZNS1_33reduce_by_key_impl_wrapped_configILNS1_25lookback_scan_determinismE0ES3_S7_PKiNS0_17constant_iteratorIjlEEPiPlSF_S6_NS0_8equal_toIiEEEE10hipError_tPvRmT2_T3_mT4_T5_T6_T7_T8_P12ihipStream_tbENKUlT_T0_E_clISt17integral_constantIbLb1EESY_IbLb0EEEEDaSU_SV_EUlSU_E_NS1_11comp_targetILNS1_3genE9ELNS1_11target_archE1100ELNS1_3gpuE3ELNS1_3repE0EEENS1_30default_config_static_selectorELNS0_4arch9wavefront6targetE0EEEvT1_,comdat
	.protected	_ZN7rocprim17ROCPRIM_400000_NS6detail17trampoline_kernelINS0_14default_configENS1_33run_length_encode_config_selectorIijNS0_4plusIjEEEEZZNS1_33reduce_by_key_impl_wrapped_configILNS1_25lookback_scan_determinismE0ES3_S7_PKiNS0_17constant_iteratorIjlEEPiPlSF_S6_NS0_8equal_toIiEEEE10hipError_tPvRmT2_T3_mT4_T5_T6_T7_T8_P12ihipStream_tbENKUlT_T0_E_clISt17integral_constantIbLb1EESY_IbLb0EEEEDaSU_SV_EUlSU_E_NS1_11comp_targetILNS1_3genE9ELNS1_11target_archE1100ELNS1_3gpuE3ELNS1_3repE0EEENS1_30default_config_static_selectorELNS0_4arch9wavefront6targetE0EEEvT1_ ; -- Begin function _ZN7rocprim17ROCPRIM_400000_NS6detail17trampoline_kernelINS0_14default_configENS1_33run_length_encode_config_selectorIijNS0_4plusIjEEEEZZNS1_33reduce_by_key_impl_wrapped_configILNS1_25lookback_scan_determinismE0ES3_S7_PKiNS0_17constant_iteratorIjlEEPiPlSF_S6_NS0_8equal_toIiEEEE10hipError_tPvRmT2_T3_mT4_T5_T6_T7_T8_P12ihipStream_tbENKUlT_T0_E_clISt17integral_constantIbLb1EESY_IbLb0EEEEDaSU_SV_EUlSU_E_NS1_11comp_targetILNS1_3genE9ELNS1_11target_archE1100ELNS1_3gpuE3ELNS1_3repE0EEENS1_30default_config_static_selectorELNS0_4arch9wavefront6targetE0EEEvT1_
	.globl	_ZN7rocprim17ROCPRIM_400000_NS6detail17trampoline_kernelINS0_14default_configENS1_33run_length_encode_config_selectorIijNS0_4plusIjEEEEZZNS1_33reduce_by_key_impl_wrapped_configILNS1_25lookback_scan_determinismE0ES3_S7_PKiNS0_17constant_iteratorIjlEEPiPlSF_S6_NS0_8equal_toIiEEEE10hipError_tPvRmT2_T3_mT4_T5_T6_T7_T8_P12ihipStream_tbENKUlT_T0_E_clISt17integral_constantIbLb1EESY_IbLb0EEEEDaSU_SV_EUlSU_E_NS1_11comp_targetILNS1_3genE9ELNS1_11target_archE1100ELNS1_3gpuE3ELNS1_3repE0EEENS1_30default_config_static_selectorELNS0_4arch9wavefront6targetE0EEEvT1_
	.p2align	8
	.type	_ZN7rocprim17ROCPRIM_400000_NS6detail17trampoline_kernelINS0_14default_configENS1_33run_length_encode_config_selectorIijNS0_4plusIjEEEEZZNS1_33reduce_by_key_impl_wrapped_configILNS1_25lookback_scan_determinismE0ES3_S7_PKiNS0_17constant_iteratorIjlEEPiPlSF_S6_NS0_8equal_toIiEEEE10hipError_tPvRmT2_T3_mT4_T5_T6_T7_T8_P12ihipStream_tbENKUlT_T0_E_clISt17integral_constantIbLb1EESY_IbLb0EEEEDaSU_SV_EUlSU_E_NS1_11comp_targetILNS1_3genE9ELNS1_11target_archE1100ELNS1_3gpuE3ELNS1_3repE0EEENS1_30default_config_static_selectorELNS0_4arch9wavefront6targetE0EEEvT1_,@function
_ZN7rocprim17ROCPRIM_400000_NS6detail17trampoline_kernelINS0_14default_configENS1_33run_length_encode_config_selectorIijNS0_4plusIjEEEEZZNS1_33reduce_by_key_impl_wrapped_configILNS1_25lookback_scan_determinismE0ES3_S7_PKiNS0_17constant_iteratorIjlEEPiPlSF_S6_NS0_8equal_toIiEEEE10hipError_tPvRmT2_T3_mT4_T5_T6_T7_T8_P12ihipStream_tbENKUlT_T0_E_clISt17integral_constantIbLb1EESY_IbLb0EEEEDaSU_SV_EUlSU_E_NS1_11comp_targetILNS1_3genE9ELNS1_11target_archE1100ELNS1_3gpuE3ELNS1_3repE0EEENS1_30default_config_static_selectorELNS0_4arch9wavefront6targetE0EEEvT1_: ; @_ZN7rocprim17ROCPRIM_400000_NS6detail17trampoline_kernelINS0_14default_configENS1_33run_length_encode_config_selectorIijNS0_4plusIjEEEEZZNS1_33reduce_by_key_impl_wrapped_configILNS1_25lookback_scan_determinismE0ES3_S7_PKiNS0_17constant_iteratorIjlEEPiPlSF_S6_NS0_8equal_toIiEEEE10hipError_tPvRmT2_T3_mT4_T5_T6_T7_T8_P12ihipStream_tbENKUlT_T0_E_clISt17integral_constantIbLb1EESY_IbLb0EEEEDaSU_SV_EUlSU_E_NS1_11comp_targetILNS1_3genE9ELNS1_11target_archE1100ELNS1_3gpuE3ELNS1_3repE0EEENS1_30default_config_static_selectorELNS0_4arch9wavefront6targetE0EEEvT1_
; %bb.0:
	.section	.rodata,"a",@progbits
	.p2align	6, 0x0
	.amdhsa_kernel _ZN7rocprim17ROCPRIM_400000_NS6detail17trampoline_kernelINS0_14default_configENS1_33run_length_encode_config_selectorIijNS0_4plusIjEEEEZZNS1_33reduce_by_key_impl_wrapped_configILNS1_25lookback_scan_determinismE0ES3_S7_PKiNS0_17constant_iteratorIjlEEPiPlSF_S6_NS0_8equal_toIiEEEE10hipError_tPvRmT2_T3_mT4_T5_T6_T7_T8_P12ihipStream_tbENKUlT_T0_E_clISt17integral_constantIbLb1EESY_IbLb0EEEEDaSU_SV_EUlSU_E_NS1_11comp_targetILNS1_3genE9ELNS1_11target_archE1100ELNS1_3gpuE3ELNS1_3repE0EEENS1_30default_config_static_selectorELNS0_4arch9wavefront6targetE0EEEvT1_
		.amdhsa_group_segment_fixed_size 0
		.amdhsa_private_segment_fixed_size 0
		.amdhsa_kernarg_size 128
		.amdhsa_user_sgpr_count 2
		.amdhsa_user_sgpr_dispatch_ptr 0
		.amdhsa_user_sgpr_queue_ptr 0
		.amdhsa_user_sgpr_kernarg_segment_ptr 1
		.amdhsa_user_sgpr_dispatch_id 0
		.amdhsa_user_sgpr_kernarg_preload_length 0
		.amdhsa_user_sgpr_kernarg_preload_offset 0
		.amdhsa_user_sgpr_private_segment_size 0
		.amdhsa_wavefront_size32 1
		.amdhsa_uses_dynamic_stack 0
		.amdhsa_enable_private_segment 0
		.amdhsa_system_sgpr_workgroup_id_x 1
		.amdhsa_system_sgpr_workgroup_id_y 0
		.amdhsa_system_sgpr_workgroup_id_z 0
		.amdhsa_system_sgpr_workgroup_info 0
		.amdhsa_system_vgpr_workitem_id 0
		.amdhsa_next_free_vgpr 1
		.amdhsa_next_free_sgpr 1
		.amdhsa_named_barrier_count 0
		.amdhsa_reserve_vcc 0
		.amdhsa_float_round_mode_32 0
		.amdhsa_float_round_mode_16_64 0
		.amdhsa_float_denorm_mode_32 3
		.amdhsa_float_denorm_mode_16_64 3
		.amdhsa_fp16_overflow 0
		.amdhsa_memory_ordered 1
		.amdhsa_forward_progress 1
		.amdhsa_inst_pref_size 0
		.amdhsa_round_robin_scheduling 0
		.amdhsa_exception_fp_ieee_invalid_op 0
		.amdhsa_exception_fp_denorm_src 0
		.amdhsa_exception_fp_ieee_div_zero 0
		.amdhsa_exception_fp_ieee_overflow 0
		.amdhsa_exception_fp_ieee_underflow 0
		.amdhsa_exception_fp_ieee_inexact 0
		.amdhsa_exception_int_div_zero 0
	.end_amdhsa_kernel
	.section	.text._ZN7rocprim17ROCPRIM_400000_NS6detail17trampoline_kernelINS0_14default_configENS1_33run_length_encode_config_selectorIijNS0_4plusIjEEEEZZNS1_33reduce_by_key_impl_wrapped_configILNS1_25lookback_scan_determinismE0ES3_S7_PKiNS0_17constant_iteratorIjlEEPiPlSF_S6_NS0_8equal_toIiEEEE10hipError_tPvRmT2_T3_mT4_T5_T6_T7_T8_P12ihipStream_tbENKUlT_T0_E_clISt17integral_constantIbLb1EESY_IbLb0EEEEDaSU_SV_EUlSU_E_NS1_11comp_targetILNS1_3genE9ELNS1_11target_archE1100ELNS1_3gpuE3ELNS1_3repE0EEENS1_30default_config_static_selectorELNS0_4arch9wavefront6targetE0EEEvT1_,"axG",@progbits,_ZN7rocprim17ROCPRIM_400000_NS6detail17trampoline_kernelINS0_14default_configENS1_33run_length_encode_config_selectorIijNS0_4plusIjEEEEZZNS1_33reduce_by_key_impl_wrapped_configILNS1_25lookback_scan_determinismE0ES3_S7_PKiNS0_17constant_iteratorIjlEEPiPlSF_S6_NS0_8equal_toIiEEEE10hipError_tPvRmT2_T3_mT4_T5_T6_T7_T8_P12ihipStream_tbENKUlT_T0_E_clISt17integral_constantIbLb1EESY_IbLb0EEEEDaSU_SV_EUlSU_E_NS1_11comp_targetILNS1_3genE9ELNS1_11target_archE1100ELNS1_3gpuE3ELNS1_3repE0EEENS1_30default_config_static_selectorELNS0_4arch9wavefront6targetE0EEEvT1_,comdat
.Lfunc_end467:
	.size	_ZN7rocprim17ROCPRIM_400000_NS6detail17trampoline_kernelINS0_14default_configENS1_33run_length_encode_config_selectorIijNS0_4plusIjEEEEZZNS1_33reduce_by_key_impl_wrapped_configILNS1_25lookback_scan_determinismE0ES3_S7_PKiNS0_17constant_iteratorIjlEEPiPlSF_S6_NS0_8equal_toIiEEEE10hipError_tPvRmT2_T3_mT4_T5_T6_T7_T8_P12ihipStream_tbENKUlT_T0_E_clISt17integral_constantIbLb1EESY_IbLb0EEEEDaSU_SV_EUlSU_E_NS1_11comp_targetILNS1_3genE9ELNS1_11target_archE1100ELNS1_3gpuE3ELNS1_3repE0EEENS1_30default_config_static_selectorELNS0_4arch9wavefront6targetE0EEEvT1_, .Lfunc_end467-_ZN7rocprim17ROCPRIM_400000_NS6detail17trampoline_kernelINS0_14default_configENS1_33run_length_encode_config_selectorIijNS0_4plusIjEEEEZZNS1_33reduce_by_key_impl_wrapped_configILNS1_25lookback_scan_determinismE0ES3_S7_PKiNS0_17constant_iteratorIjlEEPiPlSF_S6_NS0_8equal_toIiEEEE10hipError_tPvRmT2_T3_mT4_T5_T6_T7_T8_P12ihipStream_tbENKUlT_T0_E_clISt17integral_constantIbLb1EESY_IbLb0EEEEDaSU_SV_EUlSU_E_NS1_11comp_targetILNS1_3genE9ELNS1_11target_archE1100ELNS1_3gpuE3ELNS1_3repE0EEENS1_30default_config_static_selectorELNS0_4arch9wavefront6targetE0EEEvT1_
                                        ; -- End function
	.set _ZN7rocprim17ROCPRIM_400000_NS6detail17trampoline_kernelINS0_14default_configENS1_33run_length_encode_config_selectorIijNS0_4plusIjEEEEZZNS1_33reduce_by_key_impl_wrapped_configILNS1_25lookback_scan_determinismE0ES3_S7_PKiNS0_17constant_iteratorIjlEEPiPlSF_S6_NS0_8equal_toIiEEEE10hipError_tPvRmT2_T3_mT4_T5_T6_T7_T8_P12ihipStream_tbENKUlT_T0_E_clISt17integral_constantIbLb1EESY_IbLb0EEEEDaSU_SV_EUlSU_E_NS1_11comp_targetILNS1_3genE9ELNS1_11target_archE1100ELNS1_3gpuE3ELNS1_3repE0EEENS1_30default_config_static_selectorELNS0_4arch9wavefront6targetE0EEEvT1_.num_vgpr, 0
	.set _ZN7rocprim17ROCPRIM_400000_NS6detail17trampoline_kernelINS0_14default_configENS1_33run_length_encode_config_selectorIijNS0_4plusIjEEEEZZNS1_33reduce_by_key_impl_wrapped_configILNS1_25lookback_scan_determinismE0ES3_S7_PKiNS0_17constant_iteratorIjlEEPiPlSF_S6_NS0_8equal_toIiEEEE10hipError_tPvRmT2_T3_mT4_T5_T6_T7_T8_P12ihipStream_tbENKUlT_T0_E_clISt17integral_constantIbLb1EESY_IbLb0EEEEDaSU_SV_EUlSU_E_NS1_11comp_targetILNS1_3genE9ELNS1_11target_archE1100ELNS1_3gpuE3ELNS1_3repE0EEENS1_30default_config_static_selectorELNS0_4arch9wavefront6targetE0EEEvT1_.num_agpr, 0
	.set _ZN7rocprim17ROCPRIM_400000_NS6detail17trampoline_kernelINS0_14default_configENS1_33run_length_encode_config_selectorIijNS0_4plusIjEEEEZZNS1_33reduce_by_key_impl_wrapped_configILNS1_25lookback_scan_determinismE0ES3_S7_PKiNS0_17constant_iteratorIjlEEPiPlSF_S6_NS0_8equal_toIiEEEE10hipError_tPvRmT2_T3_mT4_T5_T6_T7_T8_P12ihipStream_tbENKUlT_T0_E_clISt17integral_constantIbLb1EESY_IbLb0EEEEDaSU_SV_EUlSU_E_NS1_11comp_targetILNS1_3genE9ELNS1_11target_archE1100ELNS1_3gpuE3ELNS1_3repE0EEENS1_30default_config_static_selectorELNS0_4arch9wavefront6targetE0EEEvT1_.numbered_sgpr, 0
	.set _ZN7rocprim17ROCPRIM_400000_NS6detail17trampoline_kernelINS0_14default_configENS1_33run_length_encode_config_selectorIijNS0_4plusIjEEEEZZNS1_33reduce_by_key_impl_wrapped_configILNS1_25lookback_scan_determinismE0ES3_S7_PKiNS0_17constant_iteratorIjlEEPiPlSF_S6_NS0_8equal_toIiEEEE10hipError_tPvRmT2_T3_mT4_T5_T6_T7_T8_P12ihipStream_tbENKUlT_T0_E_clISt17integral_constantIbLb1EESY_IbLb0EEEEDaSU_SV_EUlSU_E_NS1_11comp_targetILNS1_3genE9ELNS1_11target_archE1100ELNS1_3gpuE3ELNS1_3repE0EEENS1_30default_config_static_selectorELNS0_4arch9wavefront6targetE0EEEvT1_.num_named_barrier, 0
	.set _ZN7rocprim17ROCPRIM_400000_NS6detail17trampoline_kernelINS0_14default_configENS1_33run_length_encode_config_selectorIijNS0_4plusIjEEEEZZNS1_33reduce_by_key_impl_wrapped_configILNS1_25lookback_scan_determinismE0ES3_S7_PKiNS0_17constant_iteratorIjlEEPiPlSF_S6_NS0_8equal_toIiEEEE10hipError_tPvRmT2_T3_mT4_T5_T6_T7_T8_P12ihipStream_tbENKUlT_T0_E_clISt17integral_constantIbLb1EESY_IbLb0EEEEDaSU_SV_EUlSU_E_NS1_11comp_targetILNS1_3genE9ELNS1_11target_archE1100ELNS1_3gpuE3ELNS1_3repE0EEENS1_30default_config_static_selectorELNS0_4arch9wavefront6targetE0EEEvT1_.private_seg_size, 0
	.set _ZN7rocprim17ROCPRIM_400000_NS6detail17trampoline_kernelINS0_14default_configENS1_33run_length_encode_config_selectorIijNS0_4plusIjEEEEZZNS1_33reduce_by_key_impl_wrapped_configILNS1_25lookback_scan_determinismE0ES3_S7_PKiNS0_17constant_iteratorIjlEEPiPlSF_S6_NS0_8equal_toIiEEEE10hipError_tPvRmT2_T3_mT4_T5_T6_T7_T8_P12ihipStream_tbENKUlT_T0_E_clISt17integral_constantIbLb1EESY_IbLb0EEEEDaSU_SV_EUlSU_E_NS1_11comp_targetILNS1_3genE9ELNS1_11target_archE1100ELNS1_3gpuE3ELNS1_3repE0EEENS1_30default_config_static_selectorELNS0_4arch9wavefront6targetE0EEEvT1_.uses_vcc, 0
	.set _ZN7rocprim17ROCPRIM_400000_NS6detail17trampoline_kernelINS0_14default_configENS1_33run_length_encode_config_selectorIijNS0_4plusIjEEEEZZNS1_33reduce_by_key_impl_wrapped_configILNS1_25lookback_scan_determinismE0ES3_S7_PKiNS0_17constant_iteratorIjlEEPiPlSF_S6_NS0_8equal_toIiEEEE10hipError_tPvRmT2_T3_mT4_T5_T6_T7_T8_P12ihipStream_tbENKUlT_T0_E_clISt17integral_constantIbLb1EESY_IbLb0EEEEDaSU_SV_EUlSU_E_NS1_11comp_targetILNS1_3genE9ELNS1_11target_archE1100ELNS1_3gpuE3ELNS1_3repE0EEENS1_30default_config_static_selectorELNS0_4arch9wavefront6targetE0EEEvT1_.uses_flat_scratch, 0
	.set _ZN7rocprim17ROCPRIM_400000_NS6detail17trampoline_kernelINS0_14default_configENS1_33run_length_encode_config_selectorIijNS0_4plusIjEEEEZZNS1_33reduce_by_key_impl_wrapped_configILNS1_25lookback_scan_determinismE0ES3_S7_PKiNS0_17constant_iteratorIjlEEPiPlSF_S6_NS0_8equal_toIiEEEE10hipError_tPvRmT2_T3_mT4_T5_T6_T7_T8_P12ihipStream_tbENKUlT_T0_E_clISt17integral_constantIbLb1EESY_IbLb0EEEEDaSU_SV_EUlSU_E_NS1_11comp_targetILNS1_3genE9ELNS1_11target_archE1100ELNS1_3gpuE3ELNS1_3repE0EEENS1_30default_config_static_selectorELNS0_4arch9wavefront6targetE0EEEvT1_.has_dyn_sized_stack, 0
	.set _ZN7rocprim17ROCPRIM_400000_NS6detail17trampoline_kernelINS0_14default_configENS1_33run_length_encode_config_selectorIijNS0_4plusIjEEEEZZNS1_33reduce_by_key_impl_wrapped_configILNS1_25lookback_scan_determinismE0ES3_S7_PKiNS0_17constant_iteratorIjlEEPiPlSF_S6_NS0_8equal_toIiEEEE10hipError_tPvRmT2_T3_mT4_T5_T6_T7_T8_P12ihipStream_tbENKUlT_T0_E_clISt17integral_constantIbLb1EESY_IbLb0EEEEDaSU_SV_EUlSU_E_NS1_11comp_targetILNS1_3genE9ELNS1_11target_archE1100ELNS1_3gpuE3ELNS1_3repE0EEENS1_30default_config_static_selectorELNS0_4arch9wavefront6targetE0EEEvT1_.has_recursion, 0
	.set _ZN7rocprim17ROCPRIM_400000_NS6detail17trampoline_kernelINS0_14default_configENS1_33run_length_encode_config_selectorIijNS0_4plusIjEEEEZZNS1_33reduce_by_key_impl_wrapped_configILNS1_25lookback_scan_determinismE0ES3_S7_PKiNS0_17constant_iteratorIjlEEPiPlSF_S6_NS0_8equal_toIiEEEE10hipError_tPvRmT2_T3_mT4_T5_T6_T7_T8_P12ihipStream_tbENKUlT_T0_E_clISt17integral_constantIbLb1EESY_IbLb0EEEEDaSU_SV_EUlSU_E_NS1_11comp_targetILNS1_3genE9ELNS1_11target_archE1100ELNS1_3gpuE3ELNS1_3repE0EEENS1_30default_config_static_selectorELNS0_4arch9wavefront6targetE0EEEvT1_.has_indirect_call, 0
	.section	.AMDGPU.csdata,"",@progbits
; Kernel info:
; codeLenInByte = 0
; TotalNumSgprs: 0
; NumVgprs: 0
; ScratchSize: 0
; MemoryBound: 0
; FloatMode: 240
; IeeeMode: 1
; LDSByteSize: 0 bytes/workgroup (compile time only)
; SGPRBlocks: 0
; VGPRBlocks: 0
; NumSGPRsForWavesPerEU: 1
; NumVGPRsForWavesPerEU: 1
; NamedBarCnt: 0
; Occupancy: 16
; WaveLimiterHint : 0
; COMPUTE_PGM_RSRC2:SCRATCH_EN: 0
; COMPUTE_PGM_RSRC2:USER_SGPR: 2
; COMPUTE_PGM_RSRC2:TRAP_HANDLER: 0
; COMPUTE_PGM_RSRC2:TGID_X_EN: 1
; COMPUTE_PGM_RSRC2:TGID_Y_EN: 0
; COMPUTE_PGM_RSRC2:TGID_Z_EN: 0
; COMPUTE_PGM_RSRC2:TIDIG_COMP_CNT: 0
	.section	.text._ZN7rocprim17ROCPRIM_400000_NS6detail17trampoline_kernelINS0_14default_configENS1_33run_length_encode_config_selectorIijNS0_4plusIjEEEEZZNS1_33reduce_by_key_impl_wrapped_configILNS1_25lookback_scan_determinismE0ES3_S7_PKiNS0_17constant_iteratorIjlEEPiPlSF_S6_NS0_8equal_toIiEEEE10hipError_tPvRmT2_T3_mT4_T5_T6_T7_T8_P12ihipStream_tbENKUlT_T0_E_clISt17integral_constantIbLb1EESY_IbLb0EEEEDaSU_SV_EUlSU_E_NS1_11comp_targetILNS1_3genE8ELNS1_11target_archE1030ELNS1_3gpuE2ELNS1_3repE0EEENS1_30default_config_static_selectorELNS0_4arch9wavefront6targetE0EEEvT1_,"axG",@progbits,_ZN7rocprim17ROCPRIM_400000_NS6detail17trampoline_kernelINS0_14default_configENS1_33run_length_encode_config_selectorIijNS0_4plusIjEEEEZZNS1_33reduce_by_key_impl_wrapped_configILNS1_25lookback_scan_determinismE0ES3_S7_PKiNS0_17constant_iteratorIjlEEPiPlSF_S6_NS0_8equal_toIiEEEE10hipError_tPvRmT2_T3_mT4_T5_T6_T7_T8_P12ihipStream_tbENKUlT_T0_E_clISt17integral_constantIbLb1EESY_IbLb0EEEEDaSU_SV_EUlSU_E_NS1_11comp_targetILNS1_3genE8ELNS1_11target_archE1030ELNS1_3gpuE2ELNS1_3repE0EEENS1_30default_config_static_selectorELNS0_4arch9wavefront6targetE0EEEvT1_,comdat
	.protected	_ZN7rocprim17ROCPRIM_400000_NS6detail17trampoline_kernelINS0_14default_configENS1_33run_length_encode_config_selectorIijNS0_4plusIjEEEEZZNS1_33reduce_by_key_impl_wrapped_configILNS1_25lookback_scan_determinismE0ES3_S7_PKiNS0_17constant_iteratorIjlEEPiPlSF_S6_NS0_8equal_toIiEEEE10hipError_tPvRmT2_T3_mT4_T5_T6_T7_T8_P12ihipStream_tbENKUlT_T0_E_clISt17integral_constantIbLb1EESY_IbLb0EEEEDaSU_SV_EUlSU_E_NS1_11comp_targetILNS1_3genE8ELNS1_11target_archE1030ELNS1_3gpuE2ELNS1_3repE0EEENS1_30default_config_static_selectorELNS0_4arch9wavefront6targetE0EEEvT1_ ; -- Begin function _ZN7rocprim17ROCPRIM_400000_NS6detail17trampoline_kernelINS0_14default_configENS1_33run_length_encode_config_selectorIijNS0_4plusIjEEEEZZNS1_33reduce_by_key_impl_wrapped_configILNS1_25lookback_scan_determinismE0ES3_S7_PKiNS0_17constant_iteratorIjlEEPiPlSF_S6_NS0_8equal_toIiEEEE10hipError_tPvRmT2_T3_mT4_T5_T6_T7_T8_P12ihipStream_tbENKUlT_T0_E_clISt17integral_constantIbLb1EESY_IbLb0EEEEDaSU_SV_EUlSU_E_NS1_11comp_targetILNS1_3genE8ELNS1_11target_archE1030ELNS1_3gpuE2ELNS1_3repE0EEENS1_30default_config_static_selectorELNS0_4arch9wavefront6targetE0EEEvT1_
	.globl	_ZN7rocprim17ROCPRIM_400000_NS6detail17trampoline_kernelINS0_14default_configENS1_33run_length_encode_config_selectorIijNS0_4plusIjEEEEZZNS1_33reduce_by_key_impl_wrapped_configILNS1_25lookback_scan_determinismE0ES3_S7_PKiNS0_17constant_iteratorIjlEEPiPlSF_S6_NS0_8equal_toIiEEEE10hipError_tPvRmT2_T3_mT4_T5_T6_T7_T8_P12ihipStream_tbENKUlT_T0_E_clISt17integral_constantIbLb1EESY_IbLb0EEEEDaSU_SV_EUlSU_E_NS1_11comp_targetILNS1_3genE8ELNS1_11target_archE1030ELNS1_3gpuE2ELNS1_3repE0EEENS1_30default_config_static_selectorELNS0_4arch9wavefront6targetE0EEEvT1_
	.p2align	8
	.type	_ZN7rocprim17ROCPRIM_400000_NS6detail17trampoline_kernelINS0_14default_configENS1_33run_length_encode_config_selectorIijNS0_4plusIjEEEEZZNS1_33reduce_by_key_impl_wrapped_configILNS1_25lookback_scan_determinismE0ES3_S7_PKiNS0_17constant_iteratorIjlEEPiPlSF_S6_NS0_8equal_toIiEEEE10hipError_tPvRmT2_T3_mT4_T5_T6_T7_T8_P12ihipStream_tbENKUlT_T0_E_clISt17integral_constantIbLb1EESY_IbLb0EEEEDaSU_SV_EUlSU_E_NS1_11comp_targetILNS1_3genE8ELNS1_11target_archE1030ELNS1_3gpuE2ELNS1_3repE0EEENS1_30default_config_static_selectorELNS0_4arch9wavefront6targetE0EEEvT1_,@function
_ZN7rocprim17ROCPRIM_400000_NS6detail17trampoline_kernelINS0_14default_configENS1_33run_length_encode_config_selectorIijNS0_4plusIjEEEEZZNS1_33reduce_by_key_impl_wrapped_configILNS1_25lookback_scan_determinismE0ES3_S7_PKiNS0_17constant_iteratorIjlEEPiPlSF_S6_NS0_8equal_toIiEEEE10hipError_tPvRmT2_T3_mT4_T5_T6_T7_T8_P12ihipStream_tbENKUlT_T0_E_clISt17integral_constantIbLb1EESY_IbLb0EEEEDaSU_SV_EUlSU_E_NS1_11comp_targetILNS1_3genE8ELNS1_11target_archE1030ELNS1_3gpuE2ELNS1_3repE0EEENS1_30default_config_static_selectorELNS0_4arch9wavefront6targetE0EEEvT1_: ; @_ZN7rocprim17ROCPRIM_400000_NS6detail17trampoline_kernelINS0_14default_configENS1_33run_length_encode_config_selectorIijNS0_4plusIjEEEEZZNS1_33reduce_by_key_impl_wrapped_configILNS1_25lookback_scan_determinismE0ES3_S7_PKiNS0_17constant_iteratorIjlEEPiPlSF_S6_NS0_8equal_toIiEEEE10hipError_tPvRmT2_T3_mT4_T5_T6_T7_T8_P12ihipStream_tbENKUlT_T0_E_clISt17integral_constantIbLb1EESY_IbLb0EEEEDaSU_SV_EUlSU_E_NS1_11comp_targetILNS1_3genE8ELNS1_11target_archE1030ELNS1_3gpuE2ELNS1_3repE0EEENS1_30default_config_static_selectorELNS0_4arch9wavefront6targetE0EEEvT1_
; %bb.0:
	.section	.rodata,"a",@progbits
	.p2align	6, 0x0
	.amdhsa_kernel _ZN7rocprim17ROCPRIM_400000_NS6detail17trampoline_kernelINS0_14default_configENS1_33run_length_encode_config_selectorIijNS0_4plusIjEEEEZZNS1_33reduce_by_key_impl_wrapped_configILNS1_25lookback_scan_determinismE0ES3_S7_PKiNS0_17constant_iteratorIjlEEPiPlSF_S6_NS0_8equal_toIiEEEE10hipError_tPvRmT2_T3_mT4_T5_T6_T7_T8_P12ihipStream_tbENKUlT_T0_E_clISt17integral_constantIbLb1EESY_IbLb0EEEEDaSU_SV_EUlSU_E_NS1_11comp_targetILNS1_3genE8ELNS1_11target_archE1030ELNS1_3gpuE2ELNS1_3repE0EEENS1_30default_config_static_selectorELNS0_4arch9wavefront6targetE0EEEvT1_
		.amdhsa_group_segment_fixed_size 0
		.amdhsa_private_segment_fixed_size 0
		.amdhsa_kernarg_size 128
		.amdhsa_user_sgpr_count 2
		.amdhsa_user_sgpr_dispatch_ptr 0
		.amdhsa_user_sgpr_queue_ptr 0
		.amdhsa_user_sgpr_kernarg_segment_ptr 1
		.amdhsa_user_sgpr_dispatch_id 0
		.amdhsa_user_sgpr_kernarg_preload_length 0
		.amdhsa_user_sgpr_kernarg_preload_offset 0
		.amdhsa_user_sgpr_private_segment_size 0
		.amdhsa_wavefront_size32 1
		.amdhsa_uses_dynamic_stack 0
		.amdhsa_enable_private_segment 0
		.amdhsa_system_sgpr_workgroup_id_x 1
		.amdhsa_system_sgpr_workgroup_id_y 0
		.amdhsa_system_sgpr_workgroup_id_z 0
		.amdhsa_system_sgpr_workgroup_info 0
		.amdhsa_system_vgpr_workitem_id 0
		.amdhsa_next_free_vgpr 1
		.amdhsa_next_free_sgpr 1
		.amdhsa_named_barrier_count 0
		.amdhsa_reserve_vcc 0
		.amdhsa_float_round_mode_32 0
		.amdhsa_float_round_mode_16_64 0
		.amdhsa_float_denorm_mode_32 3
		.amdhsa_float_denorm_mode_16_64 3
		.amdhsa_fp16_overflow 0
		.amdhsa_memory_ordered 1
		.amdhsa_forward_progress 1
		.amdhsa_inst_pref_size 0
		.amdhsa_round_robin_scheduling 0
		.amdhsa_exception_fp_ieee_invalid_op 0
		.amdhsa_exception_fp_denorm_src 0
		.amdhsa_exception_fp_ieee_div_zero 0
		.amdhsa_exception_fp_ieee_overflow 0
		.amdhsa_exception_fp_ieee_underflow 0
		.amdhsa_exception_fp_ieee_inexact 0
		.amdhsa_exception_int_div_zero 0
	.end_amdhsa_kernel
	.section	.text._ZN7rocprim17ROCPRIM_400000_NS6detail17trampoline_kernelINS0_14default_configENS1_33run_length_encode_config_selectorIijNS0_4plusIjEEEEZZNS1_33reduce_by_key_impl_wrapped_configILNS1_25lookback_scan_determinismE0ES3_S7_PKiNS0_17constant_iteratorIjlEEPiPlSF_S6_NS0_8equal_toIiEEEE10hipError_tPvRmT2_T3_mT4_T5_T6_T7_T8_P12ihipStream_tbENKUlT_T0_E_clISt17integral_constantIbLb1EESY_IbLb0EEEEDaSU_SV_EUlSU_E_NS1_11comp_targetILNS1_3genE8ELNS1_11target_archE1030ELNS1_3gpuE2ELNS1_3repE0EEENS1_30default_config_static_selectorELNS0_4arch9wavefront6targetE0EEEvT1_,"axG",@progbits,_ZN7rocprim17ROCPRIM_400000_NS6detail17trampoline_kernelINS0_14default_configENS1_33run_length_encode_config_selectorIijNS0_4plusIjEEEEZZNS1_33reduce_by_key_impl_wrapped_configILNS1_25lookback_scan_determinismE0ES3_S7_PKiNS0_17constant_iteratorIjlEEPiPlSF_S6_NS0_8equal_toIiEEEE10hipError_tPvRmT2_T3_mT4_T5_T6_T7_T8_P12ihipStream_tbENKUlT_T0_E_clISt17integral_constantIbLb1EESY_IbLb0EEEEDaSU_SV_EUlSU_E_NS1_11comp_targetILNS1_3genE8ELNS1_11target_archE1030ELNS1_3gpuE2ELNS1_3repE0EEENS1_30default_config_static_selectorELNS0_4arch9wavefront6targetE0EEEvT1_,comdat
.Lfunc_end468:
	.size	_ZN7rocprim17ROCPRIM_400000_NS6detail17trampoline_kernelINS0_14default_configENS1_33run_length_encode_config_selectorIijNS0_4plusIjEEEEZZNS1_33reduce_by_key_impl_wrapped_configILNS1_25lookback_scan_determinismE0ES3_S7_PKiNS0_17constant_iteratorIjlEEPiPlSF_S6_NS0_8equal_toIiEEEE10hipError_tPvRmT2_T3_mT4_T5_T6_T7_T8_P12ihipStream_tbENKUlT_T0_E_clISt17integral_constantIbLb1EESY_IbLb0EEEEDaSU_SV_EUlSU_E_NS1_11comp_targetILNS1_3genE8ELNS1_11target_archE1030ELNS1_3gpuE2ELNS1_3repE0EEENS1_30default_config_static_selectorELNS0_4arch9wavefront6targetE0EEEvT1_, .Lfunc_end468-_ZN7rocprim17ROCPRIM_400000_NS6detail17trampoline_kernelINS0_14default_configENS1_33run_length_encode_config_selectorIijNS0_4plusIjEEEEZZNS1_33reduce_by_key_impl_wrapped_configILNS1_25lookback_scan_determinismE0ES3_S7_PKiNS0_17constant_iteratorIjlEEPiPlSF_S6_NS0_8equal_toIiEEEE10hipError_tPvRmT2_T3_mT4_T5_T6_T7_T8_P12ihipStream_tbENKUlT_T0_E_clISt17integral_constantIbLb1EESY_IbLb0EEEEDaSU_SV_EUlSU_E_NS1_11comp_targetILNS1_3genE8ELNS1_11target_archE1030ELNS1_3gpuE2ELNS1_3repE0EEENS1_30default_config_static_selectorELNS0_4arch9wavefront6targetE0EEEvT1_
                                        ; -- End function
	.set _ZN7rocprim17ROCPRIM_400000_NS6detail17trampoline_kernelINS0_14default_configENS1_33run_length_encode_config_selectorIijNS0_4plusIjEEEEZZNS1_33reduce_by_key_impl_wrapped_configILNS1_25lookback_scan_determinismE0ES3_S7_PKiNS0_17constant_iteratorIjlEEPiPlSF_S6_NS0_8equal_toIiEEEE10hipError_tPvRmT2_T3_mT4_T5_T6_T7_T8_P12ihipStream_tbENKUlT_T0_E_clISt17integral_constantIbLb1EESY_IbLb0EEEEDaSU_SV_EUlSU_E_NS1_11comp_targetILNS1_3genE8ELNS1_11target_archE1030ELNS1_3gpuE2ELNS1_3repE0EEENS1_30default_config_static_selectorELNS0_4arch9wavefront6targetE0EEEvT1_.num_vgpr, 0
	.set _ZN7rocprim17ROCPRIM_400000_NS6detail17trampoline_kernelINS0_14default_configENS1_33run_length_encode_config_selectorIijNS0_4plusIjEEEEZZNS1_33reduce_by_key_impl_wrapped_configILNS1_25lookback_scan_determinismE0ES3_S7_PKiNS0_17constant_iteratorIjlEEPiPlSF_S6_NS0_8equal_toIiEEEE10hipError_tPvRmT2_T3_mT4_T5_T6_T7_T8_P12ihipStream_tbENKUlT_T0_E_clISt17integral_constantIbLb1EESY_IbLb0EEEEDaSU_SV_EUlSU_E_NS1_11comp_targetILNS1_3genE8ELNS1_11target_archE1030ELNS1_3gpuE2ELNS1_3repE0EEENS1_30default_config_static_selectorELNS0_4arch9wavefront6targetE0EEEvT1_.num_agpr, 0
	.set _ZN7rocprim17ROCPRIM_400000_NS6detail17trampoline_kernelINS0_14default_configENS1_33run_length_encode_config_selectorIijNS0_4plusIjEEEEZZNS1_33reduce_by_key_impl_wrapped_configILNS1_25lookback_scan_determinismE0ES3_S7_PKiNS0_17constant_iteratorIjlEEPiPlSF_S6_NS0_8equal_toIiEEEE10hipError_tPvRmT2_T3_mT4_T5_T6_T7_T8_P12ihipStream_tbENKUlT_T0_E_clISt17integral_constantIbLb1EESY_IbLb0EEEEDaSU_SV_EUlSU_E_NS1_11comp_targetILNS1_3genE8ELNS1_11target_archE1030ELNS1_3gpuE2ELNS1_3repE0EEENS1_30default_config_static_selectorELNS0_4arch9wavefront6targetE0EEEvT1_.numbered_sgpr, 0
	.set _ZN7rocprim17ROCPRIM_400000_NS6detail17trampoline_kernelINS0_14default_configENS1_33run_length_encode_config_selectorIijNS0_4plusIjEEEEZZNS1_33reduce_by_key_impl_wrapped_configILNS1_25lookback_scan_determinismE0ES3_S7_PKiNS0_17constant_iteratorIjlEEPiPlSF_S6_NS0_8equal_toIiEEEE10hipError_tPvRmT2_T3_mT4_T5_T6_T7_T8_P12ihipStream_tbENKUlT_T0_E_clISt17integral_constantIbLb1EESY_IbLb0EEEEDaSU_SV_EUlSU_E_NS1_11comp_targetILNS1_3genE8ELNS1_11target_archE1030ELNS1_3gpuE2ELNS1_3repE0EEENS1_30default_config_static_selectorELNS0_4arch9wavefront6targetE0EEEvT1_.num_named_barrier, 0
	.set _ZN7rocprim17ROCPRIM_400000_NS6detail17trampoline_kernelINS0_14default_configENS1_33run_length_encode_config_selectorIijNS0_4plusIjEEEEZZNS1_33reduce_by_key_impl_wrapped_configILNS1_25lookback_scan_determinismE0ES3_S7_PKiNS0_17constant_iteratorIjlEEPiPlSF_S6_NS0_8equal_toIiEEEE10hipError_tPvRmT2_T3_mT4_T5_T6_T7_T8_P12ihipStream_tbENKUlT_T0_E_clISt17integral_constantIbLb1EESY_IbLb0EEEEDaSU_SV_EUlSU_E_NS1_11comp_targetILNS1_3genE8ELNS1_11target_archE1030ELNS1_3gpuE2ELNS1_3repE0EEENS1_30default_config_static_selectorELNS0_4arch9wavefront6targetE0EEEvT1_.private_seg_size, 0
	.set _ZN7rocprim17ROCPRIM_400000_NS6detail17trampoline_kernelINS0_14default_configENS1_33run_length_encode_config_selectorIijNS0_4plusIjEEEEZZNS1_33reduce_by_key_impl_wrapped_configILNS1_25lookback_scan_determinismE0ES3_S7_PKiNS0_17constant_iteratorIjlEEPiPlSF_S6_NS0_8equal_toIiEEEE10hipError_tPvRmT2_T3_mT4_T5_T6_T7_T8_P12ihipStream_tbENKUlT_T0_E_clISt17integral_constantIbLb1EESY_IbLb0EEEEDaSU_SV_EUlSU_E_NS1_11comp_targetILNS1_3genE8ELNS1_11target_archE1030ELNS1_3gpuE2ELNS1_3repE0EEENS1_30default_config_static_selectorELNS0_4arch9wavefront6targetE0EEEvT1_.uses_vcc, 0
	.set _ZN7rocprim17ROCPRIM_400000_NS6detail17trampoline_kernelINS0_14default_configENS1_33run_length_encode_config_selectorIijNS0_4plusIjEEEEZZNS1_33reduce_by_key_impl_wrapped_configILNS1_25lookback_scan_determinismE0ES3_S7_PKiNS0_17constant_iteratorIjlEEPiPlSF_S6_NS0_8equal_toIiEEEE10hipError_tPvRmT2_T3_mT4_T5_T6_T7_T8_P12ihipStream_tbENKUlT_T0_E_clISt17integral_constantIbLb1EESY_IbLb0EEEEDaSU_SV_EUlSU_E_NS1_11comp_targetILNS1_3genE8ELNS1_11target_archE1030ELNS1_3gpuE2ELNS1_3repE0EEENS1_30default_config_static_selectorELNS0_4arch9wavefront6targetE0EEEvT1_.uses_flat_scratch, 0
	.set _ZN7rocprim17ROCPRIM_400000_NS6detail17trampoline_kernelINS0_14default_configENS1_33run_length_encode_config_selectorIijNS0_4plusIjEEEEZZNS1_33reduce_by_key_impl_wrapped_configILNS1_25lookback_scan_determinismE0ES3_S7_PKiNS0_17constant_iteratorIjlEEPiPlSF_S6_NS0_8equal_toIiEEEE10hipError_tPvRmT2_T3_mT4_T5_T6_T7_T8_P12ihipStream_tbENKUlT_T0_E_clISt17integral_constantIbLb1EESY_IbLb0EEEEDaSU_SV_EUlSU_E_NS1_11comp_targetILNS1_3genE8ELNS1_11target_archE1030ELNS1_3gpuE2ELNS1_3repE0EEENS1_30default_config_static_selectorELNS0_4arch9wavefront6targetE0EEEvT1_.has_dyn_sized_stack, 0
	.set _ZN7rocprim17ROCPRIM_400000_NS6detail17trampoline_kernelINS0_14default_configENS1_33run_length_encode_config_selectorIijNS0_4plusIjEEEEZZNS1_33reduce_by_key_impl_wrapped_configILNS1_25lookback_scan_determinismE0ES3_S7_PKiNS0_17constant_iteratorIjlEEPiPlSF_S6_NS0_8equal_toIiEEEE10hipError_tPvRmT2_T3_mT4_T5_T6_T7_T8_P12ihipStream_tbENKUlT_T0_E_clISt17integral_constantIbLb1EESY_IbLb0EEEEDaSU_SV_EUlSU_E_NS1_11comp_targetILNS1_3genE8ELNS1_11target_archE1030ELNS1_3gpuE2ELNS1_3repE0EEENS1_30default_config_static_selectorELNS0_4arch9wavefront6targetE0EEEvT1_.has_recursion, 0
	.set _ZN7rocprim17ROCPRIM_400000_NS6detail17trampoline_kernelINS0_14default_configENS1_33run_length_encode_config_selectorIijNS0_4plusIjEEEEZZNS1_33reduce_by_key_impl_wrapped_configILNS1_25lookback_scan_determinismE0ES3_S7_PKiNS0_17constant_iteratorIjlEEPiPlSF_S6_NS0_8equal_toIiEEEE10hipError_tPvRmT2_T3_mT4_T5_T6_T7_T8_P12ihipStream_tbENKUlT_T0_E_clISt17integral_constantIbLb1EESY_IbLb0EEEEDaSU_SV_EUlSU_E_NS1_11comp_targetILNS1_3genE8ELNS1_11target_archE1030ELNS1_3gpuE2ELNS1_3repE0EEENS1_30default_config_static_selectorELNS0_4arch9wavefront6targetE0EEEvT1_.has_indirect_call, 0
	.section	.AMDGPU.csdata,"",@progbits
; Kernel info:
; codeLenInByte = 0
; TotalNumSgprs: 0
; NumVgprs: 0
; ScratchSize: 0
; MemoryBound: 0
; FloatMode: 240
; IeeeMode: 1
; LDSByteSize: 0 bytes/workgroup (compile time only)
; SGPRBlocks: 0
; VGPRBlocks: 0
; NumSGPRsForWavesPerEU: 1
; NumVGPRsForWavesPerEU: 1
; NamedBarCnt: 0
; Occupancy: 16
; WaveLimiterHint : 0
; COMPUTE_PGM_RSRC2:SCRATCH_EN: 0
; COMPUTE_PGM_RSRC2:USER_SGPR: 2
; COMPUTE_PGM_RSRC2:TRAP_HANDLER: 0
; COMPUTE_PGM_RSRC2:TGID_X_EN: 1
; COMPUTE_PGM_RSRC2:TGID_Y_EN: 0
; COMPUTE_PGM_RSRC2:TGID_Z_EN: 0
; COMPUTE_PGM_RSRC2:TIDIG_COMP_CNT: 0
	.section	.text._ZN7rocprim17ROCPRIM_400000_NS6detail17trampoline_kernelINS0_14default_configENS1_33run_length_encode_config_selectorIijNS0_4plusIjEEEEZZNS1_33reduce_by_key_impl_wrapped_configILNS1_25lookback_scan_determinismE0ES3_S7_PKiNS0_17constant_iteratorIjlEEPiPlSF_S6_NS0_8equal_toIiEEEE10hipError_tPvRmT2_T3_mT4_T5_T6_T7_T8_P12ihipStream_tbENKUlT_T0_E_clISt17integral_constantIbLb0EESY_IbLb1EEEEDaSU_SV_EUlSU_E_NS1_11comp_targetILNS1_3genE0ELNS1_11target_archE4294967295ELNS1_3gpuE0ELNS1_3repE0EEENS1_30default_config_static_selectorELNS0_4arch9wavefront6targetE0EEEvT1_,"axG",@progbits,_ZN7rocprim17ROCPRIM_400000_NS6detail17trampoline_kernelINS0_14default_configENS1_33run_length_encode_config_selectorIijNS0_4plusIjEEEEZZNS1_33reduce_by_key_impl_wrapped_configILNS1_25lookback_scan_determinismE0ES3_S7_PKiNS0_17constant_iteratorIjlEEPiPlSF_S6_NS0_8equal_toIiEEEE10hipError_tPvRmT2_T3_mT4_T5_T6_T7_T8_P12ihipStream_tbENKUlT_T0_E_clISt17integral_constantIbLb0EESY_IbLb1EEEEDaSU_SV_EUlSU_E_NS1_11comp_targetILNS1_3genE0ELNS1_11target_archE4294967295ELNS1_3gpuE0ELNS1_3repE0EEENS1_30default_config_static_selectorELNS0_4arch9wavefront6targetE0EEEvT1_,comdat
	.protected	_ZN7rocprim17ROCPRIM_400000_NS6detail17trampoline_kernelINS0_14default_configENS1_33run_length_encode_config_selectorIijNS0_4plusIjEEEEZZNS1_33reduce_by_key_impl_wrapped_configILNS1_25lookback_scan_determinismE0ES3_S7_PKiNS0_17constant_iteratorIjlEEPiPlSF_S6_NS0_8equal_toIiEEEE10hipError_tPvRmT2_T3_mT4_T5_T6_T7_T8_P12ihipStream_tbENKUlT_T0_E_clISt17integral_constantIbLb0EESY_IbLb1EEEEDaSU_SV_EUlSU_E_NS1_11comp_targetILNS1_3genE0ELNS1_11target_archE4294967295ELNS1_3gpuE0ELNS1_3repE0EEENS1_30default_config_static_selectorELNS0_4arch9wavefront6targetE0EEEvT1_ ; -- Begin function _ZN7rocprim17ROCPRIM_400000_NS6detail17trampoline_kernelINS0_14default_configENS1_33run_length_encode_config_selectorIijNS0_4plusIjEEEEZZNS1_33reduce_by_key_impl_wrapped_configILNS1_25lookback_scan_determinismE0ES3_S7_PKiNS0_17constant_iteratorIjlEEPiPlSF_S6_NS0_8equal_toIiEEEE10hipError_tPvRmT2_T3_mT4_T5_T6_T7_T8_P12ihipStream_tbENKUlT_T0_E_clISt17integral_constantIbLb0EESY_IbLb1EEEEDaSU_SV_EUlSU_E_NS1_11comp_targetILNS1_3genE0ELNS1_11target_archE4294967295ELNS1_3gpuE0ELNS1_3repE0EEENS1_30default_config_static_selectorELNS0_4arch9wavefront6targetE0EEEvT1_
	.globl	_ZN7rocprim17ROCPRIM_400000_NS6detail17trampoline_kernelINS0_14default_configENS1_33run_length_encode_config_selectorIijNS0_4plusIjEEEEZZNS1_33reduce_by_key_impl_wrapped_configILNS1_25lookback_scan_determinismE0ES3_S7_PKiNS0_17constant_iteratorIjlEEPiPlSF_S6_NS0_8equal_toIiEEEE10hipError_tPvRmT2_T3_mT4_T5_T6_T7_T8_P12ihipStream_tbENKUlT_T0_E_clISt17integral_constantIbLb0EESY_IbLb1EEEEDaSU_SV_EUlSU_E_NS1_11comp_targetILNS1_3genE0ELNS1_11target_archE4294967295ELNS1_3gpuE0ELNS1_3repE0EEENS1_30default_config_static_selectorELNS0_4arch9wavefront6targetE0EEEvT1_
	.p2align	8
	.type	_ZN7rocprim17ROCPRIM_400000_NS6detail17trampoline_kernelINS0_14default_configENS1_33run_length_encode_config_selectorIijNS0_4plusIjEEEEZZNS1_33reduce_by_key_impl_wrapped_configILNS1_25lookback_scan_determinismE0ES3_S7_PKiNS0_17constant_iteratorIjlEEPiPlSF_S6_NS0_8equal_toIiEEEE10hipError_tPvRmT2_T3_mT4_T5_T6_T7_T8_P12ihipStream_tbENKUlT_T0_E_clISt17integral_constantIbLb0EESY_IbLb1EEEEDaSU_SV_EUlSU_E_NS1_11comp_targetILNS1_3genE0ELNS1_11target_archE4294967295ELNS1_3gpuE0ELNS1_3repE0EEENS1_30default_config_static_selectorELNS0_4arch9wavefront6targetE0EEEvT1_,@function
_ZN7rocprim17ROCPRIM_400000_NS6detail17trampoline_kernelINS0_14default_configENS1_33run_length_encode_config_selectorIijNS0_4plusIjEEEEZZNS1_33reduce_by_key_impl_wrapped_configILNS1_25lookback_scan_determinismE0ES3_S7_PKiNS0_17constant_iteratorIjlEEPiPlSF_S6_NS0_8equal_toIiEEEE10hipError_tPvRmT2_T3_mT4_T5_T6_T7_T8_P12ihipStream_tbENKUlT_T0_E_clISt17integral_constantIbLb0EESY_IbLb1EEEEDaSU_SV_EUlSU_E_NS1_11comp_targetILNS1_3genE0ELNS1_11target_archE4294967295ELNS1_3gpuE0ELNS1_3repE0EEENS1_30default_config_static_selectorELNS0_4arch9wavefront6targetE0EEEvT1_: ; @_ZN7rocprim17ROCPRIM_400000_NS6detail17trampoline_kernelINS0_14default_configENS1_33run_length_encode_config_selectorIijNS0_4plusIjEEEEZZNS1_33reduce_by_key_impl_wrapped_configILNS1_25lookback_scan_determinismE0ES3_S7_PKiNS0_17constant_iteratorIjlEEPiPlSF_S6_NS0_8equal_toIiEEEE10hipError_tPvRmT2_T3_mT4_T5_T6_T7_T8_P12ihipStream_tbENKUlT_T0_E_clISt17integral_constantIbLb0EESY_IbLb1EEEEDaSU_SV_EUlSU_E_NS1_11comp_targetILNS1_3genE0ELNS1_11target_archE4294967295ELNS1_3gpuE0ELNS1_3repE0EEENS1_30default_config_static_selectorELNS0_4arch9wavefront6targetE0EEEvT1_
; %bb.0:
	s_clause 0x5
	s_load_b32 s8, s[0:1], 0x10
	s_load_b128 s[28:31], s[0:1], 0x20
	s_load_b64 s[34:35], s[0:1], 0x30
	s_load_b64 s[36:37], s[0:1], 0x70
	s_load_b128 s[16:19], s[0:1], 0x60
	s_load_b256 s[20:27], s[0:1], 0x40
	v_cmp_ne_u32_e64 s3, 0, v0
	v_cmp_eq_u32_e64 s2, 0, v0
	s_and_saveexec_b32 s4, s2
	s_cbranch_execz .LBB469_4
; %bb.1:
	s_mov_b32 s6, exec_lo
	s_mov_b32 s5, exec_lo
	v_mbcnt_lo_u32_b32 v1, s6, 0
                                        ; implicit-def: $vgpr2
	s_delay_alu instid0(VALU_DEP_1)
	v_cmpx_eq_u32_e32 0, v1
	s_cbranch_execz .LBB469_3
; %bb.2:
	s_load_b64 s[10:11], s[0:1], 0x78
	s_bcnt1_i32_b32 s6, s6
	s_delay_alu instid0(SALU_CYCLE_1)
	v_dual_mov_b32 v2, 0 :: v_dual_mov_b32 v3, s6
	s_wait_xcnt 0x0
	s_wait_kmcnt 0x0
	global_atomic_add_u32 v2, v2, v3, s[10:11] th:TH_ATOMIC_RETURN scope:SCOPE_DEV
.LBB469_3:
	s_wait_xcnt 0x0
	s_or_b32 exec_lo, exec_lo, s5
	s_wait_loadcnt 0x0
	v_readfirstlane_b32 s5, v2
	s_delay_alu instid0(VALU_DEP_1)
	v_dual_mov_b32 v2, 0 :: v_dual_add_nc_u32 v1, s5, v1
	ds_store_b32 v2, v1
.LBB469_4:
	s_or_b32 exec_lo, exec_lo, s4
	v_mov_b32_e32 v3, 0
	s_wait_dscnt 0x0
	s_barrier_signal -1
	s_barrier_wait -1
	ds_load_b32 v1, v3
	s_load_b128 s[4:7], s[0:1], 0x0
	s_wait_kmcnt 0x0
	s_mul_u64 s[0:1], s[24:25], s[22:23]
	s_mov_b32 s25, 0
	s_wait_dscnt 0x0
	s_barrier_signal -1
	s_barrier_wait -1
	v_mul_lo_u32 v2, 0xe00, v1
	v_readfirstlane_b32 s24, v1
	s_lshl_b64 s[6:7], s[6:7], 2
	s_delay_alu instid0(SALU_CYCLE_1)
	s_add_nc_u64 s[4:5], s[4:5], s[6:7]
	s_add_nc_u64 s[6:7], s[26:27], -1
	s_add_nc_u64 s[14:15], s[0:1], s[24:25]
	s_mul_i32 s38, s6, 0xfffff200
	s_cmp_eq_u64 s[14:15], s[6:7]
	s_cselect_b32 s33, -1, 0
	v_lshlrev_b64_e32 v[2:3], 2, v[2:3]
	s_cmp_lg_u64 s[14:15], s[6:7]
	s_cselect_b32 s0, -1, 0
	s_and_b32 vcc_lo, exec_lo, s33
	s_delay_alu instid0(VALU_DEP_1)
	v_add_nc_u64_e32 v[14:15], s[4:5], v[2:3]
	s_cbranch_vccnz .LBB469_6
; %bb.5:
	s_delay_alu instid0(VALU_DEP_1) | instskip(NEXT) | instid1(VALU_DEP_2)
	v_readfirstlane_b32 s4, v14
	v_readfirstlane_b32 s5, v15
	v_lshlrev_b32_e32 v17, 2, v0
	s_mov_b32 s1, 0
	s_mov_b32 s25, -1
	s_clause 0xd
	global_load_b32 v1, v0, s[4:5] scale_offset
	global_load_b32 v2, v0, s[4:5] offset:1024 scale_offset
	global_load_b32 v3, v0, s[4:5] offset:2048 scale_offset
	;; [unrolled: 1-line block ×13, first 2 shown]
	v_mad_u32_u24 v18, v0, 52, v17
	s_wait_loadcnt 0xc
	ds_store_2addr_stride64_b32 v17, v1, v2 offset1:4
	s_wait_loadcnt 0xa
	ds_store_2addr_stride64_b32 v17, v3, v4 offset0:8 offset1:12
	s_wait_loadcnt 0x8
	ds_store_2addr_stride64_b32 v17, v5, v6 offset0:16 offset1:20
	;; [unrolled: 2-line block ×6, first 2 shown]
	s_wait_dscnt 0x0
	s_barrier_signal -1
	s_barrier_wait -1
	ds_load_2addr_b64 v[10:13], v18 offset1:1
	ds_load_2addr_b64 v[6:9], v18 offset0:2 offset1:3
	ds_load_2addr_b64 v[2:5], v18 offset0:4 offset1:5
	ds_load_b64 v[22:23], v18 offset:48
	s_wait_dscnt 0x3
	v_dual_mov_b32 v16, v10 :: v_dual_mov_b32 v17, v12
	s_wait_dscnt 0x2
	v_dual_mov_b32 v18, v6 :: v_dual_mov_b32 v19, v8
	;; [unrolled: 2-line block ×3, first 2 shown]
	s_branch .LBB469_7
.LBB469_6:
	s_mov_b32 s1, -1
                                        ; implicit-def: $vgpr4
                                        ; implicit-def: $vgpr8
                                        ; implicit-def: $vgpr12
                                        ; implicit-def: $vgpr22_vgpr23
                                        ; implicit-def: $vgpr20_vgpr21
                                        ; implicit-def: $vgpr18_vgpr19
                                        ; implicit-def: $vgpr16_vgpr17
.LBB469_7:
	v_dual_mov_b32 v1, s8 :: v_dual_mov_b32 v50, s8
	v_dual_mov_b32 v51, s8 :: v_dual_mov_b32 v53, s8
	;; [unrolled: 1-line block ×6, first 2 shown]
	v_mov_b32_e32 v52, s8
	s_and_not1_b32 vcc_lo, exec_lo, s1
	s_add_co_i32 s38, s38, s16
                                        ; implicit-def: $vgpr76
	s_cbranch_vccnz .LBB469_37
; %bb.8:
	s_mov_b32 s1, exec_lo
                                        ; implicit-def: $vgpr1
	v_cmpx_gt_u32_e64 s38, v0
	s_cbranch_execz .LBB469_10
; %bb.9:
	v_readfirstlane_b32 s4, v14
	v_readfirstlane_b32 s5, v15
	global_load_b32 v1, v0, s[4:5] scale_offset
.LBB469_10:
	s_wait_xcnt 0x0
	s_or_b32 exec_lo, exec_lo, s1
	v_or_b32_e32 v2, 0x100, v0
	s_delay_alu instid0(VALU_DEP_1)
	v_cmp_gt_u32_e32 vcc_lo, s38, v2
                                        ; implicit-def: $vgpr2
	s_and_saveexec_b32 s1, vcc_lo
	s_cbranch_execz .LBB469_12
; %bb.11:
	v_readfirstlane_b32 s4, v14
	v_readfirstlane_b32 s5, v15
	global_load_b32 v2, v0, s[4:5] offset:1024 scale_offset
.LBB469_12:
	s_wait_xcnt 0x0
	s_or_b32 exec_lo, exec_lo, s1
	v_or_b32_e32 v3, 0x200, v0
	s_delay_alu instid0(VALU_DEP_1)
	v_cmp_gt_u32_e32 vcc_lo, s38, v3
                                        ; implicit-def: $vgpr3
	s_and_saveexec_b32 s1, vcc_lo
	s_cbranch_execz .LBB469_14
; %bb.13:
	v_readfirstlane_b32 s4, v14
	v_readfirstlane_b32 s5, v15
	global_load_b32 v3, v0, s[4:5] offset:2048 scale_offset
.LBB469_14:
	s_wait_xcnt 0x0
	s_or_b32 exec_lo, exec_lo, s1
	v_or_b32_e32 v4, 0x300, v0
	s_delay_alu instid0(VALU_DEP_1)
	v_cmp_gt_u32_e32 vcc_lo, s38, v4
                                        ; implicit-def: $vgpr4
	s_and_saveexec_b32 s1, vcc_lo
	s_cbranch_execz .LBB469_16
; %bb.15:
	v_readfirstlane_b32 s4, v14
	v_readfirstlane_b32 s5, v15
	global_load_b32 v4, v0, s[4:5] offset:3072 scale_offset
.LBB469_16:
	s_wait_xcnt 0x0
	s_or_b32 exec_lo, exec_lo, s1
	v_or_b32_e32 v5, 0x400, v0
	s_delay_alu instid0(VALU_DEP_1)
	v_cmp_gt_u32_e32 vcc_lo, s38, v5
                                        ; implicit-def: $vgpr5
	s_and_saveexec_b32 s1, vcc_lo
	s_cbranch_execz .LBB469_18
; %bb.17:
	v_readfirstlane_b32 s4, v14
	v_readfirstlane_b32 s5, v15
	global_load_b32 v5, v0, s[4:5] offset:4096 scale_offset
.LBB469_18:
	s_wait_xcnt 0x0
	s_or_b32 exec_lo, exec_lo, s1
	v_or_b32_e32 v6, 0x500, v0
	s_delay_alu instid0(VALU_DEP_1)
	v_cmp_gt_u32_e32 vcc_lo, s38, v6
                                        ; implicit-def: $vgpr6
	s_and_saveexec_b32 s1, vcc_lo
	s_cbranch_execz .LBB469_20
; %bb.19:
	v_readfirstlane_b32 s4, v14
	v_readfirstlane_b32 s5, v15
	global_load_b32 v6, v0, s[4:5] offset:5120 scale_offset
.LBB469_20:
	s_wait_xcnt 0x0
	s_or_b32 exec_lo, exec_lo, s1
	v_or_b32_e32 v7, 0x600, v0
	s_delay_alu instid0(VALU_DEP_1)
	v_cmp_gt_u32_e32 vcc_lo, s38, v7
                                        ; implicit-def: $vgpr7
	s_and_saveexec_b32 s1, vcc_lo
	s_cbranch_execz .LBB469_22
; %bb.21:
	v_readfirstlane_b32 s4, v14
	v_readfirstlane_b32 s5, v15
	global_load_b32 v7, v0, s[4:5] offset:6144 scale_offset
.LBB469_22:
	s_wait_xcnt 0x0
	s_or_b32 exec_lo, exec_lo, s1
	v_or_b32_e32 v8, 0x700, v0
	s_delay_alu instid0(VALU_DEP_1)
	v_cmp_gt_u32_e32 vcc_lo, s38, v8
                                        ; implicit-def: $vgpr8
	s_and_saveexec_b32 s1, vcc_lo
	s_cbranch_execz .LBB469_24
; %bb.23:
	v_readfirstlane_b32 s4, v14
	v_readfirstlane_b32 s5, v15
	global_load_b32 v8, v0, s[4:5] offset:7168 scale_offset
.LBB469_24:
	s_wait_xcnt 0x0
	s_or_b32 exec_lo, exec_lo, s1
	v_or_b32_e32 v9, 0x800, v0
	s_delay_alu instid0(VALU_DEP_1)
	v_cmp_gt_u32_e32 vcc_lo, s38, v9
                                        ; implicit-def: $vgpr9
	s_and_saveexec_b32 s1, vcc_lo
	s_cbranch_execz .LBB469_26
; %bb.25:
	v_readfirstlane_b32 s4, v14
	v_readfirstlane_b32 s5, v15
	global_load_b32 v9, v0, s[4:5] offset:8192 scale_offset
.LBB469_26:
	s_wait_xcnt 0x0
	s_or_b32 exec_lo, exec_lo, s1
	v_or_b32_e32 v10, 0x900, v0
	s_delay_alu instid0(VALU_DEP_1)
	v_cmp_gt_u32_e32 vcc_lo, s38, v10
                                        ; implicit-def: $vgpr10
	s_and_saveexec_b32 s1, vcc_lo
	s_cbranch_execz .LBB469_28
; %bb.27:
	v_readfirstlane_b32 s4, v14
	v_readfirstlane_b32 s5, v15
	global_load_b32 v10, v0, s[4:5] offset:9216 scale_offset
.LBB469_28:
	s_wait_xcnt 0x0
	s_or_b32 exec_lo, exec_lo, s1
	v_or_b32_e32 v11, 0xa00, v0
	s_delay_alu instid0(VALU_DEP_1)
	v_cmp_gt_u32_e32 vcc_lo, s38, v11
                                        ; implicit-def: $vgpr11
	s_and_saveexec_b32 s1, vcc_lo
	s_cbranch_execz .LBB469_30
; %bb.29:
	v_readfirstlane_b32 s4, v14
	v_readfirstlane_b32 s5, v15
	global_load_b32 v11, v0, s[4:5] offset:10240 scale_offset
.LBB469_30:
	s_wait_xcnt 0x0
	s_or_b32 exec_lo, exec_lo, s1
	v_or_b32_e32 v12, 0xb00, v0
	s_delay_alu instid0(VALU_DEP_1)
	v_cmp_gt_u32_e32 vcc_lo, s38, v12
                                        ; implicit-def: $vgpr12
	s_and_saveexec_b32 s1, vcc_lo
	s_cbranch_execz .LBB469_32
; %bb.31:
	v_readfirstlane_b32 s4, v14
	v_readfirstlane_b32 s5, v15
	global_load_b32 v12, v0, s[4:5] offset:11264 scale_offset
.LBB469_32:
	s_wait_xcnt 0x0
	s_or_b32 exec_lo, exec_lo, s1
	v_or_b32_e32 v13, 0xc00, v0
	s_delay_alu instid0(VALU_DEP_1)
	v_cmp_gt_u32_e32 vcc_lo, s38, v13
                                        ; implicit-def: $vgpr13
	s_and_saveexec_b32 s1, vcc_lo
	s_cbranch_execz .LBB469_34
; %bb.33:
	v_readfirstlane_b32 s4, v14
	v_readfirstlane_b32 s5, v15
	global_load_b32 v13, v0, s[4:5] offset:12288 scale_offset
.LBB469_34:
	s_wait_xcnt 0x0
	s_or_b32 exec_lo, exec_lo, s1
	v_or_b32_e32 v16, 0xd00, v0
	s_delay_alu instid0(VALU_DEP_1)
	v_cmp_gt_u32_e32 vcc_lo, s38, v16
                                        ; implicit-def: $vgpr16
	s_and_saveexec_b32 s1, vcc_lo
	s_cbranch_execz .LBB469_36
; %bb.35:
	v_readfirstlane_b32 s4, v14
	v_readfirstlane_b32 s5, v15
	global_load_b32 v16, v0, s[4:5] offset:13312 scale_offset
.LBB469_36:
	s_wait_xcnt 0x0
	s_or_b32 exec_lo, exec_lo, s1
	v_lshlrev_b32_e32 v17, 2, v0
	v_mad_u32_u24 v18, v0, 14, 13
	v_mov_b32_e32 v76, 0
	s_wait_loadcnt 0x0
	ds_store_2addr_stride64_b32 v17, v1, v2 offset1:4
	ds_store_2addr_stride64_b32 v17, v3, v4 offset0:8 offset1:12
	ds_store_2addr_stride64_b32 v17, v5, v6 offset0:16 offset1:20
	;; [unrolled: 1-line block ×6, first 2 shown]
	v_mad_u32_u24 v1, v0, 52, v17
	s_wait_dscnt 0x0
	s_barrier_signal -1
	s_barrier_wait -1
	ds_load_2addr_b64 v[10:13], v1 offset1:1
	ds_load_2addr_b64 v[6:9], v1 offset0:2 offset1:3
	v_mul_u32_u24_e32 v16, 14, v0
	ds_load_2addr_b64 v[2:5], v1 offset0:4 offset1:5
	ds_load_b64 v[22:23], v1 offset:48
	v_mad_u32_u24 v1, v0, 14, 2
	v_cmp_gt_u32_e64 s25, s38, v18
	v_or_b32_e32 v17, 1, v16
	v_cmp_gt_u32_e32 vcc_lo, s38, v16
	v_mad_u32_u24 v16, v0, 14, 3
	v_cndmask_b32_e64 v52, 0, s8, vcc_lo
	s_wait_dscnt 0x2
	v_mov_b32_e32 v18, v6
	v_cmp_gt_u32_e32 vcc_lo, s38, v17
	v_mad_u32_u24 v17, v0, 14, 4
	s_wait_dscnt 0x1
	v_dual_mov_b32 v20, v2 :: v_dual_mov_b32 v21, v4
	v_mov_b32_e32 v19, v8
	v_cndmask_b32_e64 v68, 0, s8, vcc_lo
	v_cmp_gt_u32_e32 vcc_lo, s38, v1
	v_mad_u32_u24 v1, v0, 14, 5
	v_cndmask_b32_e64 v72, 0, s8, vcc_lo
	v_cmp_gt_u32_e32 vcc_lo, s38, v16
	v_mad_u32_u24 v16, v0, 14, 6
	;; [unrolled: 3-line block ×8, first 2 shown]
	v_cndmask_b32_e64 v53, 0, s8, vcc_lo
	v_cmp_gt_u32_e32 vcc_lo, s38, v1
	v_cndmask_b32_e64 v51, 0, s8, vcc_lo
	s_delay_alu instid0(VALU_DEP_4)
	v_cmp_gt_u32_e32 vcc_lo, s38, v16
	v_mov_b32_e32 v16, v10
	v_cndmask_b32_e64 v50, 0, s8, vcc_lo
	v_cmp_gt_u32_e32 vcc_lo, s38, v17
	v_mov_b32_e32 v17, v12
	v_cndmask_b32_e64 v1, 0, s8, vcc_lo
.LBB469_37:
	s_and_saveexec_b32 s1, s25
; %bb.38:
	v_mov_b32_e32 v76, s8
; %bb.39:
	s_or_b32 exec_lo, exec_lo, s1
	s_cmp_eq_u64 s[14:15], 0
	s_wait_dscnt 0x0
	s_cselect_b32 s25, -1, 0
	s_cmp_lg_u64 s[14:15], 0
	s_barrier_signal -1
	s_cselect_b32 s26, -1, 0
	s_and_b32 vcc_lo, exec_lo, s0
	s_barrier_wait -1
	s_cbranch_vccz .LBB469_44
; %bb.40:
	s_and_b32 vcc_lo, exec_lo, s26
	s_cbranch_vccz .LBB469_45
; %bb.41:
	global_load_b32 v24, v[14:15], off offset:-4
	v_lshlrev_b32_e32 v25, 2, v0
	ds_store_b32 v25, v23
	s_wait_loadcnt_dscnt 0x0
	s_barrier_signal -1
	s_barrier_wait -1
	s_and_saveexec_b32 s0, s3
; %bb.42:
	v_add_nc_u32_e32 v24, -4, v25
	ds_load_b32 v24, v24
; %bb.43:
	s_or_b32 exec_lo, exec_lo, s0
	v_cmp_ne_u32_e32 vcc_lo, v22, v23
	s_wait_dscnt 0x0
	v_cmp_ne_u32_e64 s40, v24, v10
	s_mov_b32 s39, -1
	v_cndmask_b32_e64 v56, 0, 1, vcc_lo
	v_cmp_ne_u32_e32 vcc_lo, v16, v11
	v_cndmask_b32_e64 v66, 0, 1, vcc_lo
	v_cmp_ne_u32_e32 vcc_lo, v17, v11
	;; [unrolled: 2-line block ×12, first 2 shown]
	v_cndmask_b32_e64 v62, 0, 1, vcc_lo
	s_branch .LBB469_49
.LBB469_44:
	s_mov_b32 s39, 0
                                        ; implicit-def: $sgpr40
                                        ; implicit-def: $vgpr56
                                        ; implicit-def: $vgpr62
                                        ; implicit-def: $vgpr55
                                        ; implicit-def: $vgpr54
                                        ; implicit-def: $vgpr57
                                        ; implicit-def: $vgpr58
                                        ; implicit-def: $vgpr59
                                        ; implicit-def: $vgpr60
                                        ; implicit-def: $vgpr65
                                        ; implicit-def: $vgpr61
                                        ; implicit-def: $vgpr63
                                        ; implicit-def: $vgpr64
                                        ; implicit-def: $vgpr66
	s_cbranch_execnz .LBB469_50
	s_branch .LBB469_58
.LBB469_45:
	s_mov_b32 s39, 0
                                        ; implicit-def: $sgpr40
                                        ; implicit-def: $vgpr56
                                        ; implicit-def: $vgpr62
                                        ; implicit-def: $vgpr55
                                        ; implicit-def: $vgpr54
                                        ; implicit-def: $vgpr57
                                        ; implicit-def: $vgpr58
                                        ; implicit-def: $vgpr59
                                        ; implicit-def: $vgpr60
                                        ; implicit-def: $vgpr65
                                        ; implicit-def: $vgpr61
                                        ; implicit-def: $vgpr63
                                        ; implicit-def: $vgpr64
                                        ; implicit-def: $vgpr66
	s_cbranch_execz .LBB469_49
; %bb.46:
	v_lshlrev_b32_e32 v24, 2, v0
	v_cmp_ne_u32_e64 s6, v22, v23
	v_cmp_ne_u32_e64 s0, v21, v5
	;; [unrolled: 1-line block ×12, first 2 shown]
	v_cmp_ne_u32_e32 vcc_lo, v22, v5
	ds_store_b32 v24, v23
	s_wait_dscnt 0x0
	s_barrier_signal -1
	s_barrier_wait -1
                                        ; implicit-def: $sgpr40
	s_and_saveexec_b32 s27, s3
	s_delay_alu instid0(SALU_CYCLE_1)
	s_xor_b32 s27, exec_lo, s27
	s_cbranch_execz .LBB469_48
; %bb.47:
	v_add_nc_u32_e32 v16, -4, v24
	s_or_b32 s39, s39, exec_lo
	ds_load_b32 v16, v16
	s_wait_dscnt 0x0
	v_cmp_ne_u32_e64 s40, v16, v10
.LBB469_48:
	s_or_b32 exec_lo, exec_lo, s27
	v_cndmask_b32_e64 v56, 0, 1, s6
	v_cndmask_b32_e64 v66, 0, 1, s13
	;; [unrolled: 1-line block ×12, first 2 shown]
	v_cndmask_b32_e64 v62, 0, 1, vcc_lo
.LBB469_49:
	s_branch .LBB469_58
.LBB469_50:
	s_mov_b64 s[0:1], 0xfffffffffffff200
	v_cmp_ne_u32_e64 s12, v5, v22
	s_mul_u64 s[40:41], s[14:15], s[0:1]
	v_cmp_ne_u32_e64 s14, v22, v23
	v_cmp_ne_u32_e64 s13, v4, v5
	;; [unrolled: 1-line block ×12, first 2 shown]
	v_mul_u32_u24_e32 v16, 14, v0
	v_mad_u32_u24 v18, v0, 14, 13
	v_mad_u32_u24 v42, v0, 14, 12
	v_mad_u32_u24 v40, v0, 14, 11
	v_mad_u32_u24 v38, v0, 14, 10
	v_mad_u32_u24 v36, v0, 14, 9
	v_mad_u32_u24 v34, v0, 14, 8
	v_mad_u32_u24 v32, v0, 14, 7
	v_mad_u32_u24 v30, v0, 14, 6
	v_mad_u32_u24 v28, v0, 14, 5
	v_mad_u32_u24 v26, v0, 14, 4
	v_mad_u32_u24 v24, v0, 14, 3
	v_mad_u32_u24 v20, v0, 14, 2
	s_and_b32 vcc_lo, exec_lo, s26
	s_add_nc_u64 s[26:27], s[40:41], s[16:17]
	s_cbranch_vccz .LBB469_54
; %bb.51:
	global_load_b32 v14, v[14:15], off offset:-4
	s_wait_xcnt 0x0
	v_dual_mov_b32 v19, 0 :: v_dual_lshlrev_b32 v15, 2, v0
	s_delay_alu instid0(VALU_DEP_1) | instskip(SKIP_4) | instid1(VALU_DEP_3)
	v_dual_mov_b32 v21, v19 :: v_dual_bitop2_b32 v44, 1, v16 bitop3:0x54
	v_cmp_gt_u64_e32 vcc_lo, s[26:27], v[18:19]
	v_dual_mov_b32 v43, v19 :: v_dual_mov_b32 v41, v19
	v_dual_mov_b32 v39, v19 :: v_dual_mov_b32 v37, v19
	;; [unrolled: 1-line block ×3, first 2 shown]
	v_cmp_gt_u64_e64 s15, s[26:27], v[42:43]
	s_delay_alu instid0(VALU_DEP_4)
	v_cmp_gt_u64_e64 s16, s[26:27], v[40:41]
	s_and_b32 s39, vcc_lo, s14
	v_cmp_gt_u64_e32 vcc_lo, s[26:27], v[38:39]
	v_cmp_gt_u64_e64 s14, s[26:27], v[36:37]
	v_cmp_gt_u64_e64 s17, s[26:27], v[34:35]
	v_dual_mov_b32 v31, v19 :: v_dual_mov_b32 v29, v19
	v_dual_mov_b32 v27, v19 :: v_dual_mov_b32 v25, v19
	v_mov_b32_e32 v45, v19
	s_and_b32 s40, s15, s12
	s_and_b32 s41, s16, s13
	s_and_b32 s42, vcc_lo, s9
	s_and_b32 s15, s14, s10
	s_and_b32 s16, s17, s11
	v_cmp_gt_u64_e32 vcc_lo, s[26:27], v[32:33]
	v_cmp_gt_u64_e64 s9, s[26:27], v[30:31]
	v_cmp_gt_u64_e64 s10, s[26:27], v[28:29]
	;; [unrolled: 1-line block ×6, first 2 shown]
	s_and_b32 s17, vcc_lo, s0
	s_and_b32 s9, s9, s1
	s_and_b32 s0, s10, s4
	;; [unrolled: 1-line block ×6, first 2 shown]
	ds_store_b32 v15, v23
	s_wait_loadcnt_dscnt 0x0
	s_barrier_signal -1
	s_barrier_wait -1
	s_and_saveexec_b32 s7, s3
; %bb.52:
	v_add_nc_u32_e32 v14, -4, v15
	ds_load_b32 v14, v14
; %bb.53:
	s_or_b32 exec_lo, exec_lo, s7
	v_mov_b32_e32 v17, v19
	v_cndmask_b32_e64 v65, 0, 1, s0
	s_wait_dscnt 0x0
	v_cmp_ne_u32_e64 s0, v14, v10
	v_cndmask_b32_e64 v56, 0, 1, s39
	v_cndmask_b32_e64 v62, 0, 1, s40
	v_cmp_gt_u64_e32 vcc_lo, s[26:27], v[16:17]
	v_cndmask_b32_e64 v55, 0, 1, s41
	v_cndmask_b32_e64 v54, 0, 1, s42
	;; [unrolled: 1-line block ×10, first 2 shown]
	s_and_b32 s40, vcc_lo, s0
	s_mov_b32 s39, -1
	s_branch .LBB469_58
.LBB469_54:
                                        ; implicit-def: $sgpr40
                                        ; implicit-def: $vgpr56
                                        ; implicit-def: $vgpr62
                                        ; implicit-def: $vgpr55
                                        ; implicit-def: $vgpr54
                                        ; implicit-def: $vgpr57
                                        ; implicit-def: $vgpr58
                                        ; implicit-def: $vgpr59
                                        ; implicit-def: $vgpr60
                                        ; implicit-def: $vgpr65
                                        ; implicit-def: $vgpr61
                                        ; implicit-def: $vgpr63
                                        ; implicit-def: $vgpr64
                                        ; implicit-def: $vgpr66
	s_cbranch_execz .LBB469_58
; %bb.55:
	v_dual_mov_b32 v19, 0 :: v_dual_lshlrev_b32 v14, 2, v0
	v_cmp_ne_u32_e32 vcc_lo, v22, v23
	v_cmp_ne_u32_e64 s0, v5, v22
	v_cmp_ne_u32_e64 s1, v4, v5
	s_delay_alu instid0(VALU_DEP_4) | instskip(SKIP_2) | instid1(VALU_DEP_3)
	v_dual_mov_b32 v43, v19 :: v_dual_mov_b32 v41, v19
	v_dual_mov_b32 v39, v19 :: v_dual_mov_b32 v37, v19
	v_cmp_gt_u64_e64 s4, s[26:27], v[18:19]
	v_cmp_gt_u64_e64 s5, s[26:27], v[42:43]
	s_delay_alu instid0(VALU_DEP_4) | instskip(NEXT) | instid1(VALU_DEP_4)
	v_cmp_gt_u64_e64 s6, s[26:27], v[40:41]
	v_cmp_gt_u64_e64 s7, s[26:27], v[38:39]
	v_cmp_ne_u32_e64 s8, v3, v4
	v_dual_mov_b32 v35, v19 :: v_dual_mov_b32 v33, v19
	s_and_b32 s11, s4, vcc_lo
	v_cmp_gt_u64_e32 vcc_lo, s[26:27], v[36:37]
	v_dual_mov_b32 v31, v19 :: v_dual_mov_b32 v29, v19
	s_and_b32 s12, s5, s0
	v_cmp_ne_u32_e64 s0, v2, v3
	s_and_b32 s13, s6, s1
	s_and_b32 s14, s7, s8
	v_cmp_gt_u64_e64 s1, s[26:27], v[34:35]
	v_cmp_gt_u64_e64 s5, s[26:27], v[32:33]
	v_cmp_gt_u64_e64 s7, s[26:27], v[30:31]
	v_cmp_ne_u32_e64 s4, v9, v2
	v_cmp_ne_u32_e64 s6, v8, v9
	s_and_b32 s15, vcc_lo, s0
	v_cmp_ne_u32_e32 vcc_lo, v7, v8
	v_dual_mov_b32 v27, v19 :: v_dual_mov_b32 v25, v19
	v_dual_mov_b32 v21, v19 :: v_dual_bitop2_b32 v18, 1, v16 bitop3:0x54
	s_and_b32 s16, s1, s4
	s_and_b32 s17, s5, s6
	s_and_b32 s41, s7, vcc_lo
	v_cmp_gt_u64_e32 vcc_lo, s[26:27], v[28:29]
	v_cmp_gt_u64_e64 s1, s[26:27], v[26:27]
	v_cmp_gt_u64_e64 s5, s[26:27], v[24:25]
	;; [unrolled: 1-line block ×4, first 2 shown]
	v_cmp_ne_u32_e64 s0, v6, v7
	v_cmp_ne_u32_e64 s4, v13, v6
	;; [unrolled: 1-line block ×5, first 2 shown]
	s_and_b32 s42, vcc_lo, s0
	s_and_b32 s1, s1, s4
	s_and_b32 s4, s5, s6
	;; [unrolled: 1-line block ×4, first 2 shown]
	ds_store_b32 v14, v23
	s_wait_dscnt 0x0
	s_barrier_signal -1
	s_barrier_wait -1
                                        ; implicit-def: $sgpr40
	s_and_saveexec_b32 s7, s3
	s_cbranch_execz .LBB469_57
; %bb.56:
	v_dual_mov_b32 v17, v19 :: v_dual_add_nc_u32 v14, -4, v14
	s_or_b32 s39, s39, exec_lo
	ds_load_b32 v14, v14
	v_cmp_gt_u64_e32 vcc_lo, s[26:27], v[16:17]
	s_wait_dscnt 0x0
	v_cmp_ne_u32_e64 s0, v14, v10
	s_and_b32 s40, vcc_lo, s0
.LBB469_57:
	s_or_b32 exec_lo, exec_lo, s7
	v_cndmask_b32_e64 v56, 0, 1, s11
	v_cndmask_b32_e64 v62, 0, 1, s12
	;; [unrolled: 1-line block ×13, first 2 shown]
.LBB469_58:
	v_mov_b32_e32 v67, 1
	s_and_saveexec_b32 s0, s39
; %bb.59:
	v_cndmask_b32_e64 v67, 0, 1, s40
; %bb.60:
	s_or_b32 exec_lo, exec_lo, s0
	s_delay_alu instid0(VALU_DEP_1) | instskip(SKIP_3) | instid1(VALU_DEP_4)
	v_dual_add_nc_u32 v14, v66, v67 :: v_dual_lshrrev_b32 v78, 5, v0
	v_cmp_eq_u32_e64 s12, 0, v66
	v_cmp_eq_u32_e64 s11, 0, v64
	v_cmp_eq_u32_e64 s10, 0, v63
	v_add3_u32 v80, v14, v64, v63
	v_cmp_eq_u32_e64 s9, 0, v61
	v_cmp_eq_u32_e64 s8, 0, v65
	;; [unrolled: 1-line block ×9, first 2 shown]
	v_mbcnt_lo_u32_b32 v77, -1, 0
	v_or_b32_e32 v79, 31, v0
	s_cmp_eq_u64 s[22:23], 0
	v_cmp_eq_u32_e32 vcc_lo, 0, v56
	s_cselect_b32 s16, -1, 0
	s_cmp_lg_u32 s24, 0
	s_cbranch_scc0 .LBB469_81
; %bb.61:
	v_dual_cndmask_b32 v14, 0, v52, s12 :: v_dual_bitop2_b32 v17, 15, v77 bitop3:0x40
	v_add3_u32 v15, v80, v61, v65
	s_delay_alu instid0(VALU_DEP_2) | instskip(NEXT) | instid1(VALU_DEP_2)
	v_add_nc_u32_e32 v14, v14, v68
	v_add3_u32 v15, v15, v60, v59
	s_delay_alu instid0(VALU_DEP_2) | instskip(NEXT) | instid1(VALU_DEP_2)
	v_cndmask_b32_e64 v14, 0, v14, s11
	v_add3_u32 v15, v15, v58, v57
	s_delay_alu instid0(VALU_DEP_2) | instskip(NEXT) | instid1(VALU_DEP_2)
	v_add_nc_u32_e32 v14, v14, v72
	v_add3_u32 v15, v15, v54, v55
	s_delay_alu instid0(VALU_DEP_1) | instskip(NEXT) | instid1(VALU_DEP_3)
	v_add3_u32 v15, v15, v62, v56
	v_cndmask_b32_e64 v14, 0, v14, s10
	s_delay_alu instid0(VALU_DEP_2) | instskip(NEXT) | instid1(VALU_DEP_2)
	v_mov_b32_dpp v18, v15 row_shr:1 row_mask:0xf bank_mask:0xf
	v_add_nc_u32_e32 v14, v14, v74
	s_delay_alu instid0(VALU_DEP_1) | instskip(NEXT) | instid1(VALU_DEP_1)
	v_cndmask_b32_e64 v14, 0, v14, s9
	v_add_nc_u32_e32 v14, v14, v70
	s_delay_alu instid0(VALU_DEP_1) | instskip(NEXT) | instid1(VALU_DEP_1)
	v_cndmask_b32_e64 v14, 0, v14, s8
	v_add_nc_u32_e32 v14, v14, v71
	s_delay_alu instid0(VALU_DEP_1) | instskip(NEXT) | instid1(VALU_DEP_1)
	v_cndmask_b32_e64 v14, 0, v14, s7
	v_add_nc_u32_e32 v14, v14, v75
	s_delay_alu instid0(VALU_DEP_1) | instskip(NEXT) | instid1(VALU_DEP_1)
	v_cndmask_b32_e64 v14, 0, v14, s6
	v_add_nc_u32_e32 v14, v14, v73
	s_delay_alu instid0(VALU_DEP_1) | instskip(NEXT) | instid1(VALU_DEP_1)
	v_cndmask_b32_e64 v14, 0, v14, s5
	v_add_nc_u32_e32 v14, v14, v69
	s_delay_alu instid0(VALU_DEP_1) | instskip(NEXT) | instid1(VALU_DEP_1)
	v_cndmask_b32_e64 v14, 0, v14, s4
	v_add_nc_u32_e32 v14, v14, v53
	s_delay_alu instid0(VALU_DEP_1) | instskip(NEXT) | instid1(VALU_DEP_1)
	v_cndmask_b32_e64 v14, 0, v14, s3
	v_add_nc_u32_e32 v14, v14, v51
	s_delay_alu instid0(VALU_DEP_1) | instskip(NEXT) | instid1(VALU_DEP_1)
	v_cndmask_b32_e64 v14, 0, v14, s1
	v_add_nc_u32_e32 v14, v14, v50
	s_delay_alu instid0(VALU_DEP_1) | instskip(NEXT) | instid1(VALU_DEP_1)
	v_cndmask_b32_e64 v14, 0, v14, s0
	v_add_nc_u32_e32 v14, v14, v1
	s_delay_alu instid0(VALU_DEP_1) | instskip(SKIP_1) | instid1(VALU_DEP_2)
	v_cndmask_b32_e32 v14, 0, v14, vcc_lo
	v_cmp_eq_u32_e32 vcc_lo, 0, v15
	v_add_nc_u32_e32 v14, v14, v76
	s_delay_alu instid0(VALU_DEP_1) | instskip(NEXT) | instid1(VALU_DEP_1)
	v_mov_b32_dpp v16, v14 row_shr:1 row_mask:0xf bank_mask:0xf
	v_cndmask_b32_e32 v16, 0, v16, vcc_lo
	v_cmp_eq_u32_e32 vcc_lo, 0, v17
	v_cndmask_b32_e64 v18, v18, 0, vcc_lo
	s_delay_alu instid0(VALU_DEP_3) | instskip(SKIP_1) | instid1(VALU_DEP_2)
	v_cndmask_b32_e64 v16, v16, 0, vcc_lo
	v_cmp_lt_u32_e32 vcc_lo, 1, v17
	v_dual_add_nc_u32 v15, v18, v15 :: v_dual_add_nc_u32 v14, v16, v14
	s_delay_alu instid0(VALU_DEP_1) | instskip(SKIP_1) | instid1(VALU_DEP_3)
	v_mov_b32_dpp v16, v15 row_shr:2 row_mask:0xf bank_mask:0xf
	v_cmp_eq_u32_e64 s13, 0, v15
	v_mov_b32_dpp v18, v14 row_shr:2 row_mask:0xf bank_mask:0xf
	s_delay_alu instid0(VALU_DEP_3) | instskip(SKIP_1) | instid1(VALU_DEP_2)
	v_cndmask_b32_e32 v16, 0, v16, vcc_lo
	s_and_b32 vcc_lo, vcc_lo, s13
	v_cndmask_b32_e32 v18, 0, v18, vcc_lo
	v_cmp_lt_u32_e32 vcc_lo, 3, v17
	s_delay_alu instid0(VALU_DEP_2) | instskip(NEXT) | instid1(VALU_DEP_1)
	v_dual_add_nc_u32 v15, v15, v16 :: v_dual_add_nc_u32 v14, v18, v14
	v_mov_b32_dpp v16, v15 row_shr:4 row_mask:0xf bank_mask:0xf
	v_cmp_eq_u32_e64 s13, 0, v15
	s_delay_alu instid0(VALU_DEP_3) | instskip(NEXT) | instid1(VALU_DEP_3)
	v_mov_b32_dpp v18, v14 row_shr:4 row_mask:0xf bank_mask:0xf
	v_cndmask_b32_e32 v16, 0, v16, vcc_lo
	s_and_b32 vcc_lo, vcc_lo, s13
	s_delay_alu instid0(VALU_DEP_2) | instskip(SKIP_1) | instid1(VALU_DEP_2)
	v_cndmask_b32_e32 v18, 0, v18, vcc_lo
	v_cmp_lt_u32_e32 vcc_lo, 7, v17
	v_dual_add_nc_u32 v15, v16, v15 :: v_dual_add_nc_u32 v14, v14, v18
	v_bfe_i32 v18, v77, 4, 1
	s_delay_alu instid0(VALU_DEP_2) | instskip(SKIP_1) | instid1(VALU_DEP_4)
	v_mov_b32_dpp v16, v15 row_shr:8 row_mask:0xf bank_mask:0xf
	v_cmp_eq_u32_e64 s13, 0, v15
	v_mov_b32_dpp v17, v14 row_shr:8 row_mask:0xf bank_mask:0xf
	s_delay_alu instid0(VALU_DEP_3) | instskip(SKIP_2) | instid1(VALU_DEP_2)
	v_cndmask_b32_e32 v16, 0, v16, vcc_lo
	s_and_b32 vcc_lo, vcc_lo, s13
	s_mov_b32 s13, exec_lo
	v_cndmask_b32_e32 v17, 0, v17, vcc_lo
	s_delay_alu instid0(VALU_DEP_1)
	v_dual_add_nc_u32 v17, v17, v14 :: v_dual_add_nc_u32 v14, v16, v15
	ds_swizzle_b32 v15, v17 offset:swizzle(BROADCAST,32,15)
	ds_swizzle_b32 v16, v14 offset:swizzle(BROADCAST,32,15)
	v_cmp_eq_u32_e32 vcc_lo, 0, v14
	s_wait_dscnt 0x0
	v_dual_cndmask_b32 v15, 0, v15, vcc_lo :: v_dual_bitop2_b32 v16, v18, v16 bitop3:0x40
	s_delay_alu instid0(VALU_DEP_1) | instskip(NEXT) | instid1(VALU_DEP_1)
	v_dual_add_nc_u32 v14, v16, v14 :: v_dual_bitop2_b32 v15, v18, v15 bitop3:0x40
	v_dual_lshlrev_b32 v16, 3, v78 :: v_dual_add_nc_u32 v15, v15, v17
	v_cmpx_eq_u32_e64 v0, v79
; %bb.62:
	ds_store_b64 v16, v[14:15] offset:2064
; %bb.63:
	s_or_b32 exec_lo, exec_lo, s13
	s_delay_alu instid0(SALU_CYCLE_1)
	s_mov_b32 s14, exec_lo
	s_wait_dscnt 0x0
	s_barrier_signal -1
	s_barrier_wait -1
	v_cmpx_gt_u32_e32 8, v0
	s_cbranch_execz .LBB469_65
; %bb.64:
	v_dual_lshlrev_b32 v17, 3, v0 :: v_dual_bitop2_b32 v21, 7, v77 bitop3:0x40
	ds_load_b64 v[18:19], v17 offset:2064
	s_wait_dscnt 0x0
	v_mov_b32_dpp v20, v19 row_shr:1 row_mask:0xf bank_mask:0xf
	v_cmp_eq_u32_e32 vcc_lo, 0, v18
	v_mov_b32_dpp v24, v18 row_shr:1 row_mask:0xf bank_mask:0xf
	s_delay_alu instid0(VALU_DEP_3) | instskip(SKIP_1) | instid1(VALU_DEP_3)
	v_cndmask_b32_e32 v20, 0, v20, vcc_lo
	v_cmp_eq_u32_e32 vcc_lo, 0, v21
	v_cndmask_b32_e64 v24, v24, 0, vcc_lo
	s_delay_alu instid0(VALU_DEP_1) | instskip(NEXT) | instid1(VALU_DEP_4)
	v_add_nc_u32_e32 v18, v24, v18
	v_cndmask_b32_e64 v20, v20, 0, vcc_lo
	v_cmp_lt_u32_e32 vcc_lo, 1, v21
	s_delay_alu instid0(VALU_DEP_3) | instskip(NEXT) | instid1(VALU_DEP_3)
	v_cmp_eq_u32_e64 s13, 0, v18
	v_add_nc_u32_e32 v19, v20, v19
	v_mov_b32_dpp v20, v18 row_shr:2 row_mask:0xf bank_mask:0xf
	s_delay_alu instid0(VALU_DEP_1) | instskip(NEXT) | instid1(VALU_DEP_3)
	v_cndmask_b32_e32 v20, 0, v20, vcc_lo
	v_mov_b32_dpp v24, v19 row_shr:2 row_mask:0xf bank_mask:0xf
	s_and_b32 vcc_lo, vcc_lo, s13
	s_delay_alu instid0(VALU_DEP_1) | instid1(SALU_CYCLE_1)
	v_dual_add_nc_u32 v18, v20, v18 :: v_dual_cndmask_b32 v24, 0, v24, vcc_lo
	v_cmp_lt_u32_e32 vcc_lo, 3, v21
	s_delay_alu instid0(VALU_DEP_2) | instskip(NEXT) | instid1(VALU_DEP_3)
	v_mov_b32_dpp v20, v18 row_shr:4 row_mask:0xf bank_mask:0xf
	v_add_nc_u32_e32 v19, v24, v19
	v_cmp_eq_u32_e64 s13, 0, v18
	s_delay_alu instid0(VALU_DEP_3) | instskip(NEXT) | instid1(VALU_DEP_3)
	v_cndmask_b32_e32 v20, 0, v20, vcc_lo
	v_mov_b32_dpp v21, v19 row_shr:4 row_mask:0xf bank_mask:0xf
	s_and_b32 vcc_lo, vcc_lo, s13
	s_delay_alu instid0(VALU_DEP_1) | instskip(NEXT) | instid1(VALU_DEP_1)
	v_dual_cndmask_b32 v21, 0, v21 :: v_dual_add_nc_u32 v18, v20, v18
	v_add_nc_u32_e32 v19, v21, v19
	ds_store_b64 v17, v[18:19] offset:2064
.LBB469_65:
	s_or_b32 exec_lo, exec_lo, s14
	v_dual_mov_b32 v24, 0 :: v_dual_mov_b32 v25, 0
	s_mov_b32 s14, exec_lo
	v_cmp_gt_u32_e32 vcc_lo, 32, v0
	s_wait_dscnt 0x0
	s_barrier_signal -1
	s_barrier_wait -1
	v_cmpx_lt_u32_e32 31, v0
	s_cbranch_execz .LBB469_67
; %bb.66:
	ds_load_b64 v[24:25], v16 offset:2056
	v_cmp_eq_u32_e64 s13, 0, v14
	s_wait_dscnt 0x0
	s_delay_alu instid0(VALU_DEP_1) | instskip(NEXT) | instid1(VALU_DEP_1)
	v_dual_cndmask_b32 v16, 0, v25, s13 :: v_dual_add_nc_u32 v14, v24, v14
	v_add_nc_u32_e32 v15, v16, v15
.LBB469_67:
	s_or_b32 exec_lo, exec_lo, s14
	v_sub_co_u32 v16, s13, v77, 1
	s_delay_alu instid0(VALU_DEP_1) | instskip(NEXT) | instid1(VALU_DEP_1)
	v_cmp_gt_i32_e64 s14, 0, v16
	v_cndmask_b32_e64 v16, v16, v77, s14
	s_delay_alu instid0(VALU_DEP_1)
	v_lshlrev_b32_e32 v16, 2, v16
	ds_bpermute_b32 v30, v16, v14
	ds_bpermute_b32 v31, v16, v15
	s_and_saveexec_b32 s17, vcc_lo
	s_cbranch_execz .LBB469_86
; %bb.68:
	v_mov_b32_e32 v17, 0
	ds_load_b64 v[14:15], v17 offset:2120
	s_and_saveexec_b32 s14, s13
	s_cbranch_execz .LBB469_70
; %bb.69:
	s_add_co_i32 s22, s24, 32
	s_mov_b32 s23, 0
	v_mov_b32_e32 v16, 1
	s_lshl_b64 s[22:23], s[22:23], 4
	s_delay_alu instid0(SALU_CYCLE_1) | instskip(NEXT) | instid1(SALU_CYCLE_1)
	s_add_nc_u64 s[22:23], s[20:21], s[22:23]
	v_mov_b64_e32 v[18:19], s[22:23]
	s_wait_dscnt 0x0
	;;#ASMSTART
	global_store_b128 v[18:19], v[14:17] off scope:SCOPE_DEV	
s_wait_storecnt 0x0
	;;#ASMEND
.LBB469_70:
	s_or_b32 exec_lo, exec_lo, s14
	v_xad_u32 v26, v77, -1, s24
	s_mov_b32 s15, 0
	s_mov_b32 s14, exec_lo
	s_delay_alu instid0(VALU_DEP_1) | instskip(NEXT) | instid1(VALU_DEP_1)
	v_add_nc_u32_e32 v16, 32, v26
	v_lshl_add_u64 v[16:17], v[16:17], 4, s[20:21]
	;;#ASMSTART
	global_load_b128 v[18:21], v[16:17] off scope:SCOPE_DEV	
s_wait_loadcnt 0x0
	;;#ASMEND
	v_and_b32_e32 v21, 0xff, v20
	s_delay_alu instid0(VALU_DEP_1)
	v_cmpx_eq_u16_e32 0, v21
	s_cbranch_execz .LBB469_73
.LBB469_71:                             ; =>This Inner Loop Header: Depth=1
	;;#ASMSTART
	global_load_b128 v[18:21], v[16:17] off scope:SCOPE_DEV	
s_wait_loadcnt 0x0
	;;#ASMEND
	v_and_b32_e32 v21, 0xff, v20
	s_delay_alu instid0(VALU_DEP_1) | instskip(SKIP_1) | instid1(SALU_CYCLE_1)
	v_cmp_ne_u16_e32 vcc_lo, 0, v21
	s_or_b32 s15, vcc_lo, s15
	s_and_not1_b32 exec_lo, exec_lo, s15
	s_cbranch_execnz .LBB469_71
; %bb.72:
	s_or_b32 exec_lo, exec_lo, s15
.LBB469_73:
	s_delay_alu instid0(SALU_CYCLE_1)
	s_or_b32 exec_lo, exec_lo, s14
	v_cmp_ne_u32_e32 vcc_lo, 31, v77
	v_lshlrev_b32_e64 v33, v77, -1
	v_cmp_gt_u32_e64 s15, 30, v77
	v_lshl_or_b32 v40, v77, 2, 64
	v_add_nc_u32_e32 v35, 2, v77
	v_add_co_ci_u32_e64 v16, null, 0, v77, vcc_lo
	s_delay_alu instid0(VALU_DEP_4) | instskip(SKIP_1) | instid1(VALU_DEP_3)
	v_cndmask_b32_e64 v27, 0, 2, s15
	v_dual_add_nc_u32 v37, 4, v77 :: v_dual_add_nc_u32 v39, 8, v77
	v_lshlrev_b32_e32 v32, 2, v16
	v_and_b32_e32 v16, 0xff, v20
	s_delay_alu instid0(VALU_DEP_4)
	v_add_lshl_u32 v34, v27, v77, 2
	v_add_nc_u32_e32 v41, 16, v77
	ds_bpermute_b32 v17, v32, v18
	v_cmp_eq_u16_e32 vcc_lo, 2, v16
	v_and_or_b32 v21, vcc_lo, v33, 0x80000000
	v_cmp_eq_u32_e32 vcc_lo, 0, v18
	s_delay_alu instid0(VALU_DEP_2) | instskip(NEXT) | instid1(VALU_DEP_1)
	v_ctz_i32_b32_e32 v21, v21
	v_cmp_lt_u32_e64 s14, v77, v21
	s_wait_dscnt 0x0
	s_delay_alu instid0(VALU_DEP_1) | instskip(SKIP_4) | instid1(VALU_DEP_1)
	v_cndmask_b32_e64 v17, 0, v17, s14
	ds_bpermute_b32 v16, v32, v19
	s_and_b32 vcc_lo, s14, vcc_lo
	s_wait_dscnt 0x0
	v_dual_cndmask_b32 v16, 0, v16 :: v_dual_add_nc_u32 v17, v17, v18
	v_cmp_eq_u32_e32 vcc_lo, 0, v17
	s_delay_alu instid0(VALU_DEP_2)
	v_add_nc_u32_e32 v16, v16, v19
	ds_bpermute_b32 v19, v34, v16
	s_wait_dscnt 0x0
	v_cndmask_b32_e32 v18, 0, v19, vcc_lo
	ds_bpermute_b32 v19, v34, v17
	v_cmp_gt_u32_e32 vcc_lo, 28, v77
	v_cndmask_b32_e64 v27, 0, 4, vcc_lo
	v_cmp_gt_u32_e32 vcc_lo, v35, v21
	s_delay_alu instid0(VALU_DEP_2) | instskip(SKIP_2) | instid1(VALU_DEP_1)
	v_add_lshl_u32 v36, v27, v77, 2
	s_wait_dscnt 0x0
	v_cndmask_b32_e64 v19, v19, 0, vcc_lo
	v_add_nc_u32_e32 v17, v17, v19
	v_cndmask_b32_e64 v18, v18, 0, vcc_lo
	ds_bpermute_b32 v19, v36, v17
	v_add_nc_u32_e32 v16, v18, v16
	v_cmp_eq_u32_e32 vcc_lo, 0, v17
	ds_bpermute_b32 v18, v36, v16
	s_wait_dscnt 0x0
	v_cndmask_b32_e32 v18, 0, v18, vcc_lo
	v_cmp_gt_u32_e32 vcc_lo, 24, v77
	v_cndmask_b32_e64 v27, 0, 8, vcc_lo
	v_cmp_gt_u32_e32 vcc_lo, v37, v21
	s_delay_alu instid0(VALU_DEP_2) | instskip(SKIP_1) | instid1(VALU_DEP_1)
	v_add_lshl_u32 v38, v27, v77, 2
	v_cndmask_b32_e64 v19, v19, 0, vcc_lo
	v_dual_mov_b32 v27, 0 :: v_dual_add_nc_u32 v17, v17, v19
	v_cndmask_b32_e64 v18, v18, 0, vcc_lo
	ds_bpermute_b32 v19, v38, v17
	v_add_nc_u32_e32 v16, v16, v18
	v_cmp_eq_u32_e32 vcc_lo, 0, v17
	ds_bpermute_b32 v18, v38, v16
	s_wait_dscnt 0x0
	v_cndmask_b32_e32 v18, 0, v18, vcc_lo
	v_cmp_gt_u32_e32 vcc_lo, v39, v21
	s_delay_alu instid0(VALU_DEP_2) | instskip(NEXT) | instid1(VALU_DEP_1)
	v_cndmask_b32_e64 v18, v18, 0, vcc_lo
	v_add_nc_u32_e32 v16, v16, v18
	v_cndmask_b32_e64 v18, v19, 0, vcc_lo
	s_delay_alu instid0(VALU_DEP_1)
	v_add_nc_u32_e32 v17, v17, v18
	ds_bpermute_b32 v19, v40, v16
	ds_bpermute_b32 v18, v40, v17
	v_cmp_eq_u32_e32 vcc_lo, 0, v17
	s_wait_dscnt 0x1
	v_cndmask_b32_e32 v19, 0, v19, vcc_lo
	v_cmp_gt_u32_e32 vcc_lo, v41, v21
	s_wait_dscnt 0x0
	v_cndmask_b32_e64 v18, v18, 0, vcc_lo
	s_delay_alu instid0(VALU_DEP_1) | instskip(SKIP_1) | instid1(VALU_DEP_1)
	v_add_nc_u32_e32 v18, v18, v17
	v_cndmask_b32_e64 v19, v19, 0, vcc_lo
	v_add_nc_u32_e32 v19, v19, v16
	s_branch .LBB469_77
.LBB469_74:                             ;   in Loop: Header=BB469_77 Depth=1
	s_or_b32 exec_lo, exec_lo, s15
.LBB469_75:                             ;   in Loop: Header=BB469_77 Depth=1
	s_delay_alu instid0(SALU_CYCLE_1)
	s_or_b32 exec_lo, exec_lo, s14
	v_and_b32_e32 v21, 0xff, v20
	ds_bpermute_b32 v28, v32, v18
	v_subrev_nc_u32_e32 v26, 32, v26
	v_cmp_eq_u16_e32 vcc_lo, 2, v21
	ds_bpermute_b32 v21, v32, v19
	v_and_or_b32 v29, vcc_lo, v33, 0x80000000
	v_cmp_eq_u32_e32 vcc_lo, 0, v18
	s_delay_alu instid0(VALU_DEP_2) | instskip(NEXT) | instid1(VALU_DEP_1)
	v_ctz_i32_b32_e32 v29, v29
	v_cmp_lt_u32_e64 s14, v77, v29
	s_and_b32 vcc_lo, s14, vcc_lo
	s_wait_dscnt 0x0
	v_dual_cndmask_b32 v28, 0, v28, s14 :: v_dual_cndmask_b32 v21, 0, v21, vcc_lo
	s_mov_b32 s14, 0
	s_delay_alu instid0(VALU_DEP_1)
	v_dual_add_nc_u32 v18, v28, v18 :: v_dual_add_nc_u32 v19, v21, v19
	ds_bpermute_b32 v28, v34, v18
	ds_bpermute_b32 v21, v34, v19
	v_cmp_eq_u32_e32 vcc_lo, 0, v18
	s_wait_dscnt 0x0
	v_cndmask_b32_e32 v21, 0, v21, vcc_lo
	v_cmp_gt_u32_e32 vcc_lo, v35, v29
	v_cndmask_b32_e64 v28, v28, 0, vcc_lo
	s_delay_alu instid0(VALU_DEP_1) | instskip(NEXT) | instid1(VALU_DEP_4)
	v_add_nc_u32_e32 v18, v18, v28
	v_cndmask_b32_e64 v21, v21, 0, vcc_lo
	s_delay_alu instid0(VALU_DEP_2) | instskip(NEXT) | instid1(VALU_DEP_2)
	v_cmp_eq_u32_e32 vcc_lo, 0, v18
	v_add_nc_u32_e32 v19, v21, v19
	ds_bpermute_b32 v28, v36, v18
	ds_bpermute_b32 v21, v36, v19
	s_wait_dscnt 0x0
	v_cndmask_b32_e32 v21, 0, v21, vcc_lo
	v_cmp_gt_u32_e32 vcc_lo, v37, v29
	s_delay_alu instid0(VALU_DEP_2) | instskip(SKIP_1) | instid1(VALU_DEP_1)
	v_cndmask_b32_e64 v21, v21, 0, vcc_lo
	v_cndmask_b32_e64 v28, v28, 0, vcc_lo
	v_dual_add_nc_u32 v19, v19, v21 :: v_dual_add_nc_u32 v18, v18, v28
	ds_bpermute_b32 v21, v38, v19
	ds_bpermute_b32 v28, v38, v18
	v_cmp_eq_u32_e32 vcc_lo, 0, v18
	s_wait_dscnt 0x1
	v_cndmask_b32_e32 v21, 0, v21, vcc_lo
	v_cmp_gt_u32_e32 vcc_lo, v39, v29
	s_wait_dscnt 0x0
	v_cndmask_b32_e64 v28, v28, 0, vcc_lo
	s_delay_alu instid0(VALU_DEP_1) | instskip(SKIP_1) | instid1(VALU_DEP_2)
	v_add_nc_u32_e32 v18, v18, v28
	v_cndmask_b32_e64 v21, v21, 0, vcc_lo
	v_cmp_eq_u32_e32 vcc_lo, 0, v18
	s_delay_alu instid0(VALU_DEP_2)
	v_add_nc_u32_e32 v19, v19, v21
	ds_bpermute_b32 v28, v40, v18
	ds_bpermute_b32 v21, v40, v19
	s_wait_dscnt 0x0
	v_cndmask_b32_e32 v21, 0, v21, vcc_lo
	v_cmp_gt_u32_e32 vcc_lo, v41, v29
	s_delay_alu instid0(VALU_DEP_2) | instskip(NEXT) | instid1(VALU_DEP_1)
	v_cndmask_b32_e64 v21, v21, 0, vcc_lo
	v_add_nc_u32_e32 v19, v21, v19
	v_cndmask_b32_e64 v21, v28, 0, vcc_lo
	v_cmp_eq_u32_e32 vcc_lo, 0, v16
	s_delay_alu instid0(VALU_DEP_2) | instskip(NEXT) | instid1(VALU_DEP_4)
	v_add3_u32 v18, v18, v16, v21
	v_cndmask_b32_e32 v19, 0, v19, vcc_lo
	s_delay_alu instid0(VALU_DEP_1)
	v_add_nc_u32_e32 v19, v19, v17
.LBB469_76:                             ;   in Loop: Header=BB469_77 Depth=1
	s_and_b32 vcc_lo, exec_lo, s14
	s_cbranch_vccnz .LBB469_82
.LBB469_77:                             ; =>This Loop Header: Depth=1
                                        ;     Child Loop BB469_80 Depth 2
	v_and_b32_e32 v16, 0xff, v20
	s_delay_alu instid0(VALU_DEP_2) | instskip(SKIP_1) | instid1(VALU_DEP_2)
	v_mov_b32_e32 v17, v19
	s_mov_b32 s14, -1
                                        ; implicit-def: $vgpr19
                                        ; implicit-def: $vgpr20
	v_cmp_ne_u16_e32 vcc_lo, 2, v16
	v_mov_b32_e32 v16, v18
                                        ; implicit-def: $vgpr18
	s_cmp_lg_u32 vcc_lo, exec_lo
	s_cbranch_scc1 .LBB469_76
; %bb.78:                               ;   in Loop: Header=BB469_77 Depth=1
	v_lshl_add_u64 v[28:29], v[26:27], 4, s[20:21]
	;;#ASMSTART
	global_load_b128 v[18:21], v[28:29] off scope:SCOPE_DEV	
s_wait_loadcnt 0x0
	;;#ASMEND
	v_and_b32_e32 v21, 0xff, v20
	s_mov_b32 s14, exec_lo
	s_delay_alu instid0(VALU_DEP_1)
	v_cmpx_eq_u16_e32 0, v21
	s_cbranch_execz .LBB469_75
; %bb.79:                               ;   in Loop: Header=BB469_77 Depth=1
	s_mov_b32 s15, 0
.LBB469_80:                             ;   Parent Loop BB469_77 Depth=1
                                        ; =>  This Inner Loop Header: Depth=2
	;;#ASMSTART
	global_load_b128 v[18:21], v[28:29] off scope:SCOPE_DEV	
s_wait_loadcnt 0x0
	;;#ASMEND
	v_and_b32_e32 v21, 0xff, v20
	s_delay_alu instid0(VALU_DEP_1) | instskip(SKIP_1) | instid1(SALU_CYCLE_1)
	v_cmp_ne_u16_e32 vcc_lo, 0, v21
	s_or_b32 s15, vcc_lo, s15
	s_and_not1_b32 exec_lo, exec_lo, s15
	s_cbranch_execnz .LBB469_80
	s_branch .LBB469_74
.LBB469_81:
                                        ; implicit-def: $vgpr14
                                        ; implicit-def: $vgpr18
                                        ; implicit-def: $vgpr20_vgpr21
                                        ; implicit-def: $vgpr28_vgpr29
                                        ; implicit-def: $vgpr36_vgpr37
                                        ; implicit-def: $vgpr30_vgpr31
                                        ; implicit-def: $vgpr44_vgpr45
                                        ; implicit-def: $vgpr48_vgpr49
                                        ; implicit-def: $vgpr46_vgpr47
                                        ; implicit-def: $vgpr42_vgpr43
                                        ; implicit-def: $vgpr38_vgpr39
                                        ; implicit-def: $vgpr32_vgpr33
                                        ; implicit-def: $vgpr34_vgpr35
                                        ; implicit-def: $vgpr40_vgpr41
                                        ; implicit-def: $vgpr24_vgpr25
                                        ; implicit-def: $vgpr26_vgpr27
	s_cbranch_execnz .LBB469_87
	s_branch .LBB469_98
.LBB469_82:
	s_and_saveexec_b32 s14, s13
	s_cbranch_execz .LBB469_84
; %bb.83:
	v_cmp_eq_u32_e32 vcc_lo, 0, v14
	s_mov_b32 s23, 0
	s_add_co_i32 s22, s24, 32
	v_mov_b32_e32 v21, 0
	s_lshl_b64 s[22:23], s[22:23], 4
	v_dual_cndmask_b32 v19, 0, v17 :: v_dual_add_nc_u32 v18, v16, v14
	s_add_nc_u64 s[22:23], s[20:21], s[22:23]
	v_mov_b32_e32 v20, 2
	v_mov_b64_e32 v[26:27], s[22:23]
	s_delay_alu instid0(VALU_DEP_3)
	v_add_nc_u32_e32 v19, v19, v15
	;;#ASMSTART
	global_store_b128 v[26:27], v[18:21] off scope:SCOPE_DEV	
s_wait_storecnt 0x0
	;;#ASMEND
	ds_store_b128 v21, v[14:17] offset:2048
.LBB469_84:
	s_or_b32 exec_lo, exec_lo, s14
	s_delay_alu instid0(SALU_CYCLE_1)
	s_and_b32 exec_lo, exec_lo, s2
; %bb.85:
	v_mov_b32_e32 v14, 0
	ds_store_b64 v14, v[16:17] offset:2120
.LBB469_86:
	s_or_b32 exec_lo, exec_lo, s17
	s_wait_dscnt 0x1
	v_dual_mov_b32 v16, 0 :: v_dual_cndmask_b32 v17, v30, v24, s13
	s_wait_dscnt 0x0
	s_barrier_signal -1
	s_barrier_wait -1
	ds_load_b64 v[14:15], v16 offset:2120
	v_cmp_eq_u32_e32 vcc_lo, 0, v17
	v_cndmask_b32_e64 v18, v31, v25, s13
	v_cndmask_b32_e64 v17, v17, 0, s2
	s_wait_dscnt 0x0
	s_barrier_signal -1
	s_barrier_wait -1
	v_cndmask_b32_e32 v19, 0, v15, vcc_lo
	v_cmp_eq_u32_e32 vcc_lo, 0, v67
	s_delay_alu instid0(VALU_DEP_2) | instskip(NEXT) | instid1(VALU_DEP_1)
	v_dual_add_nc_u32 v44, v14, v17 :: v_dual_add_nc_u32 v18, v19, v18
	v_add_nc_u32_e32 v48, v44, v67
	s_delay_alu instid0(VALU_DEP_1) | instskip(NEXT) | instid1(VALU_DEP_1)
	v_dual_cndmask_b32 v45, v18, v15, s2 :: v_dual_add_nc_u32 v46, v48, v66
	v_cndmask_b32_e32 v15, 0, v45, vcc_lo
	s_delay_alu instid0(VALU_DEP_1) | instskip(NEXT) | instid1(VALU_DEP_1)
	v_add_nc_u32_e32 v49, v15, v52
	v_cndmask_b32_e64 v15, 0, v49, s12
	s_delay_alu instid0(VALU_DEP_1) | instskip(NEXT) | instid1(VALU_DEP_1)
	v_add_nc_u32_e32 v47, v15, v68
	v_cndmask_b32_e64 v15, 0, v47, s11
	;; [unrolled: 3-line block ×7, first 2 shown]
	s_delay_alu instid0(VALU_DEP_1) | instskip(NEXT) | instid1(VALU_DEP_1)
	v_add_nc_u32_e32 v25, v14, v73
	v_dual_add_nc_u32 v42, v46, v64 :: v_dual_cndmask_b32 v14, 0, v25, s5
	s_delay_alu instid0(VALU_DEP_1) | instskip(NEXT) | instid1(VALU_DEP_2)
	v_add_nc_u32_e32 v38, v42, v63
	v_add_nc_u32_e32 v27, v14, v69
	s_delay_alu instid0(VALU_DEP_1) | instskip(NEXT) | instid1(VALU_DEP_1)
	v_dual_add_nc_u32 v32, v38, v61 :: v_dual_cndmask_b32 v14, 0, v27, s4
	v_add_nc_u32_e32 v34, v32, v65
	s_delay_alu instid0(VALU_DEP_1) | instskip(NEXT) | instid1(VALU_DEP_1)
	v_add_nc_u32_e32 v40, v34, v60
	v_add_nc_u32_e32 v24, v40, v59
	s_delay_alu instid0(VALU_DEP_1) | instskip(NEXT) | instid1(VALU_DEP_1)
	v_add_nc_u32_e32 v26, v24, v58
	v_add_nc_u32_e32 v30, v26, v57
	s_delay_alu instid0(VALU_DEP_1) | instskip(SKIP_3) | instid1(VALU_DEP_1)
	v_add_nc_u32_e32 v36, v30, v54
	v_add_nc_u32_e32 v31, v14, v53
	ds_load_b128 v[14:17], v16 offset:2048
	v_add_nc_u32_e32 v28, v36, v55
	v_dual_cndmask_b32 v18, 0, v31, s3 :: v_dual_add_nc_u32 v20, v28, v62
	s_delay_alu instid0(VALU_DEP_1) | instskip(NEXT) | instid1(VALU_DEP_1)
	v_add_nc_u32_e32 v37, v18, v51
	v_cndmask_b32_e64 v18, 0, v37, s1
	s_delay_alu instid0(VALU_DEP_1) | instskip(SKIP_2) | instid1(VALU_DEP_2)
	v_add_nc_u32_e32 v29, v18, v50
	s_wait_dscnt 0x0
	v_cmp_eq_u32_e32 vcc_lo, 0, v14
	v_cndmask_b32_e64 v18, 0, v29, s0
	v_cndmask_b32_e32 v17, 0, v17, vcc_lo
	s_delay_alu instid0(VALU_DEP_1)
	v_dual_add_nc_u32 v21, v18, v1 :: v_dual_add_nc_u32 v18, v17, v15
	s_branch .LBB469_98
.LBB469_87:
	s_cmp_eq_u64 s[36:37], 0
	v_mov_b32_e32 v18, v52
	s_cselect_b32 s0, -1, 0
	s_delay_alu instid0(SALU_CYCLE_1) | instskip(NEXT) | instid1(SALU_CYCLE_1)
	s_or_b32 s0, s16, s0
	s_and_b32 vcc_lo, exec_lo, s0
	s_cbranch_vccnz .LBB469_89
; %bb.88:
	v_mov_b32_e32 v14, 0
	global_load_b32 v18, v14, s[36:37]
.LBB469_89:
	v_add3_u32 v15, v80, v61, v65
	v_cmp_eq_u32_e64 s6, 0, v66
	v_cmp_eq_u32_e64 s7, 0, v64
	;; [unrolled: 1-line block ×4, first 2 shown]
	v_add3_u32 v15, v15, v60, v59
	s_wait_xcnt 0x0
	v_dual_cndmask_b32 v14, 0, v52, s6 :: v_dual_bitop2_b32 v17, 15, v77 bitop3:0x40
	v_cmp_eq_u32_e64 s11, 0, v65
	v_cmp_eq_u32_e64 s10, 0, v60
	v_add3_u32 v15, v15, v58, v57
	v_cmp_eq_u32_e64 s5, 0, v59
	v_cmp_eq_u32_e64 s4, 0, v58
	v_cmp_eq_u32_e64 s3, 0, v57
	v_cmp_eq_u32_e64 s1, 0, v54
	v_add3_u32 v15, v15, v54, v55
	v_cmp_eq_u32_e32 vcc_lo, 0, v55
	v_cmp_eq_u32_e64 s0, 0, v62
	v_cmp_eq_u32_e64 s12, 0, v56
	s_delay_alu instid0(VALU_DEP_4) | instskip(SKIP_1) | instid1(VALU_DEP_2)
	v_add3_u32 v15, v15, v62, v56
	v_add_nc_u32_e32 v14, v14, v68
	v_mov_b32_dpp v19, v15 row_shr:1 row_mask:0xf bank_mask:0xf
	s_delay_alu instid0(VALU_DEP_2) | instskip(NEXT) | instid1(VALU_DEP_1)
	v_cndmask_b32_e64 v14, 0, v14, s7
	v_add_nc_u32_e32 v14, v14, v72
	s_delay_alu instid0(VALU_DEP_1) | instskip(NEXT) | instid1(VALU_DEP_1)
	v_cndmask_b32_e64 v14, 0, v14, s8
	v_add_nc_u32_e32 v14, v14, v74
	s_delay_alu instid0(VALU_DEP_1) | instskip(NEXT) | instid1(VALU_DEP_1)
	;; [unrolled: 3-line block ×9, first 2 shown]
	v_cndmask_b32_e32 v14, 0, v14, vcc_lo
	v_add_nc_u32_e32 v14, v14, v50
	s_delay_alu instid0(VALU_DEP_1) | instskip(NEXT) | instid1(VALU_DEP_1)
	v_cndmask_b32_e64 v14, 0, v14, s0
	v_add_nc_u32_e32 v14, v14, v1
	s_delay_alu instid0(VALU_DEP_1) | instskip(SKIP_1) | instid1(VALU_DEP_2)
	v_cndmask_b32_e64 v14, 0, v14, s12
	v_cmp_eq_u32_e64 s12, 0, v15
	v_add_nc_u32_e32 v14, v14, v76
	s_delay_alu instid0(VALU_DEP_1) | instskip(NEXT) | instid1(VALU_DEP_1)
	v_mov_b32_dpp v16, v14 row_shr:1 row_mask:0xf bank_mask:0xf
	v_cndmask_b32_e64 v16, 0, v16, s12
	v_cmp_eq_u32_e64 s12, 0, v17
	s_delay_alu instid0(VALU_DEP_1) | instskip(NEXT) | instid1(VALU_DEP_3)
	v_cndmask_b32_e64 v19, v19, 0, s12
	v_cndmask_b32_e64 v16, v16, 0, s12
	v_cmp_lt_u32_e64 s12, 1, v17
	s_delay_alu instid0(VALU_DEP_2) | instskip(NEXT) | instid1(VALU_DEP_1)
	v_dual_add_nc_u32 v15, v19, v15 :: v_dual_add_nc_u32 v14, v16, v14
	v_mov_b32_dpp v16, v15 row_shr:2 row_mask:0xf bank_mask:0xf
	v_cmp_eq_u32_e64 s13, 0, v15
	s_delay_alu instid0(VALU_DEP_3) | instskip(NEXT) | instid1(VALU_DEP_3)
	v_mov_b32_dpp v19, v14 row_shr:2 row_mask:0xf bank_mask:0xf
	v_cndmask_b32_e64 v16, 0, v16, s12
	s_and_b32 s12, s12, s13
	s_delay_alu instid0(VALU_DEP_2) | instid1(SALU_CYCLE_1)
	v_cndmask_b32_e64 v19, 0, v19, s12
	v_cmp_lt_u32_e64 s12, 3, v17
	s_delay_alu instid0(VALU_DEP_3) | instskip(NEXT) | instid1(VALU_DEP_3)
	v_add_nc_u32_e32 v15, v15, v16
	v_add_nc_u32_e32 v14, v19, v14
	s_delay_alu instid0(VALU_DEP_2) | instskip(SKIP_1) | instid1(VALU_DEP_3)
	v_mov_b32_dpp v16, v15 row_shr:4 row_mask:0xf bank_mask:0xf
	v_cmp_eq_u32_e64 s13, 0, v15
	v_mov_b32_dpp v19, v14 row_shr:4 row_mask:0xf bank_mask:0xf
	s_delay_alu instid0(VALU_DEP_3)
	v_cndmask_b32_e64 v16, 0, v16, s12
	s_and_b32 s12, s12, s13
	s_delay_alu instid0(VALU_DEP_2) | instid1(SALU_CYCLE_1)
	v_cndmask_b32_e64 v19, 0, v19, s12
	v_cmp_lt_u32_e64 s12, 7, v17
	s_delay_alu instid0(VALU_DEP_3) | instskip(NEXT) | instid1(VALU_DEP_3)
	v_add_nc_u32_e32 v15, v16, v15
	v_add_nc_u32_e32 v14, v14, v19
	v_bfe_i32 v19, v77, 4, 1
	s_delay_alu instid0(VALU_DEP_3) | instskip(SKIP_1) | instid1(VALU_DEP_4)
	v_mov_b32_dpp v16, v15 row_shr:8 row_mask:0xf bank_mask:0xf
	v_cmp_eq_u32_e64 s13, 0, v15
	v_mov_b32_dpp v17, v14 row_shr:8 row_mask:0xf bank_mask:0xf
	s_delay_alu instid0(VALU_DEP_3) | instskip(SKIP_2) | instid1(VALU_DEP_2)
	v_cndmask_b32_e64 v16, 0, v16, s12
	s_and_b32 s12, s12, s13
	s_mov_b32 s13, exec_lo
	v_cndmask_b32_e64 v17, 0, v17, s12
	s_delay_alu instid0(VALU_DEP_1) | instskip(SKIP_4) | instid1(VALU_DEP_1)
	v_dual_add_nc_u32 v17, v17, v14 :: v_dual_add_nc_u32 v14, v16, v15
	ds_swizzle_b32 v15, v17 offset:swizzle(BROADCAST,32,15)
	ds_swizzle_b32 v16, v14 offset:swizzle(BROADCAST,32,15)
	v_cmp_eq_u32_e64 s12, 0, v14
	s_wait_dscnt 0x0
	v_dual_cndmask_b32 v15, 0, v15, s12 :: v_dual_bitop2_b32 v16, v19, v16 bitop3:0x40
	s_delay_alu instid0(VALU_DEP_1) | instskip(NEXT) | instid1(VALU_DEP_1)
	v_dual_add_nc_u32 v14, v16, v14 :: v_dual_bitop2_b32 v15, v19, v15 bitop3:0x40
	v_dual_add_nc_u32 v15, v15, v17 :: v_dual_lshlrev_b32 v17, 3, v78
	v_cmpx_eq_u32_e64 v0, v79
; %bb.90:
	ds_store_b64 v17, v[14:15] offset:2064
; %bb.91:
	s_or_b32 exec_lo, exec_lo, s13
	s_delay_alu instid0(SALU_CYCLE_1)
	s_mov_b32 s14, exec_lo
	s_wait_loadcnt_dscnt 0x0
	s_barrier_signal -1
	s_barrier_wait -1
	v_cmpx_gt_u32_e32 8, v0
	s_cbranch_execz .LBB469_93
; %bb.92:
	v_dual_lshlrev_b32 v16, 3, v0 :: v_dual_bitop2_b32 v24, 7, v77 bitop3:0x40
	ds_load_b64 v[20:21], v16 offset:2064
	s_wait_dscnt 0x0
	v_mov_b32_dpp v19, v21 row_shr:1 row_mask:0xf bank_mask:0xf
	v_cmp_eq_u32_e64 s12, 0, v20
	v_mov_b32_dpp v25, v20 row_shr:1 row_mask:0xf bank_mask:0xf
	s_delay_alu instid0(VALU_DEP_2) | instskip(SKIP_1) | instid1(VALU_DEP_1)
	v_cndmask_b32_e64 v19, 0, v19, s12
	v_cmp_eq_u32_e64 s12, 0, v24
	v_cndmask_b32_e64 v25, v25, 0, s12
	s_delay_alu instid0(VALU_DEP_1) | instskip(NEXT) | instid1(VALU_DEP_4)
	v_add_nc_u32_e32 v20, v25, v20
	v_cndmask_b32_e64 v19, v19, 0, s12
	v_cmp_lt_u32_e64 s12, 1, v24
	s_delay_alu instid0(VALU_DEP_3) | instskip(NEXT) | instid1(VALU_DEP_3)
	v_cmp_eq_u32_e64 s13, 0, v20
	v_add_nc_u32_e32 v19, v19, v21
	v_mov_b32_dpp v21, v20 row_shr:2 row_mask:0xf bank_mask:0xf
	s_delay_alu instid0(VALU_DEP_1) | instskip(NEXT) | instid1(VALU_DEP_3)
	v_cndmask_b32_e64 v21, 0, v21, s12
	v_mov_b32_dpp v25, v19 row_shr:2 row_mask:0xf bank_mask:0xf
	s_and_b32 s12, s12, s13
	s_delay_alu instid0(VALU_DEP_1) | instid1(SALU_CYCLE_1)
	v_dual_add_nc_u32 v20, v21, v20 :: v_dual_cndmask_b32 v25, 0, v25, s12
	v_cmp_lt_u32_e64 s12, 3, v24
	s_delay_alu instid0(VALU_DEP_2) | instskip(NEXT) | instid1(VALU_DEP_3)
	v_mov_b32_dpp v21, v20 row_shr:4 row_mask:0xf bank_mask:0xf
	v_add_nc_u32_e32 v19, v25, v19
	v_cmp_eq_u32_e64 s13, 0, v20
	s_delay_alu instid0(VALU_DEP_3) | instskip(NEXT) | instid1(VALU_DEP_3)
	v_cndmask_b32_e64 v21, 0, v21, s12
	v_mov_b32_dpp v24, v19 row_shr:4 row_mask:0xf bank_mask:0xf
	s_and_b32 s12, s12, s13
	s_delay_alu instid0(VALU_DEP_1) | instid1(SALU_CYCLE_1)
	v_cndmask_b32_e64 v24, 0, v24, s12
	s_delay_alu instid0(VALU_DEP_1)
	v_dual_add_nc_u32 v20, v21, v20 :: v_dual_add_nc_u32 v21, v24, v19
	ds_store_b64 v16, v[20:21] offset:2064
.LBB469_93:
	s_or_b32 exec_lo, exec_lo, s14
	v_dual_mov_b32 v19, 0 :: v_dual_mov_b32 v16, 0
	v_mov_b32_e32 v20, v18
	s_mov_b32 s13, exec_lo
	s_wait_dscnt 0x0
	s_barrier_signal -1
	s_barrier_wait -1
	v_cmpx_lt_u32_e32 31, v0
	s_cbranch_execz .LBB469_95
; %bb.94:
	ds_load_b64 v[16:17], v17 offset:2056
	s_wait_dscnt 0x0
	v_cmp_eq_u32_e64 s12, 0, v16
	s_delay_alu instid0(VALU_DEP_1) | instskip(NEXT) | instid1(VALU_DEP_1)
	v_cndmask_b32_e64 v20, 0, v18, s12
	v_add_nc_u32_e32 v20, v20, v17
.LBB469_95:
	s_or_b32 exec_lo, exec_lo, s13
	v_sub_co_u32 v17, s12, v77, 1
	s_delay_alu instid0(VALU_DEP_1) | instskip(NEXT) | instid1(VALU_DEP_1)
	v_cmp_gt_i32_e64 s13, 0, v17
	v_cndmask_b32_e64 v17, v17, v77, s13
	v_cmp_eq_u32_e64 s13, 0, v14
	s_delay_alu instid0(VALU_DEP_1) | instskip(NEXT) | instid1(VALU_DEP_3)
	v_dual_cndmask_b32 v21, 0, v20, s13 :: v_dual_add_nc_u32 v14, v16, v14
	v_lshlrev_b32_e32 v17, 2, v17
	ds_bpermute_b32 v14, v17, v14
	s_wait_dscnt 0x0
	v_dual_add_nc_u32 v15, v21, v15 :: v_dual_cndmask_b32 v14, v14, v16, s12
	ds_bpermute_b32 v15, v17, v15
	v_cndmask_b32_e64 v44, v14, 0, s2
	s_delay_alu instid0(VALU_DEP_1) | instskip(NEXT) | instid1(VALU_DEP_1)
	v_add_nc_u32_e32 v48, v44, v67
	v_add_nc_u32_e32 v46, v48, v66
	s_delay_alu instid0(VALU_DEP_1) | instskip(SKIP_3) | instid1(VALU_DEP_2)
	v_add_nc_u32_e32 v42, v46, v64
	s_wait_dscnt 0x0
	v_cndmask_b32_e64 v15, v15, v20, s12
	v_cmp_eq_u32_e64 s12, 0, v67
	v_cndmask_b32_e64 v45, v15, v18, s2
	s_delay_alu instid0(VALU_DEP_1) | instskip(NEXT) | instid1(VALU_DEP_1)
	v_cndmask_b32_e64 v15, 0, v45, s12
	v_add_nc_u32_e32 v49, v15, v52
	s_delay_alu instid0(VALU_DEP_1) | instskip(NEXT) | instid1(VALU_DEP_1)
	v_cndmask_b32_e64 v15, 0, v49, s6
	v_add_nc_u32_e32 v47, v15, v68
	s_delay_alu instid0(VALU_DEP_1) | instskip(NEXT) | instid1(VALU_DEP_1)
	v_cndmask_b32_e64 v15, 0, v47, s7
	v_add_nc_u32_e32 v43, v15, v72
	s_delay_alu instid0(VALU_DEP_1) | instskip(NEXT) | instid1(VALU_DEP_1)
	v_cndmask_b32_e64 v15, 0, v43, s8
	v_add_nc_u32_e32 v39, v15, v74
	s_delay_alu instid0(VALU_DEP_1) | instskip(NEXT) | instid1(VALU_DEP_1)
	v_cndmask_b32_e64 v15, 0, v39, s9
	v_add_nc_u32_e32 v33, v15, v70
	s_delay_alu instid0(VALU_DEP_1) | instskip(NEXT) | instid1(VALU_DEP_1)
	v_cndmask_b32_e64 v15, 0, v33, s11
	v_add_nc_u32_e32 v35, v15, v71
	s_delay_alu instid0(VALU_DEP_1) | instskip(NEXT) | instid1(VALU_DEP_1)
	v_cndmask_b32_e64 v14, 0, v35, s10
	v_add_nc_u32_e32 v41, v14, v75
	s_delay_alu instid0(VALU_DEP_1) | instskip(NEXT) | instid1(VALU_DEP_1)
	v_cndmask_b32_e64 v14, 0, v41, s5
	v_add_nc_u32_e32 v25, v14, v73
	s_delay_alu instid0(VALU_DEP_1) | instskip(NEXT) | instid1(VALU_DEP_1)
	v_dual_add_nc_u32 v38, v42, v63 :: v_dual_cndmask_b32 v14, 0, v25, s4
	v_add_nc_u32_e32 v32, v38, v61
	s_delay_alu instid0(VALU_DEP_2) | instskip(NEXT) | instid1(VALU_DEP_1)
	v_add_nc_u32_e32 v27, v14, v69
	v_dual_add_nc_u32 v34, v32, v65 :: v_dual_cndmask_b32 v14, 0, v27, s3
	s_delay_alu instid0(VALU_DEP_1) | instskip(NEXT) | instid1(VALU_DEP_2)
	v_add_nc_u32_e32 v40, v34, v60
	v_add_nc_u32_e32 v31, v14, v53
	ds_load_b64 v[14:15], v19 offset:2120
	v_add_nc_u32_e32 v24, v40, v59
	s_delay_alu instid0(VALU_DEP_1) | instskip(NEXT) | instid1(VALU_DEP_1)
	v_dual_cndmask_b32 v16, 0, v31, s1 :: v_dual_add_nc_u32 v26, v24, v58
	v_add_nc_u32_e32 v37, v16, v51
	s_delay_alu instid0(VALU_DEP_1) | instskip(NEXT) | instid1(VALU_DEP_1)
	v_cndmask_b32_e32 v16, 0, v37, vcc_lo
	v_dual_add_nc_u32 v30, v26, v57 :: v_dual_add_nc_u32 v29, v16, v50
	s_delay_alu instid0(VALU_DEP_1) | instskip(SKIP_2) | instid1(VALU_DEP_2)
	v_add_nc_u32_e32 v36, v30, v54
	s_wait_dscnt 0x0
	v_cmp_eq_u32_e32 vcc_lo, 0, v14
	v_dual_cndmask_b32 v16, 0, v29, s0 :: v_dual_add_nc_u32 v28, v36, v55
	s_delay_alu instid0(VALU_DEP_1) | instskip(NEXT) | instid1(VALU_DEP_1)
	v_dual_cndmask_b32 v17, 0, v18, vcc_lo :: v_dual_add_nc_u32 v21, v16, v1
	v_dual_add_nc_u32 v20, v28, v62 :: v_dual_add_nc_u32 v18, v17, v15
	s_and_saveexec_b32 s0, s2
	s_cbranch_execz .LBB469_97
; %bb.96:
	s_add_nc_u64 s[4:5], s[20:21], 0x200
	v_dual_mov_b32 v16, 2 :: v_dual_mov_b32 v17, 0
	v_mov_b32_e32 v15, v18
	v_mov_b64_e32 v[50:51], s[4:5]
	;;#ASMSTART
	global_store_b128 v[50:51], v[14:17] off scope:SCOPE_DEV	
s_wait_storecnt 0x0
	;;#ASMEND
.LBB469_97:
	s_or_b32 exec_lo, exec_lo, s0
	v_mov_b32_e32 v16, 0
.LBB469_98:
	s_cmp_eq_u64 s[18:19], 0
	v_mov_b64_e32 v[50:51], 0
	s_cselect_b32 s0, -1, 0
	s_delay_alu instid0(SALU_CYCLE_1)
	s_or_b32 s0, s16, s0
	s_barrier_signal -1
	s_and_b32 vcc_lo, exec_lo, s0
	s_barrier_wait -1
	s_cbranch_vccnz .LBB469_100
; %bb.99:
	v_mov_b32_e32 v1, 0
	global_load_b64 v[50:51], v1, s[18:19]
.LBB469_100:
	v_cmp_eq_u32_e32 vcc_lo, 0, v67
	s_wait_loadcnt 0x0
	v_lshlrev_b64_e32 v[52:53], 2, v[50:51]
	v_cmp_ne_u32_e64 s14, 0, v67
	v_cmp_ne_u32_e64 s13, 0, v66
	v_cmp_ne_u32_e64 s12, 0, v64
	v_cndmask_b32_e64 v1, 1, 2, vcc_lo
	v_cmp_eq_u32_e32 vcc_lo, 0, v66
	v_cmp_ne_u32_e64 s11, 0, v63
	v_add_nc_u64_e32 v[52:53], s[28:29], v[52:53]
	v_cmp_ne_u32_e64 s10, 0, v61
	v_cmp_ne_u32_e64 s9, 0, v65
	v_cndmask_b32_e64 v15, 1, 2, vcc_lo
	v_cmp_eq_u32_e32 vcc_lo, 0, v64
	v_cmp_ne_u32_e64 s8, 0, v60
	v_cmp_ne_u32_e64 s7, 0, v59
	;; [unrolled: 1-line block ×3, first 2 shown]
	v_and_b32_e32 v1, v15, v1
	v_cndmask_b32_e64 v17, 1, 2, vcc_lo
	v_cmp_eq_u32_e32 vcc_lo, 0, v63
	v_cmp_ne_u32_e64 s5, 0, v57
	v_cmp_ne_u32_e64 s4, 0, v54
	;; [unrolled: 1-line block ×4, first 2 shown]
	v_cndmask_b32_e64 v19, 1, 2, vcc_lo
	v_cmp_eq_u32_e32 vcc_lo, 0, v61
	v_cmp_ne_u32_e64 s0, 0, v56
	s_mov_b32 s16, -1
	v_bitop3_b16 v1, v1, v19, v17 bitop3:0x80
	v_cndmask_b32_e64 v15, 1, 2, vcc_lo
	v_cmp_eq_u32_e32 vcc_lo, 0, v65
	v_mov_b32_e32 v17, 0
	v_cndmask_b32_e64 v19, 1, 2, vcc_lo
	v_cmp_eq_u32_e32 vcc_lo, 0, v60
	s_delay_alu instid0(VALU_DEP_3) | instskip(NEXT) | instid1(VALU_DEP_3)
	v_lshlrev_b64_e32 v[68:69], 2, v[16:17]
	v_bitop3_b16 v1, v1, v19, v15 bitop3:0x80
	v_cndmask_b32_e64 v15, 1, 2, vcc_lo
	v_cmp_eq_u32_e32 vcc_lo, 0, v59
	s_delay_alu instid0(VALU_DEP_4) | instskip(SKIP_2) | instid1(VALU_DEP_2)
	v_add_nc_u64_e32 v[52:53], v[52:53], v[68:69]
	v_cndmask_b32_e64 v19, 1, 2, vcc_lo
	v_cmp_eq_u32_e32 vcc_lo, 0, v58
	v_bitop3_b16 v1, v1, v19, v15 bitop3:0x80
	v_cndmask_b32_e64 v15, 1, 2, vcc_lo
	v_cmp_eq_u32_e32 vcc_lo, 0, v57
	v_cndmask_b32_e64 v19, 1, 2, vcc_lo
	v_cmp_eq_u32_e32 vcc_lo, 0, v54
	s_delay_alu instid0(VALU_DEP_2) | instskip(SKIP_4) | instid1(VALU_DEP_2)
	v_bitop3_b16 v1, v1, v19, v15 bitop3:0x80
	v_cndmask_b32_e64 v15, 1, 2, vcc_lo
	v_cmp_eq_u32_e32 vcc_lo, 0, v55
	v_cndmask_b32_e64 v19, 1, 2, vcc_lo
	v_cmp_eq_u32_e32 vcc_lo, 0, v62
	v_bitop3_b16 v1, v1, v19, v15 bitop3:0x80
	v_cndmask_b32_e64 v15, 1, 2, vcc_lo
	v_cmp_eq_u32_e32 vcc_lo, 0, v56
	v_cndmask_b32_e64 v19, 1, 2, vcc_lo
	v_cmp_gt_u32_e32 vcc_lo, 0x100, v14
	s_delay_alu instid0(VALU_DEP_2) | instskip(NEXT) | instid1(VALU_DEP_1)
	v_bitop3_b16 v1, v1, v19, v15 bitop3:0x80
	v_cmp_gt_i16_e64 s15, 2, v1
	s_cbranch_vccz .LBB469_107
; %bb.101:
	s_and_saveexec_b32 s16, s15
	s_cbranch_execz .LBB469_106
; %bb.102:
	s_mov_b32 s17, 0
	s_mov_b32 s15, exec_lo
	v_cmpx_ne_u16_e32 1, v1
	s_xor_b32 s15, exec_lo, s15
	s_cbranch_execnz .LBB469_150
; %bb.103:
	s_and_not1_saveexec_b32 s15, s15
	s_cbranch_execnz .LBB469_165
.LBB469_104:
	s_or_b32 exec_lo, exec_lo, s15
	s_delay_alu instid0(SALU_CYCLE_1)
	s_and_b32 exec_lo, exec_lo, s17
	s_cbranch_execz .LBB469_106
.LBB469_105:
	v_sub_nc_u32_e32 v15, v20, v16
	v_readfirstlane_b32 s18, v52
	v_readfirstlane_b32 s19, v53
	global_store_b32 v15, v23, s[18:19] scale_offset
.LBB469_106:
	s_wait_xcnt 0x0
	s_or_b32 exec_lo, exec_lo, s16
	s_mov_b32 s16, 0
.LBB469_107:
	s_delay_alu instid0(SALU_CYCLE_1)
	s_and_b32 vcc_lo, exec_lo, s16
	s_cbranch_vccz .LBB469_129
; %bb.108:
	s_mov_b32 s15, exec_lo
	v_cmpx_gt_i16_e32 2, v1
	s_cbranch_execz .LBB469_113
; %bb.109:
	s_mov_b32 s17, 0
	s_mov_b32 s16, exec_lo
	v_cmpx_ne_u16_e32 1, v1
	s_xor_b32 s16, exec_lo, s16
	s_cbranch_execnz .LBB469_166
; %bb.110:
	s_and_not1_saveexec_b32 s0, s16
	s_cbranch_execnz .LBB469_181
.LBB469_111:
	s_or_b32 exec_lo, exec_lo, s0
	s_delay_alu instid0(SALU_CYCLE_1)
	s_and_b32 exec_lo, exec_lo, s17
.LBB469_112:
	v_sub_nc_u32_e32 v1, v20, v16
	s_delay_alu instid0(VALU_DEP_1)
	v_lshlrev_b32_e32 v1, 2, v1
	ds_store_b32 v1, v23
.LBB469_113:
	s_or_b32 exec_lo, exec_lo, s15
	s_delay_alu instid0(SALU_CYCLE_1)
	s_mov_b32 s0, exec_lo
	s_wait_storecnt_dscnt 0x0
	s_barrier_signal -1
	s_barrier_wait -1
	v_cmpx_lt_u32_e64 v0, v14
	s_cbranch_execz .LBB469_128
; %bb.114:
	v_xad_u32 v2, v0, -1, v14
	v_mov_b32_e32 v1, v0
	s_mov_b32 s5, -1
	s_mov_b32 s3, exec_lo
	s_delay_alu instid0(VALU_DEP_2)
	v_cmp_gt_u32_e64 s1, 0x1900, v2
	v_cmpx_lt_u32_e32 0x18ff, v2
	s_cbranch_execz .LBB469_125
; %bb.115:
	v_sub_nc_u32_e32 v1, v0, v14
	s_delay_alu instid0(VALU_DEP_1) | instskip(NEXT) | instid1(VALU_DEP_1)
	v_or_b32_e32 v1, 0xff, v1
	v_cmp_ge_u32_e32 vcc_lo, v1, v0
	v_mov_b32_e32 v1, v0
	s_and_saveexec_b32 s4, vcc_lo
	s_cbranch_execz .LBB469_124
; %bb.116:
	v_lshrrev_b32_e32 v6, 8, v2
	v_or_b32_e32 v1, 0x100, v0
	s_delay_alu instid0(VALU_DEP_2) | instskip(NEXT) | instid1(VALU_DEP_1)
	v_dual_mov_b32 v10, 0 :: v_dual_add_nc_u32 v2, -1, v6
	v_lshrrev_b32_e32 v3, 1, v2
	v_cmp_lt_u32_e32 vcc_lo, 13, v2
	s_delay_alu instid0(VALU_DEP_2)
	v_add_nc_u32_e32 v7, 1, v3
	v_mov_b64_e32 v[2:3], v[0:1]
	s_and_saveexec_b32 s5, vcc_lo
	s_cbranch_execz .LBB469_120
; %bb.117:
	v_mov_b64_e32 v[2:3], v[0:1]
	v_dual_lshlrev_b32 v9, 2, v0 :: v_dual_bitop2_b32 v8, -8, v7 bitop3:0x40
	v_mov_b32_e32 v5, 0
	s_mov_b32 s6, 0
	s_mov_b32 s7, 0
.LBB469_118:                            ; =>This Inner Loop Header: Depth=1
	s_delay_alu instid0(VALU_DEP_1)
	v_dual_mov_b32 v4, v2 :: v_dual_mov_b32 v23, v5
	ds_load_2addr_stride64_b32 v[12:13], v9 offset1:4
	v_add_nc_u32_e32 v8, -8, v8
	ds_load_2addr_stride64_b32 v[68:69], v9 offset0:8 offset1:12
	v_lshl_add_u64 v[94:95], v[4:5], 2, v[52:53]
	v_mov_b32_e32 v4, v3
	ds_load_2addr_stride64_b32 v[72:73], v9 offset0:16 offset1:20
	ds_load_2addr_stride64_b32 v[76:77], v9 offset0:24 offset1:28
	v_dual_mov_b32 v71, v5 :: v_dual_add_nc_u32 v22, 0x200, v3
	v_lshl_add_u64 v[96:97], v[4:5], 2, v[52:53]
	v_add_nc_u32_e32 v4, 0x200, v2
	ds_load_2addr_stride64_b32 v[80:81], v9 offset0:32 offset1:36
	v_lshl_add_u64 v[22:23], v[22:23], 2, v[52:53]
	ds_load_2addr_stride64_b32 v[84:85], v9 offset0:40 offset1:44
	ds_load_2addr_stride64_b32 v[88:89], v9 offset0:48 offset1:52
	v_lshl_add_u64 v[98:99], v[4:5], 2, v[52:53]
	v_add_nc_u32_e32 v4, 0x400, v2
	ds_load_2addr_stride64_b32 v[92:93], v9 offset0:56 offset1:60
	s_wait_dscnt 0x7
	s_clause 0x1
	global_store_b32 v[94:95], v12, off
	global_store_b32 v[96:97], v13, off
	s_wait_dscnt 0x6
	s_clause 0x1
	global_store_b32 v[98:99], v68, off
	global_store_b32 v[22:23], v69, off
	v_lshl_add_u64 v[100:101], v[4:5], 2, v[52:53]
	v_add_nc_u32_e32 v4, 0x600, v2
	v_dual_mov_b32 v75, v5 :: v_dual_add_nc_u32 v70, 0x400, v3
	v_dual_mov_b32 v79, v5 :: v_dual_add_nc_u32 v74, 0x600, v3
	s_wait_xcnt 0x2
	s_delay_alu instid0(VALU_DEP_3)
	v_lshl_add_u64 v[12:13], v[4:5], 2, v[52:53]
	v_add_nc_u32_e32 v4, 0x800, v2
	v_lshl_add_u64 v[70:71], v[70:71], 2, v[52:53]
	v_dual_mov_b32 v83, v5 :: v_dual_add_nc_u32 v78, 0x800, v3
	v_lshl_add_u64 v[74:75], v[74:75], 2, v[52:53]
	s_wait_xcnt 0x0
	v_lshl_add_u64 v[22:23], v[4:5], 2, v[52:53]
	v_add_nc_u32_e32 v4, 0xa00, v2
	s_wait_dscnt 0x5
	s_clause 0x1
	global_store_b32 v[100:101], v72, off
	global_store_b32 v[70:71], v73, off
	s_wait_dscnt 0x4
	global_store_b32 v[12:13], v76, off
	v_dual_mov_b32 v87, v5 :: v_dual_add_nc_u32 v82, 0xa00, v3
	s_wait_xcnt 0x0
	v_lshl_add_u64 v[12:13], v[4:5], 2, v[52:53]
	v_add_nc_u32_e32 v4, 0xc00, v2
	v_dual_mov_b32 v91, v5 :: v_dual_add_nc_u32 v86, 0xc00, v3
	v_lshl_add_u64 v[78:79], v[78:79], 2, v[52:53]
	global_store_b32 v[74:75], v77, off
	s_wait_dscnt 0x3
	global_store_b32 v[22:23], v80, off
	s_wait_xcnt 0x0
	v_lshl_add_u64 v[22:23], v[4:5], 2, v[52:53]
	v_add_nc_u32_e32 v4, 0xe00, v2
	v_add_nc_u32_e32 v90, 0xe00, v3
	s_add_co_i32 s7, s7, 16
	v_cmp_eq_u32_e32 vcc_lo, 0, v8
	v_lshl_add_u64 v[82:83], v[82:83], 2, v[52:53]
	v_dual_mov_b32 v10, s7 :: v_dual_add_nc_u32 v9, 0x4000, v9
	v_add_nc_u32_e32 v3, 0x1000, v3
	v_add_nc_u32_e32 v2, 0x1000, v2
	v_lshl_add_u64 v[86:87], v[86:87], 2, v[52:53]
	global_store_b32 v[78:79], v81, off
	s_wait_dscnt 0x2
	s_clause 0x1
	global_store_b32 v[12:13], v84, off
	global_store_b32 v[82:83], v85, off
	s_wait_xcnt 0x1
	v_lshl_add_u64 v[12:13], v[4:5], 2, v[52:53]
	v_lshl_add_u64 v[90:91], v[90:91], 2, v[52:53]
	s_or_b32 s6, vcc_lo, s6
	s_wait_dscnt 0x1
	s_clause 0x1
	global_store_b32 v[22:23], v88, off
	global_store_b32 v[86:87], v89, off
	s_wait_dscnt 0x0
	s_clause 0x1
	global_store_b32 v[12:13], v92, off
	global_store_b32 v[90:91], v93, off
	s_wait_xcnt 0x0
	s_and_not1_b32 exec_lo, exec_lo, s6
	s_cbranch_execnz .LBB469_118
; %bb.119:
	s_or_b32 exec_lo, exec_lo, s6
.LBB469_120:
	s_delay_alu instid0(SALU_CYCLE_1) | instskip(SKIP_3) | instid1(VALU_DEP_1)
	s_or_b32 exec_lo, exec_lo, s5
	v_and_b32_e32 v1, 7, v7
	s_mov_b32 s6, 0
	s_mov_b32 s5, exec_lo
	v_cmpx_ne_u32_e32 0, v1
	s_cbranch_execz .LBB469_123
; %bb.121:
	v_dual_mov_b32 v5, 0 :: v_dual_lshlrev_b32 v4, 2, v0
	s_delay_alu instid0(VALU_DEP_1)
	v_lshl_or_b32 v7, v10, 10, v4
.LBB469_122:                            ; =>This Inner Loop Header: Depth=1
	ds_load_2addr_stride64_b32 v[8:9], v7 offset1:4
	v_dual_mov_b32 v4, v2 :: v_dual_add_nc_u32 v1, -1, v1
	v_add_nc_u32_e32 v2, 0x200, v2
	v_add_nc_u32_e32 v7, 0x800, v7
	s_delay_alu instid0(VALU_DEP_3) | instskip(SKIP_3) | instid1(VALU_DEP_3)
	v_lshl_add_u64 v[10:11], v[4:5], 2, v[52:53]
	v_mov_b32_e32 v4, v3
	v_cmp_eq_u32_e32 vcc_lo, 0, v1
	v_add_nc_u32_e32 v3, 0x200, v3
	v_lshl_add_u64 v[12:13], v[4:5], 2, v[52:53]
	s_or_b32 s6, vcc_lo, s6
	s_wait_dscnt 0x0
	s_clause 0x1
	global_store_b32 v[10:11], v8, off
	global_store_b32 v[12:13], v9, off
	s_wait_xcnt 0x0
	s_and_not1_b32 exec_lo, exec_lo, s6
	s_cbranch_execnz .LBB469_122
.LBB469_123:
	s_or_b32 exec_lo, exec_lo, s5
	v_add_nc_u32_e32 v1, 1, v6
	s_delay_alu instid0(VALU_DEP_1) | instskip(NEXT) | instid1(VALU_DEP_1)
	v_and_b32_e32 v2, 0x1fffffe, v1
	v_cmp_ne_u32_e32 vcc_lo, v1, v2
	v_lshl_or_b32 v1, v2, 8, v0
	s_or_not1_b32 s5, vcc_lo, exec_lo
.LBB469_124:
	s_or_b32 exec_lo, exec_lo, s4
	s_delay_alu instid0(SALU_CYCLE_1) | instskip(SKIP_1) | instid1(SALU_CYCLE_1)
	s_and_not1_b32 s1, s1, exec_lo
	s_and_b32 s4, s5, exec_lo
	s_or_b32 s1, s1, s4
.LBB469_125:
	s_or_b32 exec_lo, exec_lo, s3
	s_delay_alu instid0(SALU_CYCLE_1)
	s_and_b32 exec_lo, exec_lo, s1
	s_cbranch_execz .LBB469_128
; %bb.126:
	v_lshlrev_b32_e32 v2, 2, v1
	s_mov_b32 s1, 0
.LBB469_127:                            ; =>This Inner Loop Header: Depth=1
	ds_load_b32 v3, v2
	v_readfirstlane_b32 s4, v52
	v_readfirstlane_b32 s5, v53
	v_add_nc_u32_e32 v2, 0x400, v2
	s_wait_dscnt 0x0
	global_store_b32 v1, v3, s[4:5] scale_offset
	s_wait_xcnt 0x0
	v_add_nc_u32_e32 v1, 0x100, v1
	s_delay_alu instid0(VALU_DEP_1) | instskip(SKIP_1) | instid1(SALU_CYCLE_1)
	v_cmp_ge_u32_e32 vcc_lo, v1, v14
	s_or_b32 s1, vcc_lo, s1
	s_and_not1_b32 exec_lo, exec_lo, s1
	s_cbranch_execnz .LBB469_127
.LBB469_128:
	s_or_b32 exec_lo, exec_lo, s0
.LBB469_129:
	s_cmp_lg_u32 s38, 0xe00
	v_cndmask_b32_e64 v6, 0, 1, s25
	s_cselect_b32 s0, -1, 0
	s_lshr_b32 s1, s38, 1
	s_and_b32 s0, s0, s33
	v_mad_i32_i24 v3, v0, -14, s38
	v_cndmask_b32_e64 v2, 0, 1, s0
	s_mul_hi_u32 s0, s1, 0x92492493
	s_and_b32 s1, s2, s25
	s_lshr_b32 s0, s0, 2
	v_cndmask_b32_e64 v4, v67, 0, s1
	v_cmp_eq_u32_e32 vcc_lo, s0, v0
	v_cmp_ne_u32_e64 s0, 0, v3
	v_sub_nc_u32_e32 v1, v14, v6
	s_mov_b32 s15, -1
	s_wait_storecnt 0x0
	s_and_b32 vcc_lo, vcc_lo, s33
	s_barrier_signal -1
	v_dual_add_nc_u32 v1, v1, v2 :: v_dual_cndmask_b32 v2, 1, v4, s0
	v_cmp_ne_u32_e64 s0, 1, v3
	s_barrier_wait -1
	s_delay_alu instid0(VALU_DEP_1) | instskip(SKIP_1) | instid1(VALU_DEP_1)
	v_cndmask_b32_e64 v5, 1, v66, s0
	v_cmp_ne_u32_e64 s0, 2, v3
	v_cndmask_b32_e64 v7, 1, v64, s0
	v_cmp_ne_u32_e64 s0, 3, v3
	s_delay_alu instid0(VALU_DEP_2) | instskip(NEXT) | instid1(VALU_DEP_2)
	v_cndmask_b32_e32 v7, v64, v7, vcc_lo
	v_cndmask_b32_e64 v8, 1, v63, s0
	v_cmp_ne_u32_e64 s0, 4, v3
	v_cndmask_b32_e32 v53, v4, v2, vcc_lo
	s_delay_alu instid0(VALU_DEP_4) | instskip(NEXT) | instid1(VALU_DEP_3)
	v_cmp_ne_u32_e64 s11, 0, v7
	v_cndmask_b32_e64 v9, 1, v61, s0
	v_cmp_ne_u32_e64 s0, 5, v3
	s_delay_alu instid0(VALU_DEP_1) | instskip(SKIP_1) | instid1(VALU_DEP_1)
	v_cndmask_b32_e64 v10, 1, v65, s0
	v_cmp_ne_u32_e64 s0, 6, v3
	v_cndmask_b32_e64 v11, 1, v60, s0
	v_cmp_ne_u32_e64 s0, 7, v3
	s_delay_alu instid0(VALU_DEP_2) | instskip(NEXT) | instid1(VALU_DEP_2)
	v_dual_cndmask_b32 v9, v61, v9, vcc_lo :: v_dual_cndmask_b32 v11, v60, v11, vcc_lo
	v_cndmask_b32_e64 v12, 1, v59, s0
	v_cmp_ne_u32_e64 s0, 8, v3
	v_cndmask_b32_e32 v10, v65, v10, vcc_lo
	s_delay_alu instid0(VALU_DEP_4) | instskip(NEXT) | instid1(VALU_DEP_3)
	v_cmp_ne_u32_e64 s7, 0, v11
	v_cndmask_b32_e64 v13, 1, v58, s0
	v_cmp_ne_u32_e64 s0, 9, v3
	s_delay_alu instid0(VALU_DEP_4) | instskip(NEXT) | instid1(VALU_DEP_2)
	v_cmp_ne_u32_e64 s8, 0, v10
	v_cndmask_b32_e64 v15, 1, v57, s0
	v_cmp_ne_u32_e64 s0, 10, v3
	s_delay_alu instid0(VALU_DEP_2) | instskip(NEXT) | instid1(VALU_DEP_2)
	v_dual_cndmask_b32 v13, v58, v13, vcc_lo :: v_dual_cndmask_b32 v15, v57, v15, vcc_lo
	v_cndmask_b32_e64 v19, 1, v54, s0
	v_cmp_ne_u32_e64 s0, 13, v3
	s_delay_alu instid0(VALU_DEP_3) | instskip(NEXT) | instid1(VALU_DEP_2)
	v_cmp_ne_u32_e64 s5, 0, v13
	v_cndmask_b32_e64 v22, 1, v56, s0
	v_cmp_ne_u32_e64 s0, 12, v3
	v_dual_cndmask_b32 v12, v59, v12 :: v_dual_cndmask_b32 v19, v54, v19
	s_delay_alu instid0(VALU_DEP_2) | instskip(SKIP_2) | instid1(VALU_DEP_4)
	v_cndmask_b32_e64 v23, 1, v62, s0
	v_cmp_ne_u32_e64 s0, 11, v3
	v_lshlrev_b64_e32 v[2:3], 3, v[50:51]
	v_cmp_ne_u32_e64 s6, 0, v12
	v_cmp_ne_u32_e64 s3, 0, v19
	s_delay_alu instid0(VALU_DEP_4)
	v_dual_cndmask_b32 v52, 1, v55, s0 :: v_dual_cndmask_b32 v22, v56, v22, vcc_lo
	v_cndmask_b32_e32 v23, v62, v23, vcc_lo
	v_cndmask_b32_e32 v56, v66, v5, vcc_lo
	v_cmp_eq_u32_e64 s0, 0, v53
	v_add_nc_u64_e32 v[2:3], s[30:31], v[2:3]
	v_lshlrev_b64_e32 v[4:5], 3, v[16:17]
	v_cndmask_b32_e32 v52, v55, v52, vcc_lo
	v_cmp_ne_u32_e64 s13, 0, v53
	v_cndmask_b32_e64 v62, 1, 2, s0
	v_cmp_eq_u32_e64 s0, 0, v56
	v_cmp_ne_u32_e64 s12, 0, v56
	v_cmp_ne_u32_e64 s2, 0, v52
	v_add_nc_u64_e32 v[2:3], v[2:3], v[4:5]
	v_lshlrev_b32_e32 v4, 3, v6
	v_cndmask_b32_e64 v65, 1, 2, s0
	v_cndmask_b32_e32 v8, v63, v8, vcc_lo
	v_cmp_eq_u32_e64 s0, 0, v7
	v_mov_b32_e32 v5, 0
	v_cmp_eq_u32_e32 vcc_lo, 0, v13
	v_and_b32_e32 v62, v65, v62
	v_add_nc_u32_e32 v6, v16, v6
	v_cndmask_b32_e64 v63, 1, 2, s0
	v_cmp_eq_u32_e64 s0, 0, v8
	v_cmp_ne_u32_e64 s10, 0, v8
	v_cmp_ne_u32_e64 s9, 0, v9
	v_add_nc_u64_e32 v[4:5], v[2:3], v[4:5]
	v_cmp_ne_u32_e64 s4, 0, v15
	v_cndmask_b32_e64 v64, 1, 2, s0
	v_cmp_eq_u32_e64 s0, 0, v9
	v_cmp_ne_u32_e64 s1, 0, v23
	s_delay_alu instid0(VALU_DEP_3) | instskip(NEXT) | instid1(VALU_DEP_3)
	v_bitop3_b16 v61, v62, v64, v63 bitop3:0x80
	v_cndmask_b32_e64 v62, 1, 2, s0
	v_cmp_eq_u32_e64 s0, 0, v10
	v_add_nc_u64_e32 v[4:5], -8, v[4:5]
	s_delay_alu instid0(VALU_DEP_2) | instskip(SKIP_1) | instid1(VALU_DEP_2)
	v_cndmask_b32_e64 v63, 1, 2, s0
	v_cmp_eq_u32_e64 s0, 0, v11
	v_bitop3_b16 v55, v61, v63, v62 bitop3:0x80
	s_delay_alu instid0(VALU_DEP_2) | instskip(SKIP_1) | instid1(VALU_DEP_1)
	v_cndmask_b32_e64 v59, 1, 2, s0
	v_cmp_eq_u32_e64 s0, 0, v12
	v_cndmask_b32_e64 v60, 1, 2, s0
	v_cmp_ne_u32_e64 s0, 0, v22
	s_delay_alu instid0(VALU_DEP_2) | instskip(SKIP_4) | instid1(VALU_DEP_2)
	v_bitop3_b16 v54, v55, v60, v59 bitop3:0x80
	v_cndmask_b32_e64 v55, 1, 2, vcc_lo
	v_cmp_eq_u32_e32 vcc_lo, 0, v15
	v_cndmask_b32_e64 v57, 1, 2, vcc_lo
	v_cmp_eq_u32_e32 vcc_lo, 0, v19
	v_bitop3_b16 v7, v54, v57, v55 bitop3:0x80
	v_cndmask_b32_e64 v53, 1, 2, vcc_lo
	v_cmp_eq_u32_e32 vcc_lo, 0, v52
	v_cndmask_b32_e64 v54, 1, 2, vcc_lo
	v_cmp_eq_u32_e32 vcc_lo, 0, v23
	s_delay_alu instid0(VALU_DEP_2) | instskip(SKIP_4) | instid1(VALU_DEP_2)
	v_bitop3_b16 v7, v7, v54, v53 bitop3:0x80
	v_cndmask_b32_e64 v8, 1, 2, vcc_lo
	v_cmp_eq_u32_e32 vcc_lo, 0, v22
	v_cndmask_b32_e64 v9, 1, 2, vcc_lo
	v_cmp_gt_u32_e32 vcc_lo, 0x100, v1
	v_bitop3_b16 v7, v7, v9, v8 bitop3:0x80
	s_delay_alu instid0(VALU_DEP_1)
	v_cmp_gt_i16_e64 s14, 2, v7
	s_cbranch_vccnz .LBB469_133
; %bb.130:
	s_and_b32 vcc_lo, exec_lo, s15
	s_cbranch_vccnz .LBB469_139
.LBB469_131:
	v_cmp_eq_u32_e32 vcc_lo, 0xff, v0
	s_and_b32 s0, vcc_lo, s33
	s_delay_alu instid0(SALU_CYCLE_1)
	s_and_saveexec_b32 s1, s0
	s_cbranch_execnz .LBB469_148
.LBB469_132:
	s_sendmsg sendmsg(MSG_DEALLOC_VGPRS)
	s_endpgm
.LBB469_133:
	s_and_saveexec_b32 s15, s14
	s_cbranch_execz .LBB469_138
; %bb.134:
	s_mov_b32 s16, 0
	s_mov_b32 s14, exec_lo
	v_cmpx_ne_u16_e32 1, v7
	s_xor_b32 s14, exec_lo, s14
	s_cbranch_execnz .LBB469_182
; %bb.135:
	s_and_not1_saveexec_b32 s14, s14
	s_cbranch_execnz .LBB469_197
.LBB469_136:
	s_or_b32 exec_lo, exec_lo, s14
	s_delay_alu instid0(SALU_CYCLE_1)
	s_and_b32 exec_lo, exec_lo, s16
	s_cbranch_execz .LBB469_138
.LBB469_137:
	v_dual_mov_b32 v9, 0 :: v_dual_mov_b32 v8, v21
	v_sub_nc_u32_e32 v10, v20, v6
	v_readfirstlane_b32 s16, v4
	v_readfirstlane_b32 s17, v5
	global_store_b64 v10, v[8:9], s[16:17] scale_offset
.LBB469_138:
	s_wait_xcnt 0x0
	s_or_b32 exec_lo, exec_lo, s15
	s_branch .LBB469_131
.LBB469_139:
	s_mov_b32 s14, exec_lo
	v_cmpx_gt_i16_e32 2, v7
	s_cbranch_execz .LBB469_144
; %bb.140:
	s_mov_b32 s16, 0
	s_mov_b32 s15, exec_lo
	v_cmpx_ne_u16_e32 1, v7
	s_xor_b32 s15, exec_lo, s15
	s_cbranch_execnz .LBB469_198
; %bb.141:
	s_and_not1_saveexec_b32 s0, s15
	s_cbranch_execnz .LBB469_213
.LBB469_142:
	s_or_b32 exec_lo, exec_lo, s0
	s_delay_alu instid0(SALU_CYCLE_1)
	s_and_b32 exec_lo, exec_lo, s16
.LBB469_143:
	v_sub_nc_u32_e32 v6, v20, v6
	s_delay_alu instid0(VALU_DEP_1)
	v_lshlrev_b32_e32 v6, 2, v6
	ds_store_b32 v6, v21
.LBB469_144:
	s_or_b32 exec_lo, exec_lo, s14
	s_delay_alu instid0(SALU_CYCLE_1)
	s_mov_b32 s0, exec_lo
	s_wait_storecnt_dscnt 0x0
	s_barrier_signal -1
	s_barrier_wait -1
	v_cmpx_lt_u32_e64 v0, v1
	s_cbranch_execz .LBB469_147
; %bb.145:
	v_dual_mov_b32 v7, 0 :: v_dual_lshlrev_b32 v8, 2, v0
	v_mov_b32_e32 v9, v0
	s_mov_b32 s1, 0
.LBB469_146:                            ; =>This Inner Loop Header: Depth=1
	ds_load_b32 v6, v8
	v_readfirstlane_b32 s2, v4
	v_readfirstlane_b32 s3, v5
	v_add_nc_u32_e32 v8, 0x400, v8
	s_wait_dscnt 0x0
	global_store_b64 v9, v[6:7], s[2:3] scale_offset
	s_wait_xcnt 0x0
	v_add_nc_u32_e32 v9, 0x100, v9
	s_delay_alu instid0(VALU_DEP_1) | instskip(SKIP_1) | instid1(SALU_CYCLE_1)
	v_cmp_ge_u32_e32 vcc_lo, v9, v1
	s_or_b32 s1, vcc_lo, s1
	s_and_not1_b32 exec_lo, exec_lo, s1
	s_cbranch_execnz .LBB469_146
.LBB469_147:
	s_or_b32 exec_lo, exec_lo, s0
	v_cmp_eq_u32_e32 vcc_lo, 0xff, v0
	s_and_b32 s0, vcc_lo, s33
	s_delay_alu instid0(SALU_CYCLE_1)
	s_and_saveexec_b32 s1, s0
	s_cbranch_execz .LBB469_132
.LBB469_148:
	v_mov_b32_e32 v15, 0
	s_cmp_lg_u32 s38, 0xe00
	s_delay_alu instid0(VALU_DEP_1) | instskip(NEXT) | instid1(VALU_DEP_1)
	v_add_nc_u64_e32 v[0:1], v[14:15], v[16:17]
	v_add_nc_u64_e32 v[0:1], v[0:1], v[50:51]
	global_store_b64 v15, v[0:1], s[34:35]
	s_cbranch_scc1 .LBB469_132
; %bb.149:
	s_wait_xcnt 0x0
	v_lshlrev_b64_e32 v[0:1], 3, v[14:15]
	v_mov_b32_e32 v19, v15
	s_delay_alu instid0(VALU_DEP_2)
	v_add_nc_u64_e32 v[0:1], v[2:3], v[0:1]
	global_store_b64 v[0:1], v[18:19], off offset:-8
	s_sendmsg sendmsg(MSG_DEALLOC_VGPRS)
	s_endpgm
.LBB469_150:
	s_and_saveexec_b32 s17, s14
	s_cbranch_execnz .LBB469_214
; %bb.151:
	s_or_b32 exec_lo, exec_lo, s17
	s_and_saveexec_b32 s17, s13
	s_cbranch_execnz .LBB469_215
.LBB469_152:
	s_or_b32 exec_lo, exec_lo, s17
	s_and_saveexec_b32 s17, s12
	s_cbranch_execnz .LBB469_216
.LBB469_153:
	s_or_b32 exec_lo, exec_lo, s17
	s_and_saveexec_b32 s17, s11
	s_cbranch_execnz .LBB469_217
.LBB469_154:
	s_or_b32 exec_lo, exec_lo, s17
	s_and_saveexec_b32 s17, s10
	s_cbranch_execnz .LBB469_218
.LBB469_155:
	s_or_b32 exec_lo, exec_lo, s17
	s_and_saveexec_b32 s17, s9
	s_cbranch_execnz .LBB469_219
.LBB469_156:
	s_or_b32 exec_lo, exec_lo, s17
	s_and_saveexec_b32 s17, s8
	s_cbranch_execnz .LBB469_220
.LBB469_157:
	s_or_b32 exec_lo, exec_lo, s17
	s_and_saveexec_b32 s17, s7
	s_cbranch_execnz .LBB469_221
.LBB469_158:
	s_or_b32 exec_lo, exec_lo, s17
	s_and_saveexec_b32 s17, s6
	s_cbranch_execnz .LBB469_222
.LBB469_159:
	s_or_b32 exec_lo, exec_lo, s17
	s_and_saveexec_b32 s17, s5
	s_cbranch_execnz .LBB469_223
.LBB469_160:
	s_or_b32 exec_lo, exec_lo, s17
	s_and_saveexec_b32 s17, s4
	s_cbranch_execnz .LBB469_224
.LBB469_161:
	s_or_b32 exec_lo, exec_lo, s17
	s_and_saveexec_b32 s17, s3
	s_cbranch_execnz .LBB469_225
.LBB469_162:
	s_or_b32 exec_lo, exec_lo, s17
	s_and_saveexec_b32 s17, s1
	s_cbranch_execz .LBB469_164
.LBB469_163:
	v_sub_nc_u32_e32 v15, v28, v16
	v_readfirstlane_b32 s18, v52
	v_readfirstlane_b32 s19, v53
	global_store_b32 v15, v22, s[18:19] scale_offset
.LBB469_164:
	s_wait_xcnt 0x0
	s_or_b32 exec_lo, exec_lo, s17
	s_delay_alu instid0(SALU_CYCLE_1)
	s_and_b32 s17, s0, exec_lo
	s_and_not1_saveexec_b32 s15, s15
	s_cbranch_execz .LBB469_104
.LBB469_165:
	v_dual_sub_nc_u32 v15, v44, v16 :: v_dual_sub_nc_u32 v68, v46, v16
	v_readfirstlane_b32 s18, v52
	v_readfirstlane_b32 s19, v53
	v_sub_nc_u32_e32 v19, v48, v16
	s_clause 0x1
	global_store_b32 v15, v10, s[18:19] scale_offset
	global_store_b32 v19, v11, s[18:19] scale_offset
	s_wait_xcnt 0x1
	v_sub_nc_u32_e32 v15, v42, v16
	s_wait_xcnt 0x0
	v_sub_nc_u32_e32 v19, v38, v16
	global_store_b32 v68, v12, s[18:19] scale_offset
	s_wait_xcnt 0x0
	v_dual_sub_nc_u32 v68, v32, v16 :: v_dual_sub_nc_u32 v69, v34, v16
	global_store_b32 v15, v13, s[18:19] scale_offset
	s_wait_xcnt 0x0
	v_sub_nc_u32_e32 v15, v40, v16
	s_clause 0x2
	global_store_b32 v19, v6, s[18:19] scale_offset
	global_store_b32 v68, v7, s[18:19] scale_offset
	;; [unrolled: 1-line block ×3, first 2 shown]
	s_wait_xcnt 0x1
	v_dual_sub_nc_u32 v19, v24, v16 :: v_dual_sub_nc_u32 v68, v30, v16
	s_wait_xcnt 0x0
	v_sub_nc_u32_e32 v69, v36, v16
	global_store_b32 v15, v9, s[18:19] scale_offset
	s_wait_xcnt 0x0
	v_sub_nc_u32_e32 v15, v26, v16
	global_store_b32 v19, v2, s[18:19] scale_offset
	s_wait_xcnt 0x0
	v_sub_nc_u32_e32 v19, v28, v16
	s_or_b32 s17, s17, exec_lo
	s_clause 0x3
	global_store_b32 v15, v3, s[18:19] scale_offset
	global_store_b32 v68, v4, s[18:19] scale_offset
	;; [unrolled: 1-line block ×4, first 2 shown]
	s_wait_xcnt 0x0
	s_or_b32 exec_lo, exec_lo, s15
	s_delay_alu instid0(SALU_CYCLE_1)
	s_and_b32 exec_lo, exec_lo, s17
	s_cbranch_execnz .LBB469_105
	s_branch .LBB469_106
.LBB469_166:
	s_and_saveexec_b32 s17, s14
	s_cbranch_execnz .LBB469_226
; %bb.167:
	s_or_b32 exec_lo, exec_lo, s17
	s_and_saveexec_b32 s14, s13
	s_cbranch_execnz .LBB469_227
.LBB469_168:
	s_or_b32 exec_lo, exec_lo, s14
	s_and_saveexec_b32 s13, s12
	s_cbranch_execnz .LBB469_228
.LBB469_169:
	s_or_b32 exec_lo, exec_lo, s13
	s_and_saveexec_b32 s12, s11
	s_cbranch_execnz .LBB469_229
.LBB469_170:
	s_or_b32 exec_lo, exec_lo, s12
	s_and_saveexec_b32 s11, s10
	s_cbranch_execnz .LBB469_230
.LBB469_171:
	s_or_b32 exec_lo, exec_lo, s11
	s_and_saveexec_b32 s10, s9
	s_cbranch_execnz .LBB469_231
.LBB469_172:
	s_or_b32 exec_lo, exec_lo, s10
	s_and_saveexec_b32 s9, s8
	s_cbranch_execnz .LBB469_232
.LBB469_173:
	s_or_b32 exec_lo, exec_lo, s9
	s_and_saveexec_b32 s8, s7
	s_cbranch_execnz .LBB469_233
.LBB469_174:
	s_or_b32 exec_lo, exec_lo, s8
	s_and_saveexec_b32 s7, s6
	s_cbranch_execnz .LBB469_234
.LBB469_175:
	s_or_b32 exec_lo, exec_lo, s7
	s_and_saveexec_b32 s6, s5
	s_cbranch_execnz .LBB469_235
.LBB469_176:
	s_or_b32 exec_lo, exec_lo, s6
	s_and_saveexec_b32 s5, s4
	s_cbranch_execnz .LBB469_236
.LBB469_177:
	s_or_b32 exec_lo, exec_lo, s5
	s_and_saveexec_b32 s4, s3
	s_cbranch_execnz .LBB469_237
.LBB469_178:
	s_or_b32 exec_lo, exec_lo, s4
	s_and_saveexec_b32 s3, s1
.LBB469_179:
	v_sub_nc_u32_e32 v1, v28, v16
	s_delay_alu instid0(VALU_DEP_1)
	v_lshlrev_b32_e32 v1, 2, v1
	ds_store_b32 v1, v22
.LBB469_180:
	s_or_b32 exec_lo, exec_lo, s3
	s_delay_alu instid0(SALU_CYCLE_1)
	s_and_b32 s17, s0, exec_lo
                                        ; implicit-def: $vgpr4
                                        ; implicit-def: $vgpr8
                                        ; implicit-def: $vgpr12
	s_and_not1_saveexec_b32 s0, s16
	s_cbranch_execz .LBB469_111
.LBB469_181:
	v_dual_sub_nc_u32 v1, v44, v16 :: v_dual_sub_nc_u32 v19, v46, v16
	v_sub_nc_u32_e32 v15, v48, v16
	s_or_b32 s17, s17, exec_lo
	s_delay_alu instid0(VALU_DEP_2) | instskip(NEXT) | instid1(VALU_DEP_3)
	v_dual_sub_nc_u32 v68, v42, v16 :: v_dual_lshlrev_b32 v1, 2, v1
	v_dual_lshlrev_b32 v19, 2, v19 :: v_dual_sub_nc_u32 v69, v38, v16
	s_delay_alu instid0(VALU_DEP_3)
	v_lshlrev_b32_e32 v15, 2, v15
	ds_store_b32 v1, v10
	ds_store_b32 v15, v11
	;; [unrolled: 1-line block ×3, first 2 shown]
	v_dual_sub_nc_u32 v1, v32, v16 :: v_dual_sub_nc_u32 v10, v34, v16
	v_dual_lshlrev_b32 v11, 2, v68 :: v_dual_lshlrev_b32 v15, 2, v69
	s_delay_alu instid0(VALU_DEP_2) | instskip(NEXT) | instid1(VALU_DEP_3)
	v_dual_sub_nc_u32 v12, v40, v16 :: v_dual_lshlrev_b32 v1, 2, v1
	v_lshlrev_b32_e32 v10, 2, v10
	ds_store_b32 v11, v13
	v_lshlrev_b32_e32 v11, 2, v12
	ds_store_b32 v15, v6
	ds_store_b32 v1, v7
	;; [unrolled: 1-line block ×3, first 2 shown]
	v_dual_sub_nc_u32 v1, v24, v16 :: v_dual_sub_nc_u32 v6, v26, v16
	v_dual_sub_nc_u32 v7, v30, v16 :: v_dual_sub_nc_u32 v8, v36, v16
	ds_store_b32 v11, v9
	v_dual_lshlrev_b32 v1, 2, v1 :: v_dual_sub_nc_u32 v9, v28, v16
	v_dual_lshlrev_b32 v6, 2, v6 :: v_dual_lshlrev_b32 v7, 2, v7
	v_lshlrev_b32_e32 v8, 2, v8
	ds_store_b32 v1, v2
	v_lshlrev_b32_e32 v1, 2, v9
	ds_store_b32 v6, v3
	ds_store_b32 v7, v4
	;; [unrolled: 1-line block ×4, first 2 shown]
	s_or_b32 exec_lo, exec_lo, s0
	s_delay_alu instid0(SALU_CYCLE_1)
	s_and_b32 exec_lo, exec_lo, s17
	s_cbranch_execnz .LBB469_112
	s_branch .LBB469_113
.LBB469_182:
	s_and_saveexec_b32 s16, s13
	s_cbranch_execnz .LBB469_238
; %bb.183:
	s_or_b32 exec_lo, exec_lo, s16
	s_and_saveexec_b32 s16, s12
	s_cbranch_execnz .LBB469_239
.LBB469_184:
	s_or_b32 exec_lo, exec_lo, s16
	s_and_saveexec_b32 s16, s11
	s_cbranch_execnz .LBB469_240
.LBB469_185:
	s_or_b32 exec_lo, exec_lo, s16
	s_and_saveexec_b32 s16, s10
	s_cbranch_execnz .LBB469_241
.LBB469_186:
	s_or_b32 exec_lo, exec_lo, s16
	s_and_saveexec_b32 s16, s9
	s_cbranch_execnz .LBB469_242
.LBB469_187:
	s_or_b32 exec_lo, exec_lo, s16
	s_and_saveexec_b32 s16, s8
	s_cbranch_execnz .LBB469_243
.LBB469_188:
	s_or_b32 exec_lo, exec_lo, s16
	s_and_saveexec_b32 s16, s7
	s_cbranch_execnz .LBB469_244
.LBB469_189:
	s_or_b32 exec_lo, exec_lo, s16
	s_and_saveexec_b32 s16, s6
	s_cbranch_execnz .LBB469_245
.LBB469_190:
	s_or_b32 exec_lo, exec_lo, s16
	s_and_saveexec_b32 s16, s5
	s_cbranch_execnz .LBB469_246
.LBB469_191:
	s_or_b32 exec_lo, exec_lo, s16
	s_and_saveexec_b32 s16, s4
	s_cbranch_execnz .LBB469_247
.LBB469_192:
	s_or_b32 exec_lo, exec_lo, s16
	s_and_saveexec_b32 s16, s3
	s_cbranch_execnz .LBB469_248
.LBB469_193:
	s_or_b32 exec_lo, exec_lo, s16
	s_and_saveexec_b32 s16, s2
	s_cbranch_execnz .LBB469_249
.LBB469_194:
	s_or_b32 exec_lo, exec_lo, s16
	s_and_saveexec_b32 s16, s1
	s_cbranch_execz .LBB469_196
.LBB469_195:
	v_dual_mov_b32 v9, 0 :: v_dual_sub_nc_u32 v10, v28, v6
	v_mov_b32_e32 v8, v29
	v_readfirstlane_b32 s18, v4
	v_readfirstlane_b32 s19, v5
	global_store_b64 v10, v[8:9], s[18:19] scale_offset
.LBB469_196:
	s_wait_xcnt 0x0
	s_or_b32 exec_lo, exec_lo, s16
	s_delay_alu instid0(SALU_CYCLE_1)
	s_and_b32 s16, s0, exec_lo
	s_and_not1_saveexec_b32 s14, s14
	s_cbranch_execz .LBB469_136
.LBB469_197:
	v_dual_mov_b32 v9, 0 :: v_dual_mov_b32 v8, v45
	v_sub_nc_u32_e32 v10, v44, v6
	v_readfirstlane_b32 s18, v4
	v_readfirstlane_b32 s19, v5
	v_sub_nc_u32_e32 v11, v46, v6
	s_or_b32 s16, s16, exec_lo
	global_store_b64 v10, v[8:9], s[18:19] scale_offset
	s_wait_xcnt 0x0
	v_dual_sub_nc_u32 v10, v48, v6 :: v_dual_mov_b32 v8, v49
	global_store_b64 v10, v[8:9], s[18:19] scale_offset
	s_wait_xcnt 0x0
	v_dual_mov_b32 v8, v47 :: v_dual_sub_nc_u32 v10, v42, v6
	global_store_b64 v11, v[8:9], s[18:19] scale_offset
	s_wait_xcnt 0x0
	v_dual_mov_b32 v8, v43 :: v_dual_sub_nc_u32 v11, v38, v6
	;; [unrolled: 3-line block ×9, first 2 shown]
	global_store_b64 v11, v[8:9], s[18:19] scale_offset
	s_wait_xcnt 0x0
	v_mov_b32_e32 v8, v37
	global_store_b64 v10, v[8:9], s[18:19] scale_offset
	s_wait_xcnt 0x0
	v_dual_mov_b32 v8, v29 :: v_dual_sub_nc_u32 v10, v28, v6
	global_store_b64 v10, v[8:9], s[18:19] scale_offset
	s_wait_xcnt 0x0
	s_or_b32 exec_lo, exec_lo, s14
	s_delay_alu instid0(SALU_CYCLE_1)
	s_and_b32 exec_lo, exec_lo, s16
	s_cbranch_execnz .LBB469_137
	s_branch .LBB469_138
.LBB469_198:
	s_and_saveexec_b32 s16, s13
	s_cbranch_execnz .LBB469_250
; %bb.199:
	s_or_b32 exec_lo, exec_lo, s16
	s_and_saveexec_b32 s13, s12
	s_cbranch_execnz .LBB469_251
.LBB469_200:
	s_or_b32 exec_lo, exec_lo, s13
	s_and_saveexec_b32 s12, s11
	s_cbranch_execnz .LBB469_252
.LBB469_201:
	s_or_b32 exec_lo, exec_lo, s12
	s_and_saveexec_b32 s11, s10
	s_cbranch_execnz .LBB469_253
.LBB469_202:
	s_or_b32 exec_lo, exec_lo, s11
	s_and_saveexec_b32 s10, s9
	s_cbranch_execnz .LBB469_254
.LBB469_203:
	s_or_b32 exec_lo, exec_lo, s10
	s_and_saveexec_b32 s9, s8
	s_cbranch_execnz .LBB469_255
.LBB469_204:
	s_or_b32 exec_lo, exec_lo, s9
	s_and_saveexec_b32 s8, s7
	s_cbranch_execnz .LBB469_256
.LBB469_205:
	s_or_b32 exec_lo, exec_lo, s8
	s_and_saveexec_b32 s7, s6
	s_cbranch_execnz .LBB469_257
.LBB469_206:
	s_or_b32 exec_lo, exec_lo, s7
	s_and_saveexec_b32 s6, s5
	s_cbranch_execnz .LBB469_258
.LBB469_207:
	s_or_b32 exec_lo, exec_lo, s6
	s_and_saveexec_b32 s5, s4
	s_cbranch_execnz .LBB469_259
.LBB469_208:
	s_or_b32 exec_lo, exec_lo, s5
	s_and_saveexec_b32 s4, s3
	s_cbranch_execnz .LBB469_260
.LBB469_209:
	s_or_b32 exec_lo, exec_lo, s4
	s_and_saveexec_b32 s3, s2
	s_cbranch_execnz .LBB469_261
.LBB469_210:
	s_or_b32 exec_lo, exec_lo, s3
	s_and_saveexec_b32 s2, s1
.LBB469_211:
	v_sub_nc_u32_e32 v7, v28, v6
	s_delay_alu instid0(VALU_DEP_1)
	v_lshlrev_b32_e32 v7, 2, v7
	ds_store_b32 v7, v29
.LBB469_212:
	s_or_b32 exec_lo, exec_lo, s2
	s_delay_alu instid0(SALU_CYCLE_1)
	s_and_b32 s16, s0, exec_lo
                                        ; implicit-def: $vgpr28_vgpr29
                                        ; implicit-def: $vgpr36_vgpr37
                                        ; implicit-def: $vgpr30_vgpr31
                                        ; implicit-def: $vgpr44_vgpr45
                                        ; implicit-def: $vgpr48_vgpr49
                                        ; implicit-def: $vgpr46_vgpr47
                                        ; implicit-def: $vgpr42_vgpr43
                                        ; implicit-def: $vgpr38_vgpr39
                                        ; implicit-def: $vgpr32_vgpr33
                                        ; implicit-def: $vgpr34_vgpr35
                                        ; implicit-def: $vgpr40_vgpr41
                                        ; implicit-def: $vgpr24_vgpr25
                                        ; implicit-def: $vgpr26_vgpr27
	s_and_not1_saveexec_b32 s0, s15
	s_cbranch_execz .LBB469_142
.LBB469_213:
	v_dual_sub_nc_u32 v7, v44, v6 :: v_dual_sub_nc_u32 v9, v46, v6
	v_dual_sub_nc_u32 v8, v48, v6 :: v_dual_sub_nc_u32 v10, v42, v6
	s_delay_alu instid0(VALU_DEP_2) | instskip(NEXT) | instid1(VALU_DEP_2)
	v_dual_sub_nc_u32 v11, v38, v6 :: v_dual_lshlrev_b32 v7, 2, v7
	v_dual_lshlrev_b32 v9, 2, v9 :: v_dual_lshlrev_b32 v8, 2, v8
	s_or_b32 s16, s16, exec_lo
	ds_store_b32 v7, v45
	ds_store_b32 v8, v49
	;; [unrolled: 1-line block ×3, first 2 shown]
	v_sub_nc_u32_e32 v7, v32, v6
	v_lshlrev_b32_e32 v9, 2, v10
	v_dual_sub_nc_u32 v10, v40, v6 :: v_dual_sub_nc_u32 v8, v34, v6
	v_lshlrev_b32_e32 v11, 2, v11
	s_delay_alu instid0(VALU_DEP_4)
	v_lshlrev_b32_e32 v7, 2, v7
	ds_store_b32 v9, v43
	v_dual_lshlrev_b32 v9, 2, v10 :: v_dual_lshlrev_b32 v8, 2, v8
	ds_store_b32 v11, v39
	ds_store_b32 v7, v33
	;; [unrolled: 1-line block ×3, first 2 shown]
	v_dual_sub_nc_u32 v7, v24, v6 :: v_dual_sub_nc_u32 v8, v26, v6
	ds_store_b32 v9, v41
	v_dual_sub_nc_u32 v9, v30, v6 :: v_dual_sub_nc_u32 v10, v36, v6
	v_dual_lshlrev_b32 v7, 2, v7 :: v_dual_sub_nc_u32 v11, v28, v6
	s_delay_alu instid0(VALU_DEP_2) | instskip(NEXT) | instid1(VALU_DEP_3)
	v_dual_lshlrev_b32 v8, 2, v8 :: v_dual_lshlrev_b32 v9, 2, v9
	v_lshlrev_b32_e32 v10, 2, v10
	ds_store_b32 v7, v25
	v_lshlrev_b32_e32 v7, 2, v11
	ds_store_b32 v8, v27
	ds_store_b32 v9, v31
	;; [unrolled: 1-line block ×4, first 2 shown]
	s_or_b32 exec_lo, exec_lo, s0
	s_delay_alu instid0(SALU_CYCLE_1)
	s_and_b32 exec_lo, exec_lo, s16
	s_cbranch_execnz .LBB469_143
	s_branch .LBB469_144
.LBB469_214:
	v_sub_nc_u32_e32 v15, v44, v16
	v_readfirstlane_b32 s18, v52
	v_readfirstlane_b32 s19, v53
	global_store_b32 v15, v10, s[18:19] scale_offset
	s_wait_xcnt 0x0
	s_or_b32 exec_lo, exec_lo, s17
	s_and_saveexec_b32 s17, s13
	s_cbranch_execz .LBB469_152
.LBB469_215:
	v_sub_nc_u32_e32 v15, v48, v16
	v_readfirstlane_b32 s18, v52
	v_readfirstlane_b32 s19, v53
	global_store_b32 v15, v11, s[18:19] scale_offset
	s_wait_xcnt 0x0
	s_or_b32 exec_lo, exec_lo, s17
	s_and_saveexec_b32 s17, s12
	s_cbranch_execz .LBB469_153
.LBB469_216:
	v_sub_nc_u32_e32 v15, v46, v16
	v_readfirstlane_b32 s18, v52
	v_readfirstlane_b32 s19, v53
	global_store_b32 v15, v12, s[18:19] scale_offset
	s_wait_xcnt 0x0
	s_or_b32 exec_lo, exec_lo, s17
	s_and_saveexec_b32 s17, s11
	s_cbranch_execz .LBB469_154
.LBB469_217:
	v_sub_nc_u32_e32 v15, v42, v16
	v_readfirstlane_b32 s18, v52
	v_readfirstlane_b32 s19, v53
	global_store_b32 v15, v13, s[18:19] scale_offset
	s_wait_xcnt 0x0
	s_or_b32 exec_lo, exec_lo, s17
	s_and_saveexec_b32 s17, s10
	s_cbranch_execz .LBB469_155
.LBB469_218:
	v_sub_nc_u32_e32 v15, v38, v16
	v_readfirstlane_b32 s18, v52
	v_readfirstlane_b32 s19, v53
	global_store_b32 v15, v6, s[18:19] scale_offset
	s_wait_xcnt 0x0
	s_or_b32 exec_lo, exec_lo, s17
	s_and_saveexec_b32 s17, s9
	s_cbranch_execz .LBB469_156
.LBB469_219:
	v_sub_nc_u32_e32 v15, v32, v16
	v_readfirstlane_b32 s18, v52
	v_readfirstlane_b32 s19, v53
	global_store_b32 v15, v7, s[18:19] scale_offset
	s_wait_xcnt 0x0
	s_or_b32 exec_lo, exec_lo, s17
	s_and_saveexec_b32 s17, s8
	s_cbranch_execz .LBB469_157
.LBB469_220:
	v_sub_nc_u32_e32 v15, v34, v16
	v_readfirstlane_b32 s18, v52
	v_readfirstlane_b32 s19, v53
	global_store_b32 v15, v8, s[18:19] scale_offset
	s_wait_xcnt 0x0
	s_or_b32 exec_lo, exec_lo, s17
	s_and_saveexec_b32 s17, s7
	s_cbranch_execz .LBB469_158
.LBB469_221:
	v_sub_nc_u32_e32 v15, v40, v16
	v_readfirstlane_b32 s18, v52
	v_readfirstlane_b32 s19, v53
	global_store_b32 v15, v9, s[18:19] scale_offset
	s_wait_xcnt 0x0
	s_or_b32 exec_lo, exec_lo, s17
	s_and_saveexec_b32 s17, s6
	s_cbranch_execz .LBB469_159
.LBB469_222:
	v_sub_nc_u32_e32 v15, v24, v16
	v_readfirstlane_b32 s18, v52
	v_readfirstlane_b32 s19, v53
	global_store_b32 v15, v2, s[18:19] scale_offset
	s_wait_xcnt 0x0
	s_or_b32 exec_lo, exec_lo, s17
	s_and_saveexec_b32 s17, s5
	s_cbranch_execz .LBB469_160
.LBB469_223:
	v_sub_nc_u32_e32 v15, v26, v16
	v_readfirstlane_b32 s18, v52
	v_readfirstlane_b32 s19, v53
	global_store_b32 v15, v3, s[18:19] scale_offset
	s_wait_xcnt 0x0
	s_or_b32 exec_lo, exec_lo, s17
	s_and_saveexec_b32 s17, s4
	s_cbranch_execz .LBB469_161
.LBB469_224:
	v_sub_nc_u32_e32 v15, v30, v16
	v_readfirstlane_b32 s18, v52
	v_readfirstlane_b32 s19, v53
	global_store_b32 v15, v4, s[18:19] scale_offset
	s_wait_xcnt 0x0
	s_or_b32 exec_lo, exec_lo, s17
	s_and_saveexec_b32 s17, s3
	s_cbranch_execz .LBB469_162
.LBB469_225:
	v_sub_nc_u32_e32 v15, v36, v16
	v_readfirstlane_b32 s18, v52
	v_readfirstlane_b32 s19, v53
	global_store_b32 v15, v5, s[18:19] scale_offset
	s_wait_xcnt 0x0
	s_or_b32 exec_lo, exec_lo, s17
	s_and_saveexec_b32 s17, s1
	s_cbranch_execnz .LBB469_163
	s_branch .LBB469_164
.LBB469_226:
	v_sub_nc_u32_e32 v1, v44, v16
	s_delay_alu instid0(VALU_DEP_1)
	v_lshlrev_b32_e32 v1, 2, v1
	ds_store_b32 v1, v10
	s_or_b32 exec_lo, exec_lo, s17
	s_and_saveexec_b32 s14, s13
	s_cbranch_execz .LBB469_168
.LBB469_227:
	v_sub_nc_u32_e32 v1, v48, v16
	s_delay_alu instid0(VALU_DEP_1)
	v_lshlrev_b32_e32 v1, 2, v1
	ds_store_b32 v1, v11
	s_or_b32 exec_lo, exec_lo, s14
	s_and_saveexec_b32 s13, s12
	s_cbranch_execz .LBB469_169
.LBB469_228:
	v_sub_nc_u32_e32 v1, v46, v16
	s_delay_alu instid0(VALU_DEP_1)
	v_lshlrev_b32_e32 v1, 2, v1
	ds_store_b32 v1, v12
	s_or_b32 exec_lo, exec_lo, s13
	s_and_saveexec_b32 s12, s11
	s_cbranch_execz .LBB469_170
.LBB469_229:
	v_sub_nc_u32_e32 v1, v42, v16
	s_delay_alu instid0(VALU_DEP_1)
	v_lshlrev_b32_e32 v1, 2, v1
	ds_store_b32 v1, v13
	s_or_b32 exec_lo, exec_lo, s12
	s_and_saveexec_b32 s11, s10
	s_cbranch_execz .LBB469_171
.LBB469_230:
	v_sub_nc_u32_e32 v1, v38, v16
	s_delay_alu instid0(VALU_DEP_1)
	v_lshlrev_b32_e32 v1, 2, v1
	ds_store_b32 v1, v6
	s_or_b32 exec_lo, exec_lo, s11
	s_and_saveexec_b32 s10, s9
	s_cbranch_execz .LBB469_172
.LBB469_231:
	v_sub_nc_u32_e32 v1, v32, v16
	s_delay_alu instid0(VALU_DEP_1)
	v_lshlrev_b32_e32 v1, 2, v1
	ds_store_b32 v1, v7
	s_or_b32 exec_lo, exec_lo, s10
	s_and_saveexec_b32 s9, s8
	s_cbranch_execz .LBB469_173
.LBB469_232:
	v_sub_nc_u32_e32 v1, v34, v16
	s_delay_alu instid0(VALU_DEP_1)
	v_lshlrev_b32_e32 v1, 2, v1
	ds_store_b32 v1, v8
	s_or_b32 exec_lo, exec_lo, s9
	s_and_saveexec_b32 s8, s7
	s_cbranch_execz .LBB469_174
.LBB469_233:
	v_sub_nc_u32_e32 v1, v40, v16
	s_delay_alu instid0(VALU_DEP_1)
	v_lshlrev_b32_e32 v1, 2, v1
	ds_store_b32 v1, v9
	s_or_b32 exec_lo, exec_lo, s8
	s_and_saveexec_b32 s7, s6
	s_cbranch_execz .LBB469_175
.LBB469_234:
	v_sub_nc_u32_e32 v1, v24, v16
	s_delay_alu instid0(VALU_DEP_1)
	v_lshlrev_b32_e32 v1, 2, v1
	ds_store_b32 v1, v2
	s_or_b32 exec_lo, exec_lo, s7
	s_and_saveexec_b32 s6, s5
	s_cbranch_execz .LBB469_176
.LBB469_235:
	v_sub_nc_u32_e32 v1, v26, v16
	s_delay_alu instid0(VALU_DEP_1)
	v_lshlrev_b32_e32 v1, 2, v1
	ds_store_b32 v1, v3
	s_or_b32 exec_lo, exec_lo, s6
	s_and_saveexec_b32 s5, s4
	s_cbranch_execz .LBB469_177
.LBB469_236:
	v_sub_nc_u32_e32 v1, v30, v16
	s_delay_alu instid0(VALU_DEP_1)
	v_lshlrev_b32_e32 v1, 2, v1
	ds_store_b32 v1, v4
	s_or_b32 exec_lo, exec_lo, s5
	s_and_saveexec_b32 s4, s3
	s_cbranch_execz .LBB469_178
.LBB469_237:
	v_sub_nc_u32_e32 v1, v36, v16
	s_delay_alu instid0(VALU_DEP_1)
	v_lshlrev_b32_e32 v1, 2, v1
	ds_store_b32 v1, v5
	s_or_b32 exec_lo, exec_lo, s4
	s_and_saveexec_b32 s3, s1
	s_cbranch_execnz .LBB469_179
	s_branch .LBB469_180
.LBB469_238:
	v_dual_mov_b32 v9, 0 :: v_dual_sub_nc_u32 v10, v44, v6
	v_mov_b32_e32 v8, v45
	v_readfirstlane_b32 s18, v4
	v_readfirstlane_b32 s19, v5
	global_store_b64 v10, v[8:9], s[18:19] scale_offset
	s_wait_xcnt 0x0
	s_or_b32 exec_lo, exec_lo, s16
	s_and_saveexec_b32 s16, s12
	s_cbranch_execz .LBB469_184
.LBB469_239:
	v_dual_mov_b32 v9, 0 :: v_dual_sub_nc_u32 v10, v48, v6
	v_mov_b32_e32 v8, v49
	v_readfirstlane_b32 s18, v4
	v_readfirstlane_b32 s19, v5
	global_store_b64 v10, v[8:9], s[18:19] scale_offset
	s_wait_xcnt 0x0
	s_or_b32 exec_lo, exec_lo, s16
	s_and_saveexec_b32 s16, s11
	s_cbranch_execz .LBB469_185
.LBB469_240:
	v_dual_mov_b32 v9, 0 :: v_dual_sub_nc_u32 v10, v46, v6
	v_mov_b32_e32 v8, v47
	v_readfirstlane_b32 s18, v4
	v_readfirstlane_b32 s19, v5
	global_store_b64 v10, v[8:9], s[18:19] scale_offset
	s_wait_xcnt 0x0
	s_or_b32 exec_lo, exec_lo, s16
	s_and_saveexec_b32 s16, s10
	s_cbranch_execz .LBB469_186
.LBB469_241:
	v_dual_mov_b32 v9, 0 :: v_dual_sub_nc_u32 v10, v42, v6
	v_mov_b32_e32 v8, v43
	v_readfirstlane_b32 s18, v4
	v_readfirstlane_b32 s19, v5
	global_store_b64 v10, v[8:9], s[18:19] scale_offset
	s_wait_xcnt 0x0
	s_or_b32 exec_lo, exec_lo, s16
	s_and_saveexec_b32 s16, s9
	s_cbranch_execz .LBB469_187
.LBB469_242:
	v_dual_mov_b32 v9, 0 :: v_dual_sub_nc_u32 v10, v38, v6
	v_mov_b32_e32 v8, v39
	v_readfirstlane_b32 s18, v4
	v_readfirstlane_b32 s19, v5
	global_store_b64 v10, v[8:9], s[18:19] scale_offset
	s_wait_xcnt 0x0
	s_or_b32 exec_lo, exec_lo, s16
	s_and_saveexec_b32 s16, s8
	s_cbranch_execz .LBB469_188
.LBB469_243:
	v_dual_mov_b32 v9, 0 :: v_dual_sub_nc_u32 v10, v32, v6
	v_mov_b32_e32 v8, v33
	v_readfirstlane_b32 s18, v4
	v_readfirstlane_b32 s19, v5
	global_store_b64 v10, v[8:9], s[18:19] scale_offset
	s_wait_xcnt 0x0
	s_or_b32 exec_lo, exec_lo, s16
	s_and_saveexec_b32 s16, s7
	s_cbranch_execz .LBB469_189
.LBB469_244:
	v_dual_mov_b32 v9, 0 :: v_dual_sub_nc_u32 v10, v34, v6
	v_mov_b32_e32 v8, v35
	v_readfirstlane_b32 s18, v4
	v_readfirstlane_b32 s19, v5
	global_store_b64 v10, v[8:9], s[18:19] scale_offset
	s_wait_xcnt 0x0
	s_or_b32 exec_lo, exec_lo, s16
	s_and_saveexec_b32 s16, s6
	s_cbranch_execz .LBB469_190
.LBB469_245:
	v_dual_mov_b32 v9, 0 :: v_dual_sub_nc_u32 v10, v40, v6
	v_mov_b32_e32 v8, v41
	v_readfirstlane_b32 s18, v4
	v_readfirstlane_b32 s19, v5
	global_store_b64 v10, v[8:9], s[18:19] scale_offset
	s_wait_xcnt 0x0
	s_or_b32 exec_lo, exec_lo, s16
	s_and_saveexec_b32 s16, s5
	s_cbranch_execz .LBB469_191
.LBB469_246:
	v_dual_mov_b32 v9, 0 :: v_dual_sub_nc_u32 v10, v24, v6
	v_mov_b32_e32 v8, v25
	v_readfirstlane_b32 s18, v4
	v_readfirstlane_b32 s19, v5
	global_store_b64 v10, v[8:9], s[18:19] scale_offset
	s_wait_xcnt 0x0
	s_or_b32 exec_lo, exec_lo, s16
	s_and_saveexec_b32 s16, s4
	s_cbranch_execz .LBB469_192
.LBB469_247:
	v_dual_mov_b32 v9, 0 :: v_dual_sub_nc_u32 v10, v26, v6
	v_mov_b32_e32 v8, v27
	v_readfirstlane_b32 s18, v4
	v_readfirstlane_b32 s19, v5
	global_store_b64 v10, v[8:9], s[18:19] scale_offset
	s_wait_xcnt 0x0
	s_or_b32 exec_lo, exec_lo, s16
	s_and_saveexec_b32 s16, s3
	s_cbranch_execz .LBB469_193
.LBB469_248:
	v_dual_mov_b32 v9, 0 :: v_dual_sub_nc_u32 v10, v30, v6
	v_mov_b32_e32 v8, v31
	v_readfirstlane_b32 s18, v4
	v_readfirstlane_b32 s19, v5
	global_store_b64 v10, v[8:9], s[18:19] scale_offset
	s_wait_xcnt 0x0
	s_or_b32 exec_lo, exec_lo, s16
	s_and_saveexec_b32 s16, s2
	s_cbranch_execz .LBB469_194
.LBB469_249:
	v_dual_mov_b32 v9, 0 :: v_dual_sub_nc_u32 v10, v36, v6
	v_mov_b32_e32 v8, v37
	v_readfirstlane_b32 s18, v4
	v_readfirstlane_b32 s19, v5
	global_store_b64 v10, v[8:9], s[18:19] scale_offset
	s_wait_xcnt 0x0
	s_or_b32 exec_lo, exec_lo, s16
	s_and_saveexec_b32 s16, s1
	s_cbranch_execnz .LBB469_195
	s_branch .LBB469_196
.LBB469_250:
	v_sub_nc_u32_e32 v7, v44, v6
	s_delay_alu instid0(VALU_DEP_1)
	v_lshlrev_b32_e32 v7, 2, v7
	ds_store_b32 v7, v45
	s_or_b32 exec_lo, exec_lo, s16
	s_and_saveexec_b32 s13, s12
	s_cbranch_execz .LBB469_200
.LBB469_251:
	v_sub_nc_u32_e32 v7, v48, v6
	s_delay_alu instid0(VALU_DEP_1)
	v_lshlrev_b32_e32 v7, 2, v7
	ds_store_b32 v7, v49
	s_or_b32 exec_lo, exec_lo, s13
	s_and_saveexec_b32 s12, s11
	s_cbranch_execz .LBB469_201
.LBB469_252:
	v_sub_nc_u32_e32 v7, v46, v6
	s_delay_alu instid0(VALU_DEP_1)
	v_lshlrev_b32_e32 v7, 2, v7
	ds_store_b32 v7, v47
	s_or_b32 exec_lo, exec_lo, s12
	s_and_saveexec_b32 s11, s10
	s_cbranch_execz .LBB469_202
.LBB469_253:
	v_sub_nc_u32_e32 v7, v42, v6
	s_delay_alu instid0(VALU_DEP_1)
	v_lshlrev_b32_e32 v7, 2, v7
	ds_store_b32 v7, v43
	s_or_b32 exec_lo, exec_lo, s11
	s_and_saveexec_b32 s10, s9
	s_cbranch_execz .LBB469_203
.LBB469_254:
	v_sub_nc_u32_e32 v7, v38, v6
	s_delay_alu instid0(VALU_DEP_1)
	v_lshlrev_b32_e32 v7, 2, v7
	ds_store_b32 v7, v39
	s_or_b32 exec_lo, exec_lo, s10
	s_and_saveexec_b32 s9, s8
	s_cbranch_execz .LBB469_204
.LBB469_255:
	v_sub_nc_u32_e32 v7, v32, v6
	s_delay_alu instid0(VALU_DEP_1)
	v_lshlrev_b32_e32 v7, 2, v7
	ds_store_b32 v7, v33
	s_or_b32 exec_lo, exec_lo, s9
	s_and_saveexec_b32 s8, s7
	s_cbranch_execz .LBB469_205
.LBB469_256:
	v_sub_nc_u32_e32 v7, v34, v6
	s_delay_alu instid0(VALU_DEP_1)
	v_lshlrev_b32_e32 v7, 2, v7
	ds_store_b32 v7, v35
	s_or_b32 exec_lo, exec_lo, s8
	s_and_saveexec_b32 s7, s6
	s_cbranch_execz .LBB469_206
.LBB469_257:
	v_sub_nc_u32_e32 v7, v40, v6
	s_delay_alu instid0(VALU_DEP_1)
	v_lshlrev_b32_e32 v7, 2, v7
	ds_store_b32 v7, v41
	s_or_b32 exec_lo, exec_lo, s7
	s_and_saveexec_b32 s6, s5
	s_cbranch_execz .LBB469_207
.LBB469_258:
	v_sub_nc_u32_e32 v7, v24, v6
	s_delay_alu instid0(VALU_DEP_1)
	v_lshlrev_b32_e32 v7, 2, v7
	ds_store_b32 v7, v25
	s_or_b32 exec_lo, exec_lo, s6
	s_and_saveexec_b32 s5, s4
	s_cbranch_execz .LBB469_208
.LBB469_259:
	v_sub_nc_u32_e32 v7, v26, v6
	s_delay_alu instid0(VALU_DEP_1)
	v_lshlrev_b32_e32 v7, 2, v7
	ds_store_b32 v7, v27
	s_or_b32 exec_lo, exec_lo, s5
	s_and_saveexec_b32 s4, s3
	s_cbranch_execz .LBB469_209
.LBB469_260:
	v_sub_nc_u32_e32 v7, v30, v6
	s_delay_alu instid0(VALU_DEP_1)
	v_lshlrev_b32_e32 v7, 2, v7
	ds_store_b32 v7, v31
	s_or_b32 exec_lo, exec_lo, s4
	s_and_saveexec_b32 s3, s2
	s_cbranch_execz .LBB469_210
.LBB469_261:
	v_sub_nc_u32_e32 v7, v36, v6
	s_delay_alu instid0(VALU_DEP_1)
	v_lshlrev_b32_e32 v7, 2, v7
	ds_store_b32 v7, v37
	s_or_b32 exec_lo, exec_lo, s3
	s_and_saveexec_b32 s2, s1
	s_cbranch_execnz .LBB469_211
	s_branch .LBB469_212
	.section	.rodata,"a",@progbits
	.p2align	6, 0x0
	.amdhsa_kernel _ZN7rocprim17ROCPRIM_400000_NS6detail17trampoline_kernelINS0_14default_configENS1_33run_length_encode_config_selectorIijNS0_4plusIjEEEEZZNS1_33reduce_by_key_impl_wrapped_configILNS1_25lookback_scan_determinismE0ES3_S7_PKiNS0_17constant_iteratorIjlEEPiPlSF_S6_NS0_8equal_toIiEEEE10hipError_tPvRmT2_T3_mT4_T5_T6_T7_T8_P12ihipStream_tbENKUlT_T0_E_clISt17integral_constantIbLb0EESY_IbLb1EEEEDaSU_SV_EUlSU_E_NS1_11comp_targetILNS1_3genE0ELNS1_11target_archE4294967295ELNS1_3gpuE0ELNS1_3repE0EEENS1_30default_config_static_selectorELNS0_4arch9wavefront6targetE0EEEvT1_
		.amdhsa_group_segment_fixed_size 14336
		.amdhsa_private_segment_fixed_size 0
		.amdhsa_kernarg_size 128
		.amdhsa_user_sgpr_count 2
		.amdhsa_user_sgpr_dispatch_ptr 0
		.amdhsa_user_sgpr_queue_ptr 0
		.amdhsa_user_sgpr_kernarg_segment_ptr 1
		.amdhsa_user_sgpr_dispatch_id 0
		.amdhsa_user_sgpr_kernarg_preload_length 0
		.amdhsa_user_sgpr_kernarg_preload_offset 0
		.amdhsa_user_sgpr_private_segment_size 0
		.amdhsa_wavefront_size32 1
		.amdhsa_uses_dynamic_stack 0
		.amdhsa_enable_private_segment 0
		.amdhsa_system_sgpr_workgroup_id_x 1
		.amdhsa_system_sgpr_workgroup_id_y 0
		.amdhsa_system_sgpr_workgroup_id_z 0
		.amdhsa_system_sgpr_workgroup_info 0
		.amdhsa_system_vgpr_workitem_id 0
		.amdhsa_next_free_vgpr 102
		.amdhsa_next_free_sgpr 43
		.amdhsa_named_barrier_count 0
		.amdhsa_reserve_vcc 1
		.amdhsa_float_round_mode_32 0
		.amdhsa_float_round_mode_16_64 0
		.amdhsa_float_denorm_mode_32 3
		.amdhsa_float_denorm_mode_16_64 3
		.amdhsa_fp16_overflow 0
		.amdhsa_memory_ordered 1
		.amdhsa_forward_progress 1
		.amdhsa_inst_pref_size 119
		.amdhsa_round_robin_scheduling 0
		.amdhsa_exception_fp_ieee_invalid_op 0
		.amdhsa_exception_fp_denorm_src 0
		.amdhsa_exception_fp_ieee_div_zero 0
		.amdhsa_exception_fp_ieee_overflow 0
		.amdhsa_exception_fp_ieee_underflow 0
		.amdhsa_exception_fp_ieee_inexact 0
		.amdhsa_exception_int_div_zero 0
	.end_amdhsa_kernel
	.section	.text._ZN7rocprim17ROCPRIM_400000_NS6detail17trampoline_kernelINS0_14default_configENS1_33run_length_encode_config_selectorIijNS0_4plusIjEEEEZZNS1_33reduce_by_key_impl_wrapped_configILNS1_25lookback_scan_determinismE0ES3_S7_PKiNS0_17constant_iteratorIjlEEPiPlSF_S6_NS0_8equal_toIiEEEE10hipError_tPvRmT2_T3_mT4_T5_T6_T7_T8_P12ihipStream_tbENKUlT_T0_E_clISt17integral_constantIbLb0EESY_IbLb1EEEEDaSU_SV_EUlSU_E_NS1_11comp_targetILNS1_3genE0ELNS1_11target_archE4294967295ELNS1_3gpuE0ELNS1_3repE0EEENS1_30default_config_static_selectorELNS0_4arch9wavefront6targetE0EEEvT1_,"axG",@progbits,_ZN7rocprim17ROCPRIM_400000_NS6detail17trampoline_kernelINS0_14default_configENS1_33run_length_encode_config_selectorIijNS0_4plusIjEEEEZZNS1_33reduce_by_key_impl_wrapped_configILNS1_25lookback_scan_determinismE0ES3_S7_PKiNS0_17constant_iteratorIjlEEPiPlSF_S6_NS0_8equal_toIiEEEE10hipError_tPvRmT2_T3_mT4_T5_T6_T7_T8_P12ihipStream_tbENKUlT_T0_E_clISt17integral_constantIbLb0EESY_IbLb1EEEEDaSU_SV_EUlSU_E_NS1_11comp_targetILNS1_3genE0ELNS1_11target_archE4294967295ELNS1_3gpuE0ELNS1_3repE0EEENS1_30default_config_static_selectorELNS0_4arch9wavefront6targetE0EEEvT1_,comdat
.Lfunc_end469:
	.size	_ZN7rocprim17ROCPRIM_400000_NS6detail17trampoline_kernelINS0_14default_configENS1_33run_length_encode_config_selectorIijNS0_4plusIjEEEEZZNS1_33reduce_by_key_impl_wrapped_configILNS1_25lookback_scan_determinismE0ES3_S7_PKiNS0_17constant_iteratorIjlEEPiPlSF_S6_NS0_8equal_toIiEEEE10hipError_tPvRmT2_T3_mT4_T5_T6_T7_T8_P12ihipStream_tbENKUlT_T0_E_clISt17integral_constantIbLb0EESY_IbLb1EEEEDaSU_SV_EUlSU_E_NS1_11comp_targetILNS1_3genE0ELNS1_11target_archE4294967295ELNS1_3gpuE0ELNS1_3repE0EEENS1_30default_config_static_selectorELNS0_4arch9wavefront6targetE0EEEvT1_, .Lfunc_end469-_ZN7rocprim17ROCPRIM_400000_NS6detail17trampoline_kernelINS0_14default_configENS1_33run_length_encode_config_selectorIijNS0_4plusIjEEEEZZNS1_33reduce_by_key_impl_wrapped_configILNS1_25lookback_scan_determinismE0ES3_S7_PKiNS0_17constant_iteratorIjlEEPiPlSF_S6_NS0_8equal_toIiEEEE10hipError_tPvRmT2_T3_mT4_T5_T6_T7_T8_P12ihipStream_tbENKUlT_T0_E_clISt17integral_constantIbLb0EESY_IbLb1EEEEDaSU_SV_EUlSU_E_NS1_11comp_targetILNS1_3genE0ELNS1_11target_archE4294967295ELNS1_3gpuE0ELNS1_3repE0EEENS1_30default_config_static_selectorELNS0_4arch9wavefront6targetE0EEEvT1_
                                        ; -- End function
	.set _ZN7rocprim17ROCPRIM_400000_NS6detail17trampoline_kernelINS0_14default_configENS1_33run_length_encode_config_selectorIijNS0_4plusIjEEEEZZNS1_33reduce_by_key_impl_wrapped_configILNS1_25lookback_scan_determinismE0ES3_S7_PKiNS0_17constant_iteratorIjlEEPiPlSF_S6_NS0_8equal_toIiEEEE10hipError_tPvRmT2_T3_mT4_T5_T6_T7_T8_P12ihipStream_tbENKUlT_T0_E_clISt17integral_constantIbLb0EESY_IbLb1EEEEDaSU_SV_EUlSU_E_NS1_11comp_targetILNS1_3genE0ELNS1_11target_archE4294967295ELNS1_3gpuE0ELNS1_3repE0EEENS1_30default_config_static_selectorELNS0_4arch9wavefront6targetE0EEEvT1_.num_vgpr, 102
	.set _ZN7rocprim17ROCPRIM_400000_NS6detail17trampoline_kernelINS0_14default_configENS1_33run_length_encode_config_selectorIijNS0_4plusIjEEEEZZNS1_33reduce_by_key_impl_wrapped_configILNS1_25lookback_scan_determinismE0ES3_S7_PKiNS0_17constant_iteratorIjlEEPiPlSF_S6_NS0_8equal_toIiEEEE10hipError_tPvRmT2_T3_mT4_T5_T6_T7_T8_P12ihipStream_tbENKUlT_T0_E_clISt17integral_constantIbLb0EESY_IbLb1EEEEDaSU_SV_EUlSU_E_NS1_11comp_targetILNS1_3genE0ELNS1_11target_archE4294967295ELNS1_3gpuE0ELNS1_3repE0EEENS1_30default_config_static_selectorELNS0_4arch9wavefront6targetE0EEEvT1_.num_agpr, 0
	.set _ZN7rocprim17ROCPRIM_400000_NS6detail17trampoline_kernelINS0_14default_configENS1_33run_length_encode_config_selectorIijNS0_4plusIjEEEEZZNS1_33reduce_by_key_impl_wrapped_configILNS1_25lookback_scan_determinismE0ES3_S7_PKiNS0_17constant_iteratorIjlEEPiPlSF_S6_NS0_8equal_toIiEEEE10hipError_tPvRmT2_T3_mT4_T5_T6_T7_T8_P12ihipStream_tbENKUlT_T0_E_clISt17integral_constantIbLb0EESY_IbLb1EEEEDaSU_SV_EUlSU_E_NS1_11comp_targetILNS1_3genE0ELNS1_11target_archE4294967295ELNS1_3gpuE0ELNS1_3repE0EEENS1_30default_config_static_selectorELNS0_4arch9wavefront6targetE0EEEvT1_.numbered_sgpr, 43
	.set _ZN7rocprim17ROCPRIM_400000_NS6detail17trampoline_kernelINS0_14default_configENS1_33run_length_encode_config_selectorIijNS0_4plusIjEEEEZZNS1_33reduce_by_key_impl_wrapped_configILNS1_25lookback_scan_determinismE0ES3_S7_PKiNS0_17constant_iteratorIjlEEPiPlSF_S6_NS0_8equal_toIiEEEE10hipError_tPvRmT2_T3_mT4_T5_T6_T7_T8_P12ihipStream_tbENKUlT_T0_E_clISt17integral_constantIbLb0EESY_IbLb1EEEEDaSU_SV_EUlSU_E_NS1_11comp_targetILNS1_3genE0ELNS1_11target_archE4294967295ELNS1_3gpuE0ELNS1_3repE0EEENS1_30default_config_static_selectorELNS0_4arch9wavefront6targetE0EEEvT1_.num_named_barrier, 0
	.set _ZN7rocprim17ROCPRIM_400000_NS6detail17trampoline_kernelINS0_14default_configENS1_33run_length_encode_config_selectorIijNS0_4plusIjEEEEZZNS1_33reduce_by_key_impl_wrapped_configILNS1_25lookback_scan_determinismE0ES3_S7_PKiNS0_17constant_iteratorIjlEEPiPlSF_S6_NS0_8equal_toIiEEEE10hipError_tPvRmT2_T3_mT4_T5_T6_T7_T8_P12ihipStream_tbENKUlT_T0_E_clISt17integral_constantIbLb0EESY_IbLb1EEEEDaSU_SV_EUlSU_E_NS1_11comp_targetILNS1_3genE0ELNS1_11target_archE4294967295ELNS1_3gpuE0ELNS1_3repE0EEENS1_30default_config_static_selectorELNS0_4arch9wavefront6targetE0EEEvT1_.private_seg_size, 0
	.set _ZN7rocprim17ROCPRIM_400000_NS6detail17trampoline_kernelINS0_14default_configENS1_33run_length_encode_config_selectorIijNS0_4plusIjEEEEZZNS1_33reduce_by_key_impl_wrapped_configILNS1_25lookback_scan_determinismE0ES3_S7_PKiNS0_17constant_iteratorIjlEEPiPlSF_S6_NS0_8equal_toIiEEEE10hipError_tPvRmT2_T3_mT4_T5_T6_T7_T8_P12ihipStream_tbENKUlT_T0_E_clISt17integral_constantIbLb0EESY_IbLb1EEEEDaSU_SV_EUlSU_E_NS1_11comp_targetILNS1_3genE0ELNS1_11target_archE4294967295ELNS1_3gpuE0ELNS1_3repE0EEENS1_30default_config_static_selectorELNS0_4arch9wavefront6targetE0EEEvT1_.uses_vcc, 1
	.set _ZN7rocprim17ROCPRIM_400000_NS6detail17trampoline_kernelINS0_14default_configENS1_33run_length_encode_config_selectorIijNS0_4plusIjEEEEZZNS1_33reduce_by_key_impl_wrapped_configILNS1_25lookback_scan_determinismE0ES3_S7_PKiNS0_17constant_iteratorIjlEEPiPlSF_S6_NS0_8equal_toIiEEEE10hipError_tPvRmT2_T3_mT4_T5_T6_T7_T8_P12ihipStream_tbENKUlT_T0_E_clISt17integral_constantIbLb0EESY_IbLb1EEEEDaSU_SV_EUlSU_E_NS1_11comp_targetILNS1_3genE0ELNS1_11target_archE4294967295ELNS1_3gpuE0ELNS1_3repE0EEENS1_30default_config_static_selectorELNS0_4arch9wavefront6targetE0EEEvT1_.uses_flat_scratch, 0
	.set _ZN7rocprim17ROCPRIM_400000_NS6detail17trampoline_kernelINS0_14default_configENS1_33run_length_encode_config_selectorIijNS0_4plusIjEEEEZZNS1_33reduce_by_key_impl_wrapped_configILNS1_25lookback_scan_determinismE0ES3_S7_PKiNS0_17constant_iteratorIjlEEPiPlSF_S6_NS0_8equal_toIiEEEE10hipError_tPvRmT2_T3_mT4_T5_T6_T7_T8_P12ihipStream_tbENKUlT_T0_E_clISt17integral_constantIbLb0EESY_IbLb1EEEEDaSU_SV_EUlSU_E_NS1_11comp_targetILNS1_3genE0ELNS1_11target_archE4294967295ELNS1_3gpuE0ELNS1_3repE0EEENS1_30default_config_static_selectorELNS0_4arch9wavefront6targetE0EEEvT1_.has_dyn_sized_stack, 0
	.set _ZN7rocprim17ROCPRIM_400000_NS6detail17trampoline_kernelINS0_14default_configENS1_33run_length_encode_config_selectorIijNS0_4plusIjEEEEZZNS1_33reduce_by_key_impl_wrapped_configILNS1_25lookback_scan_determinismE0ES3_S7_PKiNS0_17constant_iteratorIjlEEPiPlSF_S6_NS0_8equal_toIiEEEE10hipError_tPvRmT2_T3_mT4_T5_T6_T7_T8_P12ihipStream_tbENKUlT_T0_E_clISt17integral_constantIbLb0EESY_IbLb1EEEEDaSU_SV_EUlSU_E_NS1_11comp_targetILNS1_3genE0ELNS1_11target_archE4294967295ELNS1_3gpuE0ELNS1_3repE0EEENS1_30default_config_static_selectorELNS0_4arch9wavefront6targetE0EEEvT1_.has_recursion, 0
	.set _ZN7rocprim17ROCPRIM_400000_NS6detail17trampoline_kernelINS0_14default_configENS1_33run_length_encode_config_selectorIijNS0_4plusIjEEEEZZNS1_33reduce_by_key_impl_wrapped_configILNS1_25lookback_scan_determinismE0ES3_S7_PKiNS0_17constant_iteratorIjlEEPiPlSF_S6_NS0_8equal_toIiEEEE10hipError_tPvRmT2_T3_mT4_T5_T6_T7_T8_P12ihipStream_tbENKUlT_T0_E_clISt17integral_constantIbLb0EESY_IbLb1EEEEDaSU_SV_EUlSU_E_NS1_11comp_targetILNS1_3genE0ELNS1_11target_archE4294967295ELNS1_3gpuE0ELNS1_3repE0EEENS1_30default_config_static_selectorELNS0_4arch9wavefront6targetE0EEEvT1_.has_indirect_call, 0
	.section	.AMDGPU.csdata,"",@progbits
; Kernel info:
; codeLenInByte = 15136
; TotalNumSgprs: 45
; NumVgprs: 102
; ScratchSize: 0
; MemoryBound: 0
; FloatMode: 240
; IeeeMode: 1
; LDSByteSize: 14336 bytes/workgroup (compile time only)
; SGPRBlocks: 0
; VGPRBlocks: 6
; NumSGPRsForWavesPerEU: 45
; NumVGPRsForWavesPerEU: 102
; NamedBarCnt: 0
; Occupancy: 9
; WaveLimiterHint : 1
; COMPUTE_PGM_RSRC2:SCRATCH_EN: 0
; COMPUTE_PGM_RSRC2:USER_SGPR: 2
; COMPUTE_PGM_RSRC2:TRAP_HANDLER: 0
; COMPUTE_PGM_RSRC2:TGID_X_EN: 1
; COMPUTE_PGM_RSRC2:TGID_Y_EN: 0
; COMPUTE_PGM_RSRC2:TGID_Z_EN: 0
; COMPUTE_PGM_RSRC2:TIDIG_COMP_CNT: 0
	.section	.text._ZN7rocprim17ROCPRIM_400000_NS6detail17trampoline_kernelINS0_14default_configENS1_33run_length_encode_config_selectorIijNS0_4plusIjEEEEZZNS1_33reduce_by_key_impl_wrapped_configILNS1_25lookback_scan_determinismE0ES3_S7_PKiNS0_17constant_iteratorIjlEEPiPlSF_S6_NS0_8equal_toIiEEEE10hipError_tPvRmT2_T3_mT4_T5_T6_T7_T8_P12ihipStream_tbENKUlT_T0_E_clISt17integral_constantIbLb0EESY_IbLb1EEEEDaSU_SV_EUlSU_E_NS1_11comp_targetILNS1_3genE5ELNS1_11target_archE942ELNS1_3gpuE9ELNS1_3repE0EEENS1_30default_config_static_selectorELNS0_4arch9wavefront6targetE0EEEvT1_,"axG",@progbits,_ZN7rocprim17ROCPRIM_400000_NS6detail17trampoline_kernelINS0_14default_configENS1_33run_length_encode_config_selectorIijNS0_4plusIjEEEEZZNS1_33reduce_by_key_impl_wrapped_configILNS1_25lookback_scan_determinismE0ES3_S7_PKiNS0_17constant_iteratorIjlEEPiPlSF_S6_NS0_8equal_toIiEEEE10hipError_tPvRmT2_T3_mT4_T5_T6_T7_T8_P12ihipStream_tbENKUlT_T0_E_clISt17integral_constantIbLb0EESY_IbLb1EEEEDaSU_SV_EUlSU_E_NS1_11comp_targetILNS1_3genE5ELNS1_11target_archE942ELNS1_3gpuE9ELNS1_3repE0EEENS1_30default_config_static_selectorELNS0_4arch9wavefront6targetE0EEEvT1_,comdat
	.protected	_ZN7rocprim17ROCPRIM_400000_NS6detail17trampoline_kernelINS0_14default_configENS1_33run_length_encode_config_selectorIijNS0_4plusIjEEEEZZNS1_33reduce_by_key_impl_wrapped_configILNS1_25lookback_scan_determinismE0ES3_S7_PKiNS0_17constant_iteratorIjlEEPiPlSF_S6_NS0_8equal_toIiEEEE10hipError_tPvRmT2_T3_mT4_T5_T6_T7_T8_P12ihipStream_tbENKUlT_T0_E_clISt17integral_constantIbLb0EESY_IbLb1EEEEDaSU_SV_EUlSU_E_NS1_11comp_targetILNS1_3genE5ELNS1_11target_archE942ELNS1_3gpuE9ELNS1_3repE0EEENS1_30default_config_static_selectorELNS0_4arch9wavefront6targetE0EEEvT1_ ; -- Begin function _ZN7rocprim17ROCPRIM_400000_NS6detail17trampoline_kernelINS0_14default_configENS1_33run_length_encode_config_selectorIijNS0_4plusIjEEEEZZNS1_33reduce_by_key_impl_wrapped_configILNS1_25lookback_scan_determinismE0ES3_S7_PKiNS0_17constant_iteratorIjlEEPiPlSF_S6_NS0_8equal_toIiEEEE10hipError_tPvRmT2_T3_mT4_T5_T6_T7_T8_P12ihipStream_tbENKUlT_T0_E_clISt17integral_constantIbLb0EESY_IbLb1EEEEDaSU_SV_EUlSU_E_NS1_11comp_targetILNS1_3genE5ELNS1_11target_archE942ELNS1_3gpuE9ELNS1_3repE0EEENS1_30default_config_static_selectorELNS0_4arch9wavefront6targetE0EEEvT1_
	.globl	_ZN7rocprim17ROCPRIM_400000_NS6detail17trampoline_kernelINS0_14default_configENS1_33run_length_encode_config_selectorIijNS0_4plusIjEEEEZZNS1_33reduce_by_key_impl_wrapped_configILNS1_25lookback_scan_determinismE0ES3_S7_PKiNS0_17constant_iteratorIjlEEPiPlSF_S6_NS0_8equal_toIiEEEE10hipError_tPvRmT2_T3_mT4_T5_T6_T7_T8_P12ihipStream_tbENKUlT_T0_E_clISt17integral_constantIbLb0EESY_IbLb1EEEEDaSU_SV_EUlSU_E_NS1_11comp_targetILNS1_3genE5ELNS1_11target_archE942ELNS1_3gpuE9ELNS1_3repE0EEENS1_30default_config_static_selectorELNS0_4arch9wavefront6targetE0EEEvT1_
	.p2align	8
	.type	_ZN7rocprim17ROCPRIM_400000_NS6detail17trampoline_kernelINS0_14default_configENS1_33run_length_encode_config_selectorIijNS0_4plusIjEEEEZZNS1_33reduce_by_key_impl_wrapped_configILNS1_25lookback_scan_determinismE0ES3_S7_PKiNS0_17constant_iteratorIjlEEPiPlSF_S6_NS0_8equal_toIiEEEE10hipError_tPvRmT2_T3_mT4_T5_T6_T7_T8_P12ihipStream_tbENKUlT_T0_E_clISt17integral_constantIbLb0EESY_IbLb1EEEEDaSU_SV_EUlSU_E_NS1_11comp_targetILNS1_3genE5ELNS1_11target_archE942ELNS1_3gpuE9ELNS1_3repE0EEENS1_30default_config_static_selectorELNS0_4arch9wavefront6targetE0EEEvT1_,@function
_ZN7rocprim17ROCPRIM_400000_NS6detail17trampoline_kernelINS0_14default_configENS1_33run_length_encode_config_selectorIijNS0_4plusIjEEEEZZNS1_33reduce_by_key_impl_wrapped_configILNS1_25lookback_scan_determinismE0ES3_S7_PKiNS0_17constant_iteratorIjlEEPiPlSF_S6_NS0_8equal_toIiEEEE10hipError_tPvRmT2_T3_mT4_T5_T6_T7_T8_P12ihipStream_tbENKUlT_T0_E_clISt17integral_constantIbLb0EESY_IbLb1EEEEDaSU_SV_EUlSU_E_NS1_11comp_targetILNS1_3genE5ELNS1_11target_archE942ELNS1_3gpuE9ELNS1_3repE0EEENS1_30default_config_static_selectorELNS0_4arch9wavefront6targetE0EEEvT1_: ; @_ZN7rocprim17ROCPRIM_400000_NS6detail17trampoline_kernelINS0_14default_configENS1_33run_length_encode_config_selectorIijNS0_4plusIjEEEEZZNS1_33reduce_by_key_impl_wrapped_configILNS1_25lookback_scan_determinismE0ES3_S7_PKiNS0_17constant_iteratorIjlEEPiPlSF_S6_NS0_8equal_toIiEEEE10hipError_tPvRmT2_T3_mT4_T5_T6_T7_T8_P12ihipStream_tbENKUlT_T0_E_clISt17integral_constantIbLb0EESY_IbLb1EEEEDaSU_SV_EUlSU_E_NS1_11comp_targetILNS1_3genE5ELNS1_11target_archE942ELNS1_3gpuE9ELNS1_3repE0EEENS1_30default_config_static_selectorELNS0_4arch9wavefront6targetE0EEEvT1_
; %bb.0:
	.section	.rodata,"a",@progbits
	.p2align	6, 0x0
	.amdhsa_kernel _ZN7rocprim17ROCPRIM_400000_NS6detail17trampoline_kernelINS0_14default_configENS1_33run_length_encode_config_selectorIijNS0_4plusIjEEEEZZNS1_33reduce_by_key_impl_wrapped_configILNS1_25lookback_scan_determinismE0ES3_S7_PKiNS0_17constant_iteratorIjlEEPiPlSF_S6_NS0_8equal_toIiEEEE10hipError_tPvRmT2_T3_mT4_T5_T6_T7_T8_P12ihipStream_tbENKUlT_T0_E_clISt17integral_constantIbLb0EESY_IbLb1EEEEDaSU_SV_EUlSU_E_NS1_11comp_targetILNS1_3genE5ELNS1_11target_archE942ELNS1_3gpuE9ELNS1_3repE0EEENS1_30default_config_static_selectorELNS0_4arch9wavefront6targetE0EEEvT1_
		.amdhsa_group_segment_fixed_size 0
		.amdhsa_private_segment_fixed_size 0
		.amdhsa_kernarg_size 128
		.amdhsa_user_sgpr_count 2
		.amdhsa_user_sgpr_dispatch_ptr 0
		.amdhsa_user_sgpr_queue_ptr 0
		.amdhsa_user_sgpr_kernarg_segment_ptr 1
		.amdhsa_user_sgpr_dispatch_id 0
		.amdhsa_user_sgpr_kernarg_preload_length 0
		.amdhsa_user_sgpr_kernarg_preload_offset 0
		.amdhsa_user_sgpr_private_segment_size 0
		.amdhsa_wavefront_size32 1
		.amdhsa_uses_dynamic_stack 0
		.amdhsa_enable_private_segment 0
		.amdhsa_system_sgpr_workgroup_id_x 1
		.amdhsa_system_sgpr_workgroup_id_y 0
		.amdhsa_system_sgpr_workgroup_id_z 0
		.amdhsa_system_sgpr_workgroup_info 0
		.amdhsa_system_vgpr_workitem_id 0
		.amdhsa_next_free_vgpr 1
		.amdhsa_next_free_sgpr 1
		.amdhsa_named_barrier_count 0
		.amdhsa_reserve_vcc 0
		.amdhsa_float_round_mode_32 0
		.amdhsa_float_round_mode_16_64 0
		.amdhsa_float_denorm_mode_32 3
		.amdhsa_float_denorm_mode_16_64 3
		.amdhsa_fp16_overflow 0
		.amdhsa_memory_ordered 1
		.amdhsa_forward_progress 1
		.amdhsa_inst_pref_size 0
		.amdhsa_round_robin_scheduling 0
		.amdhsa_exception_fp_ieee_invalid_op 0
		.amdhsa_exception_fp_denorm_src 0
		.amdhsa_exception_fp_ieee_div_zero 0
		.amdhsa_exception_fp_ieee_overflow 0
		.amdhsa_exception_fp_ieee_underflow 0
		.amdhsa_exception_fp_ieee_inexact 0
		.amdhsa_exception_int_div_zero 0
	.end_amdhsa_kernel
	.section	.text._ZN7rocprim17ROCPRIM_400000_NS6detail17trampoline_kernelINS0_14default_configENS1_33run_length_encode_config_selectorIijNS0_4plusIjEEEEZZNS1_33reduce_by_key_impl_wrapped_configILNS1_25lookback_scan_determinismE0ES3_S7_PKiNS0_17constant_iteratorIjlEEPiPlSF_S6_NS0_8equal_toIiEEEE10hipError_tPvRmT2_T3_mT4_T5_T6_T7_T8_P12ihipStream_tbENKUlT_T0_E_clISt17integral_constantIbLb0EESY_IbLb1EEEEDaSU_SV_EUlSU_E_NS1_11comp_targetILNS1_3genE5ELNS1_11target_archE942ELNS1_3gpuE9ELNS1_3repE0EEENS1_30default_config_static_selectorELNS0_4arch9wavefront6targetE0EEEvT1_,"axG",@progbits,_ZN7rocprim17ROCPRIM_400000_NS6detail17trampoline_kernelINS0_14default_configENS1_33run_length_encode_config_selectorIijNS0_4plusIjEEEEZZNS1_33reduce_by_key_impl_wrapped_configILNS1_25lookback_scan_determinismE0ES3_S7_PKiNS0_17constant_iteratorIjlEEPiPlSF_S6_NS0_8equal_toIiEEEE10hipError_tPvRmT2_T3_mT4_T5_T6_T7_T8_P12ihipStream_tbENKUlT_T0_E_clISt17integral_constantIbLb0EESY_IbLb1EEEEDaSU_SV_EUlSU_E_NS1_11comp_targetILNS1_3genE5ELNS1_11target_archE942ELNS1_3gpuE9ELNS1_3repE0EEENS1_30default_config_static_selectorELNS0_4arch9wavefront6targetE0EEEvT1_,comdat
.Lfunc_end470:
	.size	_ZN7rocprim17ROCPRIM_400000_NS6detail17trampoline_kernelINS0_14default_configENS1_33run_length_encode_config_selectorIijNS0_4plusIjEEEEZZNS1_33reduce_by_key_impl_wrapped_configILNS1_25lookback_scan_determinismE0ES3_S7_PKiNS0_17constant_iteratorIjlEEPiPlSF_S6_NS0_8equal_toIiEEEE10hipError_tPvRmT2_T3_mT4_T5_T6_T7_T8_P12ihipStream_tbENKUlT_T0_E_clISt17integral_constantIbLb0EESY_IbLb1EEEEDaSU_SV_EUlSU_E_NS1_11comp_targetILNS1_3genE5ELNS1_11target_archE942ELNS1_3gpuE9ELNS1_3repE0EEENS1_30default_config_static_selectorELNS0_4arch9wavefront6targetE0EEEvT1_, .Lfunc_end470-_ZN7rocprim17ROCPRIM_400000_NS6detail17trampoline_kernelINS0_14default_configENS1_33run_length_encode_config_selectorIijNS0_4plusIjEEEEZZNS1_33reduce_by_key_impl_wrapped_configILNS1_25lookback_scan_determinismE0ES3_S7_PKiNS0_17constant_iteratorIjlEEPiPlSF_S6_NS0_8equal_toIiEEEE10hipError_tPvRmT2_T3_mT4_T5_T6_T7_T8_P12ihipStream_tbENKUlT_T0_E_clISt17integral_constantIbLb0EESY_IbLb1EEEEDaSU_SV_EUlSU_E_NS1_11comp_targetILNS1_3genE5ELNS1_11target_archE942ELNS1_3gpuE9ELNS1_3repE0EEENS1_30default_config_static_selectorELNS0_4arch9wavefront6targetE0EEEvT1_
                                        ; -- End function
	.set _ZN7rocprim17ROCPRIM_400000_NS6detail17trampoline_kernelINS0_14default_configENS1_33run_length_encode_config_selectorIijNS0_4plusIjEEEEZZNS1_33reduce_by_key_impl_wrapped_configILNS1_25lookback_scan_determinismE0ES3_S7_PKiNS0_17constant_iteratorIjlEEPiPlSF_S6_NS0_8equal_toIiEEEE10hipError_tPvRmT2_T3_mT4_T5_T6_T7_T8_P12ihipStream_tbENKUlT_T0_E_clISt17integral_constantIbLb0EESY_IbLb1EEEEDaSU_SV_EUlSU_E_NS1_11comp_targetILNS1_3genE5ELNS1_11target_archE942ELNS1_3gpuE9ELNS1_3repE0EEENS1_30default_config_static_selectorELNS0_4arch9wavefront6targetE0EEEvT1_.num_vgpr, 0
	.set _ZN7rocprim17ROCPRIM_400000_NS6detail17trampoline_kernelINS0_14default_configENS1_33run_length_encode_config_selectorIijNS0_4plusIjEEEEZZNS1_33reduce_by_key_impl_wrapped_configILNS1_25lookback_scan_determinismE0ES3_S7_PKiNS0_17constant_iteratorIjlEEPiPlSF_S6_NS0_8equal_toIiEEEE10hipError_tPvRmT2_T3_mT4_T5_T6_T7_T8_P12ihipStream_tbENKUlT_T0_E_clISt17integral_constantIbLb0EESY_IbLb1EEEEDaSU_SV_EUlSU_E_NS1_11comp_targetILNS1_3genE5ELNS1_11target_archE942ELNS1_3gpuE9ELNS1_3repE0EEENS1_30default_config_static_selectorELNS0_4arch9wavefront6targetE0EEEvT1_.num_agpr, 0
	.set _ZN7rocprim17ROCPRIM_400000_NS6detail17trampoline_kernelINS0_14default_configENS1_33run_length_encode_config_selectorIijNS0_4plusIjEEEEZZNS1_33reduce_by_key_impl_wrapped_configILNS1_25lookback_scan_determinismE0ES3_S7_PKiNS0_17constant_iteratorIjlEEPiPlSF_S6_NS0_8equal_toIiEEEE10hipError_tPvRmT2_T3_mT4_T5_T6_T7_T8_P12ihipStream_tbENKUlT_T0_E_clISt17integral_constantIbLb0EESY_IbLb1EEEEDaSU_SV_EUlSU_E_NS1_11comp_targetILNS1_3genE5ELNS1_11target_archE942ELNS1_3gpuE9ELNS1_3repE0EEENS1_30default_config_static_selectorELNS0_4arch9wavefront6targetE0EEEvT1_.numbered_sgpr, 0
	.set _ZN7rocprim17ROCPRIM_400000_NS6detail17trampoline_kernelINS0_14default_configENS1_33run_length_encode_config_selectorIijNS0_4plusIjEEEEZZNS1_33reduce_by_key_impl_wrapped_configILNS1_25lookback_scan_determinismE0ES3_S7_PKiNS0_17constant_iteratorIjlEEPiPlSF_S6_NS0_8equal_toIiEEEE10hipError_tPvRmT2_T3_mT4_T5_T6_T7_T8_P12ihipStream_tbENKUlT_T0_E_clISt17integral_constantIbLb0EESY_IbLb1EEEEDaSU_SV_EUlSU_E_NS1_11comp_targetILNS1_3genE5ELNS1_11target_archE942ELNS1_3gpuE9ELNS1_3repE0EEENS1_30default_config_static_selectorELNS0_4arch9wavefront6targetE0EEEvT1_.num_named_barrier, 0
	.set _ZN7rocprim17ROCPRIM_400000_NS6detail17trampoline_kernelINS0_14default_configENS1_33run_length_encode_config_selectorIijNS0_4plusIjEEEEZZNS1_33reduce_by_key_impl_wrapped_configILNS1_25lookback_scan_determinismE0ES3_S7_PKiNS0_17constant_iteratorIjlEEPiPlSF_S6_NS0_8equal_toIiEEEE10hipError_tPvRmT2_T3_mT4_T5_T6_T7_T8_P12ihipStream_tbENKUlT_T0_E_clISt17integral_constantIbLb0EESY_IbLb1EEEEDaSU_SV_EUlSU_E_NS1_11comp_targetILNS1_3genE5ELNS1_11target_archE942ELNS1_3gpuE9ELNS1_3repE0EEENS1_30default_config_static_selectorELNS0_4arch9wavefront6targetE0EEEvT1_.private_seg_size, 0
	.set _ZN7rocprim17ROCPRIM_400000_NS6detail17trampoline_kernelINS0_14default_configENS1_33run_length_encode_config_selectorIijNS0_4plusIjEEEEZZNS1_33reduce_by_key_impl_wrapped_configILNS1_25lookback_scan_determinismE0ES3_S7_PKiNS0_17constant_iteratorIjlEEPiPlSF_S6_NS0_8equal_toIiEEEE10hipError_tPvRmT2_T3_mT4_T5_T6_T7_T8_P12ihipStream_tbENKUlT_T0_E_clISt17integral_constantIbLb0EESY_IbLb1EEEEDaSU_SV_EUlSU_E_NS1_11comp_targetILNS1_3genE5ELNS1_11target_archE942ELNS1_3gpuE9ELNS1_3repE0EEENS1_30default_config_static_selectorELNS0_4arch9wavefront6targetE0EEEvT1_.uses_vcc, 0
	.set _ZN7rocprim17ROCPRIM_400000_NS6detail17trampoline_kernelINS0_14default_configENS1_33run_length_encode_config_selectorIijNS0_4plusIjEEEEZZNS1_33reduce_by_key_impl_wrapped_configILNS1_25lookback_scan_determinismE0ES3_S7_PKiNS0_17constant_iteratorIjlEEPiPlSF_S6_NS0_8equal_toIiEEEE10hipError_tPvRmT2_T3_mT4_T5_T6_T7_T8_P12ihipStream_tbENKUlT_T0_E_clISt17integral_constantIbLb0EESY_IbLb1EEEEDaSU_SV_EUlSU_E_NS1_11comp_targetILNS1_3genE5ELNS1_11target_archE942ELNS1_3gpuE9ELNS1_3repE0EEENS1_30default_config_static_selectorELNS0_4arch9wavefront6targetE0EEEvT1_.uses_flat_scratch, 0
	.set _ZN7rocprim17ROCPRIM_400000_NS6detail17trampoline_kernelINS0_14default_configENS1_33run_length_encode_config_selectorIijNS0_4plusIjEEEEZZNS1_33reduce_by_key_impl_wrapped_configILNS1_25lookback_scan_determinismE0ES3_S7_PKiNS0_17constant_iteratorIjlEEPiPlSF_S6_NS0_8equal_toIiEEEE10hipError_tPvRmT2_T3_mT4_T5_T6_T7_T8_P12ihipStream_tbENKUlT_T0_E_clISt17integral_constantIbLb0EESY_IbLb1EEEEDaSU_SV_EUlSU_E_NS1_11comp_targetILNS1_3genE5ELNS1_11target_archE942ELNS1_3gpuE9ELNS1_3repE0EEENS1_30default_config_static_selectorELNS0_4arch9wavefront6targetE0EEEvT1_.has_dyn_sized_stack, 0
	.set _ZN7rocprim17ROCPRIM_400000_NS6detail17trampoline_kernelINS0_14default_configENS1_33run_length_encode_config_selectorIijNS0_4plusIjEEEEZZNS1_33reduce_by_key_impl_wrapped_configILNS1_25lookback_scan_determinismE0ES3_S7_PKiNS0_17constant_iteratorIjlEEPiPlSF_S6_NS0_8equal_toIiEEEE10hipError_tPvRmT2_T3_mT4_T5_T6_T7_T8_P12ihipStream_tbENKUlT_T0_E_clISt17integral_constantIbLb0EESY_IbLb1EEEEDaSU_SV_EUlSU_E_NS1_11comp_targetILNS1_3genE5ELNS1_11target_archE942ELNS1_3gpuE9ELNS1_3repE0EEENS1_30default_config_static_selectorELNS0_4arch9wavefront6targetE0EEEvT1_.has_recursion, 0
	.set _ZN7rocprim17ROCPRIM_400000_NS6detail17trampoline_kernelINS0_14default_configENS1_33run_length_encode_config_selectorIijNS0_4plusIjEEEEZZNS1_33reduce_by_key_impl_wrapped_configILNS1_25lookback_scan_determinismE0ES3_S7_PKiNS0_17constant_iteratorIjlEEPiPlSF_S6_NS0_8equal_toIiEEEE10hipError_tPvRmT2_T3_mT4_T5_T6_T7_T8_P12ihipStream_tbENKUlT_T0_E_clISt17integral_constantIbLb0EESY_IbLb1EEEEDaSU_SV_EUlSU_E_NS1_11comp_targetILNS1_3genE5ELNS1_11target_archE942ELNS1_3gpuE9ELNS1_3repE0EEENS1_30default_config_static_selectorELNS0_4arch9wavefront6targetE0EEEvT1_.has_indirect_call, 0
	.section	.AMDGPU.csdata,"",@progbits
; Kernel info:
; codeLenInByte = 0
; TotalNumSgprs: 0
; NumVgprs: 0
; ScratchSize: 0
; MemoryBound: 0
; FloatMode: 240
; IeeeMode: 1
; LDSByteSize: 0 bytes/workgroup (compile time only)
; SGPRBlocks: 0
; VGPRBlocks: 0
; NumSGPRsForWavesPerEU: 1
; NumVGPRsForWavesPerEU: 1
; NamedBarCnt: 0
; Occupancy: 16
; WaveLimiterHint : 0
; COMPUTE_PGM_RSRC2:SCRATCH_EN: 0
; COMPUTE_PGM_RSRC2:USER_SGPR: 2
; COMPUTE_PGM_RSRC2:TRAP_HANDLER: 0
; COMPUTE_PGM_RSRC2:TGID_X_EN: 1
; COMPUTE_PGM_RSRC2:TGID_Y_EN: 0
; COMPUTE_PGM_RSRC2:TGID_Z_EN: 0
; COMPUTE_PGM_RSRC2:TIDIG_COMP_CNT: 0
	.section	.text._ZN7rocprim17ROCPRIM_400000_NS6detail17trampoline_kernelINS0_14default_configENS1_33run_length_encode_config_selectorIijNS0_4plusIjEEEEZZNS1_33reduce_by_key_impl_wrapped_configILNS1_25lookback_scan_determinismE0ES3_S7_PKiNS0_17constant_iteratorIjlEEPiPlSF_S6_NS0_8equal_toIiEEEE10hipError_tPvRmT2_T3_mT4_T5_T6_T7_T8_P12ihipStream_tbENKUlT_T0_E_clISt17integral_constantIbLb0EESY_IbLb1EEEEDaSU_SV_EUlSU_E_NS1_11comp_targetILNS1_3genE4ELNS1_11target_archE910ELNS1_3gpuE8ELNS1_3repE0EEENS1_30default_config_static_selectorELNS0_4arch9wavefront6targetE0EEEvT1_,"axG",@progbits,_ZN7rocprim17ROCPRIM_400000_NS6detail17trampoline_kernelINS0_14default_configENS1_33run_length_encode_config_selectorIijNS0_4plusIjEEEEZZNS1_33reduce_by_key_impl_wrapped_configILNS1_25lookback_scan_determinismE0ES3_S7_PKiNS0_17constant_iteratorIjlEEPiPlSF_S6_NS0_8equal_toIiEEEE10hipError_tPvRmT2_T3_mT4_T5_T6_T7_T8_P12ihipStream_tbENKUlT_T0_E_clISt17integral_constantIbLb0EESY_IbLb1EEEEDaSU_SV_EUlSU_E_NS1_11comp_targetILNS1_3genE4ELNS1_11target_archE910ELNS1_3gpuE8ELNS1_3repE0EEENS1_30default_config_static_selectorELNS0_4arch9wavefront6targetE0EEEvT1_,comdat
	.protected	_ZN7rocprim17ROCPRIM_400000_NS6detail17trampoline_kernelINS0_14default_configENS1_33run_length_encode_config_selectorIijNS0_4plusIjEEEEZZNS1_33reduce_by_key_impl_wrapped_configILNS1_25lookback_scan_determinismE0ES3_S7_PKiNS0_17constant_iteratorIjlEEPiPlSF_S6_NS0_8equal_toIiEEEE10hipError_tPvRmT2_T3_mT4_T5_T6_T7_T8_P12ihipStream_tbENKUlT_T0_E_clISt17integral_constantIbLb0EESY_IbLb1EEEEDaSU_SV_EUlSU_E_NS1_11comp_targetILNS1_3genE4ELNS1_11target_archE910ELNS1_3gpuE8ELNS1_3repE0EEENS1_30default_config_static_selectorELNS0_4arch9wavefront6targetE0EEEvT1_ ; -- Begin function _ZN7rocprim17ROCPRIM_400000_NS6detail17trampoline_kernelINS0_14default_configENS1_33run_length_encode_config_selectorIijNS0_4plusIjEEEEZZNS1_33reduce_by_key_impl_wrapped_configILNS1_25lookback_scan_determinismE0ES3_S7_PKiNS0_17constant_iteratorIjlEEPiPlSF_S6_NS0_8equal_toIiEEEE10hipError_tPvRmT2_T3_mT4_T5_T6_T7_T8_P12ihipStream_tbENKUlT_T0_E_clISt17integral_constantIbLb0EESY_IbLb1EEEEDaSU_SV_EUlSU_E_NS1_11comp_targetILNS1_3genE4ELNS1_11target_archE910ELNS1_3gpuE8ELNS1_3repE0EEENS1_30default_config_static_selectorELNS0_4arch9wavefront6targetE0EEEvT1_
	.globl	_ZN7rocprim17ROCPRIM_400000_NS6detail17trampoline_kernelINS0_14default_configENS1_33run_length_encode_config_selectorIijNS0_4plusIjEEEEZZNS1_33reduce_by_key_impl_wrapped_configILNS1_25lookback_scan_determinismE0ES3_S7_PKiNS0_17constant_iteratorIjlEEPiPlSF_S6_NS0_8equal_toIiEEEE10hipError_tPvRmT2_T3_mT4_T5_T6_T7_T8_P12ihipStream_tbENKUlT_T0_E_clISt17integral_constantIbLb0EESY_IbLb1EEEEDaSU_SV_EUlSU_E_NS1_11comp_targetILNS1_3genE4ELNS1_11target_archE910ELNS1_3gpuE8ELNS1_3repE0EEENS1_30default_config_static_selectorELNS0_4arch9wavefront6targetE0EEEvT1_
	.p2align	8
	.type	_ZN7rocprim17ROCPRIM_400000_NS6detail17trampoline_kernelINS0_14default_configENS1_33run_length_encode_config_selectorIijNS0_4plusIjEEEEZZNS1_33reduce_by_key_impl_wrapped_configILNS1_25lookback_scan_determinismE0ES3_S7_PKiNS0_17constant_iteratorIjlEEPiPlSF_S6_NS0_8equal_toIiEEEE10hipError_tPvRmT2_T3_mT4_T5_T6_T7_T8_P12ihipStream_tbENKUlT_T0_E_clISt17integral_constantIbLb0EESY_IbLb1EEEEDaSU_SV_EUlSU_E_NS1_11comp_targetILNS1_3genE4ELNS1_11target_archE910ELNS1_3gpuE8ELNS1_3repE0EEENS1_30default_config_static_selectorELNS0_4arch9wavefront6targetE0EEEvT1_,@function
_ZN7rocprim17ROCPRIM_400000_NS6detail17trampoline_kernelINS0_14default_configENS1_33run_length_encode_config_selectorIijNS0_4plusIjEEEEZZNS1_33reduce_by_key_impl_wrapped_configILNS1_25lookback_scan_determinismE0ES3_S7_PKiNS0_17constant_iteratorIjlEEPiPlSF_S6_NS0_8equal_toIiEEEE10hipError_tPvRmT2_T3_mT4_T5_T6_T7_T8_P12ihipStream_tbENKUlT_T0_E_clISt17integral_constantIbLb0EESY_IbLb1EEEEDaSU_SV_EUlSU_E_NS1_11comp_targetILNS1_3genE4ELNS1_11target_archE910ELNS1_3gpuE8ELNS1_3repE0EEENS1_30default_config_static_selectorELNS0_4arch9wavefront6targetE0EEEvT1_: ; @_ZN7rocprim17ROCPRIM_400000_NS6detail17trampoline_kernelINS0_14default_configENS1_33run_length_encode_config_selectorIijNS0_4plusIjEEEEZZNS1_33reduce_by_key_impl_wrapped_configILNS1_25lookback_scan_determinismE0ES3_S7_PKiNS0_17constant_iteratorIjlEEPiPlSF_S6_NS0_8equal_toIiEEEE10hipError_tPvRmT2_T3_mT4_T5_T6_T7_T8_P12ihipStream_tbENKUlT_T0_E_clISt17integral_constantIbLb0EESY_IbLb1EEEEDaSU_SV_EUlSU_E_NS1_11comp_targetILNS1_3genE4ELNS1_11target_archE910ELNS1_3gpuE8ELNS1_3repE0EEENS1_30default_config_static_selectorELNS0_4arch9wavefront6targetE0EEEvT1_
; %bb.0:
	.section	.rodata,"a",@progbits
	.p2align	6, 0x0
	.amdhsa_kernel _ZN7rocprim17ROCPRIM_400000_NS6detail17trampoline_kernelINS0_14default_configENS1_33run_length_encode_config_selectorIijNS0_4plusIjEEEEZZNS1_33reduce_by_key_impl_wrapped_configILNS1_25lookback_scan_determinismE0ES3_S7_PKiNS0_17constant_iteratorIjlEEPiPlSF_S6_NS0_8equal_toIiEEEE10hipError_tPvRmT2_T3_mT4_T5_T6_T7_T8_P12ihipStream_tbENKUlT_T0_E_clISt17integral_constantIbLb0EESY_IbLb1EEEEDaSU_SV_EUlSU_E_NS1_11comp_targetILNS1_3genE4ELNS1_11target_archE910ELNS1_3gpuE8ELNS1_3repE0EEENS1_30default_config_static_selectorELNS0_4arch9wavefront6targetE0EEEvT1_
		.amdhsa_group_segment_fixed_size 0
		.amdhsa_private_segment_fixed_size 0
		.amdhsa_kernarg_size 128
		.amdhsa_user_sgpr_count 2
		.amdhsa_user_sgpr_dispatch_ptr 0
		.amdhsa_user_sgpr_queue_ptr 0
		.amdhsa_user_sgpr_kernarg_segment_ptr 1
		.amdhsa_user_sgpr_dispatch_id 0
		.amdhsa_user_sgpr_kernarg_preload_length 0
		.amdhsa_user_sgpr_kernarg_preload_offset 0
		.amdhsa_user_sgpr_private_segment_size 0
		.amdhsa_wavefront_size32 1
		.amdhsa_uses_dynamic_stack 0
		.amdhsa_enable_private_segment 0
		.amdhsa_system_sgpr_workgroup_id_x 1
		.amdhsa_system_sgpr_workgroup_id_y 0
		.amdhsa_system_sgpr_workgroup_id_z 0
		.amdhsa_system_sgpr_workgroup_info 0
		.amdhsa_system_vgpr_workitem_id 0
		.amdhsa_next_free_vgpr 1
		.amdhsa_next_free_sgpr 1
		.amdhsa_named_barrier_count 0
		.amdhsa_reserve_vcc 0
		.amdhsa_float_round_mode_32 0
		.amdhsa_float_round_mode_16_64 0
		.amdhsa_float_denorm_mode_32 3
		.amdhsa_float_denorm_mode_16_64 3
		.amdhsa_fp16_overflow 0
		.amdhsa_memory_ordered 1
		.amdhsa_forward_progress 1
		.amdhsa_inst_pref_size 0
		.amdhsa_round_robin_scheduling 0
		.amdhsa_exception_fp_ieee_invalid_op 0
		.amdhsa_exception_fp_denorm_src 0
		.amdhsa_exception_fp_ieee_div_zero 0
		.amdhsa_exception_fp_ieee_overflow 0
		.amdhsa_exception_fp_ieee_underflow 0
		.amdhsa_exception_fp_ieee_inexact 0
		.amdhsa_exception_int_div_zero 0
	.end_amdhsa_kernel
	.section	.text._ZN7rocprim17ROCPRIM_400000_NS6detail17trampoline_kernelINS0_14default_configENS1_33run_length_encode_config_selectorIijNS0_4plusIjEEEEZZNS1_33reduce_by_key_impl_wrapped_configILNS1_25lookback_scan_determinismE0ES3_S7_PKiNS0_17constant_iteratorIjlEEPiPlSF_S6_NS0_8equal_toIiEEEE10hipError_tPvRmT2_T3_mT4_T5_T6_T7_T8_P12ihipStream_tbENKUlT_T0_E_clISt17integral_constantIbLb0EESY_IbLb1EEEEDaSU_SV_EUlSU_E_NS1_11comp_targetILNS1_3genE4ELNS1_11target_archE910ELNS1_3gpuE8ELNS1_3repE0EEENS1_30default_config_static_selectorELNS0_4arch9wavefront6targetE0EEEvT1_,"axG",@progbits,_ZN7rocprim17ROCPRIM_400000_NS6detail17trampoline_kernelINS0_14default_configENS1_33run_length_encode_config_selectorIijNS0_4plusIjEEEEZZNS1_33reduce_by_key_impl_wrapped_configILNS1_25lookback_scan_determinismE0ES3_S7_PKiNS0_17constant_iteratorIjlEEPiPlSF_S6_NS0_8equal_toIiEEEE10hipError_tPvRmT2_T3_mT4_T5_T6_T7_T8_P12ihipStream_tbENKUlT_T0_E_clISt17integral_constantIbLb0EESY_IbLb1EEEEDaSU_SV_EUlSU_E_NS1_11comp_targetILNS1_3genE4ELNS1_11target_archE910ELNS1_3gpuE8ELNS1_3repE0EEENS1_30default_config_static_selectorELNS0_4arch9wavefront6targetE0EEEvT1_,comdat
.Lfunc_end471:
	.size	_ZN7rocprim17ROCPRIM_400000_NS6detail17trampoline_kernelINS0_14default_configENS1_33run_length_encode_config_selectorIijNS0_4plusIjEEEEZZNS1_33reduce_by_key_impl_wrapped_configILNS1_25lookback_scan_determinismE0ES3_S7_PKiNS0_17constant_iteratorIjlEEPiPlSF_S6_NS0_8equal_toIiEEEE10hipError_tPvRmT2_T3_mT4_T5_T6_T7_T8_P12ihipStream_tbENKUlT_T0_E_clISt17integral_constantIbLb0EESY_IbLb1EEEEDaSU_SV_EUlSU_E_NS1_11comp_targetILNS1_3genE4ELNS1_11target_archE910ELNS1_3gpuE8ELNS1_3repE0EEENS1_30default_config_static_selectorELNS0_4arch9wavefront6targetE0EEEvT1_, .Lfunc_end471-_ZN7rocprim17ROCPRIM_400000_NS6detail17trampoline_kernelINS0_14default_configENS1_33run_length_encode_config_selectorIijNS0_4plusIjEEEEZZNS1_33reduce_by_key_impl_wrapped_configILNS1_25lookback_scan_determinismE0ES3_S7_PKiNS0_17constant_iteratorIjlEEPiPlSF_S6_NS0_8equal_toIiEEEE10hipError_tPvRmT2_T3_mT4_T5_T6_T7_T8_P12ihipStream_tbENKUlT_T0_E_clISt17integral_constantIbLb0EESY_IbLb1EEEEDaSU_SV_EUlSU_E_NS1_11comp_targetILNS1_3genE4ELNS1_11target_archE910ELNS1_3gpuE8ELNS1_3repE0EEENS1_30default_config_static_selectorELNS0_4arch9wavefront6targetE0EEEvT1_
                                        ; -- End function
	.set _ZN7rocprim17ROCPRIM_400000_NS6detail17trampoline_kernelINS0_14default_configENS1_33run_length_encode_config_selectorIijNS0_4plusIjEEEEZZNS1_33reduce_by_key_impl_wrapped_configILNS1_25lookback_scan_determinismE0ES3_S7_PKiNS0_17constant_iteratorIjlEEPiPlSF_S6_NS0_8equal_toIiEEEE10hipError_tPvRmT2_T3_mT4_T5_T6_T7_T8_P12ihipStream_tbENKUlT_T0_E_clISt17integral_constantIbLb0EESY_IbLb1EEEEDaSU_SV_EUlSU_E_NS1_11comp_targetILNS1_3genE4ELNS1_11target_archE910ELNS1_3gpuE8ELNS1_3repE0EEENS1_30default_config_static_selectorELNS0_4arch9wavefront6targetE0EEEvT1_.num_vgpr, 0
	.set _ZN7rocprim17ROCPRIM_400000_NS6detail17trampoline_kernelINS0_14default_configENS1_33run_length_encode_config_selectorIijNS0_4plusIjEEEEZZNS1_33reduce_by_key_impl_wrapped_configILNS1_25lookback_scan_determinismE0ES3_S7_PKiNS0_17constant_iteratorIjlEEPiPlSF_S6_NS0_8equal_toIiEEEE10hipError_tPvRmT2_T3_mT4_T5_T6_T7_T8_P12ihipStream_tbENKUlT_T0_E_clISt17integral_constantIbLb0EESY_IbLb1EEEEDaSU_SV_EUlSU_E_NS1_11comp_targetILNS1_3genE4ELNS1_11target_archE910ELNS1_3gpuE8ELNS1_3repE0EEENS1_30default_config_static_selectorELNS0_4arch9wavefront6targetE0EEEvT1_.num_agpr, 0
	.set _ZN7rocprim17ROCPRIM_400000_NS6detail17trampoline_kernelINS0_14default_configENS1_33run_length_encode_config_selectorIijNS0_4plusIjEEEEZZNS1_33reduce_by_key_impl_wrapped_configILNS1_25lookback_scan_determinismE0ES3_S7_PKiNS0_17constant_iteratorIjlEEPiPlSF_S6_NS0_8equal_toIiEEEE10hipError_tPvRmT2_T3_mT4_T5_T6_T7_T8_P12ihipStream_tbENKUlT_T0_E_clISt17integral_constantIbLb0EESY_IbLb1EEEEDaSU_SV_EUlSU_E_NS1_11comp_targetILNS1_3genE4ELNS1_11target_archE910ELNS1_3gpuE8ELNS1_3repE0EEENS1_30default_config_static_selectorELNS0_4arch9wavefront6targetE0EEEvT1_.numbered_sgpr, 0
	.set _ZN7rocprim17ROCPRIM_400000_NS6detail17trampoline_kernelINS0_14default_configENS1_33run_length_encode_config_selectorIijNS0_4plusIjEEEEZZNS1_33reduce_by_key_impl_wrapped_configILNS1_25lookback_scan_determinismE0ES3_S7_PKiNS0_17constant_iteratorIjlEEPiPlSF_S6_NS0_8equal_toIiEEEE10hipError_tPvRmT2_T3_mT4_T5_T6_T7_T8_P12ihipStream_tbENKUlT_T0_E_clISt17integral_constantIbLb0EESY_IbLb1EEEEDaSU_SV_EUlSU_E_NS1_11comp_targetILNS1_3genE4ELNS1_11target_archE910ELNS1_3gpuE8ELNS1_3repE0EEENS1_30default_config_static_selectorELNS0_4arch9wavefront6targetE0EEEvT1_.num_named_barrier, 0
	.set _ZN7rocprim17ROCPRIM_400000_NS6detail17trampoline_kernelINS0_14default_configENS1_33run_length_encode_config_selectorIijNS0_4plusIjEEEEZZNS1_33reduce_by_key_impl_wrapped_configILNS1_25lookback_scan_determinismE0ES3_S7_PKiNS0_17constant_iteratorIjlEEPiPlSF_S6_NS0_8equal_toIiEEEE10hipError_tPvRmT2_T3_mT4_T5_T6_T7_T8_P12ihipStream_tbENKUlT_T0_E_clISt17integral_constantIbLb0EESY_IbLb1EEEEDaSU_SV_EUlSU_E_NS1_11comp_targetILNS1_3genE4ELNS1_11target_archE910ELNS1_3gpuE8ELNS1_3repE0EEENS1_30default_config_static_selectorELNS0_4arch9wavefront6targetE0EEEvT1_.private_seg_size, 0
	.set _ZN7rocprim17ROCPRIM_400000_NS6detail17trampoline_kernelINS0_14default_configENS1_33run_length_encode_config_selectorIijNS0_4plusIjEEEEZZNS1_33reduce_by_key_impl_wrapped_configILNS1_25lookback_scan_determinismE0ES3_S7_PKiNS0_17constant_iteratorIjlEEPiPlSF_S6_NS0_8equal_toIiEEEE10hipError_tPvRmT2_T3_mT4_T5_T6_T7_T8_P12ihipStream_tbENKUlT_T0_E_clISt17integral_constantIbLb0EESY_IbLb1EEEEDaSU_SV_EUlSU_E_NS1_11comp_targetILNS1_3genE4ELNS1_11target_archE910ELNS1_3gpuE8ELNS1_3repE0EEENS1_30default_config_static_selectorELNS0_4arch9wavefront6targetE0EEEvT1_.uses_vcc, 0
	.set _ZN7rocprim17ROCPRIM_400000_NS6detail17trampoline_kernelINS0_14default_configENS1_33run_length_encode_config_selectorIijNS0_4plusIjEEEEZZNS1_33reduce_by_key_impl_wrapped_configILNS1_25lookback_scan_determinismE0ES3_S7_PKiNS0_17constant_iteratorIjlEEPiPlSF_S6_NS0_8equal_toIiEEEE10hipError_tPvRmT2_T3_mT4_T5_T6_T7_T8_P12ihipStream_tbENKUlT_T0_E_clISt17integral_constantIbLb0EESY_IbLb1EEEEDaSU_SV_EUlSU_E_NS1_11comp_targetILNS1_3genE4ELNS1_11target_archE910ELNS1_3gpuE8ELNS1_3repE0EEENS1_30default_config_static_selectorELNS0_4arch9wavefront6targetE0EEEvT1_.uses_flat_scratch, 0
	.set _ZN7rocprim17ROCPRIM_400000_NS6detail17trampoline_kernelINS0_14default_configENS1_33run_length_encode_config_selectorIijNS0_4plusIjEEEEZZNS1_33reduce_by_key_impl_wrapped_configILNS1_25lookback_scan_determinismE0ES3_S7_PKiNS0_17constant_iteratorIjlEEPiPlSF_S6_NS0_8equal_toIiEEEE10hipError_tPvRmT2_T3_mT4_T5_T6_T7_T8_P12ihipStream_tbENKUlT_T0_E_clISt17integral_constantIbLb0EESY_IbLb1EEEEDaSU_SV_EUlSU_E_NS1_11comp_targetILNS1_3genE4ELNS1_11target_archE910ELNS1_3gpuE8ELNS1_3repE0EEENS1_30default_config_static_selectorELNS0_4arch9wavefront6targetE0EEEvT1_.has_dyn_sized_stack, 0
	.set _ZN7rocprim17ROCPRIM_400000_NS6detail17trampoline_kernelINS0_14default_configENS1_33run_length_encode_config_selectorIijNS0_4plusIjEEEEZZNS1_33reduce_by_key_impl_wrapped_configILNS1_25lookback_scan_determinismE0ES3_S7_PKiNS0_17constant_iteratorIjlEEPiPlSF_S6_NS0_8equal_toIiEEEE10hipError_tPvRmT2_T3_mT4_T5_T6_T7_T8_P12ihipStream_tbENKUlT_T0_E_clISt17integral_constantIbLb0EESY_IbLb1EEEEDaSU_SV_EUlSU_E_NS1_11comp_targetILNS1_3genE4ELNS1_11target_archE910ELNS1_3gpuE8ELNS1_3repE0EEENS1_30default_config_static_selectorELNS0_4arch9wavefront6targetE0EEEvT1_.has_recursion, 0
	.set _ZN7rocprim17ROCPRIM_400000_NS6detail17trampoline_kernelINS0_14default_configENS1_33run_length_encode_config_selectorIijNS0_4plusIjEEEEZZNS1_33reduce_by_key_impl_wrapped_configILNS1_25lookback_scan_determinismE0ES3_S7_PKiNS0_17constant_iteratorIjlEEPiPlSF_S6_NS0_8equal_toIiEEEE10hipError_tPvRmT2_T3_mT4_T5_T6_T7_T8_P12ihipStream_tbENKUlT_T0_E_clISt17integral_constantIbLb0EESY_IbLb1EEEEDaSU_SV_EUlSU_E_NS1_11comp_targetILNS1_3genE4ELNS1_11target_archE910ELNS1_3gpuE8ELNS1_3repE0EEENS1_30default_config_static_selectorELNS0_4arch9wavefront6targetE0EEEvT1_.has_indirect_call, 0
	.section	.AMDGPU.csdata,"",@progbits
; Kernel info:
; codeLenInByte = 0
; TotalNumSgprs: 0
; NumVgprs: 0
; ScratchSize: 0
; MemoryBound: 0
; FloatMode: 240
; IeeeMode: 1
; LDSByteSize: 0 bytes/workgroup (compile time only)
; SGPRBlocks: 0
; VGPRBlocks: 0
; NumSGPRsForWavesPerEU: 1
; NumVGPRsForWavesPerEU: 1
; NamedBarCnt: 0
; Occupancy: 16
; WaveLimiterHint : 0
; COMPUTE_PGM_RSRC2:SCRATCH_EN: 0
; COMPUTE_PGM_RSRC2:USER_SGPR: 2
; COMPUTE_PGM_RSRC2:TRAP_HANDLER: 0
; COMPUTE_PGM_RSRC2:TGID_X_EN: 1
; COMPUTE_PGM_RSRC2:TGID_Y_EN: 0
; COMPUTE_PGM_RSRC2:TGID_Z_EN: 0
; COMPUTE_PGM_RSRC2:TIDIG_COMP_CNT: 0
	.section	.text._ZN7rocprim17ROCPRIM_400000_NS6detail17trampoline_kernelINS0_14default_configENS1_33run_length_encode_config_selectorIijNS0_4plusIjEEEEZZNS1_33reduce_by_key_impl_wrapped_configILNS1_25lookback_scan_determinismE0ES3_S7_PKiNS0_17constant_iteratorIjlEEPiPlSF_S6_NS0_8equal_toIiEEEE10hipError_tPvRmT2_T3_mT4_T5_T6_T7_T8_P12ihipStream_tbENKUlT_T0_E_clISt17integral_constantIbLb0EESY_IbLb1EEEEDaSU_SV_EUlSU_E_NS1_11comp_targetILNS1_3genE3ELNS1_11target_archE908ELNS1_3gpuE7ELNS1_3repE0EEENS1_30default_config_static_selectorELNS0_4arch9wavefront6targetE0EEEvT1_,"axG",@progbits,_ZN7rocprim17ROCPRIM_400000_NS6detail17trampoline_kernelINS0_14default_configENS1_33run_length_encode_config_selectorIijNS0_4plusIjEEEEZZNS1_33reduce_by_key_impl_wrapped_configILNS1_25lookback_scan_determinismE0ES3_S7_PKiNS0_17constant_iteratorIjlEEPiPlSF_S6_NS0_8equal_toIiEEEE10hipError_tPvRmT2_T3_mT4_T5_T6_T7_T8_P12ihipStream_tbENKUlT_T0_E_clISt17integral_constantIbLb0EESY_IbLb1EEEEDaSU_SV_EUlSU_E_NS1_11comp_targetILNS1_3genE3ELNS1_11target_archE908ELNS1_3gpuE7ELNS1_3repE0EEENS1_30default_config_static_selectorELNS0_4arch9wavefront6targetE0EEEvT1_,comdat
	.protected	_ZN7rocprim17ROCPRIM_400000_NS6detail17trampoline_kernelINS0_14default_configENS1_33run_length_encode_config_selectorIijNS0_4plusIjEEEEZZNS1_33reduce_by_key_impl_wrapped_configILNS1_25lookback_scan_determinismE0ES3_S7_PKiNS0_17constant_iteratorIjlEEPiPlSF_S6_NS0_8equal_toIiEEEE10hipError_tPvRmT2_T3_mT4_T5_T6_T7_T8_P12ihipStream_tbENKUlT_T0_E_clISt17integral_constantIbLb0EESY_IbLb1EEEEDaSU_SV_EUlSU_E_NS1_11comp_targetILNS1_3genE3ELNS1_11target_archE908ELNS1_3gpuE7ELNS1_3repE0EEENS1_30default_config_static_selectorELNS0_4arch9wavefront6targetE0EEEvT1_ ; -- Begin function _ZN7rocprim17ROCPRIM_400000_NS6detail17trampoline_kernelINS0_14default_configENS1_33run_length_encode_config_selectorIijNS0_4plusIjEEEEZZNS1_33reduce_by_key_impl_wrapped_configILNS1_25lookback_scan_determinismE0ES3_S7_PKiNS0_17constant_iteratorIjlEEPiPlSF_S6_NS0_8equal_toIiEEEE10hipError_tPvRmT2_T3_mT4_T5_T6_T7_T8_P12ihipStream_tbENKUlT_T0_E_clISt17integral_constantIbLb0EESY_IbLb1EEEEDaSU_SV_EUlSU_E_NS1_11comp_targetILNS1_3genE3ELNS1_11target_archE908ELNS1_3gpuE7ELNS1_3repE0EEENS1_30default_config_static_selectorELNS0_4arch9wavefront6targetE0EEEvT1_
	.globl	_ZN7rocprim17ROCPRIM_400000_NS6detail17trampoline_kernelINS0_14default_configENS1_33run_length_encode_config_selectorIijNS0_4plusIjEEEEZZNS1_33reduce_by_key_impl_wrapped_configILNS1_25lookback_scan_determinismE0ES3_S7_PKiNS0_17constant_iteratorIjlEEPiPlSF_S6_NS0_8equal_toIiEEEE10hipError_tPvRmT2_T3_mT4_T5_T6_T7_T8_P12ihipStream_tbENKUlT_T0_E_clISt17integral_constantIbLb0EESY_IbLb1EEEEDaSU_SV_EUlSU_E_NS1_11comp_targetILNS1_3genE3ELNS1_11target_archE908ELNS1_3gpuE7ELNS1_3repE0EEENS1_30default_config_static_selectorELNS0_4arch9wavefront6targetE0EEEvT1_
	.p2align	8
	.type	_ZN7rocprim17ROCPRIM_400000_NS6detail17trampoline_kernelINS0_14default_configENS1_33run_length_encode_config_selectorIijNS0_4plusIjEEEEZZNS1_33reduce_by_key_impl_wrapped_configILNS1_25lookback_scan_determinismE0ES3_S7_PKiNS0_17constant_iteratorIjlEEPiPlSF_S6_NS0_8equal_toIiEEEE10hipError_tPvRmT2_T3_mT4_T5_T6_T7_T8_P12ihipStream_tbENKUlT_T0_E_clISt17integral_constantIbLb0EESY_IbLb1EEEEDaSU_SV_EUlSU_E_NS1_11comp_targetILNS1_3genE3ELNS1_11target_archE908ELNS1_3gpuE7ELNS1_3repE0EEENS1_30default_config_static_selectorELNS0_4arch9wavefront6targetE0EEEvT1_,@function
_ZN7rocprim17ROCPRIM_400000_NS6detail17trampoline_kernelINS0_14default_configENS1_33run_length_encode_config_selectorIijNS0_4plusIjEEEEZZNS1_33reduce_by_key_impl_wrapped_configILNS1_25lookback_scan_determinismE0ES3_S7_PKiNS0_17constant_iteratorIjlEEPiPlSF_S6_NS0_8equal_toIiEEEE10hipError_tPvRmT2_T3_mT4_T5_T6_T7_T8_P12ihipStream_tbENKUlT_T0_E_clISt17integral_constantIbLb0EESY_IbLb1EEEEDaSU_SV_EUlSU_E_NS1_11comp_targetILNS1_3genE3ELNS1_11target_archE908ELNS1_3gpuE7ELNS1_3repE0EEENS1_30default_config_static_selectorELNS0_4arch9wavefront6targetE0EEEvT1_: ; @_ZN7rocprim17ROCPRIM_400000_NS6detail17trampoline_kernelINS0_14default_configENS1_33run_length_encode_config_selectorIijNS0_4plusIjEEEEZZNS1_33reduce_by_key_impl_wrapped_configILNS1_25lookback_scan_determinismE0ES3_S7_PKiNS0_17constant_iteratorIjlEEPiPlSF_S6_NS0_8equal_toIiEEEE10hipError_tPvRmT2_T3_mT4_T5_T6_T7_T8_P12ihipStream_tbENKUlT_T0_E_clISt17integral_constantIbLb0EESY_IbLb1EEEEDaSU_SV_EUlSU_E_NS1_11comp_targetILNS1_3genE3ELNS1_11target_archE908ELNS1_3gpuE7ELNS1_3repE0EEENS1_30default_config_static_selectorELNS0_4arch9wavefront6targetE0EEEvT1_
; %bb.0:
	.section	.rodata,"a",@progbits
	.p2align	6, 0x0
	.amdhsa_kernel _ZN7rocprim17ROCPRIM_400000_NS6detail17trampoline_kernelINS0_14default_configENS1_33run_length_encode_config_selectorIijNS0_4plusIjEEEEZZNS1_33reduce_by_key_impl_wrapped_configILNS1_25lookback_scan_determinismE0ES3_S7_PKiNS0_17constant_iteratorIjlEEPiPlSF_S6_NS0_8equal_toIiEEEE10hipError_tPvRmT2_T3_mT4_T5_T6_T7_T8_P12ihipStream_tbENKUlT_T0_E_clISt17integral_constantIbLb0EESY_IbLb1EEEEDaSU_SV_EUlSU_E_NS1_11comp_targetILNS1_3genE3ELNS1_11target_archE908ELNS1_3gpuE7ELNS1_3repE0EEENS1_30default_config_static_selectorELNS0_4arch9wavefront6targetE0EEEvT1_
		.amdhsa_group_segment_fixed_size 0
		.amdhsa_private_segment_fixed_size 0
		.amdhsa_kernarg_size 128
		.amdhsa_user_sgpr_count 2
		.amdhsa_user_sgpr_dispatch_ptr 0
		.amdhsa_user_sgpr_queue_ptr 0
		.amdhsa_user_sgpr_kernarg_segment_ptr 1
		.amdhsa_user_sgpr_dispatch_id 0
		.amdhsa_user_sgpr_kernarg_preload_length 0
		.amdhsa_user_sgpr_kernarg_preload_offset 0
		.amdhsa_user_sgpr_private_segment_size 0
		.amdhsa_wavefront_size32 1
		.amdhsa_uses_dynamic_stack 0
		.amdhsa_enable_private_segment 0
		.amdhsa_system_sgpr_workgroup_id_x 1
		.amdhsa_system_sgpr_workgroup_id_y 0
		.amdhsa_system_sgpr_workgroup_id_z 0
		.amdhsa_system_sgpr_workgroup_info 0
		.amdhsa_system_vgpr_workitem_id 0
		.amdhsa_next_free_vgpr 1
		.amdhsa_next_free_sgpr 1
		.amdhsa_named_barrier_count 0
		.amdhsa_reserve_vcc 0
		.amdhsa_float_round_mode_32 0
		.amdhsa_float_round_mode_16_64 0
		.amdhsa_float_denorm_mode_32 3
		.amdhsa_float_denorm_mode_16_64 3
		.amdhsa_fp16_overflow 0
		.amdhsa_memory_ordered 1
		.amdhsa_forward_progress 1
		.amdhsa_inst_pref_size 0
		.amdhsa_round_robin_scheduling 0
		.amdhsa_exception_fp_ieee_invalid_op 0
		.amdhsa_exception_fp_denorm_src 0
		.amdhsa_exception_fp_ieee_div_zero 0
		.amdhsa_exception_fp_ieee_overflow 0
		.amdhsa_exception_fp_ieee_underflow 0
		.amdhsa_exception_fp_ieee_inexact 0
		.amdhsa_exception_int_div_zero 0
	.end_amdhsa_kernel
	.section	.text._ZN7rocprim17ROCPRIM_400000_NS6detail17trampoline_kernelINS0_14default_configENS1_33run_length_encode_config_selectorIijNS0_4plusIjEEEEZZNS1_33reduce_by_key_impl_wrapped_configILNS1_25lookback_scan_determinismE0ES3_S7_PKiNS0_17constant_iteratorIjlEEPiPlSF_S6_NS0_8equal_toIiEEEE10hipError_tPvRmT2_T3_mT4_T5_T6_T7_T8_P12ihipStream_tbENKUlT_T0_E_clISt17integral_constantIbLb0EESY_IbLb1EEEEDaSU_SV_EUlSU_E_NS1_11comp_targetILNS1_3genE3ELNS1_11target_archE908ELNS1_3gpuE7ELNS1_3repE0EEENS1_30default_config_static_selectorELNS0_4arch9wavefront6targetE0EEEvT1_,"axG",@progbits,_ZN7rocprim17ROCPRIM_400000_NS6detail17trampoline_kernelINS0_14default_configENS1_33run_length_encode_config_selectorIijNS0_4plusIjEEEEZZNS1_33reduce_by_key_impl_wrapped_configILNS1_25lookback_scan_determinismE0ES3_S7_PKiNS0_17constant_iteratorIjlEEPiPlSF_S6_NS0_8equal_toIiEEEE10hipError_tPvRmT2_T3_mT4_T5_T6_T7_T8_P12ihipStream_tbENKUlT_T0_E_clISt17integral_constantIbLb0EESY_IbLb1EEEEDaSU_SV_EUlSU_E_NS1_11comp_targetILNS1_3genE3ELNS1_11target_archE908ELNS1_3gpuE7ELNS1_3repE0EEENS1_30default_config_static_selectorELNS0_4arch9wavefront6targetE0EEEvT1_,comdat
.Lfunc_end472:
	.size	_ZN7rocprim17ROCPRIM_400000_NS6detail17trampoline_kernelINS0_14default_configENS1_33run_length_encode_config_selectorIijNS0_4plusIjEEEEZZNS1_33reduce_by_key_impl_wrapped_configILNS1_25lookback_scan_determinismE0ES3_S7_PKiNS0_17constant_iteratorIjlEEPiPlSF_S6_NS0_8equal_toIiEEEE10hipError_tPvRmT2_T3_mT4_T5_T6_T7_T8_P12ihipStream_tbENKUlT_T0_E_clISt17integral_constantIbLb0EESY_IbLb1EEEEDaSU_SV_EUlSU_E_NS1_11comp_targetILNS1_3genE3ELNS1_11target_archE908ELNS1_3gpuE7ELNS1_3repE0EEENS1_30default_config_static_selectorELNS0_4arch9wavefront6targetE0EEEvT1_, .Lfunc_end472-_ZN7rocprim17ROCPRIM_400000_NS6detail17trampoline_kernelINS0_14default_configENS1_33run_length_encode_config_selectorIijNS0_4plusIjEEEEZZNS1_33reduce_by_key_impl_wrapped_configILNS1_25lookback_scan_determinismE0ES3_S7_PKiNS0_17constant_iteratorIjlEEPiPlSF_S6_NS0_8equal_toIiEEEE10hipError_tPvRmT2_T3_mT4_T5_T6_T7_T8_P12ihipStream_tbENKUlT_T0_E_clISt17integral_constantIbLb0EESY_IbLb1EEEEDaSU_SV_EUlSU_E_NS1_11comp_targetILNS1_3genE3ELNS1_11target_archE908ELNS1_3gpuE7ELNS1_3repE0EEENS1_30default_config_static_selectorELNS0_4arch9wavefront6targetE0EEEvT1_
                                        ; -- End function
	.set _ZN7rocprim17ROCPRIM_400000_NS6detail17trampoline_kernelINS0_14default_configENS1_33run_length_encode_config_selectorIijNS0_4plusIjEEEEZZNS1_33reduce_by_key_impl_wrapped_configILNS1_25lookback_scan_determinismE0ES3_S7_PKiNS0_17constant_iteratorIjlEEPiPlSF_S6_NS0_8equal_toIiEEEE10hipError_tPvRmT2_T3_mT4_T5_T6_T7_T8_P12ihipStream_tbENKUlT_T0_E_clISt17integral_constantIbLb0EESY_IbLb1EEEEDaSU_SV_EUlSU_E_NS1_11comp_targetILNS1_3genE3ELNS1_11target_archE908ELNS1_3gpuE7ELNS1_3repE0EEENS1_30default_config_static_selectorELNS0_4arch9wavefront6targetE0EEEvT1_.num_vgpr, 0
	.set _ZN7rocprim17ROCPRIM_400000_NS6detail17trampoline_kernelINS0_14default_configENS1_33run_length_encode_config_selectorIijNS0_4plusIjEEEEZZNS1_33reduce_by_key_impl_wrapped_configILNS1_25lookback_scan_determinismE0ES3_S7_PKiNS0_17constant_iteratorIjlEEPiPlSF_S6_NS0_8equal_toIiEEEE10hipError_tPvRmT2_T3_mT4_T5_T6_T7_T8_P12ihipStream_tbENKUlT_T0_E_clISt17integral_constantIbLb0EESY_IbLb1EEEEDaSU_SV_EUlSU_E_NS1_11comp_targetILNS1_3genE3ELNS1_11target_archE908ELNS1_3gpuE7ELNS1_3repE0EEENS1_30default_config_static_selectorELNS0_4arch9wavefront6targetE0EEEvT1_.num_agpr, 0
	.set _ZN7rocprim17ROCPRIM_400000_NS6detail17trampoline_kernelINS0_14default_configENS1_33run_length_encode_config_selectorIijNS0_4plusIjEEEEZZNS1_33reduce_by_key_impl_wrapped_configILNS1_25lookback_scan_determinismE0ES3_S7_PKiNS0_17constant_iteratorIjlEEPiPlSF_S6_NS0_8equal_toIiEEEE10hipError_tPvRmT2_T3_mT4_T5_T6_T7_T8_P12ihipStream_tbENKUlT_T0_E_clISt17integral_constantIbLb0EESY_IbLb1EEEEDaSU_SV_EUlSU_E_NS1_11comp_targetILNS1_3genE3ELNS1_11target_archE908ELNS1_3gpuE7ELNS1_3repE0EEENS1_30default_config_static_selectorELNS0_4arch9wavefront6targetE0EEEvT1_.numbered_sgpr, 0
	.set _ZN7rocprim17ROCPRIM_400000_NS6detail17trampoline_kernelINS0_14default_configENS1_33run_length_encode_config_selectorIijNS0_4plusIjEEEEZZNS1_33reduce_by_key_impl_wrapped_configILNS1_25lookback_scan_determinismE0ES3_S7_PKiNS0_17constant_iteratorIjlEEPiPlSF_S6_NS0_8equal_toIiEEEE10hipError_tPvRmT2_T3_mT4_T5_T6_T7_T8_P12ihipStream_tbENKUlT_T0_E_clISt17integral_constantIbLb0EESY_IbLb1EEEEDaSU_SV_EUlSU_E_NS1_11comp_targetILNS1_3genE3ELNS1_11target_archE908ELNS1_3gpuE7ELNS1_3repE0EEENS1_30default_config_static_selectorELNS0_4arch9wavefront6targetE0EEEvT1_.num_named_barrier, 0
	.set _ZN7rocprim17ROCPRIM_400000_NS6detail17trampoline_kernelINS0_14default_configENS1_33run_length_encode_config_selectorIijNS0_4plusIjEEEEZZNS1_33reduce_by_key_impl_wrapped_configILNS1_25lookback_scan_determinismE0ES3_S7_PKiNS0_17constant_iteratorIjlEEPiPlSF_S6_NS0_8equal_toIiEEEE10hipError_tPvRmT2_T3_mT4_T5_T6_T7_T8_P12ihipStream_tbENKUlT_T0_E_clISt17integral_constantIbLb0EESY_IbLb1EEEEDaSU_SV_EUlSU_E_NS1_11comp_targetILNS1_3genE3ELNS1_11target_archE908ELNS1_3gpuE7ELNS1_3repE0EEENS1_30default_config_static_selectorELNS0_4arch9wavefront6targetE0EEEvT1_.private_seg_size, 0
	.set _ZN7rocprim17ROCPRIM_400000_NS6detail17trampoline_kernelINS0_14default_configENS1_33run_length_encode_config_selectorIijNS0_4plusIjEEEEZZNS1_33reduce_by_key_impl_wrapped_configILNS1_25lookback_scan_determinismE0ES3_S7_PKiNS0_17constant_iteratorIjlEEPiPlSF_S6_NS0_8equal_toIiEEEE10hipError_tPvRmT2_T3_mT4_T5_T6_T7_T8_P12ihipStream_tbENKUlT_T0_E_clISt17integral_constantIbLb0EESY_IbLb1EEEEDaSU_SV_EUlSU_E_NS1_11comp_targetILNS1_3genE3ELNS1_11target_archE908ELNS1_3gpuE7ELNS1_3repE0EEENS1_30default_config_static_selectorELNS0_4arch9wavefront6targetE0EEEvT1_.uses_vcc, 0
	.set _ZN7rocprim17ROCPRIM_400000_NS6detail17trampoline_kernelINS0_14default_configENS1_33run_length_encode_config_selectorIijNS0_4plusIjEEEEZZNS1_33reduce_by_key_impl_wrapped_configILNS1_25lookback_scan_determinismE0ES3_S7_PKiNS0_17constant_iteratorIjlEEPiPlSF_S6_NS0_8equal_toIiEEEE10hipError_tPvRmT2_T3_mT4_T5_T6_T7_T8_P12ihipStream_tbENKUlT_T0_E_clISt17integral_constantIbLb0EESY_IbLb1EEEEDaSU_SV_EUlSU_E_NS1_11comp_targetILNS1_3genE3ELNS1_11target_archE908ELNS1_3gpuE7ELNS1_3repE0EEENS1_30default_config_static_selectorELNS0_4arch9wavefront6targetE0EEEvT1_.uses_flat_scratch, 0
	.set _ZN7rocprim17ROCPRIM_400000_NS6detail17trampoline_kernelINS0_14default_configENS1_33run_length_encode_config_selectorIijNS0_4plusIjEEEEZZNS1_33reduce_by_key_impl_wrapped_configILNS1_25lookback_scan_determinismE0ES3_S7_PKiNS0_17constant_iteratorIjlEEPiPlSF_S6_NS0_8equal_toIiEEEE10hipError_tPvRmT2_T3_mT4_T5_T6_T7_T8_P12ihipStream_tbENKUlT_T0_E_clISt17integral_constantIbLb0EESY_IbLb1EEEEDaSU_SV_EUlSU_E_NS1_11comp_targetILNS1_3genE3ELNS1_11target_archE908ELNS1_3gpuE7ELNS1_3repE0EEENS1_30default_config_static_selectorELNS0_4arch9wavefront6targetE0EEEvT1_.has_dyn_sized_stack, 0
	.set _ZN7rocprim17ROCPRIM_400000_NS6detail17trampoline_kernelINS0_14default_configENS1_33run_length_encode_config_selectorIijNS0_4plusIjEEEEZZNS1_33reduce_by_key_impl_wrapped_configILNS1_25lookback_scan_determinismE0ES3_S7_PKiNS0_17constant_iteratorIjlEEPiPlSF_S6_NS0_8equal_toIiEEEE10hipError_tPvRmT2_T3_mT4_T5_T6_T7_T8_P12ihipStream_tbENKUlT_T0_E_clISt17integral_constantIbLb0EESY_IbLb1EEEEDaSU_SV_EUlSU_E_NS1_11comp_targetILNS1_3genE3ELNS1_11target_archE908ELNS1_3gpuE7ELNS1_3repE0EEENS1_30default_config_static_selectorELNS0_4arch9wavefront6targetE0EEEvT1_.has_recursion, 0
	.set _ZN7rocprim17ROCPRIM_400000_NS6detail17trampoline_kernelINS0_14default_configENS1_33run_length_encode_config_selectorIijNS0_4plusIjEEEEZZNS1_33reduce_by_key_impl_wrapped_configILNS1_25lookback_scan_determinismE0ES3_S7_PKiNS0_17constant_iteratorIjlEEPiPlSF_S6_NS0_8equal_toIiEEEE10hipError_tPvRmT2_T3_mT4_T5_T6_T7_T8_P12ihipStream_tbENKUlT_T0_E_clISt17integral_constantIbLb0EESY_IbLb1EEEEDaSU_SV_EUlSU_E_NS1_11comp_targetILNS1_3genE3ELNS1_11target_archE908ELNS1_3gpuE7ELNS1_3repE0EEENS1_30default_config_static_selectorELNS0_4arch9wavefront6targetE0EEEvT1_.has_indirect_call, 0
	.section	.AMDGPU.csdata,"",@progbits
; Kernel info:
; codeLenInByte = 0
; TotalNumSgprs: 0
; NumVgprs: 0
; ScratchSize: 0
; MemoryBound: 0
; FloatMode: 240
; IeeeMode: 1
; LDSByteSize: 0 bytes/workgroup (compile time only)
; SGPRBlocks: 0
; VGPRBlocks: 0
; NumSGPRsForWavesPerEU: 1
; NumVGPRsForWavesPerEU: 1
; NamedBarCnt: 0
; Occupancy: 16
; WaveLimiterHint : 0
; COMPUTE_PGM_RSRC2:SCRATCH_EN: 0
; COMPUTE_PGM_RSRC2:USER_SGPR: 2
; COMPUTE_PGM_RSRC2:TRAP_HANDLER: 0
; COMPUTE_PGM_RSRC2:TGID_X_EN: 1
; COMPUTE_PGM_RSRC2:TGID_Y_EN: 0
; COMPUTE_PGM_RSRC2:TGID_Z_EN: 0
; COMPUTE_PGM_RSRC2:TIDIG_COMP_CNT: 0
	.section	.text._ZN7rocprim17ROCPRIM_400000_NS6detail17trampoline_kernelINS0_14default_configENS1_33run_length_encode_config_selectorIijNS0_4plusIjEEEEZZNS1_33reduce_by_key_impl_wrapped_configILNS1_25lookback_scan_determinismE0ES3_S7_PKiNS0_17constant_iteratorIjlEEPiPlSF_S6_NS0_8equal_toIiEEEE10hipError_tPvRmT2_T3_mT4_T5_T6_T7_T8_P12ihipStream_tbENKUlT_T0_E_clISt17integral_constantIbLb0EESY_IbLb1EEEEDaSU_SV_EUlSU_E_NS1_11comp_targetILNS1_3genE2ELNS1_11target_archE906ELNS1_3gpuE6ELNS1_3repE0EEENS1_30default_config_static_selectorELNS0_4arch9wavefront6targetE0EEEvT1_,"axG",@progbits,_ZN7rocprim17ROCPRIM_400000_NS6detail17trampoline_kernelINS0_14default_configENS1_33run_length_encode_config_selectorIijNS0_4plusIjEEEEZZNS1_33reduce_by_key_impl_wrapped_configILNS1_25lookback_scan_determinismE0ES3_S7_PKiNS0_17constant_iteratorIjlEEPiPlSF_S6_NS0_8equal_toIiEEEE10hipError_tPvRmT2_T3_mT4_T5_T6_T7_T8_P12ihipStream_tbENKUlT_T0_E_clISt17integral_constantIbLb0EESY_IbLb1EEEEDaSU_SV_EUlSU_E_NS1_11comp_targetILNS1_3genE2ELNS1_11target_archE906ELNS1_3gpuE6ELNS1_3repE0EEENS1_30default_config_static_selectorELNS0_4arch9wavefront6targetE0EEEvT1_,comdat
	.protected	_ZN7rocprim17ROCPRIM_400000_NS6detail17trampoline_kernelINS0_14default_configENS1_33run_length_encode_config_selectorIijNS0_4plusIjEEEEZZNS1_33reduce_by_key_impl_wrapped_configILNS1_25lookback_scan_determinismE0ES3_S7_PKiNS0_17constant_iteratorIjlEEPiPlSF_S6_NS0_8equal_toIiEEEE10hipError_tPvRmT2_T3_mT4_T5_T6_T7_T8_P12ihipStream_tbENKUlT_T0_E_clISt17integral_constantIbLb0EESY_IbLb1EEEEDaSU_SV_EUlSU_E_NS1_11comp_targetILNS1_3genE2ELNS1_11target_archE906ELNS1_3gpuE6ELNS1_3repE0EEENS1_30default_config_static_selectorELNS0_4arch9wavefront6targetE0EEEvT1_ ; -- Begin function _ZN7rocprim17ROCPRIM_400000_NS6detail17trampoline_kernelINS0_14default_configENS1_33run_length_encode_config_selectorIijNS0_4plusIjEEEEZZNS1_33reduce_by_key_impl_wrapped_configILNS1_25lookback_scan_determinismE0ES3_S7_PKiNS0_17constant_iteratorIjlEEPiPlSF_S6_NS0_8equal_toIiEEEE10hipError_tPvRmT2_T3_mT4_T5_T6_T7_T8_P12ihipStream_tbENKUlT_T0_E_clISt17integral_constantIbLb0EESY_IbLb1EEEEDaSU_SV_EUlSU_E_NS1_11comp_targetILNS1_3genE2ELNS1_11target_archE906ELNS1_3gpuE6ELNS1_3repE0EEENS1_30default_config_static_selectorELNS0_4arch9wavefront6targetE0EEEvT1_
	.globl	_ZN7rocprim17ROCPRIM_400000_NS6detail17trampoline_kernelINS0_14default_configENS1_33run_length_encode_config_selectorIijNS0_4plusIjEEEEZZNS1_33reduce_by_key_impl_wrapped_configILNS1_25lookback_scan_determinismE0ES3_S7_PKiNS0_17constant_iteratorIjlEEPiPlSF_S6_NS0_8equal_toIiEEEE10hipError_tPvRmT2_T3_mT4_T5_T6_T7_T8_P12ihipStream_tbENKUlT_T0_E_clISt17integral_constantIbLb0EESY_IbLb1EEEEDaSU_SV_EUlSU_E_NS1_11comp_targetILNS1_3genE2ELNS1_11target_archE906ELNS1_3gpuE6ELNS1_3repE0EEENS1_30default_config_static_selectorELNS0_4arch9wavefront6targetE0EEEvT1_
	.p2align	8
	.type	_ZN7rocprim17ROCPRIM_400000_NS6detail17trampoline_kernelINS0_14default_configENS1_33run_length_encode_config_selectorIijNS0_4plusIjEEEEZZNS1_33reduce_by_key_impl_wrapped_configILNS1_25lookback_scan_determinismE0ES3_S7_PKiNS0_17constant_iteratorIjlEEPiPlSF_S6_NS0_8equal_toIiEEEE10hipError_tPvRmT2_T3_mT4_T5_T6_T7_T8_P12ihipStream_tbENKUlT_T0_E_clISt17integral_constantIbLb0EESY_IbLb1EEEEDaSU_SV_EUlSU_E_NS1_11comp_targetILNS1_3genE2ELNS1_11target_archE906ELNS1_3gpuE6ELNS1_3repE0EEENS1_30default_config_static_selectorELNS0_4arch9wavefront6targetE0EEEvT1_,@function
_ZN7rocprim17ROCPRIM_400000_NS6detail17trampoline_kernelINS0_14default_configENS1_33run_length_encode_config_selectorIijNS0_4plusIjEEEEZZNS1_33reduce_by_key_impl_wrapped_configILNS1_25lookback_scan_determinismE0ES3_S7_PKiNS0_17constant_iteratorIjlEEPiPlSF_S6_NS0_8equal_toIiEEEE10hipError_tPvRmT2_T3_mT4_T5_T6_T7_T8_P12ihipStream_tbENKUlT_T0_E_clISt17integral_constantIbLb0EESY_IbLb1EEEEDaSU_SV_EUlSU_E_NS1_11comp_targetILNS1_3genE2ELNS1_11target_archE906ELNS1_3gpuE6ELNS1_3repE0EEENS1_30default_config_static_selectorELNS0_4arch9wavefront6targetE0EEEvT1_: ; @_ZN7rocprim17ROCPRIM_400000_NS6detail17trampoline_kernelINS0_14default_configENS1_33run_length_encode_config_selectorIijNS0_4plusIjEEEEZZNS1_33reduce_by_key_impl_wrapped_configILNS1_25lookback_scan_determinismE0ES3_S7_PKiNS0_17constant_iteratorIjlEEPiPlSF_S6_NS0_8equal_toIiEEEE10hipError_tPvRmT2_T3_mT4_T5_T6_T7_T8_P12ihipStream_tbENKUlT_T0_E_clISt17integral_constantIbLb0EESY_IbLb1EEEEDaSU_SV_EUlSU_E_NS1_11comp_targetILNS1_3genE2ELNS1_11target_archE906ELNS1_3gpuE6ELNS1_3repE0EEENS1_30default_config_static_selectorELNS0_4arch9wavefront6targetE0EEEvT1_
; %bb.0:
	.section	.rodata,"a",@progbits
	.p2align	6, 0x0
	.amdhsa_kernel _ZN7rocprim17ROCPRIM_400000_NS6detail17trampoline_kernelINS0_14default_configENS1_33run_length_encode_config_selectorIijNS0_4plusIjEEEEZZNS1_33reduce_by_key_impl_wrapped_configILNS1_25lookback_scan_determinismE0ES3_S7_PKiNS0_17constant_iteratorIjlEEPiPlSF_S6_NS0_8equal_toIiEEEE10hipError_tPvRmT2_T3_mT4_T5_T6_T7_T8_P12ihipStream_tbENKUlT_T0_E_clISt17integral_constantIbLb0EESY_IbLb1EEEEDaSU_SV_EUlSU_E_NS1_11comp_targetILNS1_3genE2ELNS1_11target_archE906ELNS1_3gpuE6ELNS1_3repE0EEENS1_30default_config_static_selectorELNS0_4arch9wavefront6targetE0EEEvT1_
		.amdhsa_group_segment_fixed_size 0
		.amdhsa_private_segment_fixed_size 0
		.amdhsa_kernarg_size 128
		.amdhsa_user_sgpr_count 2
		.amdhsa_user_sgpr_dispatch_ptr 0
		.amdhsa_user_sgpr_queue_ptr 0
		.amdhsa_user_sgpr_kernarg_segment_ptr 1
		.amdhsa_user_sgpr_dispatch_id 0
		.amdhsa_user_sgpr_kernarg_preload_length 0
		.amdhsa_user_sgpr_kernarg_preload_offset 0
		.amdhsa_user_sgpr_private_segment_size 0
		.amdhsa_wavefront_size32 1
		.amdhsa_uses_dynamic_stack 0
		.amdhsa_enable_private_segment 0
		.amdhsa_system_sgpr_workgroup_id_x 1
		.amdhsa_system_sgpr_workgroup_id_y 0
		.amdhsa_system_sgpr_workgroup_id_z 0
		.amdhsa_system_sgpr_workgroup_info 0
		.amdhsa_system_vgpr_workitem_id 0
		.amdhsa_next_free_vgpr 1
		.amdhsa_next_free_sgpr 1
		.amdhsa_named_barrier_count 0
		.amdhsa_reserve_vcc 0
		.amdhsa_float_round_mode_32 0
		.amdhsa_float_round_mode_16_64 0
		.amdhsa_float_denorm_mode_32 3
		.amdhsa_float_denorm_mode_16_64 3
		.amdhsa_fp16_overflow 0
		.amdhsa_memory_ordered 1
		.amdhsa_forward_progress 1
		.amdhsa_inst_pref_size 0
		.amdhsa_round_robin_scheduling 0
		.amdhsa_exception_fp_ieee_invalid_op 0
		.amdhsa_exception_fp_denorm_src 0
		.amdhsa_exception_fp_ieee_div_zero 0
		.amdhsa_exception_fp_ieee_overflow 0
		.amdhsa_exception_fp_ieee_underflow 0
		.amdhsa_exception_fp_ieee_inexact 0
		.amdhsa_exception_int_div_zero 0
	.end_amdhsa_kernel
	.section	.text._ZN7rocprim17ROCPRIM_400000_NS6detail17trampoline_kernelINS0_14default_configENS1_33run_length_encode_config_selectorIijNS0_4plusIjEEEEZZNS1_33reduce_by_key_impl_wrapped_configILNS1_25lookback_scan_determinismE0ES3_S7_PKiNS0_17constant_iteratorIjlEEPiPlSF_S6_NS0_8equal_toIiEEEE10hipError_tPvRmT2_T3_mT4_T5_T6_T7_T8_P12ihipStream_tbENKUlT_T0_E_clISt17integral_constantIbLb0EESY_IbLb1EEEEDaSU_SV_EUlSU_E_NS1_11comp_targetILNS1_3genE2ELNS1_11target_archE906ELNS1_3gpuE6ELNS1_3repE0EEENS1_30default_config_static_selectorELNS0_4arch9wavefront6targetE0EEEvT1_,"axG",@progbits,_ZN7rocprim17ROCPRIM_400000_NS6detail17trampoline_kernelINS0_14default_configENS1_33run_length_encode_config_selectorIijNS0_4plusIjEEEEZZNS1_33reduce_by_key_impl_wrapped_configILNS1_25lookback_scan_determinismE0ES3_S7_PKiNS0_17constant_iteratorIjlEEPiPlSF_S6_NS0_8equal_toIiEEEE10hipError_tPvRmT2_T3_mT4_T5_T6_T7_T8_P12ihipStream_tbENKUlT_T0_E_clISt17integral_constantIbLb0EESY_IbLb1EEEEDaSU_SV_EUlSU_E_NS1_11comp_targetILNS1_3genE2ELNS1_11target_archE906ELNS1_3gpuE6ELNS1_3repE0EEENS1_30default_config_static_selectorELNS0_4arch9wavefront6targetE0EEEvT1_,comdat
.Lfunc_end473:
	.size	_ZN7rocprim17ROCPRIM_400000_NS6detail17trampoline_kernelINS0_14default_configENS1_33run_length_encode_config_selectorIijNS0_4plusIjEEEEZZNS1_33reduce_by_key_impl_wrapped_configILNS1_25lookback_scan_determinismE0ES3_S7_PKiNS0_17constant_iteratorIjlEEPiPlSF_S6_NS0_8equal_toIiEEEE10hipError_tPvRmT2_T3_mT4_T5_T6_T7_T8_P12ihipStream_tbENKUlT_T0_E_clISt17integral_constantIbLb0EESY_IbLb1EEEEDaSU_SV_EUlSU_E_NS1_11comp_targetILNS1_3genE2ELNS1_11target_archE906ELNS1_3gpuE6ELNS1_3repE0EEENS1_30default_config_static_selectorELNS0_4arch9wavefront6targetE0EEEvT1_, .Lfunc_end473-_ZN7rocprim17ROCPRIM_400000_NS6detail17trampoline_kernelINS0_14default_configENS1_33run_length_encode_config_selectorIijNS0_4plusIjEEEEZZNS1_33reduce_by_key_impl_wrapped_configILNS1_25lookback_scan_determinismE0ES3_S7_PKiNS0_17constant_iteratorIjlEEPiPlSF_S6_NS0_8equal_toIiEEEE10hipError_tPvRmT2_T3_mT4_T5_T6_T7_T8_P12ihipStream_tbENKUlT_T0_E_clISt17integral_constantIbLb0EESY_IbLb1EEEEDaSU_SV_EUlSU_E_NS1_11comp_targetILNS1_3genE2ELNS1_11target_archE906ELNS1_3gpuE6ELNS1_3repE0EEENS1_30default_config_static_selectorELNS0_4arch9wavefront6targetE0EEEvT1_
                                        ; -- End function
	.set _ZN7rocprim17ROCPRIM_400000_NS6detail17trampoline_kernelINS0_14default_configENS1_33run_length_encode_config_selectorIijNS0_4plusIjEEEEZZNS1_33reduce_by_key_impl_wrapped_configILNS1_25lookback_scan_determinismE0ES3_S7_PKiNS0_17constant_iteratorIjlEEPiPlSF_S6_NS0_8equal_toIiEEEE10hipError_tPvRmT2_T3_mT4_T5_T6_T7_T8_P12ihipStream_tbENKUlT_T0_E_clISt17integral_constantIbLb0EESY_IbLb1EEEEDaSU_SV_EUlSU_E_NS1_11comp_targetILNS1_3genE2ELNS1_11target_archE906ELNS1_3gpuE6ELNS1_3repE0EEENS1_30default_config_static_selectorELNS0_4arch9wavefront6targetE0EEEvT1_.num_vgpr, 0
	.set _ZN7rocprim17ROCPRIM_400000_NS6detail17trampoline_kernelINS0_14default_configENS1_33run_length_encode_config_selectorIijNS0_4plusIjEEEEZZNS1_33reduce_by_key_impl_wrapped_configILNS1_25lookback_scan_determinismE0ES3_S7_PKiNS0_17constant_iteratorIjlEEPiPlSF_S6_NS0_8equal_toIiEEEE10hipError_tPvRmT2_T3_mT4_T5_T6_T7_T8_P12ihipStream_tbENKUlT_T0_E_clISt17integral_constantIbLb0EESY_IbLb1EEEEDaSU_SV_EUlSU_E_NS1_11comp_targetILNS1_3genE2ELNS1_11target_archE906ELNS1_3gpuE6ELNS1_3repE0EEENS1_30default_config_static_selectorELNS0_4arch9wavefront6targetE0EEEvT1_.num_agpr, 0
	.set _ZN7rocprim17ROCPRIM_400000_NS6detail17trampoline_kernelINS0_14default_configENS1_33run_length_encode_config_selectorIijNS0_4plusIjEEEEZZNS1_33reduce_by_key_impl_wrapped_configILNS1_25lookback_scan_determinismE0ES3_S7_PKiNS0_17constant_iteratorIjlEEPiPlSF_S6_NS0_8equal_toIiEEEE10hipError_tPvRmT2_T3_mT4_T5_T6_T7_T8_P12ihipStream_tbENKUlT_T0_E_clISt17integral_constantIbLb0EESY_IbLb1EEEEDaSU_SV_EUlSU_E_NS1_11comp_targetILNS1_3genE2ELNS1_11target_archE906ELNS1_3gpuE6ELNS1_3repE0EEENS1_30default_config_static_selectorELNS0_4arch9wavefront6targetE0EEEvT1_.numbered_sgpr, 0
	.set _ZN7rocprim17ROCPRIM_400000_NS6detail17trampoline_kernelINS0_14default_configENS1_33run_length_encode_config_selectorIijNS0_4plusIjEEEEZZNS1_33reduce_by_key_impl_wrapped_configILNS1_25lookback_scan_determinismE0ES3_S7_PKiNS0_17constant_iteratorIjlEEPiPlSF_S6_NS0_8equal_toIiEEEE10hipError_tPvRmT2_T3_mT4_T5_T6_T7_T8_P12ihipStream_tbENKUlT_T0_E_clISt17integral_constantIbLb0EESY_IbLb1EEEEDaSU_SV_EUlSU_E_NS1_11comp_targetILNS1_3genE2ELNS1_11target_archE906ELNS1_3gpuE6ELNS1_3repE0EEENS1_30default_config_static_selectorELNS0_4arch9wavefront6targetE0EEEvT1_.num_named_barrier, 0
	.set _ZN7rocprim17ROCPRIM_400000_NS6detail17trampoline_kernelINS0_14default_configENS1_33run_length_encode_config_selectorIijNS0_4plusIjEEEEZZNS1_33reduce_by_key_impl_wrapped_configILNS1_25lookback_scan_determinismE0ES3_S7_PKiNS0_17constant_iteratorIjlEEPiPlSF_S6_NS0_8equal_toIiEEEE10hipError_tPvRmT2_T3_mT4_T5_T6_T7_T8_P12ihipStream_tbENKUlT_T0_E_clISt17integral_constantIbLb0EESY_IbLb1EEEEDaSU_SV_EUlSU_E_NS1_11comp_targetILNS1_3genE2ELNS1_11target_archE906ELNS1_3gpuE6ELNS1_3repE0EEENS1_30default_config_static_selectorELNS0_4arch9wavefront6targetE0EEEvT1_.private_seg_size, 0
	.set _ZN7rocprim17ROCPRIM_400000_NS6detail17trampoline_kernelINS0_14default_configENS1_33run_length_encode_config_selectorIijNS0_4plusIjEEEEZZNS1_33reduce_by_key_impl_wrapped_configILNS1_25lookback_scan_determinismE0ES3_S7_PKiNS0_17constant_iteratorIjlEEPiPlSF_S6_NS0_8equal_toIiEEEE10hipError_tPvRmT2_T3_mT4_T5_T6_T7_T8_P12ihipStream_tbENKUlT_T0_E_clISt17integral_constantIbLb0EESY_IbLb1EEEEDaSU_SV_EUlSU_E_NS1_11comp_targetILNS1_3genE2ELNS1_11target_archE906ELNS1_3gpuE6ELNS1_3repE0EEENS1_30default_config_static_selectorELNS0_4arch9wavefront6targetE0EEEvT1_.uses_vcc, 0
	.set _ZN7rocprim17ROCPRIM_400000_NS6detail17trampoline_kernelINS0_14default_configENS1_33run_length_encode_config_selectorIijNS0_4plusIjEEEEZZNS1_33reduce_by_key_impl_wrapped_configILNS1_25lookback_scan_determinismE0ES3_S7_PKiNS0_17constant_iteratorIjlEEPiPlSF_S6_NS0_8equal_toIiEEEE10hipError_tPvRmT2_T3_mT4_T5_T6_T7_T8_P12ihipStream_tbENKUlT_T0_E_clISt17integral_constantIbLb0EESY_IbLb1EEEEDaSU_SV_EUlSU_E_NS1_11comp_targetILNS1_3genE2ELNS1_11target_archE906ELNS1_3gpuE6ELNS1_3repE0EEENS1_30default_config_static_selectorELNS0_4arch9wavefront6targetE0EEEvT1_.uses_flat_scratch, 0
	.set _ZN7rocprim17ROCPRIM_400000_NS6detail17trampoline_kernelINS0_14default_configENS1_33run_length_encode_config_selectorIijNS0_4plusIjEEEEZZNS1_33reduce_by_key_impl_wrapped_configILNS1_25lookback_scan_determinismE0ES3_S7_PKiNS0_17constant_iteratorIjlEEPiPlSF_S6_NS0_8equal_toIiEEEE10hipError_tPvRmT2_T3_mT4_T5_T6_T7_T8_P12ihipStream_tbENKUlT_T0_E_clISt17integral_constantIbLb0EESY_IbLb1EEEEDaSU_SV_EUlSU_E_NS1_11comp_targetILNS1_3genE2ELNS1_11target_archE906ELNS1_3gpuE6ELNS1_3repE0EEENS1_30default_config_static_selectorELNS0_4arch9wavefront6targetE0EEEvT1_.has_dyn_sized_stack, 0
	.set _ZN7rocprim17ROCPRIM_400000_NS6detail17trampoline_kernelINS0_14default_configENS1_33run_length_encode_config_selectorIijNS0_4plusIjEEEEZZNS1_33reduce_by_key_impl_wrapped_configILNS1_25lookback_scan_determinismE0ES3_S7_PKiNS0_17constant_iteratorIjlEEPiPlSF_S6_NS0_8equal_toIiEEEE10hipError_tPvRmT2_T3_mT4_T5_T6_T7_T8_P12ihipStream_tbENKUlT_T0_E_clISt17integral_constantIbLb0EESY_IbLb1EEEEDaSU_SV_EUlSU_E_NS1_11comp_targetILNS1_3genE2ELNS1_11target_archE906ELNS1_3gpuE6ELNS1_3repE0EEENS1_30default_config_static_selectorELNS0_4arch9wavefront6targetE0EEEvT1_.has_recursion, 0
	.set _ZN7rocprim17ROCPRIM_400000_NS6detail17trampoline_kernelINS0_14default_configENS1_33run_length_encode_config_selectorIijNS0_4plusIjEEEEZZNS1_33reduce_by_key_impl_wrapped_configILNS1_25lookback_scan_determinismE0ES3_S7_PKiNS0_17constant_iteratorIjlEEPiPlSF_S6_NS0_8equal_toIiEEEE10hipError_tPvRmT2_T3_mT4_T5_T6_T7_T8_P12ihipStream_tbENKUlT_T0_E_clISt17integral_constantIbLb0EESY_IbLb1EEEEDaSU_SV_EUlSU_E_NS1_11comp_targetILNS1_3genE2ELNS1_11target_archE906ELNS1_3gpuE6ELNS1_3repE0EEENS1_30default_config_static_selectorELNS0_4arch9wavefront6targetE0EEEvT1_.has_indirect_call, 0
	.section	.AMDGPU.csdata,"",@progbits
; Kernel info:
; codeLenInByte = 0
; TotalNumSgprs: 0
; NumVgprs: 0
; ScratchSize: 0
; MemoryBound: 0
; FloatMode: 240
; IeeeMode: 1
; LDSByteSize: 0 bytes/workgroup (compile time only)
; SGPRBlocks: 0
; VGPRBlocks: 0
; NumSGPRsForWavesPerEU: 1
; NumVGPRsForWavesPerEU: 1
; NamedBarCnt: 0
; Occupancy: 16
; WaveLimiterHint : 0
; COMPUTE_PGM_RSRC2:SCRATCH_EN: 0
; COMPUTE_PGM_RSRC2:USER_SGPR: 2
; COMPUTE_PGM_RSRC2:TRAP_HANDLER: 0
; COMPUTE_PGM_RSRC2:TGID_X_EN: 1
; COMPUTE_PGM_RSRC2:TGID_Y_EN: 0
; COMPUTE_PGM_RSRC2:TGID_Z_EN: 0
; COMPUTE_PGM_RSRC2:TIDIG_COMP_CNT: 0
	.section	.text._ZN7rocprim17ROCPRIM_400000_NS6detail17trampoline_kernelINS0_14default_configENS1_33run_length_encode_config_selectorIijNS0_4plusIjEEEEZZNS1_33reduce_by_key_impl_wrapped_configILNS1_25lookback_scan_determinismE0ES3_S7_PKiNS0_17constant_iteratorIjlEEPiPlSF_S6_NS0_8equal_toIiEEEE10hipError_tPvRmT2_T3_mT4_T5_T6_T7_T8_P12ihipStream_tbENKUlT_T0_E_clISt17integral_constantIbLb0EESY_IbLb1EEEEDaSU_SV_EUlSU_E_NS1_11comp_targetILNS1_3genE10ELNS1_11target_archE1201ELNS1_3gpuE5ELNS1_3repE0EEENS1_30default_config_static_selectorELNS0_4arch9wavefront6targetE0EEEvT1_,"axG",@progbits,_ZN7rocprim17ROCPRIM_400000_NS6detail17trampoline_kernelINS0_14default_configENS1_33run_length_encode_config_selectorIijNS0_4plusIjEEEEZZNS1_33reduce_by_key_impl_wrapped_configILNS1_25lookback_scan_determinismE0ES3_S7_PKiNS0_17constant_iteratorIjlEEPiPlSF_S6_NS0_8equal_toIiEEEE10hipError_tPvRmT2_T3_mT4_T5_T6_T7_T8_P12ihipStream_tbENKUlT_T0_E_clISt17integral_constantIbLb0EESY_IbLb1EEEEDaSU_SV_EUlSU_E_NS1_11comp_targetILNS1_3genE10ELNS1_11target_archE1201ELNS1_3gpuE5ELNS1_3repE0EEENS1_30default_config_static_selectorELNS0_4arch9wavefront6targetE0EEEvT1_,comdat
	.protected	_ZN7rocprim17ROCPRIM_400000_NS6detail17trampoline_kernelINS0_14default_configENS1_33run_length_encode_config_selectorIijNS0_4plusIjEEEEZZNS1_33reduce_by_key_impl_wrapped_configILNS1_25lookback_scan_determinismE0ES3_S7_PKiNS0_17constant_iteratorIjlEEPiPlSF_S6_NS0_8equal_toIiEEEE10hipError_tPvRmT2_T3_mT4_T5_T6_T7_T8_P12ihipStream_tbENKUlT_T0_E_clISt17integral_constantIbLb0EESY_IbLb1EEEEDaSU_SV_EUlSU_E_NS1_11comp_targetILNS1_3genE10ELNS1_11target_archE1201ELNS1_3gpuE5ELNS1_3repE0EEENS1_30default_config_static_selectorELNS0_4arch9wavefront6targetE0EEEvT1_ ; -- Begin function _ZN7rocprim17ROCPRIM_400000_NS6detail17trampoline_kernelINS0_14default_configENS1_33run_length_encode_config_selectorIijNS0_4plusIjEEEEZZNS1_33reduce_by_key_impl_wrapped_configILNS1_25lookback_scan_determinismE0ES3_S7_PKiNS0_17constant_iteratorIjlEEPiPlSF_S6_NS0_8equal_toIiEEEE10hipError_tPvRmT2_T3_mT4_T5_T6_T7_T8_P12ihipStream_tbENKUlT_T0_E_clISt17integral_constantIbLb0EESY_IbLb1EEEEDaSU_SV_EUlSU_E_NS1_11comp_targetILNS1_3genE10ELNS1_11target_archE1201ELNS1_3gpuE5ELNS1_3repE0EEENS1_30default_config_static_selectorELNS0_4arch9wavefront6targetE0EEEvT1_
	.globl	_ZN7rocprim17ROCPRIM_400000_NS6detail17trampoline_kernelINS0_14default_configENS1_33run_length_encode_config_selectorIijNS0_4plusIjEEEEZZNS1_33reduce_by_key_impl_wrapped_configILNS1_25lookback_scan_determinismE0ES3_S7_PKiNS0_17constant_iteratorIjlEEPiPlSF_S6_NS0_8equal_toIiEEEE10hipError_tPvRmT2_T3_mT4_T5_T6_T7_T8_P12ihipStream_tbENKUlT_T0_E_clISt17integral_constantIbLb0EESY_IbLb1EEEEDaSU_SV_EUlSU_E_NS1_11comp_targetILNS1_3genE10ELNS1_11target_archE1201ELNS1_3gpuE5ELNS1_3repE0EEENS1_30default_config_static_selectorELNS0_4arch9wavefront6targetE0EEEvT1_
	.p2align	8
	.type	_ZN7rocprim17ROCPRIM_400000_NS6detail17trampoline_kernelINS0_14default_configENS1_33run_length_encode_config_selectorIijNS0_4plusIjEEEEZZNS1_33reduce_by_key_impl_wrapped_configILNS1_25lookback_scan_determinismE0ES3_S7_PKiNS0_17constant_iteratorIjlEEPiPlSF_S6_NS0_8equal_toIiEEEE10hipError_tPvRmT2_T3_mT4_T5_T6_T7_T8_P12ihipStream_tbENKUlT_T0_E_clISt17integral_constantIbLb0EESY_IbLb1EEEEDaSU_SV_EUlSU_E_NS1_11comp_targetILNS1_3genE10ELNS1_11target_archE1201ELNS1_3gpuE5ELNS1_3repE0EEENS1_30default_config_static_selectorELNS0_4arch9wavefront6targetE0EEEvT1_,@function
_ZN7rocprim17ROCPRIM_400000_NS6detail17trampoline_kernelINS0_14default_configENS1_33run_length_encode_config_selectorIijNS0_4plusIjEEEEZZNS1_33reduce_by_key_impl_wrapped_configILNS1_25lookback_scan_determinismE0ES3_S7_PKiNS0_17constant_iteratorIjlEEPiPlSF_S6_NS0_8equal_toIiEEEE10hipError_tPvRmT2_T3_mT4_T5_T6_T7_T8_P12ihipStream_tbENKUlT_T0_E_clISt17integral_constantIbLb0EESY_IbLb1EEEEDaSU_SV_EUlSU_E_NS1_11comp_targetILNS1_3genE10ELNS1_11target_archE1201ELNS1_3gpuE5ELNS1_3repE0EEENS1_30default_config_static_selectorELNS0_4arch9wavefront6targetE0EEEvT1_: ; @_ZN7rocprim17ROCPRIM_400000_NS6detail17trampoline_kernelINS0_14default_configENS1_33run_length_encode_config_selectorIijNS0_4plusIjEEEEZZNS1_33reduce_by_key_impl_wrapped_configILNS1_25lookback_scan_determinismE0ES3_S7_PKiNS0_17constant_iteratorIjlEEPiPlSF_S6_NS0_8equal_toIiEEEE10hipError_tPvRmT2_T3_mT4_T5_T6_T7_T8_P12ihipStream_tbENKUlT_T0_E_clISt17integral_constantIbLb0EESY_IbLb1EEEEDaSU_SV_EUlSU_E_NS1_11comp_targetILNS1_3genE10ELNS1_11target_archE1201ELNS1_3gpuE5ELNS1_3repE0EEENS1_30default_config_static_selectorELNS0_4arch9wavefront6targetE0EEEvT1_
; %bb.0:
	.section	.rodata,"a",@progbits
	.p2align	6, 0x0
	.amdhsa_kernel _ZN7rocprim17ROCPRIM_400000_NS6detail17trampoline_kernelINS0_14default_configENS1_33run_length_encode_config_selectorIijNS0_4plusIjEEEEZZNS1_33reduce_by_key_impl_wrapped_configILNS1_25lookback_scan_determinismE0ES3_S7_PKiNS0_17constant_iteratorIjlEEPiPlSF_S6_NS0_8equal_toIiEEEE10hipError_tPvRmT2_T3_mT4_T5_T6_T7_T8_P12ihipStream_tbENKUlT_T0_E_clISt17integral_constantIbLb0EESY_IbLb1EEEEDaSU_SV_EUlSU_E_NS1_11comp_targetILNS1_3genE10ELNS1_11target_archE1201ELNS1_3gpuE5ELNS1_3repE0EEENS1_30default_config_static_selectorELNS0_4arch9wavefront6targetE0EEEvT1_
		.amdhsa_group_segment_fixed_size 0
		.amdhsa_private_segment_fixed_size 0
		.amdhsa_kernarg_size 128
		.amdhsa_user_sgpr_count 2
		.amdhsa_user_sgpr_dispatch_ptr 0
		.amdhsa_user_sgpr_queue_ptr 0
		.amdhsa_user_sgpr_kernarg_segment_ptr 1
		.amdhsa_user_sgpr_dispatch_id 0
		.amdhsa_user_sgpr_kernarg_preload_length 0
		.amdhsa_user_sgpr_kernarg_preload_offset 0
		.amdhsa_user_sgpr_private_segment_size 0
		.amdhsa_wavefront_size32 1
		.amdhsa_uses_dynamic_stack 0
		.amdhsa_enable_private_segment 0
		.amdhsa_system_sgpr_workgroup_id_x 1
		.amdhsa_system_sgpr_workgroup_id_y 0
		.amdhsa_system_sgpr_workgroup_id_z 0
		.amdhsa_system_sgpr_workgroup_info 0
		.amdhsa_system_vgpr_workitem_id 0
		.amdhsa_next_free_vgpr 1
		.amdhsa_next_free_sgpr 1
		.amdhsa_named_barrier_count 0
		.amdhsa_reserve_vcc 0
		.amdhsa_float_round_mode_32 0
		.amdhsa_float_round_mode_16_64 0
		.amdhsa_float_denorm_mode_32 3
		.amdhsa_float_denorm_mode_16_64 3
		.amdhsa_fp16_overflow 0
		.amdhsa_memory_ordered 1
		.amdhsa_forward_progress 1
		.amdhsa_inst_pref_size 0
		.amdhsa_round_robin_scheduling 0
		.amdhsa_exception_fp_ieee_invalid_op 0
		.amdhsa_exception_fp_denorm_src 0
		.amdhsa_exception_fp_ieee_div_zero 0
		.amdhsa_exception_fp_ieee_overflow 0
		.amdhsa_exception_fp_ieee_underflow 0
		.amdhsa_exception_fp_ieee_inexact 0
		.amdhsa_exception_int_div_zero 0
	.end_amdhsa_kernel
	.section	.text._ZN7rocprim17ROCPRIM_400000_NS6detail17trampoline_kernelINS0_14default_configENS1_33run_length_encode_config_selectorIijNS0_4plusIjEEEEZZNS1_33reduce_by_key_impl_wrapped_configILNS1_25lookback_scan_determinismE0ES3_S7_PKiNS0_17constant_iteratorIjlEEPiPlSF_S6_NS0_8equal_toIiEEEE10hipError_tPvRmT2_T3_mT4_T5_T6_T7_T8_P12ihipStream_tbENKUlT_T0_E_clISt17integral_constantIbLb0EESY_IbLb1EEEEDaSU_SV_EUlSU_E_NS1_11comp_targetILNS1_3genE10ELNS1_11target_archE1201ELNS1_3gpuE5ELNS1_3repE0EEENS1_30default_config_static_selectorELNS0_4arch9wavefront6targetE0EEEvT1_,"axG",@progbits,_ZN7rocprim17ROCPRIM_400000_NS6detail17trampoline_kernelINS0_14default_configENS1_33run_length_encode_config_selectorIijNS0_4plusIjEEEEZZNS1_33reduce_by_key_impl_wrapped_configILNS1_25lookback_scan_determinismE0ES3_S7_PKiNS0_17constant_iteratorIjlEEPiPlSF_S6_NS0_8equal_toIiEEEE10hipError_tPvRmT2_T3_mT4_T5_T6_T7_T8_P12ihipStream_tbENKUlT_T0_E_clISt17integral_constantIbLb0EESY_IbLb1EEEEDaSU_SV_EUlSU_E_NS1_11comp_targetILNS1_3genE10ELNS1_11target_archE1201ELNS1_3gpuE5ELNS1_3repE0EEENS1_30default_config_static_selectorELNS0_4arch9wavefront6targetE0EEEvT1_,comdat
.Lfunc_end474:
	.size	_ZN7rocprim17ROCPRIM_400000_NS6detail17trampoline_kernelINS0_14default_configENS1_33run_length_encode_config_selectorIijNS0_4plusIjEEEEZZNS1_33reduce_by_key_impl_wrapped_configILNS1_25lookback_scan_determinismE0ES3_S7_PKiNS0_17constant_iteratorIjlEEPiPlSF_S6_NS0_8equal_toIiEEEE10hipError_tPvRmT2_T3_mT4_T5_T6_T7_T8_P12ihipStream_tbENKUlT_T0_E_clISt17integral_constantIbLb0EESY_IbLb1EEEEDaSU_SV_EUlSU_E_NS1_11comp_targetILNS1_3genE10ELNS1_11target_archE1201ELNS1_3gpuE5ELNS1_3repE0EEENS1_30default_config_static_selectorELNS0_4arch9wavefront6targetE0EEEvT1_, .Lfunc_end474-_ZN7rocprim17ROCPRIM_400000_NS6detail17trampoline_kernelINS0_14default_configENS1_33run_length_encode_config_selectorIijNS0_4plusIjEEEEZZNS1_33reduce_by_key_impl_wrapped_configILNS1_25lookback_scan_determinismE0ES3_S7_PKiNS0_17constant_iteratorIjlEEPiPlSF_S6_NS0_8equal_toIiEEEE10hipError_tPvRmT2_T3_mT4_T5_T6_T7_T8_P12ihipStream_tbENKUlT_T0_E_clISt17integral_constantIbLb0EESY_IbLb1EEEEDaSU_SV_EUlSU_E_NS1_11comp_targetILNS1_3genE10ELNS1_11target_archE1201ELNS1_3gpuE5ELNS1_3repE0EEENS1_30default_config_static_selectorELNS0_4arch9wavefront6targetE0EEEvT1_
                                        ; -- End function
	.set _ZN7rocprim17ROCPRIM_400000_NS6detail17trampoline_kernelINS0_14default_configENS1_33run_length_encode_config_selectorIijNS0_4plusIjEEEEZZNS1_33reduce_by_key_impl_wrapped_configILNS1_25lookback_scan_determinismE0ES3_S7_PKiNS0_17constant_iteratorIjlEEPiPlSF_S6_NS0_8equal_toIiEEEE10hipError_tPvRmT2_T3_mT4_T5_T6_T7_T8_P12ihipStream_tbENKUlT_T0_E_clISt17integral_constantIbLb0EESY_IbLb1EEEEDaSU_SV_EUlSU_E_NS1_11comp_targetILNS1_3genE10ELNS1_11target_archE1201ELNS1_3gpuE5ELNS1_3repE0EEENS1_30default_config_static_selectorELNS0_4arch9wavefront6targetE0EEEvT1_.num_vgpr, 0
	.set _ZN7rocprim17ROCPRIM_400000_NS6detail17trampoline_kernelINS0_14default_configENS1_33run_length_encode_config_selectorIijNS0_4plusIjEEEEZZNS1_33reduce_by_key_impl_wrapped_configILNS1_25lookback_scan_determinismE0ES3_S7_PKiNS0_17constant_iteratorIjlEEPiPlSF_S6_NS0_8equal_toIiEEEE10hipError_tPvRmT2_T3_mT4_T5_T6_T7_T8_P12ihipStream_tbENKUlT_T0_E_clISt17integral_constantIbLb0EESY_IbLb1EEEEDaSU_SV_EUlSU_E_NS1_11comp_targetILNS1_3genE10ELNS1_11target_archE1201ELNS1_3gpuE5ELNS1_3repE0EEENS1_30default_config_static_selectorELNS0_4arch9wavefront6targetE0EEEvT1_.num_agpr, 0
	.set _ZN7rocprim17ROCPRIM_400000_NS6detail17trampoline_kernelINS0_14default_configENS1_33run_length_encode_config_selectorIijNS0_4plusIjEEEEZZNS1_33reduce_by_key_impl_wrapped_configILNS1_25lookback_scan_determinismE0ES3_S7_PKiNS0_17constant_iteratorIjlEEPiPlSF_S6_NS0_8equal_toIiEEEE10hipError_tPvRmT2_T3_mT4_T5_T6_T7_T8_P12ihipStream_tbENKUlT_T0_E_clISt17integral_constantIbLb0EESY_IbLb1EEEEDaSU_SV_EUlSU_E_NS1_11comp_targetILNS1_3genE10ELNS1_11target_archE1201ELNS1_3gpuE5ELNS1_3repE0EEENS1_30default_config_static_selectorELNS0_4arch9wavefront6targetE0EEEvT1_.numbered_sgpr, 0
	.set _ZN7rocprim17ROCPRIM_400000_NS6detail17trampoline_kernelINS0_14default_configENS1_33run_length_encode_config_selectorIijNS0_4plusIjEEEEZZNS1_33reduce_by_key_impl_wrapped_configILNS1_25lookback_scan_determinismE0ES3_S7_PKiNS0_17constant_iteratorIjlEEPiPlSF_S6_NS0_8equal_toIiEEEE10hipError_tPvRmT2_T3_mT4_T5_T6_T7_T8_P12ihipStream_tbENKUlT_T0_E_clISt17integral_constantIbLb0EESY_IbLb1EEEEDaSU_SV_EUlSU_E_NS1_11comp_targetILNS1_3genE10ELNS1_11target_archE1201ELNS1_3gpuE5ELNS1_3repE0EEENS1_30default_config_static_selectorELNS0_4arch9wavefront6targetE0EEEvT1_.num_named_barrier, 0
	.set _ZN7rocprim17ROCPRIM_400000_NS6detail17trampoline_kernelINS0_14default_configENS1_33run_length_encode_config_selectorIijNS0_4plusIjEEEEZZNS1_33reduce_by_key_impl_wrapped_configILNS1_25lookback_scan_determinismE0ES3_S7_PKiNS0_17constant_iteratorIjlEEPiPlSF_S6_NS0_8equal_toIiEEEE10hipError_tPvRmT2_T3_mT4_T5_T6_T7_T8_P12ihipStream_tbENKUlT_T0_E_clISt17integral_constantIbLb0EESY_IbLb1EEEEDaSU_SV_EUlSU_E_NS1_11comp_targetILNS1_3genE10ELNS1_11target_archE1201ELNS1_3gpuE5ELNS1_3repE0EEENS1_30default_config_static_selectorELNS0_4arch9wavefront6targetE0EEEvT1_.private_seg_size, 0
	.set _ZN7rocprim17ROCPRIM_400000_NS6detail17trampoline_kernelINS0_14default_configENS1_33run_length_encode_config_selectorIijNS0_4plusIjEEEEZZNS1_33reduce_by_key_impl_wrapped_configILNS1_25lookback_scan_determinismE0ES3_S7_PKiNS0_17constant_iteratorIjlEEPiPlSF_S6_NS0_8equal_toIiEEEE10hipError_tPvRmT2_T3_mT4_T5_T6_T7_T8_P12ihipStream_tbENKUlT_T0_E_clISt17integral_constantIbLb0EESY_IbLb1EEEEDaSU_SV_EUlSU_E_NS1_11comp_targetILNS1_3genE10ELNS1_11target_archE1201ELNS1_3gpuE5ELNS1_3repE0EEENS1_30default_config_static_selectorELNS0_4arch9wavefront6targetE0EEEvT1_.uses_vcc, 0
	.set _ZN7rocprim17ROCPRIM_400000_NS6detail17trampoline_kernelINS0_14default_configENS1_33run_length_encode_config_selectorIijNS0_4plusIjEEEEZZNS1_33reduce_by_key_impl_wrapped_configILNS1_25lookback_scan_determinismE0ES3_S7_PKiNS0_17constant_iteratorIjlEEPiPlSF_S6_NS0_8equal_toIiEEEE10hipError_tPvRmT2_T3_mT4_T5_T6_T7_T8_P12ihipStream_tbENKUlT_T0_E_clISt17integral_constantIbLb0EESY_IbLb1EEEEDaSU_SV_EUlSU_E_NS1_11comp_targetILNS1_3genE10ELNS1_11target_archE1201ELNS1_3gpuE5ELNS1_3repE0EEENS1_30default_config_static_selectorELNS0_4arch9wavefront6targetE0EEEvT1_.uses_flat_scratch, 0
	.set _ZN7rocprim17ROCPRIM_400000_NS6detail17trampoline_kernelINS0_14default_configENS1_33run_length_encode_config_selectorIijNS0_4plusIjEEEEZZNS1_33reduce_by_key_impl_wrapped_configILNS1_25lookback_scan_determinismE0ES3_S7_PKiNS0_17constant_iteratorIjlEEPiPlSF_S6_NS0_8equal_toIiEEEE10hipError_tPvRmT2_T3_mT4_T5_T6_T7_T8_P12ihipStream_tbENKUlT_T0_E_clISt17integral_constantIbLb0EESY_IbLb1EEEEDaSU_SV_EUlSU_E_NS1_11comp_targetILNS1_3genE10ELNS1_11target_archE1201ELNS1_3gpuE5ELNS1_3repE0EEENS1_30default_config_static_selectorELNS0_4arch9wavefront6targetE0EEEvT1_.has_dyn_sized_stack, 0
	.set _ZN7rocprim17ROCPRIM_400000_NS6detail17trampoline_kernelINS0_14default_configENS1_33run_length_encode_config_selectorIijNS0_4plusIjEEEEZZNS1_33reduce_by_key_impl_wrapped_configILNS1_25lookback_scan_determinismE0ES3_S7_PKiNS0_17constant_iteratorIjlEEPiPlSF_S6_NS0_8equal_toIiEEEE10hipError_tPvRmT2_T3_mT4_T5_T6_T7_T8_P12ihipStream_tbENKUlT_T0_E_clISt17integral_constantIbLb0EESY_IbLb1EEEEDaSU_SV_EUlSU_E_NS1_11comp_targetILNS1_3genE10ELNS1_11target_archE1201ELNS1_3gpuE5ELNS1_3repE0EEENS1_30default_config_static_selectorELNS0_4arch9wavefront6targetE0EEEvT1_.has_recursion, 0
	.set _ZN7rocprim17ROCPRIM_400000_NS6detail17trampoline_kernelINS0_14default_configENS1_33run_length_encode_config_selectorIijNS0_4plusIjEEEEZZNS1_33reduce_by_key_impl_wrapped_configILNS1_25lookback_scan_determinismE0ES3_S7_PKiNS0_17constant_iteratorIjlEEPiPlSF_S6_NS0_8equal_toIiEEEE10hipError_tPvRmT2_T3_mT4_T5_T6_T7_T8_P12ihipStream_tbENKUlT_T0_E_clISt17integral_constantIbLb0EESY_IbLb1EEEEDaSU_SV_EUlSU_E_NS1_11comp_targetILNS1_3genE10ELNS1_11target_archE1201ELNS1_3gpuE5ELNS1_3repE0EEENS1_30default_config_static_selectorELNS0_4arch9wavefront6targetE0EEEvT1_.has_indirect_call, 0
	.section	.AMDGPU.csdata,"",@progbits
; Kernel info:
; codeLenInByte = 0
; TotalNumSgprs: 0
; NumVgprs: 0
; ScratchSize: 0
; MemoryBound: 0
; FloatMode: 240
; IeeeMode: 1
; LDSByteSize: 0 bytes/workgroup (compile time only)
; SGPRBlocks: 0
; VGPRBlocks: 0
; NumSGPRsForWavesPerEU: 1
; NumVGPRsForWavesPerEU: 1
; NamedBarCnt: 0
; Occupancy: 16
; WaveLimiterHint : 0
; COMPUTE_PGM_RSRC2:SCRATCH_EN: 0
; COMPUTE_PGM_RSRC2:USER_SGPR: 2
; COMPUTE_PGM_RSRC2:TRAP_HANDLER: 0
; COMPUTE_PGM_RSRC2:TGID_X_EN: 1
; COMPUTE_PGM_RSRC2:TGID_Y_EN: 0
; COMPUTE_PGM_RSRC2:TGID_Z_EN: 0
; COMPUTE_PGM_RSRC2:TIDIG_COMP_CNT: 0
	.section	.text._ZN7rocprim17ROCPRIM_400000_NS6detail17trampoline_kernelINS0_14default_configENS1_33run_length_encode_config_selectorIijNS0_4plusIjEEEEZZNS1_33reduce_by_key_impl_wrapped_configILNS1_25lookback_scan_determinismE0ES3_S7_PKiNS0_17constant_iteratorIjlEEPiPlSF_S6_NS0_8equal_toIiEEEE10hipError_tPvRmT2_T3_mT4_T5_T6_T7_T8_P12ihipStream_tbENKUlT_T0_E_clISt17integral_constantIbLb0EESY_IbLb1EEEEDaSU_SV_EUlSU_E_NS1_11comp_targetILNS1_3genE10ELNS1_11target_archE1200ELNS1_3gpuE4ELNS1_3repE0EEENS1_30default_config_static_selectorELNS0_4arch9wavefront6targetE0EEEvT1_,"axG",@progbits,_ZN7rocprim17ROCPRIM_400000_NS6detail17trampoline_kernelINS0_14default_configENS1_33run_length_encode_config_selectorIijNS0_4plusIjEEEEZZNS1_33reduce_by_key_impl_wrapped_configILNS1_25lookback_scan_determinismE0ES3_S7_PKiNS0_17constant_iteratorIjlEEPiPlSF_S6_NS0_8equal_toIiEEEE10hipError_tPvRmT2_T3_mT4_T5_T6_T7_T8_P12ihipStream_tbENKUlT_T0_E_clISt17integral_constantIbLb0EESY_IbLb1EEEEDaSU_SV_EUlSU_E_NS1_11comp_targetILNS1_3genE10ELNS1_11target_archE1200ELNS1_3gpuE4ELNS1_3repE0EEENS1_30default_config_static_selectorELNS0_4arch9wavefront6targetE0EEEvT1_,comdat
	.protected	_ZN7rocprim17ROCPRIM_400000_NS6detail17trampoline_kernelINS0_14default_configENS1_33run_length_encode_config_selectorIijNS0_4plusIjEEEEZZNS1_33reduce_by_key_impl_wrapped_configILNS1_25lookback_scan_determinismE0ES3_S7_PKiNS0_17constant_iteratorIjlEEPiPlSF_S6_NS0_8equal_toIiEEEE10hipError_tPvRmT2_T3_mT4_T5_T6_T7_T8_P12ihipStream_tbENKUlT_T0_E_clISt17integral_constantIbLb0EESY_IbLb1EEEEDaSU_SV_EUlSU_E_NS1_11comp_targetILNS1_3genE10ELNS1_11target_archE1200ELNS1_3gpuE4ELNS1_3repE0EEENS1_30default_config_static_selectorELNS0_4arch9wavefront6targetE0EEEvT1_ ; -- Begin function _ZN7rocprim17ROCPRIM_400000_NS6detail17trampoline_kernelINS0_14default_configENS1_33run_length_encode_config_selectorIijNS0_4plusIjEEEEZZNS1_33reduce_by_key_impl_wrapped_configILNS1_25lookback_scan_determinismE0ES3_S7_PKiNS0_17constant_iteratorIjlEEPiPlSF_S6_NS0_8equal_toIiEEEE10hipError_tPvRmT2_T3_mT4_T5_T6_T7_T8_P12ihipStream_tbENKUlT_T0_E_clISt17integral_constantIbLb0EESY_IbLb1EEEEDaSU_SV_EUlSU_E_NS1_11comp_targetILNS1_3genE10ELNS1_11target_archE1200ELNS1_3gpuE4ELNS1_3repE0EEENS1_30default_config_static_selectorELNS0_4arch9wavefront6targetE0EEEvT1_
	.globl	_ZN7rocprim17ROCPRIM_400000_NS6detail17trampoline_kernelINS0_14default_configENS1_33run_length_encode_config_selectorIijNS0_4plusIjEEEEZZNS1_33reduce_by_key_impl_wrapped_configILNS1_25lookback_scan_determinismE0ES3_S7_PKiNS0_17constant_iteratorIjlEEPiPlSF_S6_NS0_8equal_toIiEEEE10hipError_tPvRmT2_T3_mT4_T5_T6_T7_T8_P12ihipStream_tbENKUlT_T0_E_clISt17integral_constantIbLb0EESY_IbLb1EEEEDaSU_SV_EUlSU_E_NS1_11comp_targetILNS1_3genE10ELNS1_11target_archE1200ELNS1_3gpuE4ELNS1_3repE0EEENS1_30default_config_static_selectorELNS0_4arch9wavefront6targetE0EEEvT1_
	.p2align	8
	.type	_ZN7rocprim17ROCPRIM_400000_NS6detail17trampoline_kernelINS0_14default_configENS1_33run_length_encode_config_selectorIijNS0_4plusIjEEEEZZNS1_33reduce_by_key_impl_wrapped_configILNS1_25lookback_scan_determinismE0ES3_S7_PKiNS0_17constant_iteratorIjlEEPiPlSF_S6_NS0_8equal_toIiEEEE10hipError_tPvRmT2_T3_mT4_T5_T6_T7_T8_P12ihipStream_tbENKUlT_T0_E_clISt17integral_constantIbLb0EESY_IbLb1EEEEDaSU_SV_EUlSU_E_NS1_11comp_targetILNS1_3genE10ELNS1_11target_archE1200ELNS1_3gpuE4ELNS1_3repE0EEENS1_30default_config_static_selectorELNS0_4arch9wavefront6targetE0EEEvT1_,@function
_ZN7rocprim17ROCPRIM_400000_NS6detail17trampoline_kernelINS0_14default_configENS1_33run_length_encode_config_selectorIijNS0_4plusIjEEEEZZNS1_33reduce_by_key_impl_wrapped_configILNS1_25lookback_scan_determinismE0ES3_S7_PKiNS0_17constant_iteratorIjlEEPiPlSF_S6_NS0_8equal_toIiEEEE10hipError_tPvRmT2_T3_mT4_T5_T6_T7_T8_P12ihipStream_tbENKUlT_T0_E_clISt17integral_constantIbLb0EESY_IbLb1EEEEDaSU_SV_EUlSU_E_NS1_11comp_targetILNS1_3genE10ELNS1_11target_archE1200ELNS1_3gpuE4ELNS1_3repE0EEENS1_30default_config_static_selectorELNS0_4arch9wavefront6targetE0EEEvT1_: ; @_ZN7rocprim17ROCPRIM_400000_NS6detail17trampoline_kernelINS0_14default_configENS1_33run_length_encode_config_selectorIijNS0_4plusIjEEEEZZNS1_33reduce_by_key_impl_wrapped_configILNS1_25lookback_scan_determinismE0ES3_S7_PKiNS0_17constant_iteratorIjlEEPiPlSF_S6_NS0_8equal_toIiEEEE10hipError_tPvRmT2_T3_mT4_T5_T6_T7_T8_P12ihipStream_tbENKUlT_T0_E_clISt17integral_constantIbLb0EESY_IbLb1EEEEDaSU_SV_EUlSU_E_NS1_11comp_targetILNS1_3genE10ELNS1_11target_archE1200ELNS1_3gpuE4ELNS1_3repE0EEENS1_30default_config_static_selectorELNS0_4arch9wavefront6targetE0EEEvT1_
; %bb.0:
	.section	.rodata,"a",@progbits
	.p2align	6, 0x0
	.amdhsa_kernel _ZN7rocprim17ROCPRIM_400000_NS6detail17trampoline_kernelINS0_14default_configENS1_33run_length_encode_config_selectorIijNS0_4plusIjEEEEZZNS1_33reduce_by_key_impl_wrapped_configILNS1_25lookback_scan_determinismE0ES3_S7_PKiNS0_17constant_iteratorIjlEEPiPlSF_S6_NS0_8equal_toIiEEEE10hipError_tPvRmT2_T3_mT4_T5_T6_T7_T8_P12ihipStream_tbENKUlT_T0_E_clISt17integral_constantIbLb0EESY_IbLb1EEEEDaSU_SV_EUlSU_E_NS1_11comp_targetILNS1_3genE10ELNS1_11target_archE1200ELNS1_3gpuE4ELNS1_3repE0EEENS1_30default_config_static_selectorELNS0_4arch9wavefront6targetE0EEEvT1_
		.amdhsa_group_segment_fixed_size 0
		.amdhsa_private_segment_fixed_size 0
		.amdhsa_kernarg_size 128
		.amdhsa_user_sgpr_count 2
		.amdhsa_user_sgpr_dispatch_ptr 0
		.amdhsa_user_sgpr_queue_ptr 0
		.amdhsa_user_sgpr_kernarg_segment_ptr 1
		.amdhsa_user_sgpr_dispatch_id 0
		.amdhsa_user_sgpr_kernarg_preload_length 0
		.amdhsa_user_sgpr_kernarg_preload_offset 0
		.amdhsa_user_sgpr_private_segment_size 0
		.amdhsa_wavefront_size32 1
		.amdhsa_uses_dynamic_stack 0
		.amdhsa_enable_private_segment 0
		.amdhsa_system_sgpr_workgroup_id_x 1
		.amdhsa_system_sgpr_workgroup_id_y 0
		.amdhsa_system_sgpr_workgroup_id_z 0
		.amdhsa_system_sgpr_workgroup_info 0
		.amdhsa_system_vgpr_workitem_id 0
		.amdhsa_next_free_vgpr 1
		.amdhsa_next_free_sgpr 1
		.amdhsa_named_barrier_count 0
		.amdhsa_reserve_vcc 0
		.amdhsa_float_round_mode_32 0
		.amdhsa_float_round_mode_16_64 0
		.amdhsa_float_denorm_mode_32 3
		.amdhsa_float_denorm_mode_16_64 3
		.amdhsa_fp16_overflow 0
		.amdhsa_memory_ordered 1
		.amdhsa_forward_progress 1
		.amdhsa_inst_pref_size 0
		.amdhsa_round_robin_scheduling 0
		.amdhsa_exception_fp_ieee_invalid_op 0
		.amdhsa_exception_fp_denorm_src 0
		.amdhsa_exception_fp_ieee_div_zero 0
		.amdhsa_exception_fp_ieee_overflow 0
		.amdhsa_exception_fp_ieee_underflow 0
		.amdhsa_exception_fp_ieee_inexact 0
		.amdhsa_exception_int_div_zero 0
	.end_amdhsa_kernel
	.section	.text._ZN7rocprim17ROCPRIM_400000_NS6detail17trampoline_kernelINS0_14default_configENS1_33run_length_encode_config_selectorIijNS0_4plusIjEEEEZZNS1_33reduce_by_key_impl_wrapped_configILNS1_25lookback_scan_determinismE0ES3_S7_PKiNS0_17constant_iteratorIjlEEPiPlSF_S6_NS0_8equal_toIiEEEE10hipError_tPvRmT2_T3_mT4_T5_T6_T7_T8_P12ihipStream_tbENKUlT_T0_E_clISt17integral_constantIbLb0EESY_IbLb1EEEEDaSU_SV_EUlSU_E_NS1_11comp_targetILNS1_3genE10ELNS1_11target_archE1200ELNS1_3gpuE4ELNS1_3repE0EEENS1_30default_config_static_selectorELNS0_4arch9wavefront6targetE0EEEvT1_,"axG",@progbits,_ZN7rocprim17ROCPRIM_400000_NS6detail17trampoline_kernelINS0_14default_configENS1_33run_length_encode_config_selectorIijNS0_4plusIjEEEEZZNS1_33reduce_by_key_impl_wrapped_configILNS1_25lookback_scan_determinismE0ES3_S7_PKiNS0_17constant_iteratorIjlEEPiPlSF_S6_NS0_8equal_toIiEEEE10hipError_tPvRmT2_T3_mT4_T5_T6_T7_T8_P12ihipStream_tbENKUlT_T0_E_clISt17integral_constantIbLb0EESY_IbLb1EEEEDaSU_SV_EUlSU_E_NS1_11comp_targetILNS1_3genE10ELNS1_11target_archE1200ELNS1_3gpuE4ELNS1_3repE0EEENS1_30default_config_static_selectorELNS0_4arch9wavefront6targetE0EEEvT1_,comdat
.Lfunc_end475:
	.size	_ZN7rocprim17ROCPRIM_400000_NS6detail17trampoline_kernelINS0_14default_configENS1_33run_length_encode_config_selectorIijNS0_4plusIjEEEEZZNS1_33reduce_by_key_impl_wrapped_configILNS1_25lookback_scan_determinismE0ES3_S7_PKiNS0_17constant_iteratorIjlEEPiPlSF_S6_NS0_8equal_toIiEEEE10hipError_tPvRmT2_T3_mT4_T5_T6_T7_T8_P12ihipStream_tbENKUlT_T0_E_clISt17integral_constantIbLb0EESY_IbLb1EEEEDaSU_SV_EUlSU_E_NS1_11comp_targetILNS1_3genE10ELNS1_11target_archE1200ELNS1_3gpuE4ELNS1_3repE0EEENS1_30default_config_static_selectorELNS0_4arch9wavefront6targetE0EEEvT1_, .Lfunc_end475-_ZN7rocprim17ROCPRIM_400000_NS6detail17trampoline_kernelINS0_14default_configENS1_33run_length_encode_config_selectorIijNS0_4plusIjEEEEZZNS1_33reduce_by_key_impl_wrapped_configILNS1_25lookback_scan_determinismE0ES3_S7_PKiNS0_17constant_iteratorIjlEEPiPlSF_S6_NS0_8equal_toIiEEEE10hipError_tPvRmT2_T3_mT4_T5_T6_T7_T8_P12ihipStream_tbENKUlT_T0_E_clISt17integral_constantIbLb0EESY_IbLb1EEEEDaSU_SV_EUlSU_E_NS1_11comp_targetILNS1_3genE10ELNS1_11target_archE1200ELNS1_3gpuE4ELNS1_3repE0EEENS1_30default_config_static_selectorELNS0_4arch9wavefront6targetE0EEEvT1_
                                        ; -- End function
	.set _ZN7rocprim17ROCPRIM_400000_NS6detail17trampoline_kernelINS0_14default_configENS1_33run_length_encode_config_selectorIijNS0_4plusIjEEEEZZNS1_33reduce_by_key_impl_wrapped_configILNS1_25lookback_scan_determinismE0ES3_S7_PKiNS0_17constant_iteratorIjlEEPiPlSF_S6_NS0_8equal_toIiEEEE10hipError_tPvRmT2_T3_mT4_T5_T6_T7_T8_P12ihipStream_tbENKUlT_T0_E_clISt17integral_constantIbLb0EESY_IbLb1EEEEDaSU_SV_EUlSU_E_NS1_11comp_targetILNS1_3genE10ELNS1_11target_archE1200ELNS1_3gpuE4ELNS1_3repE0EEENS1_30default_config_static_selectorELNS0_4arch9wavefront6targetE0EEEvT1_.num_vgpr, 0
	.set _ZN7rocprim17ROCPRIM_400000_NS6detail17trampoline_kernelINS0_14default_configENS1_33run_length_encode_config_selectorIijNS0_4plusIjEEEEZZNS1_33reduce_by_key_impl_wrapped_configILNS1_25lookback_scan_determinismE0ES3_S7_PKiNS0_17constant_iteratorIjlEEPiPlSF_S6_NS0_8equal_toIiEEEE10hipError_tPvRmT2_T3_mT4_T5_T6_T7_T8_P12ihipStream_tbENKUlT_T0_E_clISt17integral_constantIbLb0EESY_IbLb1EEEEDaSU_SV_EUlSU_E_NS1_11comp_targetILNS1_3genE10ELNS1_11target_archE1200ELNS1_3gpuE4ELNS1_3repE0EEENS1_30default_config_static_selectorELNS0_4arch9wavefront6targetE0EEEvT1_.num_agpr, 0
	.set _ZN7rocprim17ROCPRIM_400000_NS6detail17trampoline_kernelINS0_14default_configENS1_33run_length_encode_config_selectorIijNS0_4plusIjEEEEZZNS1_33reduce_by_key_impl_wrapped_configILNS1_25lookback_scan_determinismE0ES3_S7_PKiNS0_17constant_iteratorIjlEEPiPlSF_S6_NS0_8equal_toIiEEEE10hipError_tPvRmT2_T3_mT4_T5_T6_T7_T8_P12ihipStream_tbENKUlT_T0_E_clISt17integral_constantIbLb0EESY_IbLb1EEEEDaSU_SV_EUlSU_E_NS1_11comp_targetILNS1_3genE10ELNS1_11target_archE1200ELNS1_3gpuE4ELNS1_3repE0EEENS1_30default_config_static_selectorELNS0_4arch9wavefront6targetE0EEEvT1_.numbered_sgpr, 0
	.set _ZN7rocprim17ROCPRIM_400000_NS6detail17trampoline_kernelINS0_14default_configENS1_33run_length_encode_config_selectorIijNS0_4plusIjEEEEZZNS1_33reduce_by_key_impl_wrapped_configILNS1_25lookback_scan_determinismE0ES3_S7_PKiNS0_17constant_iteratorIjlEEPiPlSF_S6_NS0_8equal_toIiEEEE10hipError_tPvRmT2_T3_mT4_T5_T6_T7_T8_P12ihipStream_tbENKUlT_T0_E_clISt17integral_constantIbLb0EESY_IbLb1EEEEDaSU_SV_EUlSU_E_NS1_11comp_targetILNS1_3genE10ELNS1_11target_archE1200ELNS1_3gpuE4ELNS1_3repE0EEENS1_30default_config_static_selectorELNS0_4arch9wavefront6targetE0EEEvT1_.num_named_barrier, 0
	.set _ZN7rocprim17ROCPRIM_400000_NS6detail17trampoline_kernelINS0_14default_configENS1_33run_length_encode_config_selectorIijNS0_4plusIjEEEEZZNS1_33reduce_by_key_impl_wrapped_configILNS1_25lookback_scan_determinismE0ES3_S7_PKiNS0_17constant_iteratorIjlEEPiPlSF_S6_NS0_8equal_toIiEEEE10hipError_tPvRmT2_T3_mT4_T5_T6_T7_T8_P12ihipStream_tbENKUlT_T0_E_clISt17integral_constantIbLb0EESY_IbLb1EEEEDaSU_SV_EUlSU_E_NS1_11comp_targetILNS1_3genE10ELNS1_11target_archE1200ELNS1_3gpuE4ELNS1_3repE0EEENS1_30default_config_static_selectorELNS0_4arch9wavefront6targetE0EEEvT1_.private_seg_size, 0
	.set _ZN7rocprim17ROCPRIM_400000_NS6detail17trampoline_kernelINS0_14default_configENS1_33run_length_encode_config_selectorIijNS0_4plusIjEEEEZZNS1_33reduce_by_key_impl_wrapped_configILNS1_25lookback_scan_determinismE0ES3_S7_PKiNS0_17constant_iteratorIjlEEPiPlSF_S6_NS0_8equal_toIiEEEE10hipError_tPvRmT2_T3_mT4_T5_T6_T7_T8_P12ihipStream_tbENKUlT_T0_E_clISt17integral_constantIbLb0EESY_IbLb1EEEEDaSU_SV_EUlSU_E_NS1_11comp_targetILNS1_3genE10ELNS1_11target_archE1200ELNS1_3gpuE4ELNS1_3repE0EEENS1_30default_config_static_selectorELNS0_4arch9wavefront6targetE0EEEvT1_.uses_vcc, 0
	.set _ZN7rocprim17ROCPRIM_400000_NS6detail17trampoline_kernelINS0_14default_configENS1_33run_length_encode_config_selectorIijNS0_4plusIjEEEEZZNS1_33reduce_by_key_impl_wrapped_configILNS1_25lookback_scan_determinismE0ES3_S7_PKiNS0_17constant_iteratorIjlEEPiPlSF_S6_NS0_8equal_toIiEEEE10hipError_tPvRmT2_T3_mT4_T5_T6_T7_T8_P12ihipStream_tbENKUlT_T0_E_clISt17integral_constantIbLb0EESY_IbLb1EEEEDaSU_SV_EUlSU_E_NS1_11comp_targetILNS1_3genE10ELNS1_11target_archE1200ELNS1_3gpuE4ELNS1_3repE0EEENS1_30default_config_static_selectorELNS0_4arch9wavefront6targetE0EEEvT1_.uses_flat_scratch, 0
	.set _ZN7rocprim17ROCPRIM_400000_NS6detail17trampoline_kernelINS0_14default_configENS1_33run_length_encode_config_selectorIijNS0_4plusIjEEEEZZNS1_33reduce_by_key_impl_wrapped_configILNS1_25lookback_scan_determinismE0ES3_S7_PKiNS0_17constant_iteratorIjlEEPiPlSF_S6_NS0_8equal_toIiEEEE10hipError_tPvRmT2_T3_mT4_T5_T6_T7_T8_P12ihipStream_tbENKUlT_T0_E_clISt17integral_constantIbLb0EESY_IbLb1EEEEDaSU_SV_EUlSU_E_NS1_11comp_targetILNS1_3genE10ELNS1_11target_archE1200ELNS1_3gpuE4ELNS1_3repE0EEENS1_30default_config_static_selectorELNS0_4arch9wavefront6targetE0EEEvT1_.has_dyn_sized_stack, 0
	.set _ZN7rocprim17ROCPRIM_400000_NS6detail17trampoline_kernelINS0_14default_configENS1_33run_length_encode_config_selectorIijNS0_4plusIjEEEEZZNS1_33reduce_by_key_impl_wrapped_configILNS1_25lookback_scan_determinismE0ES3_S7_PKiNS0_17constant_iteratorIjlEEPiPlSF_S6_NS0_8equal_toIiEEEE10hipError_tPvRmT2_T3_mT4_T5_T6_T7_T8_P12ihipStream_tbENKUlT_T0_E_clISt17integral_constantIbLb0EESY_IbLb1EEEEDaSU_SV_EUlSU_E_NS1_11comp_targetILNS1_3genE10ELNS1_11target_archE1200ELNS1_3gpuE4ELNS1_3repE0EEENS1_30default_config_static_selectorELNS0_4arch9wavefront6targetE0EEEvT1_.has_recursion, 0
	.set _ZN7rocprim17ROCPRIM_400000_NS6detail17trampoline_kernelINS0_14default_configENS1_33run_length_encode_config_selectorIijNS0_4plusIjEEEEZZNS1_33reduce_by_key_impl_wrapped_configILNS1_25lookback_scan_determinismE0ES3_S7_PKiNS0_17constant_iteratorIjlEEPiPlSF_S6_NS0_8equal_toIiEEEE10hipError_tPvRmT2_T3_mT4_T5_T6_T7_T8_P12ihipStream_tbENKUlT_T0_E_clISt17integral_constantIbLb0EESY_IbLb1EEEEDaSU_SV_EUlSU_E_NS1_11comp_targetILNS1_3genE10ELNS1_11target_archE1200ELNS1_3gpuE4ELNS1_3repE0EEENS1_30default_config_static_selectorELNS0_4arch9wavefront6targetE0EEEvT1_.has_indirect_call, 0
	.section	.AMDGPU.csdata,"",@progbits
; Kernel info:
; codeLenInByte = 0
; TotalNumSgprs: 0
; NumVgprs: 0
; ScratchSize: 0
; MemoryBound: 0
; FloatMode: 240
; IeeeMode: 1
; LDSByteSize: 0 bytes/workgroup (compile time only)
; SGPRBlocks: 0
; VGPRBlocks: 0
; NumSGPRsForWavesPerEU: 1
; NumVGPRsForWavesPerEU: 1
; NamedBarCnt: 0
; Occupancy: 16
; WaveLimiterHint : 0
; COMPUTE_PGM_RSRC2:SCRATCH_EN: 0
; COMPUTE_PGM_RSRC2:USER_SGPR: 2
; COMPUTE_PGM_RSRC2:TRAP_HANDLER: 0
; COMPUTE_PGM_RSRC2:TGID_X_EN: 1
; COMPUTE_PGM_RSRC2:TGID_Y_EN: 0
; COMPUTE_PGM_RSRC2:TGID_Z_EN: 0
; COMPUTE_PGM_RSRC2:TIDIG_COMP_CNT: 0
	.section	.text._ZN7rocprim17ROCPRIM_400000_NS6detail17trampoline_kernelINS0_14default_configENS1_33run_length_encode_config_selectorIijNS0_4plusIjEEEEZZNS1_33reduce_by_key_impl_wrapped_configILNS1_25lookback_scan_determinismE0ES3_S7_PKiNS0_17constant_iteratorIjlEEPiPlSF_S6_NS0_8equal_toIiEEEE10hipError_tPvRmT2_T3_mT4_T5_T6_T7_T8_P12ihipStream_tbENKUlT_T0_E_clISt17integral_constantIbLb0EESY_IbLb1EEEEDaSU_SV_EUlSU_E_NS1_11comp_targetILNS1_3genE9ELNS1_11target_archE1100ELNS1_3gpuE3ELNS1_3repE0EEENS1_30default_config_static_selectorELNS0_4arch9wavefront6targetE0EEEvT1_,"axG",@progbits,_ZN7rocprim17ROCPRIM_400000_NS6detail17trampoline_kernelINS0_14default_configENS1_33run_length_encode_config_selectorIijNS0_4plusIjEEEEZZNS1_33reduce_by_key_impl_wrapped_configILNS1_25lookback_scan_determinismE0ES3_S7_PKiNS0_17constant_iteratorIjlEEPiPlSF_S6_NS0_8equal_toIiEEEE10hipError_tPvRmT2_T3_mT4_T5_T6_T7_T8_P12ihipStream_tbENKUlT_T0_E_clISt17integral_constantIbLb0EESY_IbLb1EEEEDaSU_SV_EUlSU_E_NS1_11comp_targetILNS1_3genE9ELNS1_11target_archE1100ELNS1_3gpuE3ELNS1_3repE0EEENS1_30default_config_static_selectorELNS0_4arch9wavefront6targetE0EEEvT1_,comdat
	.protected	_ZN7rocprim17ROCPRIM_400000_NS6detail17trampoline_kernelINS0_14default_configENS1_33run_length_encode_config_selectorIijNS0_4plusIjEEEEZZNS1_33reduce_by_key_impl_wrapped_configILNS1_25lookback_scan_determinismE0ES3_S7_PKiNS0_17constant_iteratorIjlEEPiPlSF_S6_NS0_8equal_toIiEEEE10hipError_tPvRmT2_T3_mT4_T5_T6_T7_T8_P12ihipStream_tbENKUlT_T0_E_clISt17integral_constantIbLb0EESY_IbLb1EEEEDaSU_SV_EUlSU_E_NS1_11comp_targetILNS1_3genE9ELNS1_11target_archE1100ELNS1_3gpuE3ELNS1_3repE0EEENS1_30default_config_static_selectorELNS0_4arch9wavefront6targetE0EEEvT1_ ; -- Begin function _ZN7rocprim17ROCPRIM_400000_NS6detail17trampoline_kernelINS0_14default_configENS1_33run_length_encode_config_selectorIijNS0_4plusIjEEEEZZNS1_33reduce_by_key_impl_wrapped_configILNS1_25lookback_scan_determinismE0ES3_S7_PKiNS0_17constant_iteratorIjlEEPiPlSF_S6_NS0_8equal_toIiEEEE10hipError_tPvRmT2_T3_mT4_T5_T6_T7_T8_P12ihipStream_tbENKUlT_T0_E_clISt17integral_constantIbLb0EESY_IbLb1EEEEDaSU_SV_EUlSU_E_NS1_11comp_targetILNS1_3genE9ELNS1_11target_archE1100ELNS1_3gpuE3ELNS1_3repE0EEENS1_30default_config_static_selectorELNS0_4arch9wavefront6targetE0EEEvT1_
	.globl	_ZN7rocprim17ROCPRIM_400000_NS6detail17trampoline_kernelINS0_14default_configENS1_33run_length_encode_config_selectorIijNS0_4plusIjEEEEZZNS1_33reduce_by_key_impl_wrapped_configILNS1_25lookback_scan_determinismE0ES3_S7_PKiNS0_17constant_iteratorIjlEEPiPlSF_S6_NS0_8equal_toIiEEEE10hipError_tPvRmT2_T3_mT4_T5_T6_T7_T8_P12ihipStream_tbENKUlT_T0_E_clISt17integral_constantIbLb0EESY_IbLb1EEEEDaSU_SV_EUlSU_E_NS1_11comp_targetILNS1_3genE9ELNS1_11target_archE1100ELNS1_3gpuE3ELNS1_3repE0EEENS1_30default_config_static_selectorELNS0_4arch9wavefront6targetE0EEEvT1_
	.p2align	8
	.type	_ZN7rocprim17ROCPRIM_400000_NS6detail17trampoline_kernelINS0_14default_configENS1_33run_length_encode_config_selectorIijNS0_4plusIjEEEEZZNS1_33reduce_by_key_impl_wrapped_configILNS1_25lookback_scan_determinismE0ES3_S7_PKiNS0_17constant_iteratorIjlEEPiPlSF_S6_NS0_8equal_toIiEEEE10hipError_tPvRmT2_T3_mT4_T5_T6_T7_T8_P12ihipStream_tbENKUlT_T0_E_clISt17integral_constantIbLb0EESY_IbLb1EEEEDaSU_SV_EUlSU_E_NS1_11comp_targetILNS1_3genE9ELNS1_11target_archE1100ELNS1_3gpuE3ELNS1_3repE0EEENS1_30default_config_static_selectorELNS0_4arch9wavefront6targetE0EEEvT1_,@function
_ZN7rocprim17ROCPRIM_400000_NS6detail17trampoline_kernelINS0_14default_configENS1_33run_length_encode_config_selectorIijNS0_4plusIjEEEEZZNS1_33reduce_by_key_impl_wrapped_configILNS1_25lookback_scan_determinismE0ES3_S7_PKiNS0_17constant_iteratorIjlEEPiPlSF_S6_NS0_8equal_toIiEEEE10hipError_tPvRmT2_T3_mT4_T5_T6_T7_T8_P12ihipStream_tbENKUlT_T0_E_clISt17integral_constantIbLb0EESY_IbLb1EEEEDaSU_SV_EUlSU_E_NS1_11comp_targetILNS1_3genE9ELNS1_11target_archE1100ELNS1_3gpuE3ELNS1_3repE0EEENS1_30default_config_static_selectorELNS0_4arch9wavefront6targetE0EEEvT1_: ; @_ZN7rocprim17ROCPRIM_400000_NS6detail17trampoline_kernelINS0_14default_configENS1_33run_length_encode_config_selectorIijNS0_4plusIjEEEEZZNS1_33reduce_by_key_impl_wrapped_configILNS1_25lookback_scan_determinismE0ES3_S7_PKiNS0_17constant_iteratorIjlEEPiPlSF_S6_NS0_8equal_toIiEEEE10hipError_tPvRmT2_T3_mT4_T5_T6_T7_T8_P12ihipStream_tbENKUlT_T0_E_clISt17integral_constantIbLb0EESY_IbLb1EEEEDaSU_SV_EUlSU_E_NS1_11comp_targetILNS1_3genE9ELNS1_11target_archE1100ELNS1_3gpuE3ELNS1_3repE0EEENS1_30default_config_static_selectorELNS0_4arch9wavefront6targetE0EEEvT1_
; %bb.0:
	.section	.rodata,"a",@progbits
	.p2align	6, 0x0
	.amdhsa_kernel _ZN7rocprim17ROCPRIM_400000_NS6detail17trampoline_kernelINS0_14default_configENS1_33run_length_encode_config_selectorIijNS0_4plusIjEEEEZZNS1_33reduce_by_key_impl_wrapped_configILNS1_25lookback_scan_determinismE0ES3_S7_PKiNS0_17constant_iteratorIjlEEPiPlSF_S6_NS0_8equal_toIiEEEE10hipError_tPvRmT2_T3_mT4_T5_T6_T7_T8_P12ihipStream_tbENKUlT_T0_E_clISt17integral_constantIbLb0EESY_IbLb1EEEEDaSU_SV_EUlSU_E_NS1_11comp_targetILNS1_3genE9ELNS1_11target_archE1100ELNS1_3gpuE3ELNS1_3repE0EEENS1_30default_config_static_selectorELNS0_4arch9wavefront6targetE0EEEvT1_
		.amdhsa_group_segment_fixed_size 0
		.amdhsa_private_segment_fixed_size 0
		.amdhsa_kernarg_size 128
		.amdhsa_user_sgpr_count 2
		.amdhsa_user_sgpr_dispatch_ptr 0
		.amdhsa_user_sgpr_queue_ptr 0
		.amdhsa_user_sgpr_kernarg_segment_ptr 1
		.amdhsa_user_sgpr_dispatch_id 0
		.amdhsa_user_sgpr_kernarg_preload_length 0
		.amdhsa_user_sgpr_kernarg_preload_offset 0
		.amdhsa_user_sgpr_private_segment_size 0
		.amdhsa_wavefront_size32 1
		.amdhsa_uses_dynamic_stack 0
		.amdhsa_enable_private_segment 0
		.amdhsa_system_sgpr_workgroup_id_x 1
		.amdhsa_system_sgpr_workgroup_id_y 0
		.amdhsa_system_sgpr_workgroup_id_z 0
		.amdhsa_system_sgpr_workgroup_info 0
		.amdhsa_system_vgpr_workitem_id 0
		.amdhsa_next_free_vgpr 1
		.amdhsa_next_free_sgpr 1
		.amdhsa_named_barrier_count 0
		.amdhsa_reserve_vcc 0
		.amdhsa_float_round_mode_32 0
		.amdhsa_float_round_mode_16_64 0
		.amdhsa_float_denorm_mode_32 3
		.amdhsa_float_denorm_mode_16_64 3
		.amdhsa_fp16_overflow 0
		.amdhsa_memory_ordered 1
		.amdhsa_forward_progress 1
		.amdhsa_inst_pref_size 0
		.amdhsa_round_robin_scheduling 0
		.amdhsa_exception_fp_ieee_invalid_op 0
		.amdhsa_exception_fp_denorm_src 0
		.amdhsa_exception_fp_ieee_div_zero 0
		.amdhsa_exception_fp_ieee_overflow 0
		.amdhsa_exception_fp_ieee_underflow 0
		.amdhsa_exception_fp_ieee_inexact 0
		.amdhsa_exception_int_div_zero 0
	.end_amdhsa_kernel
	.section	.text._ZN7rocprim17ROCPRIM_400000_NS6detail17trampoline_kernelINS0_14default_configENS1_33run_length_encode_config_selectorIijNS0_4plusIjEEEEZZNS1_33reduce_by_key_impl_wrapped_configILNS1_25lookback_scan_determinismE0ES3_S7_PKiNS0_17constant_iteratorIjlEEPiPlSF_S6_NS0_8equal_toIiEEEE10hipError_tPvRmT2_T3_mT4_T5_T6_T7_T8_P12ihipStream_tbENKUlT_T0_E_clISt17integral_constantIbLb0EESY_IbLb1EEEEDaSU_SV_EUlSU_E_NS1_11comp_targetILNS1_3genE9ELNS1_11target_archE1100ELNS1_3gpuE3ELNS1_3repE0EEENS1_30default_config_static_selectorELNS0_4arch9wavefront6targetE0EEEvT1_,"axG",@progbits,_ZN7rocprim17ROCPRIM_400000_NS6detail17trampoline_kernelINS0_14default_configENS1_33run_length_encode_config_selectorIijNS0_4plusIjEEEEZZNS1_33reduce_by_key_impl_wrapped_configILNS1_25lookback_scan_determinismE0ES3_S7_PKiNS0_17constant_iteratorIjlEEPiPlSF_S6_NS0_8equal_toIiEEEE10hipError_tPvRmT2_T3_mT4_T5_T6_T7_T8_P12ihipStream_tbENKUlT_T0_E_clISt17integral_constantIbLb0EESY_IbLb1EEEEDaSU_SV_EUlSU_E_NS1_11comp_targetILNS1_3genE9ELNS1_11target_archE1100ELNS1_3gpuE3ELNS1_3repE0EEENS1_30default_config_static_selectorELNS0_4arch9wavefront6targetE0EEEvT1_,comdat
.Lfunc_end476:
	.size	_ZN7rocprim17ROCPRIM_400000_NS6detail17trampoline_kernelINS0_14default_configENS1_33run_length_encode_config_selectorIijNS0_4plusIjEEEEZZNS1_33reduce_by_key_impl_wrapped_configILNS1_25lookback_scan_determinismE0ES3_S7_PKiNS0_17constant_iteratorIjlEEPiPlSF_S6_NS0_8equal_toIiEEEE10hipError_tPvRmT2_T3_mT4_T5_T6_T7_T8_P12ihipStream_tbENKUlT_T0_E_clISt17integral_constantIbLb0EESY_IbLb1EEEEDaSU_SV_EUlSU_E_NS1_11comp_targetILNS1_3genE9ELNS1_11target_archE1100ELNS1_3gpuE3ELNS1_3repE0EEENS1_30default_config_static_selectorELNS0_4arch9wavefront6targetE0EEEvT1_, .Lfunc_end476-_ZN7rocprim17ROCPRIM_400000_NS6detail17trampoline_kernelINS0_14default_configENS1_33run_length_encode_config_selectorIijNS0_4plusIjEEEEZZNS1_33reduce_by_key_impl_wrapped_configILNS1_25lookback_scan_determinismE0ES3_S7_PKiNS0_17constant_iteratorIjlEEPiPlSF_S6_NS0_8equal_toIiEEEE10hipError_tPvRmT2_T3_mT4_T5_T6_T7_T8_P12ihipStream_tbENKUlT_T0_E_clISt17integral_constantIbLb0EESY_IbLb1EEEEDaSU_SV_EUlSU_E_NS1_11comp_targetILNS1_3genE9ELNS1_11target_archE1100ELNS1_3gpuE3ELNS1_3repE0EEENS1_30default_config_static_selectorELNS0_4arch9wavefront6targetE0EEEvT1_
                                        ; -- End function
	.set _ZN7rocprim17ROCPRIM_400000_NS6detail17trampoline_kernelINS0_14default_configENS1_33run_length_encode_config_selectorIijNS0_4plusIjEEEEZZNS1_33reduce_by_key_impl_wrapped_configILNS1_25lookback_scan_determinismE0ES3_S7_PKiNS0_17constant_iteratorIjlEEPiPlSF_S6_NS0_8equal_toIiEEEE10hipError_tPvRmT2_T3_mT4_T5_T6_T7_T8_P12ihipStream_tbENKUlT_T0_E_clISt17integral_constantIbLb0EESY_IbLb1EEEEDaSU_SV_EUlSU_E_NS1_11comp_targetILNS1_3genE9ELNS1_11target_archE1100ELNS1_3gpuE3ELNS1_3repE0EEENS1_30default_config_static_selectorELNS0_4arch9wavefront6targetE0EEEvT1_.num_vgpr, 0
	.set _ZN7rocprim17ROCPRIM_400000_NS6detail17trampoline_kernelINS0_14default_configENS1_33run_length_encode_config_selectorIijNS0_4plusIjEEEEZZNS1_33reduce_by_key_impl_wrapped_configILNS1_25lookback_scan_determinismE0ES3_S7_PKiNS0_17constant_iteratorIjlEEPiPlSF_S6_NS0_8equal_toIiEEEE10hipError_tPvRmT2_T3_mT4_T5_T6_T7_T8_P12ihipStream_tbENKUlT_T0_E_clISt17integral_constantIbLb0EESY_IbLb1EEEEDaSU_SV_EUlSU_E_NS1_11comp_targetILNS1_3genE9ELNS1_11target_archE1100ELNS1_3gpuE3ELNS1_3repE0EEENS1_30default_config_static_selectorELNS0_4arch9wavefront6targetE0EEEvT1_.num_agpr, 0
	.set _ZN7rocprim17ROCPRIM_400000_NS6detail17trampoline_kernelINS0_14default_configENS1_33run_length_encode_config_selectorIijNS0_4plusIjEEEEZZNS1_33reduce_by_key_impl_wrapped_configILNS1_25lookback_scan_determinismE0ES3_S7_PKiNS0_17constant_iteratorIjlEEPiPlSF_S6_NS0_8equal_toIiEEEE10hipError_tPvRmT2_T3_mT4_T5_T6_T7_T8_P12ihipStream_tbENKUlT_T0_E_clISt17integral_constantIbLb0EESY_IbLb1EEEEDaSU_SV_EUlSU_E_NS1_11comp_targetILNS1_3genE9ELNS1_11target_archE1100ELNS1_3gpuE3ELNS1_3repE0EEENS1_30default_config_static_selectorELNS0_4arch9wavefront6targetE0EEEvT1_.numbered_sgpr, 0
	.set _ZN7rocprim17ROCPRIM_400000_NS6detail17trampoline_kernelINS0_14default_configENS1_33run_length_encode_config_selectorIijNS0_4plusIjEEEEZZNS1_33reduce_by_key_impl_wrapped_configILNS1_25lookback_scan_determinismE0ES3_S7_PKiNS0_17constant_iteratorIjlEEPiPlSF_S6_NS0_8equal_toIiEEEE10hipError_tPvRmT2_T3_mT4_T5_T6_T7_T8_P12ihipStream_tbENKUlT_T0_E_clISt17integral_constantIbLb0EESY_IbLb1EEEEDaSU_SV_EUlSU_E_NS1_11comp_targetILNS1_3genE9ELNS1_11target_archE1100ELNS1_3gpuE3ELNS1_3repE0EEENS1_30default_config_static_selectorELNS0_4arch9wavefront6targetE0EEEvT1_.num_named_barrier, 0
	.set _ZN7rocprim17ROCPRIM_400000_NS6detail17trampoline_kernelINS0_14default_configENS1_33run_length_encode_config_selectorIijNS0_4plusIjEEEEZZNS1_33reduce_by_key_impl_wrapped_configILNS1_25lookback_scan_determinismE0ES3_S7_PKiNS0_17constant_iteratorIjlEEPiPlSF_S6_NS0_8equal_toIiEEEE10hipError_tPvRmT2_T3_mT4_T5_T6_T7_T8_P12ihipStream_tbENKUlT_T0_E_clISt17integral_constantIbLb0EESY_IbLb1EEEEDaSU_SV_EUlSU_E_NS1_11comp_targetILNS1_3genE9ELNS1_11target_archE1100ELNS1_3gpuE3ELNS1_3repE0EEENS1_30default_config_static_selectorELNS0_4arch9wavefront6targetE0EEEvT1_.private_seg_size, 0
	.set _ZN7rocprim17ROCPRIM_400000_NS6detail17trampoline_kernelINS0_14default_configENS1_33run_length_encode_config_selectorIijNS0_4plusIjEEEEZZNS1_33reduce_by_key_impl_wrapped_configILNS1_25lookback_scan_determinismE0ES3_S7_PKiNS0_17constant_iteratorIjlEEPiPlSF_S6_NS0_8equal_toIiEEEE10hipError_tPvRmT2_T3_mT4_T5_T6_T7_T8_P12ihipStream_tbENKUlT_T0_E_clISt17integral_constantIbLb0EESY_IbLb1EEEEDaSU_SV_EUlSU_E_NS1_11comp_targetILNS1_3genE9ELNS1_11target_archE1100ELNS1_3gpuE3ELNS1_3repE0EEENS1_30default_config_static_selectorELNS0_4arch9wavefront6targetE0EEEvT1_.uses_vcc, 0
	.set _ZN7rocprim17ROCPRIM_400000_NS6detail17trampoline_kernelINS0_14default_configENS1_33run_length_encode_config_selectorIijNS0_4plusIjEEEEZZNS1_33reduce_by_key_impl_wrapped_configILNS1_25lookback_scan_determinismE0ES3_S7_PKiNS0_17constant_iteratorIjlEEPiPlSF_S6_NS0_8equal_toIiEEEE10hipError_tPvRmT2_T3_mT4_T5_T6_T7_T8_P12ihipStream_tbENKUlT_T0_E_clISt17integral_constantIbLb0EESY_IbLb1EEEEDaSU_SV_EUlSU_E_NS1_11comp_targetILNS1_3genE9ELNS1_11target_archE1100ELNS1_3gpuE3ELNS1_3repE0EEENS1_30default_config_static_selectorELNS0_4arch9wavefront6targetE0EEEvT1_.uses_flat_scratch, 0
	.set _ZN7rocprim17ROCPRIM_400000_NS6detail17trampoline_kernelINS0_14default_configENS1_33run_length_encode_config_selectorIijNS0_4plusIjEEEEZZNS1_33reduce_by_key_impl_wrapped_configILNS1_25lookback_scan_determinismE0ES3_S7_PKiNS0_17constant_iteratorIjlEEPiPlSF_S6_NS0_8equal_toIiEEEE10hipError_tPvRmT2_T3_mT4_T5_T6_T7_T8_P12ihipStream_tbENKUlT_T0_E_clISt17integral_constantIbLb0EESY_IbLb1EEEEDaSU_SV_EUlSU_E_NS1_11comp_targetILNS1_3genE9ELNS1_11target_archE1100ELNS1_3gpuE3ELNS1_3repE0EEENS1_30default_config_static_selectorELNS0_4arch9wavefront6targetE0EEEvT1_.has_dyn_sized_stack, 0
	.set _ZN7rocprim17ROCPRIM_400000_NS6detail17trampoline_kernelINS0_14default_configENS1_33run_length_encode_config_selectorIijNS0_4plusIjEEEEZZNS1_33reduce_by_key_impl_wrapped_configILNS1_25lookback_scan_determinismE0ES3_S7_PKiNS0_17constant_iteratorIjlEEPiPlSF_S6_NS0_8equal_toIiEEEE10hipError_tPvRmT2_T3_mT4_T5_T6_T7_T8_P12ihipStream_tbENKUlT_T0_E_clISt17integral_constantIbLb0EESY_IbLb1EEEEDaSU_SV_EUlSU_E_NS1_11comp_targetILNS1_3genE9ELNS1_11target_archE1100ELNS1_3gpuE3ELNS1_3repE0EEENS1_30default_config_static_selectorELNS0_4arch9wavefront6targetE0EEEvT1_.has_recursion, 0
	.set _ZN7rocprim17ROCPRIM_400000_NS6detail17trampoline_kernelINS0_14default_configENS1_33run_length_encode_config_selectorIijNS0_4plusIjEEEEZZNS1_33reduce_by_key_impl_wrapped_configILNS1_25lookback_scan_determinismE0ES3_S7_PKiNS0_17constant_iteratorIjlEEPiPlSF_S6_NS0_8equal_toIiEEEE10hipError_tPvRmT2_T3_mT4_T5_T6_T7_T8_P12ihipStream_tbENKUlT_T0_E_clISt17integral_constantIbLb0EESY_IbLb1EEEEDaSU_SV_EUlSU_E_NS1_11comp_targetILNS1_3genE9ELNS1_11target_archE1100ELNS1_3gpuE3ELNS1_3repE0EEENS1_30default_config_static_selectorELNS0_4arch9wavefront6targetE0EEEvT1_.has_indirect_call, 0
	.section	.AMDGPU.csdata,"",@progbits
; Kernel info:
; codeLenInByte = 0
; TotalNumSgprs: 0
; NumVgprs: 0
; ScratchSize: 0
; MemoryBound: 0
; FloatMode: 240
; IeeeMode: 1
; LDSByteSize: 0 bytes/workgroup (compile time only)
; SGPRBlocks: 0
; VGPRBlocks: 0
; NumSGPRsForWavesPerEU: 1
; NumVGPRsForWavesPerEU: 1
; NamedBarCnt: 0
; Occupancy: 16
; WaveLimiterHint : 0
; COMPUTE_PGM_RSRC2:SCRATCH_EN: 0
; COMPUTE_PGM_RSRC2:USER_SGPR: 2
; COMPUTE_PGM_RSRC2:TRAP_HANDLER: 0
; COMPUTE_PGM_RSRC2:TGID_X_EN: 1
; COMPUTE_PGM_RSRC2:TGID_Y_EN: 0
; COMPUTE_PGM_RSRC2:TGID_Z_EN: 0
; COMPUTE_PGM_RSRC2:TIDIG_COMP_CNT: 0
	.section	.text._ZN7rocprim17ROCPRIM_400000_NS6detail17trampoline_kernelINS0_14default_configENS1_33run_length_encode_config_selectorIijNS0_4plusIjEEEEZZNS1_33reduce_by_key_impl_wrapped_configILNS1_25lookback_scan_determinismE0ES3_S7_PKiNS0_17constant_iteratorIjlEEPiPlSF_S6_NS0_8equal_toIiEEEE10hipError_tPvRmT2_T3_mT4_T5_T6_T7_T8_P12ihipStream_tbENKUlT_T0_E_clISt17integral_constantIbLb0EESY_IbLb1EEEEDaSU_SV_EUlSU_E_NS1_11comp_targetILNS1_3genE8ELNS1_11target_archE1030ELNS1_3gpuE2ELNS1_3repE0EEENS1_30default_config_static_selectorELNS0_4arch9wavefront6targetE0EEEvT1_,"axG",@progbits,_ZN7rocprim17ROCPRIM_400000_NS6detail17trampoline_kernelINS0_14default_configENS1_33run_length_encode_config_selectorIijNS0_4plusIjEEEEZZNS1_33reduce_by_key_impl_wrapped_configILNS1_25lookback_scan_determinismE0ES3_S7_PKiNS0_17constant_iteratorIjlEEPiPlSF_S6_NS0_8equal_toIiEEEE10hipError_tPvRmT2_T3_mT4_T5_T6_T7_T8_P12ihipStream_tbENKUlT_T0_E_clISt17integral_constantIbLb0EESY_IbLb1EEEEDaSU_SV_EUlSU_E_NS1_11comp_targetILNS1_3genE8ELNS1_11target_archE1030ELNS1_3gpuE2ELNS1_3repE0EEENS1_30default_config_static_selectorELNS0_4arch9wavefront6targetE0EEEvT1_,comdat
	.protected	_ZN7rocprim17ROCPRIM_400000_NS6detail17trampoline_kernelINS0_14default_configENS1_33run_length_encode_config_selectorIijNS0_4plusIjEEEEZZNS1_33reduce_by_key_impl_wrapped_configILNS1_25lookback_scan_determinismE0ES3_S7_PKiNS0_17constant_iteratorIjlEEPiPlSF_S6_NS0_8equal_toIiEEEE10hipError_tPvRmT2_T3_mT4_T5_T6_T7_T8_P12ihipStream_tbENKUlT_T0_E_clISt17integral_constantIbLb0EESY_IbLb1EEEEDaSU_SV_EUlSU_E_NS1_11comp_targetILNS1_3genE8ELNS1_11target_archE1030ELNS1_3gpuE2ELNS1_3repE0EEENS1_30default_config_static_selectorELNS0_4arch9wavefront6targetE0EEEvT1_ ; -- Begin function _ZN7rocprim17ROCPRIM_400000_NS6detail17trampoline_kernelINS0_14default_configENS1_33run_length_encode_config_selectorIijNS0_4plusIjEEEEZZNS1_33reduce_by_key_impl_wrapped_configILNS1_25lookback_scan_determinismE0ES3_S7_PKiNS0_17constant_iteratorIjlEEPiPlSF_S6_NS0_8equal_toIiEEEE10hipError_tPvRmT2_T3_mT4_T5_T6_T7_T8_P12ihipStream_tbENKUlT_T0_E_clISt17integral_constantIbLb0EESY_IbLb1EEEEDaSU_SV_EUlSU_E_NS1_11comp_targetILNS1_3genE8ELNS1_11target_archE1030ELNS1_3gpuE2ELNS1_3repE0EEENS1_30default_config_static_selectorELNS0_4arch9wavefront6targetE0EEEvT1_
	.globl	_ZN7rocprim17ROCPRIM_400000_NS6detail17trampoline_kernelINS0_14default_configENS1_33run_length_encode_config_selectorIijNS0_4plusIjEEEEZZNS1_33reduce_by_key_impl_wrapped_configILNS1_25lookback_scan_determinismE0ES3_S7_PKiNS0_17constant_iteratorIjlEEPiPlSF_S6_NS0_8equal_toIiEEEE10hipError_tPvRmT2_T3_mT4_T5_T6_T7_T8_P12ihipStream_tbENKUlT_T0_E_clISt17integral_constantIbLb0EESY_IbLb1EEEEDaSU_SV_EUlSU_E_NS1_11comp_targetILNS1_3genE8ELNS1_11target_archE1030ELNS1_3gpuE2ELNS1_3repE0EEENS1_30default_config_static_selectorELNS0_4arch9wavefront6targetE0EEEvT1_
	.p2align	8
	.type	_ZN7rocprim17ROCPRIM_400000_NS6detail17trampoline_kernelINS0_14default_configENS1_33run_length_encode_config_selectorIijNS0_4plusIjEEEEZZNS1_33reduce_by_key_impl_wrapped_configILNS1_25lookback_scan_determinismE0ES3_S7_PKiNS0_17constant_iteratorIjlEEPiPlSF_S6_NS0_8equal_toIiEEEE10hipError_tPvRmT2_T3_mT4_T5_T6_T7_T8_P12ihipStream_tbENKUlT_T0_E_clISt17integral_constantIbLb0EESY_IbLb1EEEEDaSU_SV_EUlSU_E_NS1_11comp_targetILNS1_3genE8ELNS1_11target_archE1030ELNS1_3gpuE2ELNS1_3repE0EEENS1_30default_config_static_selectorELNS0_4arch9wavefront6targetE0EEEvT1_,@function
_ZN7rocprim17ROCPRIM_400000_NS6detail17trampoline_kernelINS0_14default_configENS1_33run_length_encode_config_selectorIijNS0_4plusIjEEEEZZNS1_33reduce_by_key_impl_wrapped_configILNS1_25lookback_scan_determinismE0ES3_S7_PKiNS0_17constant_iteratorIjlEEPiPlSF_S6_NS0_8equal_toIiEEEE10hipError_tPvRmT2_T3_mT4_T5_T6_T7_T8_P12ihipStream_tbENKUlT_T0_E_clISt17integral_constantIbLb0EESY_IbLb1EEEEDaSU_SV_EUlSU_E_NS1_11comp_targetILNS1_3genE8ELNS1_11target_archE1030ELNS1_3gpuE2ELNS1_3repE0EEENS1_30default_config_static_selectorELNS0_4arch9wavefront6targetE0EEEvT1_: ; @_ZN7rocprim17ROCPRIM_400000_NS6detail17trampoline_kernelINS0_14default_configENS1_33run_length_encode_config_selectorIijNS0_4plusIjEEEEZZNS1_33reduce_by_key_impl_wrapped_configILNS1_25lookback_scan_determinismE0ES3_S7_PKiNS0_17constant_iteratorIjlEEPiPlSF_S6_NS0_8equal_toIiEEEE10hipError_tPvRmT2_T3_mT4_T5_T6_T7_T8_P12ihipStream_tbENKUlT_T0_E_clISt17integral_constantIbLb0EESY_IbLb1EEEEDaSU_SV_EUlSU_E_NS1_11comp_targetILNS1_3genE8ELNS1_11target_archE1030ELNS1_3gpuE2ELNS1_3repE0EEENS1_30default_config_static_selectorELNS0_4arch9wavefront6targetE0EEEvT1_
; %bb.0:
	.section	.rodata,"a",@progbits
	.p2align	6, 0x0
	.amdhsa_kernel _ZN7rocprim17ROCPRIM_400000_NS6detail17trampoline_kernelINS0_14default_configENS1_33run_length_encode_config_selectorIijNS0_4plusIjEEEEZZNS1_33reduce_by_key_impl_wrapped_configILNS1_25lookback_scan_determinismE0ES3_S7_PKiNS0_17constant_iteratorIjlEEPiPlSF_S6_NS0_8equal_toIiEEEE10hipError_tPvRmT2_T3_mT4_T5_T6_T7_T8_P12ihipStream_tbENKUlT_T0_E_clISt17integral_constantIbLb0EESY_IbLb1EEEEDaSU_SV_EUlSU_E_NS1_11comp_targetILNS1_3genE8ELNS1_11target_archE1030ELNS1_3gpuE2ELNS1_3repE0EEENS1_30default_config_static_selectorELNS0_4arch9wavefront6targetE0EEEvT1_
		.amdhsa_group_segment_fixed_size 0
		.amdhsa_private_segment_fixed_size 0
		.amdhsa_kernarg_size 128
		.amdhsa_user_sgpr_count 2
		.amdhsa_user_sgpr_dispatch_ptr 0
		.amdhsa_user_sgpr_queue_ptr 0
		.amdhsa_user_sgpr_kernarg_segment_ptr 1
		.amdhsa_user_sgpr_dispatch_id 0
		.amdhsa_user_sgpr_kernarg_preload_length 0
		.amdhsa_user_sgpr_kernarg_preload_offset 0
		.amdhsa_user_sgpr_private_segment_size 0
		.amdhsa_wavefront_size32 1
		.amdhsa_uses_dynamic_stack 0
		.amdhsa_enable_private_segment 0
		.amdhsa_system_sgpr_workgroup_id_x 1
		.amdhsa_system_sgpr_workgroup_id_y 0
		.amdhsa_system_sgpr_workgroup_id_z 0
		.amdhsa_system_sgpr_workgroup_info 0
		.amdhsa_system_vgpr_workitem_id 0
		.amdhsa_next_free_vgpr 1
		.amdhsa_next_free_sgpr 1
		.amdhsa_named_barrier_count 0
		.amdhsa_reserve_vcc 0
		.amdhsa_float_round_mode_32 0
		.amdhsa_float_round_mode_16_64 0
		.amdhsa_float_denorm_mode_32 3
		.amdhsa_float_denorm_mode_16_64 3
		.amdhsa_fp16_overflow 0
		.amdhsa_memory_ordered 1
		.amdhsa_forward_progress 1
		.amdhsa_inst_pref_size 0
		.amdhsa_round_robin_scheduling 0
		.amdhsa_exception_fp_ieee_invalid_op 0
		.amdhsa_exception_fp_denorm_src 0
		.amdhsa_exception_fp_ieee_div_zero 0
		.amdhsa_exception_fp_ieee_overflow 0
		.amdhsa_exception_fp_ieee_underflow 0
		.amdhsa_exception_fp_ieee_inexact 0
		.amdhsa_exception_int_div_zero 0
	.end_amdhsa_kernel
	.section	.text._ZN7rocprim17ROCPRIM_400000_NS6detail17trampoline_kernelINS0_14default_configENS1_33run_length_encode_config_selectorIijNS0_4plusIjEEEEZZNS1_33reduce_by_key_impl_wrapped_configILNS1_25lookback_scan_determinismE0ES3_S7_PKiNS0_17constant_iteratorIjlEEPiPlSF_S6_NS0_8equal_toIiEEEE10hipError_tPvRmT2_T3_mT4_T5_T6_T7_T8_P12ihipStream_tbENKUlT_T0_E_clISt17integral_constantIbLb0EESY_IbLb1EEEEDaSU_SV_EUlSU_E_NS1_11comp_targetILNS1_3genE8ELNS1_11target_archE1030ELNS1_3gpuE2ELNS1_3repE0EEENS1_30default_config_static_selectorELNS0_4arch9wavefront6targetE0EEEvT1_,"axG",@progbits,_ZN7rocprim17ROCPRIM_400000_NS6detail17trampoline_kernelINS0_14default_configENS1_33run_length_encode_config_selectorIijNS0_4plusIjEEEEZZNS1_33reduce_by_key_impl_wrapped_configILNS1_25lookback_scan_determinismE0ES3_S7_PKiNS0_17constant_iteratorIjlEEPiPlSF_S6_NS0_8equal_toIiEEEE10hipError_tPvRmT2_T3_mT4_T5_T6_T7_T8_P12ihipStream_tbENKUlT_T0_E_clISt17integral_constantIbLb0EESY_IbLb1EEEEDaSU_SV_EUlSU_E_NS1_11comp_targetILNS1_3genE8ELNS1_11target_archE1030ELNS1_3gpuE2ELNS1_3repE0EEENS1_30default_config_static_selectorELNS0_4arch9wavefront6targetE0EEEvT1_,comdat
.Lfunc_end477:
	.size	_ZN7rocprim17ROCPRIM_400000_NS6detail17trampoline_kernelINS0_14default_configENS1_33run_length_encode_config_selectorIijNS0_4plusIjEEEEZZNS1_33reduce_by_key_impl_wrapped_configILNS1_25lookback_scan_determinismE0ES3_S7_PKiNS0_17constant_iteratorIjlEEPiPlSF_S6_NS0_8equal_toIiEEEE10hipError_tPvRmT2_T3_mT4_T5_T6_T7_T8_P12ihipStream_tbENKUlT_T0_E_clISt17integral_constantIbLb0EESY_IbLb1EEEEDaSU_SV_EUlSU_E_NS1_11comp_targetILNS1_3genE8ELNS1_11target_archE1030ELNS1_3gpuE2ELNS1_3repE0EEENS1_30default_config_static_selectorELNS0_4arch9wavefront6targetE0EEEvT1_, .Lfunc_end477-_ZN7rocprim17ROCPRIM_400000_NS6detail17trampoline_kernelINS0_14default_configENS1_33run_length_encode_config_selectorIijNS0_4plusIjEEEEZZNS1_33reduce_by_key_impl_wrapped_configILNS1_25lookback_scan_determinismE0ES3_S7_PKiNS0_17constant_iteratorIjlEEPiPlSF_S6_NS0_8equal_toIiEEEE10hipError_tPvRmT2_T3_mT4_T5_T6_T7_T8_P12ihipStream_tbENKUlT_T0_E_clISt17integral_constantIbLb0EESY_IbLb1EEEEDaSU_SV_EUlSU_E_NS1_11comp_targetILNS1_3genE8ELNS1_11target_archE1030ELNS1_3gpuE2ELNS1_3repE0EEENS1_30default_config_static_selectorELNS0_4arch9wavefront6targetE0EEEvT1_
                                        ; -- End function
	.set _ZN7rocprim17ROCPRIM_400000_NS6detail17trampoline_kernelINS0_14default_configENS1_33run_length_encode_config_selectorIijNS0_4plusIjEEEEZZNS1_33reduce_by_key_impl_wrapped_configILNS1_25lookback_scan_determinismE0ES3_S7_PKiNS0_17constant_iteratorIjlEEPiPlSF_S6_NS0_8equal_toIiEEEE10hipError_tPvRmT2_T3_mT4_T5_T6_T7_T8_P12ihipStream_tbENKUlT_T0_E_clISt17integral_constantIbLb0EESY_IbLb1EEEEDaSU_SV_EUlSU_E_NS1_11comp_targetILNS1_3genE8ELNS1_11target_archE1030ELNS1_3gpuE2ELNS1_3repE0EEENS1_30default_config_static_selectorELNS0_4arch9wavefront6targetE0EEEvT1_.num_vgpr, 0
	.set _ZN7rocprim17ROCPRIM_400000_NS6detail17trampoline_kernelINS0_14default_configENS1_33run_length_encode_config_selectorIijNS0_4plusIjEEEEZZNS1_33reduce_by_key_impl_wrapped_configILNS1_25lookback_scan_determinismE0ES3_S7_PKiNS0_17constant_iteratorIjlEEPiPlSF_S6_NS0_8equal_toIiEEEE10hipError_tPvRmT2_T3_mT4_T5_T6_T7_T8_P12ihipStream_tbENKUlT_T0_E_clISt17integral_constantIbLb0EESY_IbLb1EEEEDaSU_SV_EUlSU_E_NS1_11comp_targetILNS1_3genE8ELNS1_11target_archE1030ELNS1_3gpuE2ELNS1_3repE0EEENS1_30default_config_static_selectorELNS0_4arch9wavefront6targetE0EEEvT1_.num_agpr, 0
	.set _ZN7rocprim17ROCPRIM_400000_NS6detail17trampoline_kernelINS0_14default_configENS1_33run_length_encode_config_selectorIijNS0_4plusIjEEEEZZNS1_33reduce_by_key_impl_wrapped_configILNS1_25lookback_scan_determinismE0ES3_S7_PKiNS0_17constant_iteratorIjlEEPiPlSF_S6_NS0_8equal_toIiEEEE10hipError_tPvRmT2_T3_mT4_T5_T6_T7_T8_P12ihipStream_tbENKUlT_T0_E_clISt17integral_constantIbLb0EESY_IbLb1EEEEDaSU_SV_EUlSU_E_NS1_11comp_targetILNS1_3genE8ELNS1_11target_archE1030ELNS1_3gpuE2ELNS1_3repE0EEENS1_30default_config_static_selectorELNS0_4arch9wavefront6targetE0EEEvT1_.numbered_sgpr, 0
	.set _ZN7rocprim17ROCPRIM_400000_NS6detail17trampoline_kernelINS0_14default_configENS1_33run_length_encode_config_selectorIijNS0_4plusIjEEEEZZNS1_33reduce_by_key_impl_wrapped_configILNS1_25lookback_scan_determinismE0ES3_S7_PKiNS0_17constant_iteratorIjlEEPiPlSF_S6_NS0_8equal_toIiEEEE10hipError_tPvRmT2_T3_mT4_T5_T6_T7_T8_P12ihipStream_tbENKUlT_T0_E_clISt17integral_constantIbLb0EESY_IbLb1EEEEDaSU_SV_EUlSU_E_NS1_11comp_targetILNS1_3genE8ELNS1_11target_archE1030ELNS1_3gpuE2ELNS1_3repE0EEENS1_30default_config_static_selectorELNS0_4arch9wavefront6targetE0EEEvT1_.num_named_barrier, 0
	.set _ZN7rocprim17ROCPRIM_400000_NS6detail17trampoline_kernelINS0_14default_configENS1_33run_length_encode_config_selectorIijNS0_4plusIjEEEEZZNS1_33reduce_by_key_impl_wrapped_configILNS1_25lookback_scan_determinismE0ES3_S7_PKiNS0_17constant_iteratorIjlEEPiPlSF_S6_NS0_8equal_toIiEEEE10hipError_tPvRmT2_T3_mT4_T5_T6_T7_T8_P12ihipStream_tbENKUlT_T0_E_clISt17integral_constantIbLb0EESY_IbLb1EEEEDaSU_SV_EUlSU_E_NS1_11comp_targetILNS1_3genE8ELNS1_11target_archE1030ELNS1_3gpuE2ELNS1_3repE0EEENS1_30default_config_static_selectorELNS0_4arch9wavefront6targetE0EEEvT1_.private_seg_size, 0
	.set _ZN7rocprim17ROCPRIM_400000_NS6detail17trampoline_kernelINS0_14default_configENS1_33run_length_encode_config_selectorIijNS0_4plusIjEEEEZZNS1_33reduce_by_key_impl_wrapped_configILNS1_25lookback_scan_determinismE0ES3_S7_PKiNS0_17constant_iteratorIjlEEPiPlSF_S6_NS0_8equal_toIiEEEE10hipError_tPvRmT2_T3_mT4_T5_T6_T7_T8_P12ihipStream_tbENKUlT_T0_E_clISt17integral_constantIbLb0EESY_IbLb1EEEEDaSU_SV_EUlSU_E_NS1_11comp_targetILNS1_3genE8ELNS1_11target_archE1030ELNS1_3gpuE2ELNS1_3repE0EEENS1_30default_config_static_selectorELNS0_4arch9wavefront6targetE0EEEvT1_.uses_vcc, 0
	.set _ZN7rocprim17ROCPRIM_400000_NS6detail17trampoline_kernelINS0_14default_configENS1_33run_length_encode_config_selectorIijNS0_4plusIjEEEEZZNS1_33reduce_by_key_impl_wrapped_configILNS1_25lookback_scan_determinismE0ES3_S7_PKiNS0_17constant_iteratorIjlEEPiPlSF_S6_NS0_8equal_toIiEEEE10hipError_tPvRmT2_T3_mT4_T5_T6_T7_T8_P12ihipStream_tbENKUlT_T0_E_clISt17integral_constantIbLb0EESY_IbLb1EEEEDaSU_SV_EUlSU_E_NS1_11comp_targetILNS1_3genE8ELNS1_11target_archE1030ELNS1_3gpuE2ELNS1_3repE0EEENS1_30default_config_static_selectorELNS0_4arch9wavefront6targetE0EEEvT1_.uses_flat_scratch, 0
	.set _ZN7rocprim17ROCPRIM_400000_NS6detail17trampoline_kernelINS0_14default_configENS1_33run_length_encode_config_selectorIijNS0_4plusIjEEEEZZNS1_33reduce_by_key_impl_wrapped_configILNS1_25lookback_scan_determinismE0ES3_S7_PKiNS0_17constant_iteratorIjlEEPiPlSF_S6_NS0_8equal_toIiEEEE10hipError_tPvRmT2_T3_mT4_T5_T6_T7_T8_P12ihipStream_tbENKUlT_T0_E_clISt17integral_constantIbLb0EESY_IbLb1EEEEDaSU_SV_EUlSU_E_NS1_11comp_targetILNS1_3genE8ELNS1_11target_archE1030ELNS1_3gpuE2ELNS1_3repE0EEENS1_30default_config_static_selectorELNS0_4arch9wavefront6targetE0EEEvT1_.has_dyn_sized_stack, 0
	.set _ZN7rocprim17ROCPRIM_400000_NS6detail17trampoline_kernelINS0_14default_configENS1_33run_length_encode_config_selectorIijNS0_4plusIjEEEEZZNS1_33reduce_by_key_impl_wrapped_configILNS1_25lookback_scan_determinismE0ES3_S7_PKiNS0_17constant_iteratorIjlEEPiPlSF_S6_NS0_8equal_toIiEEEE10hipError_tPvRmT2_T3_mT4_T5_T6_T7_T8_P12ihipStream_tbENKUlT_T0_E_clISt17integral_constantIbLb0EESY_IbLb1EEEEDaSU_SV_EUlSU_E_NS1_11comp_targetILNS1_3genE8ELNS1_11target_archE1030ELNS1_3gpuE2ELNS1_3repE0EEENS1_30default_config_static_selectorELNS0_4arch9wavefront6targetE0EEEvT1_.has_recursion, 0
	.set _ZN7rocprim17ROCPRIM_400000_NS6detail17trampoline_kernelINS0_14default_configENS1_33run_length_encode_config_selectorIijNS0_4plusIjEEEEZZNS1_33reduce_by_key_impl_wrapped_configILNS1_25lookback_scan_determinismE0ES3_S7_PKiNS0_17constant_iteratorIjlEEPiPlSF_S6_NS0_8equal_toIiEEEE10hipError_tPvRmT2_T3_mT4_T5_T6_T7_T8_P12ihipStream_tbENKUlT_T0_E_clISt17integral_constantIbLb0EESY_IbLb1EEEEDaSU_SV_EUlSU_E_NS1_11comp_targetILNS1_3genE8ELNS1_11target_archE1030ELNS1_3gpuE2ELNS1_3repE0EEENS1_30default_config_static_selectorELNS0_4arch9wavefront6targetE0EEEvT1_.has_indirect_call, 0
	.section	.AMDGPU.csdata,"",@progbits
; Kernel info:
; codeLenInByte = 0
; TotalNumSgprs: 0
; NumVgprs: 0
; ScratchSize: 0
; MemoryBound: 0
; FloatMode: 240
; IeeeMode: 1
; LDSByteSize: 0 bytes/workgroup (compile time only)
; SGPRBlocks: 0
; VGPRBlocks: 0
; NumSGPRsForWavesPerEU: 1
; NumVGPRsForWavesPerEU: 1
; NamedBarCnt: 0
; Occupancy: 16
; WaveLimiterHint : 0
; COMPUTE_PGM_RSRC2:SCRATCH_EN: 0
; COMPUTE_PGM_RSRC2:USER_SGPR: 2
; COMPUTE_PGM_RSRC2:TRAP_HANDLER: 0
; COMPUTE_PGM_RSRC2:TGID_X_EN: 1
; COMPUTE_PGM_RSRC2:TGID_Y_EN: 0
; COMPUTE_PGM_RSRC2:TGID_Z_EN: 0
; COMPUTE_PGM_RSRC2:TIDIG_COMP_CNT: 0
	.section	.text._ZN2at6native8internal12_GLOBAL__N_126adjacent_difference_kernelIPKlEEvlT_Pi,"axG",@progbits,_ZN2at6native8internal12_GLOBAL__N_126adjacent_difference_kernelIPKlEEvlT_Pi,comdat
	.globl	_ZN2at6native8internal12_GLOBAL__N_126adjacent_difference_kernelIPKlEEvlT_Pi ; -- Begin function _ZN2at6native8internal12_GLOBAL__N_126adjacent_difference_kernelIPKlEEvlT_Pi
	.p2align	8
	.type	_ZN2at6native8internal12_GLOBAL__N_126adjacent_difference_kernelIPKlEEvlT_Pi,@function
_ZN2at6native8internal12_GLOBAL__N_126adjacent_difference_kernelIPKlEEvlT_Pi: ; @_ZN2at6native8internal12_GLOBAL__N_126adjacent_difference_kernelIPKlEEvlT_Pi
; %bb.0:
	s_clause 0x1
	s_load_b32 s2, s[0:1], 0x24
	s_load_b128 s[4:7], s[0:1], 0x0
	s_bfe_u32 s9, ttmp6, 0x4000c
	s_and_b32 s8, ttmp6, 15
	s_add_co_i32 s9, s9, 1
	s_getreg_b32 s10, hwreg(HW_REG_IB_STS2, 6, 4)
	s_mul_i32 s9, ttmp9, s9
	s_mov_b32 s3, 0
	s_add_co_i32 s8, s8, s9
	s_cmp_eq_u32 s10, 0
	v_mov_b32_e32 v1, 0
	s_mov_b32 s15, s3
	s_cselect_b32 s14, ttmp9, s8
	s_mov_b32 s13, s3
	s_wait_kmcnt 0x0
	s_and_b32 s12, s2, 0xffff
	s_mov_b32 s2, exec_lo
	s_mul_u64 s[8:9], s[12:13], s[14:15]
	s_delay_alu instid0(SALU_CYCLE_1) | instskip(NEXT) | instid1(VALU_DEP_1)
	v_add_nc_u64_e32 v[4:5], s[8:9], v[0:1]
	v_cmpx_gt_i64_e64 s[4:5], v[4:5]
	s_cbranch_execz .LBB478_5
; %bb.1:
	s_add_nc_u64 s[16:17], s[0:1], 24
	v_dual_mov_b32 v2, v1 :: v_dual_mov_b32 v3, v4
	s_load_b32 s2, s[16:17], 0x0
	s_load_b64 s[10:11], s[0:1], 0x10
	v_mov_b64_e32 v[4:5], v[0:1]
	s_mul_i32 s13, s14, s12
	s_wait_xcnt 0x0
	s_mov_b32 s0, s3
	s_wait_kmcnt 0x0
	s_mul_i32 s2, s2, s12
	s_mov_b32 s12, s3
	s_mov_b32 s1, s2
	s_branch .LBB478_3
.LBB478_2:                              ;   in Loop: Header=BB478_3 Depth=1
	s_or_b32 exec_lo, exec_lo, s14
	v_add_nc_u64_e32 v[4:5], s[2:3], v[4:5]
	v_ashrrev_i64 v[8:9], 30, v[2:3]
	v_add_nc_u64_e32 v[2:3], s[0:1], v[2:3]
	s_delay_alu instid0(VALU_DEP_3) | instskip(NEXT) | instid1(VALU_DEP_1)
	v_add_nc_u64_e32 v[6:7], s[8:9], v[4:5]
	v_cmp_le_i64_e32 vcc_lo, s[4:5], v[6:7]
	s_delay_alu instid0(VALU_DEP_4)
	v_add_nc_u64_e32 v[6:7], s[10:11], v[8:9]
	s_or_b32 s12, vcc_lo, s12
	global_store_b32 v[6:7], v0, off
	s_wait_xcnt 0x0
	s_and_not1_b32 exec_lo, exec_lo, s12
	s_cbranch_execz .LBB478_5
.LBB478_3:                              ; =>This Inner Loop Header: Depth=1
	v_dual_add_nc_u32 v6, s13, v4 :: v_dual_mov_b32 v0, 0
	s_mov_b32 s14, exec_lo
	s_delay_alu instid0(VALU_DEP_1)
	v_cmpx_lt_i32_e32 0, v6
	s_cbranch_execz .LBB478_2
; %bb.4:                                ;   in Loop: Header=BB478_3 Depth=1
	v_add_nc_u32_e32 v8, s8, v4
	s_delay_alu instid0(VALU_DEP_1) | instskip(NEXT) | instid1(VALU_DEP_1)
	v_and_b32_e32 v0, 0x7fffffff, v8
	v_lshl_add_u64 v[6:7], v[0:1], 3, s[6:7]
	v_add_nc_u32_e32 v0, -1, v8
	s_clause 0x1
	global_load_b64 v[8:9], v[6:7], off
	global_load_b64 v[10:11], v0, s[6:7] scale_offset
	s_wait_loadcnt 0x0
	v_cmp_ne_u64_e32 vcc_lo, v[8:9], v[10:11]
	s_wait_xcnt 0x0
	v_cndmask_b32_e64 v0, 0, 1, vcc_lo
	s_branch .LBB478_2
.LBB478_5:
	s_endpgm
	.section	.rodata,"a",@progbits
	.p2align	6, 0x0
	.amdhsa_kernel _ZN2at6native8internal12_GLOBAL__N_126adjacent_difference_kernelIPKlEEvlT_Pi
		.amdhsa_group_segment_fixed_size 0
		.amdhsa_private_segment_fixed_size 0
		.amdhsa_kernarg_size 280
		.amdhsa_user_sgpr_count 2
		.amdhsa_user_sgpr_dispatch_ptr 0
		.amdhsa_user_sgpr_queue_ptr 0
		.amdhsa_user_sgpr_kernarg_segment_ptr 1
		.amdhsa_user_sgpr_dispatch_id 0
		.amdhsa_user_sgpr_kernarg_preload_length 0
		.amdhsa_user_sgpr_kernarg_preload_offset 0
		.amdhsa_user_sgpr_private_segment_size 0
		.amdhsa_wavefront_size32 1
		.amdhsa_uses_dynamic_stack 0
		.amdhsa_enable_private_segment 0
		.amdhsa_system_sgpr_workgroup_id_x 1
		.amdhsa_system_sgpr_workgroup_id_y 0
		.amdhsa_system_sgpr_workgroup_id_z 0
		.amdhsa_system_sgpr_workgroup_info 0
		.amdhsa_system_vgpr_workitem_id 0
		.amdhsa_next_free_vgpr 12
		.amdhsa_next_free_sgpr 18
		.amdhsa_named_barrier_count 0
		.amdhsa_reserve_vcc 1
		.amdhsa_float_round_mode_32 0
		.amdhsa_float_round_mode_16_64 0
		.amdhsa_float_denorm_mode_32 3
		.amdhsa_float_denorm_mode_16_64 3
		.amdhsa_fp16_overflow 0
		.amdhsa_memory_ordered 1
		.amdhsa_forward_progress 1
		.amdhsa_inst_pref_size 3
		.amdhsa_round_robin_scheduling 0
		.amdhsa_exception_fp_ieee_invalid_op 0
		.amdhsa_exception_fp_denorm_src 0
		.amdhsa_exception_fp_ieee_div_zero 0
		.amdhsa_exception_fp_ieee_overflow 0
		.amdhsa_exception_fp_ieee_underflow 0
		.amdhsa_exception_fp_ieee_inexact 0
		.amdhsa_exception_int_div_zero 0
	.end_amdhsa_kernel
	.section	.text._ZN2at6native8internal12_GLOBAL__N_126adjacent_difference_kernelIPKlEEvlT_Pi,"axG",@progbits,_ZN2at6native8internal12_GLOBAL__N_126adjacent_difference_kernelIPKlEEvlT_Pi,comdat
.Lfunc_end478:
	.size	_ZN2at6native8internal12_GLOBAL__N_126adjacent_difference_kernelIPKlEEvlT_Pi, .Lfunc_end478-_ZN2at6native8internal12_GLOBAL__N_126adjacent_difference_kernelIPKlEEvlT_Pi
                                        ; -- End function
	.set _ZN2at6native8internal12_GLOBAL__N_126adjacent_difference_kernelIPKlEEvlT_Pi.num_vgpr, 12
	.set _ZN2at6native8internal12_GLOBAL__N_126adjacent_difference_kernelIPKlEEvlT_Pi.num_agpr, 0
	.set _ZN2at6native8internal12_GLOBAL__N_126adjacent_difference_kernelIPKlEEvlT_Pi.numbered_sgpr, 18
	.set _ZN2at6native8internal12_GLOBAL__N_126adjacent_difference_kernelIPKlEEvlT_Pi.num_named_barrier, 0
	.set _ZN2at6native8internal12_GLOBAL__N_126adjacent_difference_kernelIPKlEEvlT_Pi.private_seg_size, 0
	.set _ZN2at6native8internal12_GLOBAL__N_126adjacent_difference_kernelIPKlEEvlT_Pi.uses_vcc, 1
	.set _ZN2at6native8internal12_GLOBAL__N_126adjacent_difference_kernelIPKlEEvlT_Pi.uses_flat_scratch, 0
	.set _ZN2at6native8internal12_GLOBAL__N_126adjacent_difference_kernelIPKlEEvlT_Pi.has_dyn_sized_stack, 0
	.set _ZN2at6native8internal12_GLOBAL__N_126adjacent_difference_kernelIPKlEEvlT_Pi.has_recursion, 0
	.set _ZN2at6native8internal12_GLOBAL__N_126adjacent_difference_kernelIPKlEEvlT_Pi.has_indirect_call, 0
	.section	.AMDGPU.csdata,"",@progbits
; Kernel info:
; codeLenInByte = 356
; TotalNumSgprs: 20
; NumVgprs: 12
; ScratchSize: 0
; MemoryBound: 0
; FloatMode: 240
; IeeeMode: 1
; LDSByteSize: 0 bytes/workgroup (compile time only)
; SGPRBlocks: 0
; VGPRBlocks: 0
; NumSGPRsForWavesPerEU: 20
; NumVGPRsForWavesPerEU: 12
; NamedBarCnt: 0
; Occupancy: 16
; WaveLimiterHint : 0
; COMPUTE_PGM_RSRC2:SCRATCH_EN: 0
; COMPUTE_PGM_RSRC2:USER_SGPR: 2
; COMPUTE_PGM_RSRC2:TRAP_HANDLER: 0
; COMPUTE_PGM_RSRC2:TGID_X_EN: 1
; COMPUTE_PGM_RSRC2:TGID_Y_EN: 0
; COMPUTE_PGM_RSRC2:TGID_Z_EN: 0
; COMPUTE_PGM_RSRC2:TIDIG_COMP_CNT: 0
	.section	.text._ZN7rocprim17ROCPRIM_400000_NS6detail17trampoline_kernelINS0_14default_configENS1_25partition_config_selectorILNS1_17partition_subalgoE8ElNS0_10empty_typeEbEEZZNS1_14partition_implILS5_8ELb0ES3_jPKlPS6_PKS6_NS0_5tupleIJPlS6_EEENSE_IJSB_SB_EEENS0_18inequality_wrapperIN6hipcub16HIPCUB_304000_NS8EqualityEEESF_JS6_EEE10hipError_tPvRmT3_T4_T5_T6_T7_T9_mT8_P12ihipStream_tbDpT10_ENKUlT_T0_E_clISt17integral_constantIbLb0EES16_EEDaS11_S12_EUlS11_E_NS1_11comp_targetILNS1_3genE0ELNS1_11target_archE4294967295ELNS1_3gpuE0ELNS1_3repE0EEENS1_30default_config_static_selectorELNS0_4arch9wavefront6targetE0EEEvT1_,"axG",@progbits,_ZN7rocprim17ROCPRIM_400000_NS6detail17trampoline_kernelINS0_14default_configENS1_25partition_config_selectorILNS1_17partition_subalgoE8ElNS0_10empty_typeEbEEZZNS1_14partition_implILS5_8ELb0ES3_jPKlPS6_PKS6_NS0_5tupleIJPlS6_EEENSE_IJSB_SB_EEENS0_18inequality_wrapperIN6hipcub16HIPCUB_304000_NS8EqualityEEESF_JS6_EEE10hipError_tPvRmT3_T4_T5_T6_T7_T9_mT8_P12ihipStream_tbDpT10_ENKUlT_T0_E_clISt17integral_constantIbLb0EES16_EEDaS11_S12_EUlS11_E_NS1_11comp_targetILNS1_3genE0ELNS1_11target_archE4294967295ELNS1_3gpuE0ELNS1_3repE0EEENS1_30default_config_static_selectorELNS0_4arch9wavefront6targetE0EEEvT1_,comdat
	.protected	_ZN7rocprim17ROCPRIM_400000_NS6detail17trampoline_kernelINS0_14default_configENS1_25partition_config_selectorILNS1_17partition_subalgoE8ElNS0_10empty_typeEbEEZZNS1_14partition_implILS5_8ELb0ES3_jPKlPS6_PKS6_NS0_5tupleIJPlS6_EEENSE_IJSB_SB_EEENS0_18inequality_wrapperIN6hipcub16HIPCUB_304000_NS8EqualityEEESF_JS6_EEE10hipError_tPvRmT3_T4_T5_T6_T7_T9_mT8_P12ihipStream_tbDpT10_ENKUlT_T0_E_clISt17integral_constantIbLb0EES16_EEDaS11_S12_EUlS11_E_NS1_11comp_targetILNS1_3genE0ELNS1_11target_archE4294967295ELNS1_3gpuE0ELNS1_3repE0EEENS1_30default_config_static_selectorELNS0_4arch9wavefront6targetE0EEEvT1_ ; -- Begin function _ZN7rocprim17ROCPRIM_400000_NS6detail17trampoline_kernelINS0_14default_configENS1_25partition_config_selectorILNS1_17partition_subalgoE8ElNS0_10empty_typeEbEEZZNS1_14partition_implILS5_8ELb0ES3_jPKlPS6_PKS6_NS0_5tupleIJPlS6_EEENSE_IJSB_SB_EEENS0_18inequality_wrapperIN6hipcub16HIPCUB_304000_NS8EqualityEEESF_JS6_EEE10hipError_tPvRmT3_T4_T5_T6_T7_T9_mT8_P12ihipStream_tbDpT10_ENKUlT_T0_E_clISt17integral_constantIbLb0EES16_EEDaS11_S12_EUlS11_E_NS1_11comp_targetILNS1_3genE0ELNS1_11target_archE4294967295ELNS1_3gpuE0ELNS1_3repE0EEENS1_30default_config_static_selectorELNS0_4arch9wavefront6targetE0EEEvT1_
	.globl	_ZN7rocprim17ROCPRIM_400000_NS6detail17trampoline_kernelINS0_14default_configENS1_25partition_config_selectorILNS1_17partition_subalgoE8ElNS0_10empty_typeEbEEZZNS1_14partition_implILS5_8ELb0ES3_jPKlPS6_PKS6_NS0_5tupleIJPlS6_EEENSE_IJSB_SB_EEENS0_18inequality_wrapperIN6hipcub16HIPCUB_304000_NS8EqualityEEESF_JS6_EEE10hipError_tPvRmT3_T4_T5_T6_T7_T9_mT8_P12ihipStream_tbDpT10_ENKUlT_T0_E_clISt17integral_constantIbLb0EES16_EEDaS11_S12_EUlS11_E_NS1_11comp_targetILNS1_3genE0ELNS1_11target_archE4294967295ELNS1_3gpuE0ELNS1_3repE0EEENS1_30default_config_static_selectorELNS0_4arch9wavefront6targetE0EEEvT1_
	.p2align	8
	.type	_ZN7rocprim17ROCPRIM_400000_NS6detail17trampoline_kernelINS0_14default_configENS1_25partition_config_selectorILNS1_17partition_subalgoE8ElNS0_10empty_typeEbEEZZNS1_14partition_implILS5_8ELb0ES3_jPKlPS6_PKS6_NS0_5tupleIJPlS6_EEENSE_IJSB_SB_EEENS0_18inequality_wrapperIN6hipcub16HIPCUB_304000_NS8EqualityEEESF_JS6_EEE10hipError_tPvRmT3_T4_T5_T6_T7_T9_mT8_P12ihipStream_tbDpT10_ENKUlT_T0_E_clISt17integral_constantIbLb0EES16_EEDaS11_S12_EUlS11_E_NS1_11comp_targetILNS1_3genE0ELNS1_11target_archE4294967295ELNS1_3gpuE0ELNS1_3repE0EEENS1_30default_config_static_selectorELNS0_4arch9wavefront6targetE0EEEvT1_,@function
_ZN7rocprim17ROCPRIM_400000_NS6detail17trampoline_kernelINS0_14default_configENS1_25partition_config_selectorILNS1_17partition_subalgoE8ElNS0_10empty_typeEbEEZZNS1_14partition_implILS5_8ELb0ES3_jPKlPS6_PKS6_NS0_5tupleIJPlS6_EEENSE_IJSB_SB_EEENS0_18inequality_wrapperIN6hipcub16HIPCUB_304000_NS8EqualityEEESF_JS6_EEE10hipError_tPvRmT3_T4_T5_T6_T7_T9_mT8_P12ihipStream_tbDpT10_ENKUlT_T0_E_clISt17integral_constantIbLb0EES16_EEDaS11_S12_EUlS11_E_NS1_11comp_targetILNS1_3genE0ELNS1_11target_archE4294967295ELNS1_3gpuE0ELNS1_3repE0EEENS1_30default_config_static_selectorELNS0_4arch9wavefront6targetE0EEEvT1_: ; @_ZN7rocprim17ROCPRIM_400000_NS6detail17trampoline_kernelINS0_14default_configENS1_25partition_config_selectorILNS1_17partition_subalgoE8ElNS0_10empty_typeEbEEZZNS1_14partition_implILS5_8ELb0ES3_jPKlPS6_PKS6_NS0_5tupleIJPlS6_EEENSE_IJSB_SB_EEENS0_18inequality_wrapperIN6hipcub16HIPCUB_304000_NS8EqualityEEESF_JS6_EEE10hipError_tPvRmT3_T4_T5_T6_T7_T9_mT8_P12ihipStream_tbDpT10_ENKUlT_T0_E_clISt17integral_constantIbLb0EES16_EEDaS11_S12_EUlS11_E_NS1_11comp_targetILNS1_3genE0ELNS1_11target_archE4294967295ELNS1_3gpuE0ELNS1_3repE0EEENS1_30default_config_static_selectorELNS0_4arch9wavefront6targetE0EEEvT1_
; %bb.0:
	s_clause 0x3
	s_load_b128 s[4:7], s[0:1], 0x8
	s_load_b128 s[12:15], s[0:1], 0x40
	s_load_b32 s9, s[0:1], 0x68
	s_load_b64 s[2:3], s[0:1], 0x50
	s_bfe_u32 s8, ttmp6, 0x4000c
	s_and_b32 s10, ttmp6, 15
	s_add_co_i32 s11, s8, 1
	s_mov_b32 s17, 0
	s_mul_i32 s11, ttmp9, s11
	s_getreg_b32 s18, hwreg(HW_REG_IB_STS2, 6, 4)
	s_add_co_i32 s19, s10, s11
	s_mov_b32 s21, s17
	v_dual_mov_b32 v1, v0 :: v_dual_lshlrev_b32 v22, 3, v0
	s_mov_b32 s8, -1
	s_wait_kmcnt 0x0
	s_lshl_b64 s[22:23], s[6:7], 3
	s_load_b64 s[10:11], s[14:15], 0x0
	s_mul_i32 s16, s9, 0xe00
	s_cmp_eq_u32 s18, 0
	s_wait_xcnt 0x0
	s_add_nc_u64 s[14:15], s[6:7], s[16:17]
	s_cselect_b32 s18, ttmp9, s19
	s_add_co_i32 s16, s16, s6
	v_cmp_le_u64_e64 s15, s[2:3], s[14:15]
	s_add_co_i32 s9, s9, -1
	s_sub_co_i32 s14, s2, s16
	s_cmp_eq_u32 s18, s9
	s_mul_i32 s20, s18, 0xe00
	s_cselect_b32 s16, -1, 0
	s_add_nc_u64 s[2:3], s[4:5], s[22:23]
	s_and_b32 s9, s16, s15
	s_lshl_b64 s[4:5], s[20:21], 3
	s_xor_b32 s17, s9, -1
	s_add_nc_u64 s[2:3], s[2:3], s[4:5]
	s_and_b32 vcc_lo, exec_lo, s17
	s_cbranch_vccz .LBB479_2
; %bb.1:
	s_clause 0x6
	global_load_b64 v[2:3], v0, s[2:3] scale_offset
	global_load_b64 v[4:5], v0, s[2:3] offset:4096 scale_offset
	global_load_b64 v[6:7], v0, s[2:3] offset:8192 scale_offset
	;; [unrolled: 1-line block ×6, first 2 shown]
	v_lshlrev_b32_e32 v16, 3, v0
	s_mov_b32 s8, 0
	s_wait_loadcnt 0x5
	ds_store_2addr_stride64_b64 v16, v[2:3], v[4:5] offset1:8
	s_wait_loadcnt 0x3
	ds_store_2addr_stride64_b64 v16, v[6:7], v[8:9] offset0:16 offset1:24
	s_wait_loadcnt 0x1
	ds_store_2addr_stride64_b64 v16, v[10:11], v[12:13] offset0:32 offset1:40
	s_wait_loadcnt 0x0
	ds_store_b64 v16, v[14:15] offset:24576
	s_wait_dscnt 0x0
	s_barrier_signal -1
	s_barrier_wait -1
.LBB479_2:
	s_and_not1_b32 vcc_lo, exec_lo, s8
	s_add_co_i32 s8, s14, 0xe00
	s_cbranch_vccnz .LBB479_18
; %bb.3:
	v_mov_b32_e32 v2, 0
	s_mov_b32 s4, exec_lo
	s_delay_alu instid0(VALU_DEP_1)
	v_dual_mov_b32 v3, v2 :: v_dual_mov_b32 v4, v2
	v_dual_mov_b32 v5, v2 :: v_dual_mov_b32 v6, v2
	;; [unrolled: 1-line block ×6, first 2 shown]
	v_mov_b32_e32 v15, v2
	v_cmpx_gt_u32_e64 s8, v0
	s_cbranch_execz .LBB479_5
; %bb.4:
	global_load_b64 v[4:5], v0, s[2:3] scale_offset
	v_dual_mov_b32 v6, v2 :: v_dual_mov_b32 v7, v2
	v_dual_mov_b32 v8, v2 :: v_dual_mov_b32 v9, v2
	;; [unrolled: 1-line block ×6, first 2 shown]
	s_wait_loadcnt 0x0
	v_mov_b64_e32 v[2:3], v[4:5]
	v_mov_b64_e32 v[4:5], v[6:7]
	;; [unrolled: 1-line block ×8, first 2 shown]
.LBB479_5:
	s_or_b32 exec_lo, exec_lo, s4
	v_or_b32_e32 v16, 0x200, v0
	s_mov_b32 s4, exec_lo
	s_delay_alu instid0(VALU_DEP_1)
	v_cmpx_gt_u32_e64 s8, v16
	s_cbranch_execz .LBB479_7
; %bb.6:
	global_load_b64 v[4:5], v0, s[2:3] offset:4096 scale_offset
.LBB479_7:
	s_wait_xcnt 0x0
	s_or_b32 exec_lo, exec_lo, s4
	v_or_b32_e32 v16, 0x400, v0
	s_mov_b32 s4, exec_lo
	s_delay_alu instid0(VALU_DEP_1)
	v_cmpx_gt_u32_e64 s8, v16
	s_cbranch_execz .LBB479_9
; %bb.8:
	global_load_b64 v[6:7], v0, s[2:3] offset:8192 scale_offset
.LBB479_9:
	s_wait_xcnt 0x0
	;; [unrolled: 10-line block ×6, first 2 shown]
	s_or_b32 exec_lo, exec_lo, s4
	v_lshlrev_b32_e32 v16, 3, v0
	s_wait_loadcnt 0x0
	ds_store_2addr_stride64_b64 v16, v[2:3], v[4:5] offset1:8
	ds_store_2addr_stride64_b64 v16, v[6:7], v[8:9] offset0:16 offset1:24
	ds_store_2addr_stride64_b64 v16, v[10:11], v[12:13] offset0:32 offset1:40
	ds_store_b64 v16, v[14:15] offset:24576
	s_wait_dscnt 0x0
	s_barrier_signal -1
	s_barrier_wait -1
.LBB479_18:
	v_mul_u32_u24_e32 v28, 7, v0
	s_cmp_lg_u32 s18, 0
	s_mov_b32 s14, 0
	s_cselect_b32 s19, -1, 0
	s_delay_alu instid0(VALU_DEP_1)
	v_lshlrev_b32_e32 v30, 3, v28
	s_cmp_lg_u64 s[6:7], 0
	ds_load_2addr_b64 v[10:13], v30 offset0:2 offset1:3
	ds_load_2addr_b64 v[6:9], v30 offset0:3 offset1:4
	ds_load_2addr_b64 v[14:17], v30 offset1:1
	ds_load_2addr_b64 v[18:21], v30 offset0:1 offset1:2
	ds_load_2addr_b64 v[2:5], v30 offset0:5 offset1:6
	s_cselect_b32 s4, -1, 0
	s_wait_dscnt 0x0
	s_or_b32 s4, s19, s4
	s_barrier_signal -1
	s_and_b32 vcc_lo, exec_lo, s4
	s_barrier_wait -1
	s_cbranch_vccz .LBB479_23
; %bb.19:
	s_add_nc_u64 s[2:3], s[2:3], -8
	v_lshlrev_b32_e32 v26, 3, v0
	s_load_b64 s[2:3], s[2:3], 0x0
	s_and_b32 vcc_lo, exec_lo, s17
	ds_store_b64 v26, v[4:5]
	s_cbranch_vccz .LBB479_25
; %bb.20:
	s_wait_kmcnt 0x0
	v_mov_b64_e32 v[24:25], s[2:3]
	s_mov_b32 s5, 0
	s_mov_b32 s4, exec_lo
	s_wait_dscnt 0x0
	s_barrier_signal -1
	s_barrier_wait -1
	v_cmpx_ne_u32_e32 0, v0
; %bb.21:
	v_add_nc_u32_e32 v23, -8, v26
	ds_load_b64 v[24:25], v23
; %bb.22:
	s_or_b32 exec_lo, exec_lo, s4
	v_cmp_ne_u64_e32 vcc_lo, v[10:11], v[12:13]
	s_wait_dscnt 0x0
	v_cmp_ne_u64_e64 s4, v[24:25], v[14:15]
	v_cndmask_b32_e64 v23, 0, 1, vcc_lo
	v_cmp_ne_u64_e32 vcc_lo, v[16:17], v[10:11]
	s_delay_alu instid0(VALU_DEP_2) | instskip(SKIP_2) | instid1(VALU_DEP_2)
	v_lshlrev_b16 v23, 8, v23
	v_cndmask_b32_e64 v27, 0, 1, vcc_lo
	v_cmp_ne_u64_e32 vcc_lo, v[14:15], v[16:17]
	v_or_b32_e32 v27, v27, v23
	v_cndmask_b32_e64 v29, 0, 1, vcc_lo
	v_cmp_ne_u64_e32 vcc_lo, v[2:3], v[4:5]
	s_delay_alu instid0(VALU_DEP_3) | instskip(NEXT) | instid1(VALU_DEP_3)
	v_lshlrev_b32_e32 v31, 16, v27
	v_lshlrev_b16 v29, 8, v29
	v_cndmask_b32_e64 v23, 0, 1, vcc_lo
	v_cmp_ne_u64_e32 vcc_lo, v[8:9], v[2:3]
	s_delay_alu instid0(VALU_DEP_3) | instskip(NEXT) | instid1(VALU_DEP_1)
	v_and_b32_e32 v29, 0xffff, v29
	v_or_b32_e32 v29, v29, v31
	v_cndmask_b32_e64 v27, 0, 1, vcc_lo
	v_cmp_ne_u64_e32 vcc_lo, v[12:13], v[8:9]
	v_cndmask_b32_e64 v33, 0, 1, vcc_lo
	s_and_b32 vcc_lo, exec_lo, s5
	s_cbranch_vccnz .LBB479_26
	s_branch .LBB479_29
.LBB479_23:
                                        ; implicit-def: $sgpr4
                                        ; implicit-def: $vgpr23
                                        ; implicit-def: $vgpr27
                                        ; implicit-def: $vgpr33
                                        ; implicit-def: $vgpr29
	s_branch .LBB479_30
.LBB479_24:
                                        ; implicit-def: $vgpr24
                                        ; implicit-def: $vgpr32
                                        ; implicit-def: $vgpr31
                                        ; implicit-def: $vgpr26
	s_branch .LBB479_38
.LBB479_25:
                                        ; implicit-def: $sgpr4
                                        ; implicit-def: $vgpr23
                                        ; implicit-def: $vgpr27
                                        ; implicit-def: $vgpr33
                                        ; implicit-def: $vgpr29
	s_cbranch_execz .LBB479_29
.LBB479_26:
	s_wait_kmcnt 0x0
	v_mov_b64_e32 v[24:25], s[2:3]
	s_mov_b32 s2, exec_lo
	s_wait_dscnt 0x0
	s_barrier_signal -1
	s_barrier_wait -1
	v_cmpx_ne_u32_e32 0, v0
; %bb.27:
	v_add_nc_u32_e32 v23, -8, v26
	ds_load_b64 v[24:25], v23
; %bb.28:
	s_or_b32 exec_lo, exec_lo, s2
	v_dual_add_nc_u32 v23, 6, v28 :: v_dual_add_nc_u32 v26, 5, v28
	v_cmp_ne_u64_e32 vcc_lo, v[2:3], v[4:5]
	v_dual_add_nc_u32 v27, 3, v28 :: v_dual_add_nc_u32 v29, 2, v28
	s_delay_alu instid0(VALU_DEP_3) | instskip(SKIP_2) | instid1(VALU_DEP_4)
	v_cmp_gt_u32_e64 s2, s8, v23
	v_cmp_ne_u64_e64 s3, v[10:11], v[12:13]
	v_cmp_ne_u64_e64 s4, v[16:17], v[10:11]
	v_cmp_gt_u32_e64 s5, s8, v27
	v_add_nc_u32_e32 v27, 1, v28
	s_and_b32 s2, s2, vcc_lo
	v_cmp_gt_u32_e32 vcc_lo, s8, v29
	v_cndmask_b32_e64 v23, 0, 1, s2
	v_cmp_ne_u64_e64 s2, v[14:15], v[16:17]
	s_and_b32 s3, s5, s3
	v_cmp_ne_u64_e64 s5, v[8:9], v[2:3]
	v_cndmask_b32_e64 v29, 0, 1, s3
	s_and_b32 s4, vcc_lo, s4
	v_cmp_gt_u32_e32 vcc_lo, s8, v26
	v_add_nc_u32_e32 v26, 4, v28
	v_cmp_gt_u32_e64 s3, s8, v27
	v_cndmask_b32_e64 v27, 0, 1, s4
	v_lshlrev_b16 v29, 8, v29
	v_cmp_gt_u32_e64 s4, s8, v28
	s_and_b32 s2, s3, s2
	s_and_b32 s3, vcc_lo, s5
	v_cndmask_b32_e64 v31, 0, 1, s2
	v_or_b32_e32 v29, v27, v29
	v_cmp_ne_u64_e64 s2, v[12:13], v[8:9]
	v_cmp_gt_u32_e32 vcc_lo, s8, v26
	v_cndmask_b32_e64 v27, 0, 1, s3
	v_lshlrev_b16 v31, 8, v31
	v_lshlrev_b32_e32 v26, 16, v29
	s_wait_dscnt 0x0
	v_cmp_ne_u64_e64 s3, v[24:25], v[14:15]
	s_and_b32 s2, vcc_lo, s2
	v_and_b32_e32 v29, 0xffff, v31
	v_cndmask_b32_e64 v33, 0, 1, s2
	s_and_b32 s4, s4, s3
	s_delay_alu instid0(VALU_DEP_2)
	v_or_b32_e32 v29, v29, v26
.LBB479_29:
	s_wait_kmcnt 0x0
	s_mov_b32 s14, -1
	s_cbranch_execnz .LBB479_24
.LBB479_30:
	v_cmp_ne_u64_e64 s2, v[2:3], v[4:5]
	v_mad_i32_i24 v34, 0xffffffd0, v0, v30
	s_and_b32 vcc_lo, exec_lo, s17
	ds_store_b64 v34, v[4:5]
	s_cbranch_vccz .LBB479_34
; %bb.31:
	v_cmp_ne_u64_e32 vcc_lo, v[8:9], v[2:3]
	v_cndmask_b32_e64 v23, 0, 1, s2
	v_mov_b32_e32 v24, 1
	s_mov_b32 s2, 0
	s_mov_b32 s3, exec_lo
	s_wait_dscnt 0x0
	s_barrier_signal -1
	v_cndmask_b32_e64 v27, 0, 1, vcc_lo
	v_cmp_ne_u64_e32 vcc_lo, v[12:13], v[8:9]
	s_barrier_wait -1
                                        ; implicit-def: $sgpr4
                                        ; implicit-def: $vgpr29
	v_cndmask_b32_e64 v25, 0, 1, vcc_lo
	v_cmp_ne_u64_e32 vcc_lo, v[14:15], v[16:17]
	v_cndmask_b32_e64 v32, 0, 1, vcc_lo
	v_cmp_ne_u64_e32 vcc_lo, v[16:17], v[10:11]
	;; [unrolled: 2-line block ×3, first 2 shown]
	v_cndmask_b32_e64 v26, 0, 1, vcc_lo
	v_cmpx_ne_u32_e32 0, v0
	s_xor_b32 s3, exec_lo, s3
	s_cbranch_execz .LBB479_33
; %bb.32:
	v_lshlrev_b16 v33, 8, v32
	v_add_nc_u32_e32 v29, -8, v34
	s_or_b32 s14, s14, exec_lo
	s_delay_alu instid0(VALU_DEP_2) | instskip(SKIP_3) | instid1(VALU_DEP_2)
	v_or_b32_e32 v33, 1, v33
	ds_load_b64 v[36:37], v29
	v_lshlrev_b16 v29, 8, v26
	v_and_b32_e32 v33, 0xffff, v33
	v_or_b32_e32 v29, v31, v29
	s_delay_alu instid0(VALU_DEP_1) | instskip(NEXT) | instid1(VALU_DEP_1)
	v_lshlrev_b32_e32 v29, 16, v29
	v_or_b32_e32 v29, v33, v29
	s_wait_dscnt 0x0
	v_cmp_ne_u64_e64 s4, v[36:37], v[14:15]
	s_delay_alu instid0(VALU_DEP_2)
	v_perm_b32 v29, v29, v29, 0x3020104
.LBB479_33:
	s_or_b32 exec_lo, exec_lo, s3
	v_mov_b32_e32 v33, v25
	s_and_b32 vcc_lo, exec_lo, s2
	s_cbranch_vccnz .LBB479_35
	s_branch .LBB479_38
.LBB479_34:
                                        ; implicit-def: $sgpr4
                                        ; implicit-def: $vgpr23
                                        ; implicit-def: $vgpr27
                                        ; implicit-def: $vgpr33
                                        ; implicit-def: $vgpr29
                                        ; implicit-def: $vgpr24
                                        ; implicit-def: $vgpr32
                                        ; implicit-def: $vgpr31
                                        ; implicit-def: $vgpr26
	s_cbranch_execz .LBB479_38
.LBB479_35:
	v_dual_add_nc_u32 v23, 4, v28 :: v_dual_add_nc_u32 v24, 6, v28
	v_cmp_ne_u64_e32 vcc_lo, v[12:13], v[8:9]
	v_dual_add_nc_u32 v25, 5, v28 :: v_dual_add_nc_u32 v26, 3, v28
	s_delay_alu instid0(VALU_DEP_3)
	v_cmp_gt_u32_e64 s2, s8, v23
	v_add_nc_u32_e32 v23, 2, v28
	v_cmp_ne_u64_e64 s3, v[16:17], v[20:21]
	v_cmp_ne_u64_e64 s4, v[10:11], v[6:7]
	v_add_nc_u32_e32 v7, 1, v28
	s_and_b32 s2, s2, vcc_lo
	v_cmp_gt_u32_e32 vcc_lo, s8, v26
	v_cmp_gt_u32_e64 s6, s8, v23
	v_cndmask_b32_e64 v20, 0, 1, s2
	v_cmp_ne_u64_e64 s2, v[2:3], v[4:5]
	v_cmp_gt_u32_e64 s7, s8, v25
	s_and_b32 s4, vcc_lo, s4
	s_and_b32 s3, s6, s3
	v_lshlrev_b16 v6, 8, v20
	v_cndmask_b32_e64 v25, 0, 1, s4
	v_cndmask_b32_e64 v21, 0, 1, s3
	v_cmp_gt_u32_e64 s5, s8, v24
	v_cmp_ne_u64_e32 vcc_lo, v[8:9], v[2:3]
	v_cmp_ne_u64_e64 s3, v[14:15], v[18:19]
	v_dual_mov_b32 v24, 1 :: v_dual_bitop2_b32 v26, v25, v6 bitop3:0x54
	v_lshlrev_b16 v6, 8, v21
	s_and_b32 s2, s5, s2
	s_wait_dscnt 0x0
	v_cndmask_b32_e64 v23, 0, 1, s2
	v_cmp_gt_u32_e64 s2, s8, v7
	v_lshlrev_b32_e32 v7, 16, v26
	v_and_b32_e32 v18, 0xffff, v6
	s_and_b32 s4, s7, vcc_lo
	s_barrier_signal -1
	s_and_b32 s2, s2, s3
	v_cndmask_b32_e64 v27, 0, 1, s4
	v_cndmask_b32_e64 v19, 0, 1, s2
	v_or_b32_e32 v18, v18, v7
	s_mov_b32 s3, exec_lo
	s_barrier_wait -1
                                        ; implicit-def: $sgpr4
                                        ; implicit-def: $vgpr33
                                        ; implicit-def: $vgpr29
	v_cmpx_ne_u32_e32 0, v0
	s_cbranch_execz .LBB479_37
; %bb.36:
	v_lshlrev_b16 v25, 8, v25
	v_add_nc_u32_e32 v31, -8, v34
	v_lshlrev_b16 v29, 8, v19
	v_cmp_gt_u32_e64 s2, s8, v28
	s_or_b32 s14, s14, exec_lo
	v_lshrrev_b32_e32 v25, 8, v25
	ds_load_b64 v[32:33], v31
	v_lshlrev_b16 v31, 8, v27
	v_lshrrev_b32_e32 v29, 8, v29
	v_lshlrev_b16 v25, 8, v25
	s_delay_alu instid0(VALU_DEP_3) | instskip(NEXT) | instid1(VALU_DEP_3)
	v_or_b32_e32 v20, v20, v31
	v_lshlrev_b16 v29, 8, v29
	s_delay_alu instid0(VALU_DEP_3) | instskip(NEXT) | instid1(VALU_DEP_3)
	v_or_b32_e32 v21, v21, v25
	v_and_b32_e32 v20, 0xffff, v20
	s_delay_alu instid0(VALU_DEP_3) | instskip(NEXT) | instid1(VALU_DEP_3)
	v_or_b32_e32 v25, 1, v29
	v_lshlrev_b32_e32 v21, 16, v21
	s_delay_alu instid0(VALU_DEP_2) | instskip(SKIP_3) | instid1(VALU_DEP_3)
	v_and_b32_e32 v25, 0xffff, v25
	s_wait_dscnt 0x0
	v_cmp_ne_u64_e32 vcc_lo, v[32:33], v[14:15]
	v_lshl_or_b32 v33, v23, 16, v20
	v_or_b32_e32 v21, v25, v21
	s_delay_alu instid0(VALU_DEP_1)
	v_perm_b32 v29, v21, v21, 0x3020104
	s_and_b32 s4, s2, vcc_lo
.LBB479_37:
	s_or_b32 exec_lo, exec_lo, s3
	v_dual_lshrrev_b32 v25, 24, v7 :: v_dual_bitop2_b32 v32, v19, v6 bitop3:0x54
	v_lshrrev_b32_e32 v31, 8, v18
.LBB479_38:
	s_and_saveexec_b32 s2, s14
; %bb.39:
	v_dual_lshrrev_b32 v26, 24, v29 :: v_dual_lshrrev_b32 v31, 16, v29
	v_dual_mov_b32 v25, v33 :: v_dual_lshrrev_b32 v32, 8, v29
	v_cndmask_b32_e64 v24, 0, 1, s4
; %bb.40:
	s_or_b32 exec_lo, exec_lo, s2
	s_load_b64 s[14:15], s[0:1], 0x60
	s_and_not1_b32 vcc_lo, exec_lo, s9
	s_cbranch_vccnz .LBB479_44
; %bb.41:
	v_perm_b32 v6, v24, v32, 0xc0c0004
	v_perm_b32 v7, v31, v26, 0xc0c0004
	v_cmp_gt_u32_e32 vcc_lo, s8, v28
	v_and_b32_e32 v19, 0xff, v23
	v_perm_b32 v20, v25, v27, 0xc0c0004
	v_add_nc_u32_e32 v18, 1, v28
	v_lshl_or_b32 v6, v7, 16, v6
	s_delay_alu instid0(VALU_DEP_1) | instskip(NEXT) | instid1(VALU_DEP_3)
	v_dual_add_nc_u32 v21, 4, v28 :: v_dual_cndmask_b32 v7, 0, v6, vcc_lo
	v_cmp_gt_u32_e32 vcc_lo, s8, v18
	v_dual_lshlrev_b32 v18, 16, v19 :: v_dual_add_nc_u32 v19, 2, v28
	s_delay_alu instid0(VALU_DEP_3) | instskip(NEXT) | instid1(VALU_DEP_2)
	v_and_b32_e32 v7, 0xff, v7
	v_or_b32_e32 v23, v20, v18
	v_bitop3_b32 v18, v20, 0xffff00, v18 bitop3:0xc8
	s_delay_alu instid0(VALU_DEP_3) | instskip(SKIP_2) | instid1(VALU_DEP_3)
	v_cndmask_b32_e32 v7, v7, v6, vcc_lo
	v_cmp_gt_u32_e32 vcc_lo, s8, v19
	v_add_nc_u32_e32 v19, 5, v28
	v_and_b32_e32 v7, 0xffff, v7
	s_delay_alu instid0(VALU_DEP_2) | instskip(NEXT) | instid1(VALU_DEP_2)
	v_cmp_gt_u32_e64 s2, s8, v19
	v_cndmask_b32_e32 v7, v7, v6, vcc_lo
	v_cmp_gt_u32_e32 vcc_lo, s8, v21
	v_cndmask_b32_e32 v18, v18, v23, vcc_lo
	s_delay_alu instid0(VALU_DEP_3) | instskip(SKIP_2) | instid1(VALU_DEP_3)
	v_and_b32_e32 v7, 0xffffff, v7
	v_add_nc_u32_e32 v20, 3, v28
	s_or_b32 vcc_lo, s2, vcc_lo
	v_and_b32_e32 v18, 0xffff00ff, v18
	s_delay_alu instid0(VALU_DEP_2) | instskip(NEXT) | instid1(VALU_DEP_1)
	v_cmp_gt_u32_e64 s3, s8, v20
	v_dual_cndmask_b32 v7, v7, v6, s3 :: v_dual_cndmask_b32 v25, v18, v23, s2
	s_mov_b32 s2, exec_lo
	s_delay_alu instid0(VALU_DEP_1) | instskip(NEXT) | instid1(VALU_DEP_2)
	v_dual_cndmask_b32 v24, v7, v6, vcc_lo :: v_dual_add_nc_u32 v6, 6, v28
	v_lshrrev_b32_e32 v23, 16, v25
	s_delay_alu instid0(VALU_DEP_2)
	v_lshrrev_b64 v[26:27], 24, v[24:25]
	v_dual_lshrrev_b32 v31, 16, v24 :: v_dual_lshrrev_b32 v32, 8, v24
	v_lshrrev_b32_e32 v27, 8, v25
	v_cmpx_le_u32_e64 s8, v6
; %bb.42:
	v_mov_b32_e32 v23, 0
; %bb.43:
	s_or_b32 exec_lo, exec_lo, s2
.LBB479_44:
	v_and_b32_e32 v33, 0xff, v24
	v_and_b32_e32 v34, 0xff, v32
	;; [unrolled: 1-line block ×5, first 2 shown]
	v_mbcnt_lo_u32_b32 v39, -1, 0
	v_and_b32_e32 v38, 0xff, v27
	v_add3_u32 v6, v34, v33, v35
	v_and_b32_e32 v7, 0xff, v23
	s_delay_alu instid0(VALU_DEP_4) | instskip(SKIP_1) | instid1(VALU_DEP_3)
	v_dual_lshrrev_b32 v40, 5, v0 :: v_dual_bitop2_b32 v18, 15, v39 bitop3:0x40
	s_and_b32 vcc_lo, exec_lo, s19
	v_add3_u32 v6, v6, v36, v37
	s_mov_b32 s8, -1
	s_wait_dscnt 0x0
	v_cmp_eq_u32_e64 s2, 0, v18
	v_cmp_lt_u32_e64 s4, 1, v18
	v_add3_u32 v41, v6, v38, v7
	v_and_b32_e32 v6, 16, v39
	v_or_b32_e32 v7, 31, v0
	v_cmp_lt_u32_e64 s5, 3, v18
	v_cmp_lt_u32_e64 s3, 7, v18
	s_barrier_signal -1
	v_cmp_eq_u32_e64 s7, 0, v6
	v_cmp_eq_u32_e64 s6, v0, v7
	s_barrier_wait -1
	s_cbranch_vccz .LBB479_66
; %bb.45:
	v_mov_b32_dpp v6, v41 row_shr:1 row_mask:0xf bank_mask:0xf
	s_delay_alu instid0(VALU_DEP_1) | instskip(NEXT) | instid1(VALU_DEP_1)
	v_cndmask_b32_e64 v6, v6, 0, s2
	v_add_nc_u32_e32 v6, v6, v41
	s_delay_alu instid0(VALU_DEP_1) | instskip(NEXT) | instid1(VALU_DEP_1)
	v_mov_b32_dpp v7, v6 row_shr:2 row_mask:0xf bank_mask:0xf
	v_cndmask_b32_e64 v7, 0, v7, s4
	s_delay_alu instid0(VALU_DEP_1) | instskip(NEXT) | instid1(VALU_DEP_1)
	v_add_nc_u32_e32 v6, v6, v7
	v_mov_b32_dpp v7, v6 row_shr:4 row_mask:0xf bank_mask:0xf
	s_delay_alu instid0(VALU_DEP_1) | instskip(NEXT) | instid1(VALU_DEP_1)
	v_cndmask_b32_e64 v7, 0, v7, s5
	v_add_nc_u32_e32 v6, v6, v7
	s_delay_alu instid0(VALU_DEP_1) | instskip(NEXT) | instid1(VALU_DEP_1)
	v_mov_b32_dpp v7, v6 row_shr:8 row_mask:0xf bank_mask:0xf
	v_cndmask_b32_e64 v7, 0, v7, s3
	s_delay_alu instid0(VALU_DEP_1) | instskip(SKIP_3) | instid1(VALU_DEP_1)
	v_add_nc_u32_e32 v6, v6, v7
	ds_swizzle_b32 v7, v6 offset:swizzle(BROADCAST,32,15)
	s_wait_dscnt 0x0
	v_cndmask_b32_e64 v7, v7, 0, s7
	v_add_nc_u32_e32 v6, v6, v7
	s_and_saveexec_b32 s8, s6
; %bb.46:
	v_lshlrev_b32_e32 v7, 2, v40
	ds_store_b32 v7, v6
; %bb.47:
	s_or_b32 exec_lo, exec_lo, s8
	s_delay_alu instid0(SALU_CYCLE_1)
	s_mov_b32 s8, exec_lo
	s_wait_dscnt 0x0
	s_barrier_signal -1
	s_barrier_wait -1
	v_cmpx_gt_u32_e32 16, v0
	s_cbranch_execz .LBB479_49
; %bb.48:
	v_lshlrev_b32_e32 v7, 2, v0
	ds_load_b32 v18, v7
	s_wait_dscnt 0x0
	v_mov_b32_dpp v19, v18 row_shr:1 row_mask:0xf bank_mask:0xf
	s_delay_alu instid0(VALU_DEP_1) | instskip(NEXT) | instid1(VALU_DEP_1)
	v_cndmask_b32_e64 v19, v19, 0, s2
	v_add_nc_u32_e32 v18, v19, v18
	s_delay_alu instid0(VALU_DEP_1) | instskip(NEXT) | instid1(VALU_DEP_1)
	v_mov_b32_dpp v19, v18 row_shr:2 row_mask:0xf bank_mask:0xf
	v_cndmask_b32_e64 v19, 0, v19, s4
	s_delay_alu instid0(VALU_DEP_1) | instskip(NEXT) | instid1(VALU_DEP_1)
	v_add_nc_u32_e32 v18, v18, v19
	v_mov_b32_dpp v19, v18 row_shr:4 row_mask:0xf bank_mask:0xf
	s_delay_alu instid0(VALU_DEP_1) | instskip(NEXT) | instid1(VALU_DEP_1)
	v_cndmask_b32_e64 v19, 0, v19, s5
	v_add_nc_u32_e32 v18, v18, v19
	s_delay_alu instid0(VALU_DEP_1) | instskip(NEXT) | instid1(VALU_DEP_1)
	v_mov_b32_dpp v19, v18 row_shr:8 row_mask:0xf bank_mask:0xf
	v_cndmask_b32_e64 v19, 0, v19, s3
	s_delay_alu instid0(VALU_DEP_1)
	v_add_nc_u32_e32 v18, v18, v19
	ds_store_b32 v7, v18
.LBB479_49:
	s_or_b32 exec_lo, exec_lo, s8
	s_delay_alu instid0(SALU_CYCLE_1)
	s_mov_b32 s9, exec_lo
	v_cmp_gt_u32_e32 vcc_lo, 32, v0
	s_wait_dscnt 0x0
	s_barrier_signal -1
	s_barrier_wait -1
                                        ; implicit-def: $vgpr42
	v_cmpx_lt_u32_e32 31, v0
	s_cbranch_execz .LBB479_51
; %bb.50:
	v_lshl_add_u32 v7, v40, 2, -4
	ds_load_b32 v42, v7
	s_wait_dscnt 0x0
	v_add_nc_u32_e32 v6, v42, v6
.LBB479_51:
	s_or_b32 exec_lo, exec_lo, s9
	v_sub_co_u32 v7, s8, v39, 1
	s_delay_alu instid0(VALU_DEP_1) | instskip(NEXT) | instid1(VALU_DEP_1)
	v_cmp_gt_i32_e64 s9, 0, v7
	v_cndmask_b32_e64 v7, v7, v39, s9
	s_delay_alu instid0(VALU_DEP_1)
	v_lshlrev_b32_e32 v7, 2, v7
	ds_bpermute_b32 v43, v7, v6
	s_and_saveexec_b32 s9, vcc_lo
	s_cbranch_execz .LBB479_71
; %bb.52:
	v_mov_b32_e32 v29, 0
	ds_load_b32 v6, v29 offset:60
	s_and_saveexec_b32 s19, s8
	s_cbranch_execz .LBB479_54
; %bb.53:
	s_add_co_i32 s20, s18, 32
	s_delay_alu instid0(SALU_CYCLE_1)
	v_dual_mov_b32 v7, 1 :: v_dual_mov_b32 v18, s20
	s_wait_xcnt 0x0
	s_wait_dscnt 0x0
	s_wait_kmcnt 0x0
	global_store_b64 v18, v[6:7], s[14:15] scale_offset scope:SCOPE_DEV
.LBB479_54:
	s_wait_xcnt 0x0
	s_or_b32 exec_lo, exec_lo, s19
	v_xad_u32 v18, v39, -1, s18
	s_mov_b32 s20, 0
	s_mov_b32 s19, exec_lo
	s_delay_alu instid0(VALU_DEP_1)
	v_add_nc_u32_e32 v28, 32, v18
	s_wait_kmcnt 0x0
	global_load_b64 v[20:21], v28, s[14:15] scale_offset scope:SCOPE_DEV
	s_wait_loadcnt 0x0
	v_and_b32_e32 v7, 0xff, v21
	s_wait_xcnt 0x0
	s_delay_alu instid0(VALU_DEP_1)
	v_cmpx_eq_u16_e32 0, v7
	s_cbranch_execz .LBB479_58
; %bb.55:
	v_lshl_add_u64 v[28:29], v[28:29], 3, s[14:15]
.LBB479_56:                             ; =>This Inner Loop Header: Depth=1
	global_load_b64 v[20:21], v[28:29], off scope:SCOPE_DEV
	s_wait_loadcnt 0x0
	v_and_b32_e32 v7, 0xff, v21
	s_delay_alu instid0(VALU_DEP_1)
	v_cmp_ne_u16_e32 vcc_lo, 0, v7
	s_or_b32 s20, vcc_lo, s20
	s_wait_xcnt 0x0
	s_and_not1_b32 exec_lo, exec_lo, s20
	s_cbranch_execnz .LBB479_56
; %bb.57:
	s_or_b32 exec_lo, exec_lo, s20
.LBB479_58:
	s_delay_alu instid0(SALU_CYCLE_1)
	s_or_b32 exec_lo, exec_lo, s19
	v_cmp_ne_u32_e32 vcc_lo, 31, v39
	v_lshlrev_b32_e64 v45, v39, -1
	v_lshl_or_b32 v52, v39, 2, 64
	v_dual_add_nc_u32 v51, 8, v39 :: v_dual_add_nc_u32 v53, 16, v39
	v_add_co_ci_u32_e64 v7, null, 0, v39, vcc_lo
	s_delay_alu instid0(VALU_DEP_1)
	v_lshlrev_b32_e32 v44, 2, v7
	v_and_b32_e32 v7, 0xff, v21
	ds_bpermute_b32 v19, v44, v20
	v_cmp_eq_u16_e32 vcc_lo, 2, v7
	v_and_or_b32 v7, vcc_lo, v45, 0x80000000
	v_cmp_gt_u32_e32 vcc_lo, 30, v39
	s_delay_alu instid0(VALU_DEP_2) | instskip(SKIP_1) | instid1(VALU_DEP_2)
	v_ctz_i32_b32_e32 v7, v7
	v_cndmask_b32_e64 v28, 0, 2, vcc_lo
	v_cmp_lt_u32_e32 vcc_lo, v39, v7
	s_delay_alu instid0(VALU_DEP_2) | instskip(SKIP_3) | instid1(VALU_DEP_2)
	v_add_lshl_u32 v46, v28, v39, 2
	s_wait_dscnt 0x0
	v_cndmask_b32_e32 v19, 0, v19, vcc_lo
	v_cmp_gt_u32_e32 vcc_lo, 28, v39
	v_dual_add_nc_u32 v19, v19, v20 :: v_dual_add_nc_u32 v47, 2, v39
	v_cndmask_b32_e64 v28, 0, 4, vcc_lo
	ds_bpermute_b32 v20, v46, v19
	v_cmp_le_u32_e32 vcc_lo, v47, v7
	v_add_lshl_u32 v48, v28, v39, 2
	s_wait_dscnt 0x0
	v_cndmask_b32_e32 v20, 0, v20, vcc_lo
	v_cmp_gt_u32_e32 vcc_lo, 24, v39
	s_delay_alu instid0(VALU_DEP_2) | instskip(SKIP_4) | instid1(VALU_DEP_2)
	v_add_nc_u32_e32 v19, v19, v20
	v_cndmask_b32_e64 v28, 0, 8, vcc_lo
	ds_bpermute_b32 v20, v48, v19
	v_add_nc_u32_e32 v49, 4, v39
	v_add_lshl_u32 v50, v28, v39, 2
	v_cmp_le_u32_e32 vcc_lo, v49, v7
	s_wait_dscnt 0x0
	v_cndmask_b32_e32 v20, 0, v20, vcc_lo
	v_cmp_le_u32_e32 vcc_lo, v51, v7
	s_delay_alu instid0(VALU_DEP_2) | instskip(SKIP_4) | instid1(VALU_DEP_2)
	v_add_nc_u32_e32 v19, v19, v20
	ds_bpermute_b32 v20, v50, v19
	s_wait_dscnt 0x0
	v_cndmask_b32_e32 v20, 0, v20, vcc_lo
	v_cmp_le_u32_e32 vcc_lo, v53, v7
	v_add_nc_u32_e32 v19, v19, v20
	ds_bpermute_b32 v20, v52, v19
	s_wait_dscnt 0x0
	v_cndmask_b32_e32 v7, 0, v20, vcc_lo
	s_delay_alu instid0(VALU_DEP_1)
	v_dual_mov_b32 v19, 0 :: v_dual_add_nc_u32 v20, v19, v7
	s_branch .LBB479_61
.LBB479_59:                             ;   in Loop: Header=BB479_61 Depth=1
	s_or_b32 exec_lo, exec_lo, s19
	v_and_b32_e32 v28, 0xff, v21
	ds_bpermute_b32 v29, v44, v20
	v_subrev_nc_u32_e32 v18, 32, v18
	s_mov_b32 s19, 0
	v_cmp_eq_u16_e32 vcc_lo, 2, v28
	v_and_or_b32 v28, vcc_lo, v45, 0x80000000
	s_delay_alu instid0(VALU_DEP_1) | instskip(NEXT) | instid1(VALU_DEP_1)
	v_ctz_i32_b32_e32 v28, v28
	v_cmp_lt_u32_e32 vcc_lo, v39, v28
	s_wait_dscnt 0x0
	v_cndmask_b32_e32 v29, 0, v29, vcc_lo
	v_cmp_le_u32_e32 vcc_lo, v47, v28
	s_delay_alu instid0(VALU_DEP_2) | instskip(SKIP_4) | instid1(VALU_DEP_2)
	v_add_nc_u32_e32 v20, v29, v20
	ds_bpermute_b32 v29, v46, v20
	s_wait_dscnt 0x0
	v_cndmask_b32_e32 v29, 0, v29, vcc_lo
	v_cmp_le_u32_e32 vcc_lo, v49, v28
	v_add_nc_u32_e32 v20, v20, v29
	ds_bpermute_b32 v29, v48, v20
	s_wait_dscnt 0x0
	v_cndmask_b32_e32 v29, 0, v29, vcc_lo
	v_cmp_le_u32_e32 vcc_lo, v51, v28
	s_delay_alu instid0(VALU_DEP_2) | instskip(SKIP_4) | instid1(VALU_DEP_2)
	v_add_nc_u32_e32 v20, v20, v29
	ds_bpermute_b32 v29, v50, v20
	s_wait_dscnt 0x0
	v_cndmask_b32_e32 v29, 0, v29, vcc_lo
	v_cmp_le_u32_e32 vcc_lo, v53, v28
	v_add_nc_u32_e32 v20, v20, v29
	ds_bpermute_b32 v29, v52, v20
	s_wait_dscnt 0x0
	v_cndmask_b32_e32 v28, 0, v29, vcc_lo
	s_delay_alu instid0(VALU_DEP_1)
	v_add3_u32 v20, v28, v7, v20
.LBB479_60:                             ;   in Loop: Header=BB479_61 Depth=1
	s_and_b32 vcc_lo, exec_lo, s19
	s_cbranch_vccnz .LBB479_67
.LBB479_61:                             ; =>This Loop Header: Depth=1
                                        ;     Child Loop BB479_64 Depth 2
	v_and_b32_e32 v7, 0xff, v21
	s_mov_b32 s19, -1
                                        ; implicit-def: $vgpr21
	s_delay_alu instid0(VALU_DEP_1)
	v_cmp_ne_u16_e32 vcc_lo, 2, v7
	v_mov_b32_e32 v7, v20
                                        ; implicit-def: $vgpr20
	s_cmp_lg_u32 vcc_lo, exec_lo
	s_cbranch_scc1 .LBB479_60
; %bb.62:                               ;   in Loop: Header=BB479_61 Depth=1
	global_load_b64 v[20:21], v18, s[14:15] scale_offset scope:SCOPE_DEV
	s_mov_b32 s19, exec_lo
	s_wait_loadcnt 0x0
	v_and_b32_e32 v28, 0xff, v21
	s_wait_xcnt 0x0
	s_delay_alu instid0(VALU_DEP_1)
	v_cmpx_eq_u16_e32 0, v28
	s_cbranch_execz .LBB479_59
; %bb.63:                               ;   in Loop: Header=BB479_61 Depth=1
	v_lshl_add_u64 v[28:29], v[18:19], 3, s[14:15]
	s_mov_b32 s20, 0
.LBB479_64:                             ;   Parent Loop BB479_61 Depth=1
                                        ; =>  This Inner Loop Header: Depth=2
	global_load_b64 v[20:21], v[28:29], off scope:SCOPE_DEV
	s_wait_loadcnt 0x0
	v_and_b32_e32 v54, 0xff, v21
	s_delay_alu instid0(VALU_DEP_1)
	v_cmp_ne_u16_e32 vcc_lo, 0, v54
	s_or_b32 s20, vcc_lo, s20
	s_wait_xcnt 0x0
	s_and_not1_b32 exec_lo, exec_lo, s20
	s_cbranch_execnz .LBB479_64
; %bb.65:                               ;   in Loop: Header=BB479_61 Depth=1
	s_or_b32 exec_lo, exec_lo, s20
	s_branch .LBB479_59
.LBB479_66:
                                        ; implicit-def: $vgpr18
                                        ; implicit-def: $vgpr6
                                        ; implicit-def: $vgpr19
                                        ; implicit-def: $vgpr20
                                        ; implicit-def: $vgpr21
                                        ; implicit-def: $vgpr28
                                        ; implicit-def: $vgpr29
                                        ; implicit-def: $vgpr42
                                        ; implicit-def: $vgpr43
	s_and_b32 vcc_lo, exec_lo, s8
	s_cbranch_vccnz .LBB479_72
	s_branch .LBB479_81
.LBB479_67:
	s_and_saveexec_b32 s19, s8
	s_cbranch_execz .LBB479_69
; %bb.68:
	s_add_co_i32 s18, s18, 32
	v_dual_mov_b32 v19, 2 :: v_dual_add_nc_u32 v18, v7, v6
	v_dual_mov_b32 v20, s18 :: v_dual_mov_b32 v21, 0
	global_store_b64 v20, v[18:19], s[14:15] scale_offset scope:SCOPE_DEV
	ds_store_b64 v21, v[6:7] offset:28672
.LBB479_69:
	s_wait_xcnt 0x0
	s_or_b32 exec_lo, exec_lo, s19
	v_cmp_eq_u32_e32 vcc_lo, 0, v0
	s_and_b32 exec_lo, exec_lo, vcc_lo
; %bb.70:
	v_mov_b32_e32 v6, 0
	ds_store_b32 v6, v7 offset:60
.LBB479_71:
	s_or_b32 exec_lo, exec_lo, s9
	s_wait_dscnt 0x0
	v_dual_mov_b32 v6, 0 :: v_dual_cndmask_b32 v18, v43, v42, s8
	s_wait_storecnt 0x0
	s_barrier_signal -1
	s_barrier_wait -1
	ds_load_b32 v7, v6 offset:60
	v_cmp_ne_u32_e32 vcc_lo, 0, v0
	s_wait_dscnt 0x0
	s_barrier_signal -1
	s_barrier_wait -1
	v_cndmask_b32_e32 v18, 0, v18, vcc_lo
	s_delay_alu instid0(VALU_DEP_1) | instskip(SKIP_2) | instid1(VALU_DEP_1)
	v_add_nc_u32_e32 v43, v7, v18
	ds_load_b64 v[6:7], v6 offset:28672
	v_add_nc_u32_e32 v42, v43, v33
	v_add_nc_u32_e32 v29, v42, v34
	s_delay_alu instid0(VALU_DEP_1) | instskip(SKIP_1) | instid1(VALU_DEP_1)
	v_add_nc_u32_e32 v28, v29, v35
	s_wait_dscnt 0x0
	v_dual_mov_b32 v18, v7 :: v_dual_add_nc_u32 v21, v28, v36
	s_delay_alu instid0(VALU_DEP_1) | instskip(NEXT) | instid1(VALU_DEP_1)
	v_add_nc_u32_e32 v20, v21, v37
	v_add_nc_u32_e32 v19, v20, v38
	s_branch .LBB479_81
.LBB479_72:
	v_mov_b32_dpp v6, v41 row_shr:1 row_mask:0xf bank_mask:0xf
	s_delay_alu instid0(VALU_DEP_1) | instskip(NEXT) | instid1(VALU_DEP_1)
	v_cndmask_b32_e64 v6, v6, 0, s2
	v_add_nc_u32_e32 v6, v6, v41
	s_delay_alu instid0(VALU_DEP_1) | instskip(NEXT) | instid1(VALU_DEP_1)
	v_mov_b32_dpp v7, v6 row_shr:2 row_mask:0xf bank_mask:0xf
	v_cndmask_b32_e64 v7, 0, v7, s4
	s_delay_alu instid0(VALU_DEP_1) | instskip(NEXT) | instid1(VALU_DEP_1)
	v_add_nc_u32_e32 v6, v6, v7
	v_mov_b32_dpp v7, v6 row_shr:4 row_mask:0xf bank_mask:0xf
	s_delay_alu instid0(VALU_DEP_1) | instskip(NEXT) | instid1(VALU_DEP_1)
	v_cndmask_b32_e64 v7, 0, v7, s5
	v_add_nc_u32_e32 v6, v6, v7
	s_delay_alu instid0(VALU_DEP_1) | instskip(NEXT) | instid1(VALU_DEP_1)
	v_mov_b32_dpp v7, v6 row_shr:8 row_mask:0xf bank_mask:0xf
	v_cndmask_b32_e64 v7, 0, v7, s3
	s_delay_alu instid0(VALU_DEP_1) | instskip(SKIP_3) | instid1(VALU_DEP_1)
	v_add_nc_u32_e32 v6, v6, v7
	ds_swizzle_b32 v7, v6 offset:swizzle(BROADCAST,32,15)
	s_wait_dscnt 0x0
	v_cndmask_b32_e64 v7, v7, 0, s7
	v_add_nc_u32_e32 v6, v6, v7
	s_and_saveexec_b32 s7, s6
; %bb.73:
	v_lshlrev_b32_e32 v7, 2, v40
	ds_store_b32 v7, v6
; %bb.74:
	s_or_b32 exec_lo, exec_lo, s7
	s_delay_alu instid0(SALU_CYCLE_1)
	s_mov_b32 s6, exec_lo
	s_wait_dscnt 0x0
	s_barrier_signal -1
	s_barrier_wait -1
	v_cmpx_gt_u32_e32 16, v0
	s_cbranch_execz .LBB479_76
; %bb.75:
	v_mad_i32_i24 v7, 0xffffffcc, v0, v30
	ds_load_b32 v18, v7
	s_wait_dscnt 0x0
	v_mov_b32_dpp v19, v18 row_shr:1 row_mask:0xf bank_mask:0xf
	s_delay_alu instid0(VALU_DEP_1) | instskip(NEXT) | instid1(VALU_DEP_1)
	v_cndmask_b32_e64 v19, v19, 0, s2
	v_add_nc_u32_e32 v18, v19, v18
	s_delay_alu instid0(VALU_DEP_1) | instskip(NEXT) | instid1(VALU_DEP_1)
	v_mov_b32_dpp v19, v18 row_shr:2 row_mask:0xf bank_mask:0xf
	v_cndmask_b32_e64 v19, 0, v19, s4
	s_delay_alu instid0(VALU_DEP_1) | instskip(NEXT) | instid1(VALU_DEP_1)
	v_add_nc_u32_e32 v18, v18, v19
	v_mov_b32_dpp v19, v18 row_shr:4 row_mask:0xf bank_mask:0xf
	s_delay_alu instid0(VALU_DEP_1) | instskip(NEXT) | instid1(VALU_DEP_1)
	v_cndmask_b32_e64 v19, 0, v19, s5
	v_add_nc_u32_e32 v18, v18, v19
	s_delay_alu instid0(VALU_DEP_1) | instskip(NEXT) | instid1(VALU_DEP_1)
	v_mov_b32_dpp v19, v18 row_shr:8 row_mask:0xf bank_mask:0xf
	v_cndmask_b32_e64 v19, 0, v19, s3
	s_delay_alu instid0(VALU_DEP_1)
	v_add_nc_u32_e32 v18, v18, v19
	ds_store_b32 v7, v18
.LBB479_76:
	s_or_b32 exec_lo, exec_lo, s6
	v_dual_mov_b32 v7, 0 :: v_dual_mov_b32 v18, 0
	s_mov_b32 s2, exec_lo
	s_wait_dscnt 0x0
	s_barrier_signal -1
	s_barrier_wait -1
	v_cmpx_lt_u32_e32 31, v0
; %bb.77:
	v_lshl_add_u32 v18, v40, 2, -4
	ds_load_b32 v18, v18
; %bb.78:
	s_or_b32 exec_lo, exec_lo, s2
	v_sub_co_u32 v19, vcc_lo, v39, 1
	s_wait_dscnt 0x0
	v_add_nc_u32_e32 v6, v18, v6
	s_delay_alu instid0(VALU_DEP_2) | instskip(NEXT) | instid1(VALU_DEP_1)
	v_cmp_gt_i32_e64 s2, 0, v19
	v_cndmask_b32_e64 v19, v19, v39, s2
	v_cmp_eq_u32_e64 s2, 0, v0
	s_delay_alu instid0(VALU_DEP_2)
	v_lshlrev_b32_e32 v19, 2, v19
	ds_bpermute_b32 v19, v19, v6
	ds_load_b32 v6, v7 offset:60
	s_and_saveexec_b32 s3, s2
	s_cbranch_execz .LBB479_80
; %bb.79:
	v_dual_mov_b32 v20, 0 :: v_dual_mov_b32 v7, 2
	s_wait_xcnt 0x0
	s_wait_dscnt 0x0
	s_wait_kmcnt 0x0
	global_store_b64 v20, v[6:7], s[14:15] offset:256 scope:SCOPE_DEV
.LBB479_80:
	s_wait_xcnt 0x0
	s_or_b32 exec_lo, exec_lo, s3
	s_wait_dscnt 0x1
	v_cndmask_b32_e32 v7, v19, v18, vcc_lo
	s_wait_storecnt_dscnt 0x0
	s_barrier_signal -1
	s_barrier_wait -1
	s_delay_alu instid0(VALU_DEP_1) | instskip(NEXT) | instid1(VALU_DEP_1)
	v_cndmask_b32_e64 v43, v7, 0, s2
	v_dual_mov_b32 v18, 0 :: v_dual_add_nc_u32 v42, v43, v33
	s_delay_alu instid0(VALU_DEP_1) | instskip(NEXT) | instid1(VALU_DEP_1)
	v_add_nc_u32_e32 v29, v42, v34
	v_add_nc_u32_e32 v28, v29, v35
	s_delay_alu instid0(VALU_DEP_1) | instskip(NEXT) | instid1(VALU_DEP_1)
	v_add_nc_u32_e32 v21, v28, v36
	v_add_nc_u32_e32 v20, v21, v37
	s_delay_alu instid0(VALU_DEP_1)
	v_add_nc_u32_e32 v19, v20, v38
.LBB479_81:
	s_load_b64 s[2:3], s[0:1], 0x28
	v_and_b32_e32 v7, 1, v24
	v_cmp_gt_u32_e32 vcc_lo, 0x201, v6
	s_wait_xcnt 0x0
	s_mov_b32 s1, -1
	s_delay_alu instid0(VALU_DEP_2)
	v_cmp_eq_u32_e64 s0, 1, v7
	s_cbranch_vccnz .LBB479_85
; %bb.82:
	s_and_b32 vcc_lo, exec_lo, s1
	s_cbranch_vccnz .LBB479_100
.LBB479_83:
	v_cmp_eq_u32_e32 vcc_lo, 0, v0
	s_and_b32 s0, vcc_lo, s16
	s_delay_alu instid0(SALU_CYCLE_1)
	s_and_saveexec_b32 s1, s0
	s_cbranch_execnz .LBB479_117
.LBB479_84:
	s_endpgm
.LBB479_85:
	v_add_nc_u32_e32 v24, v18, v6
	s_wait_kmcnt 0x0
	s_lshl_b64 s[4:5], s[10:11], 3
	s_delay_alu instid0(SALU_CYCLE_1) | instskip(NEXT) | instid1(VALU_DEP_1)
	s_add_nc_u64 s[4:5], s[2:3], s[4:5]
	v_cmp_lt_u32_e32 vcc_lo, v43, v24
	s_or_b32 s1, s17, vcc_lo
	s_delay_alu instid0(SALU_CYCLE_1) | instskip(NEXT) | instid1(SALU_CYCLE_1)
	s_and_b32 s1, s1, s0
	s_and_saveexec_b32 s0, s1
	s_cbranch_execz .LBB479_87
; %bb.86:
	global_store_b64 v43, v[14:15], s[4:5] scale_offset
.LBB479_87:
	s_wait_xcnt 0x0
	s_or_b32 exec_lo, exec_lo, s0
	v_and_b32_e32 v30, 1, v32
	v_cmp_lt_u32_e32 vcc_lo, v42, v24
	s_delay_alu instid0(VALU_DEP_2) | instskip(SKIP_1) | instid1(SALU_CYCLE_1)
	v_cmp_eq_u32_e64 s0, 1, v30
	s_or_b32 s1, s17, vcc_lo
	s_and_b32 s1, s1, s0
	s_delay_alu instid0(SALU_CYCLE_1)
	s_and_saveexec_b32 s0, s1
	s_cbranch_execz .LBB479_89
; %bb.88:
	global_store_b64 v42, v[16:17], s[4:5] scale_offset
.LBB479_89:
	s_wait_xcnt 0x0
	s_or_b32 exec_lo, exec_lo, s0
	v_and_b32_e32 v30, 1, v31
	v_cmp_lt_u32_e32 vcc_lo, v29, v24
	s_delay_alu instid0(VALU_DEP_2) | instskip(SKIP_1) | instid1(SALU_CYCLE_1)
	v_cmp_eq_u32_e64 s0, 1, v30
	s_or_b32 s1, s17, vcc_lo
	s_and_b32 s1, s1, s0
	s_delay_alu instid0(SALU_CYCLE_1)
	;; [unrolled: 14-line block ×6, first 2 shown]
	s_and_saveexec_b32 s0, s1
	s_cbranch_execz .LBB479_99
; %bb.98:
	global_store_b64 v19, v[4:5], s[4:5] scale_offset
.LBB479_99:
	s_wait_xcnt 0x0
	s_or_b32 exec_lo, exec_lo, s0
	s_branch .LBB479_83
.LBB479_100:
	s_mov_b32 s0, exec_lo
	v_cmpx_eq_u32_e32 1, v7
; %bb.101:
	v_sub_nc_u32_e32 v7, v43, v18
	s_delay_alu instid0(VALU_DEP_1)
	v_lshlrev_b32_e32 v7, 3, v7
	ds_store_b64 v7, v[14:15]
; %bb.102:
	s_or_b32 exec_lo, exec_lo, s0
	v_and_b32_e32 v7, 1, v32
	s_mov_b32 s0, exec_lo
	s_delay_alu instid0(VALU_DEP_1)
	v_cmpx_eq_u32_e32 1, v7
; %bb.103:
	v_sub_nc_u32_e32 v7, v42, v18
	s_delay_alu instid0(VALU_DEP_1)
	v_lshlrev_b32_e32 v7, 3, v7
	ds_store_b64 v7, v[16:17]
; %bb.104:
	s_or_b32 exec_lo, exec_lo, s0
	v_and_b32_e32 v7, 1, v31
	s_mov_b32 s0, exec_lo
	s_delay_alu instid0(VALU_DEP_1)
	v_cmpx_eq_u32_e32 1, v7
; %bb.105:
	v_sub_nc_u32_e32 v7, v29, v18
	s_delay_alu instid0(VALU_DEP_1)
	v_lshlrev_b32_e32 v7, 3, v7
	ds_store_b64 v7, v[10:11]
; %bb.106:
	s_or_b32 exec_lo, exec_lo, s0
	v_and_b32_e32 v7, 1, v26
	s_mov_b32 s0, exec_lo
	s_delay_alu instid0(VALU_DEP_1)
	v_cmpx_eq_u32_e32 1, v7
; %bb.107:
	v_sub_nc_u32_e32 v7, v28, v18
	s_delay_alu instid0(VALU_DEP_1)
	v_lshlrev_b32_e32 v7, 3, v7
	ds_store_b64 v7, v[12:13]
; %bb.108:
	s_or_b32 exec_lo, exec_lo, s0
	v_and_b32_e32 v7, 1, v25
	s_mov_b32 s0, exec_lo
	s_delay_alu instid0(VALU_DEP_1)
	v_cmpx_eq_u32_e32 1, v7
; %bb.109:
	v_sub_nc_u32_e32 v7, v21, v18
	s_delay_alu instid0(VALU_DEP_1)
	v_lshlrev_b32_e32 v7, 3, v7
	ds_store_b64 v7, v[8:9]
; %bb.110:
	s_or_b32 exec_lo, exec_lo, s0
	v_and_b32_e32 v7, 1, v27
	s_mov_b32 s0, exec_lo
	s_delay_alu instid0(VALU_DEP_1)
	v_cmpx_eq_u32_e32 1, v7
; %bb.111:
	v_sub_nc_u32_e32 v7, v20, v18
	s_delay_alu instid0(VALU_DEP_1)
	v_lshlrev_b32_e32 v7, 3, v7
	ds_store_b64 v7, v[2:3]
; %bb.112:
	s_or_b32 exec_lo, exec_lo, s0
	v_and_b32_e32 v2, 1, v23
	s_mov_b32 s0, exec_lo
	s_delay_alu instid0(VALU_DEP_1)
	v_cmpx_eq_u32_e32 1, v2
; %bb.113:
	v_sub_nc_u32_e32 v2, v19, v18
	s_delay_alu instid0(VALU_DEP_1)
	v_lshlrev_b32_e32 v2, 3, v2
	ds_store_b64 v2, v[4:5]
; %bb.114:
	s_or_b32 exec_lo, exec_lo, s0
	v_mov_b32_e32 v19, 0
	s_wait_kmcnt 0x0
	s_lshl_b64 s[0:1], s[10:11], 3
	s_wait_storecnt_dscnt 0x0
	s_barrier_signal -1
	s_barrier_wait -1
	v_lshlrev_b64_e32 v[2:3], 3, v[18:19]
	v_mov_b32_e32 v23, v19
	s_delay_alu instid0(VALU_DEP_2) | instskip(SKIP_1) | instid1(VALU_DEP_1)
	v_add_nc_u64_e32 v[2:3], s[0:1], v[2:3]
	s_mov_b32 s0, 0
	v_add_nc_u64_e32 v[2:3], s[2:3], v[2:3]
	s_delay_alu instid0(VALU_DEP_1)
	v_add_nc_u64_e32 v[2:3], v[2:3], v[22:23]
.LBB479_115:                            ; =>This Inner Loop Header: Depth=1
	ds_load_b64 v[4:5], v22
	v_add_nc_u32_e32 v1, 0x200, v1
	v_add_nc_u32_e32 v22, 0x1000, v22
	s_delay_alu instid0(VALU_DEP_2)
	v_cmp_ge_u32_e32 vcc_lo, v1, v6
	s_or_b32 s0, vcc_lo, s0
	s_wait_dscnt 0x0
	global_store_b64 v[2:3], v[4:5], off
	s_wait_xcnt 0x0
	v_add_nc_u64_e32 v[2:3], 0x1000, v[2:3]
	s_and_not1_b32 exec_lo, exec_lo, s0
	s_cbranch_execnz .LBB479_115
; %bb.116:
	s_or_b32 exec_lo, exec_lo, s0
	v_cmp_eq_u32_e32 vcc_lo, 0, v0
	s_and_b32 s0, vcc_lo, s16
	s_delay_alu instid0(SALU_CYCLE_1)
	s_and_saveexec_b32 s1, s0
	s_cbranch_execz .LBB479_84
.LBB479_117:
	v_mov_b32_e32 v7, 0
	s_wait_kmcnt 0x0
	s_delay_alu instid0(VALU_DEP_1) | instskip(SKIP_1) | instid1(VALU_DEP_1)
	v_add_nc_u64_e32 v[0:1], s[10:11], v[6:7]
	v_mov_b32_e32 v19, v7
	v_add_nc_u64_e32 v[0:1], v[0:1], v[18:19]
	global_store_b64 v7, v[0:1], s[12:13]
	s_endpgm
	.section	.rodata,"a",@progbits
	.p2align	6, 0x0
	.amdhsa_kernel _ZN7rocprim17ROCPRIM_400000_NS6detail17trampoline_kernelINS0_14default_configENS1_25partition_config_selectorILNS1_17partition_subalgoE8ElNS0_10empty_typeEbEEZZNS1_14partition_implILS5_8ELb0ES3_jPKlPS6_PKS6_NS0_5tupleIJPlS6_EEENSE_IJSB_SB_EEENS0_18inequality_wrapperIN6hipcub16HIPCUB_304000_NS8EqualityEEESF_JS6_EEE10hipError_tPvRmT3_T4_T5_T6_T7_T9_mT8_P12ihipStream_tbDpT10_ENKUlT_T0_E_clISt17integral_constantIbLb0EES16_EEDaS11_S12_EUlS11_E_NS1_11comp_targetILNS1_3genE0ELNS1_11target_archE4294967295ELNS1_3gpuE0ELNS1_3repE0EEENS1_30default_config_static_selectorELNS0_4arch9wavefront6targetE0EEEvT1_
		.amdhsa_group_segment_fixed_size 28680
		.amdhsa_private_segment_fixed_size 0
		.amdhsa_kernarg_size 112
		.amdhsa_user_sgpr_count 2
		.amdhsa_user_sgpr_dispatch_ptr 0
		.amdhsa_user_sgpr_queue_ptr 0
		.amdhsa_user_sgpr_kernarg_segment_ptr 1
		.amdhsa_user_sgpr_dispatch_id 0
		.amdhsa_user_sgpr_kernarg_preload_length 0
		.amdhsa_user_sgpr_kernarg_preload_offset 0
		.amdhsa_user_sgpr_private_segment_size 0
		.amdhsa_wavefront_size32 1
		.amdhsa_uses_dynamic_stack 0
		.amdhsa_enable_private_segment 0
		.amdhsa_system_sgpr_workgroup_id_x 1
		.amdhsa_system_sgpr_workgroup_id_y 0
		.amdhsa_system_sgpr_workgroup_id_z 0
		.amdhsa_system_sgpr_workgroup_info 0
		.amdhsa_system_vgpr_workitem_id 0
		.amdhsa_next_free_vgpr 55
		.amdhsa_next_free_sgpr 24
		.amdhsa_named_barrier_count 0
		.amdhsa_reserve_vcc 1
		.amdhsa_float_round_mode_32 0
		.amdhsa_float_round_mode_16_64 0
		.amdhsa_float_denorm_mode_32 3
		.amdhsa_float_denorm_mode_16_64 3
		.amdhsa_fp16_overflow 0
		.amdhsa_memory_ordered 1
		.amdhsa_forward_progress 1
		.amdhsa_inst_pref_size 45
		.amdhsa_round_robin_scheduling 0
		.amdhsa_exception_fp_ieee_invalid_op 0
		.amdhsa_exception_fp_denorm_src 0
		.amdhsa_exception_fp_ieee_div_zero 0
		.amdhsa_exception_fp_ieee_overflow 0
		.amdhsa_exception_fp_ieee_underflow 0
		.amdhsa_exception_fp_ieee_inexact 0
		.amdhsa_exception_int_div_zero 0
	.end_amdhsa_kernel
	.section	.text._ZN7rocprim17ROCPRIM_400000_NS6detail17trampoline_kernelINS0_14default_configENS1_25partition_config_selectorILNS1_17partition_subalgoE8ElNS0_10empty_typeEbEEZZNS1_14partition_implILS5_8ELb0ES3_jPKlPS6_PKS6_NS0_5tupleIJPlS6_EEENSE_IJSB_SB_EEENS0_18inequality_wrapperIN6hipcub16HIPCUB_304000_NS8EqualityEEESF_JS6_EEE10hipError_tPvRmT3_T4_T5_T6_T7_T9_mT8_P12ihipStream_tbDpT10_ENKUlT_T0_E_clISt17integral_constantIbLb0EES16_EEDaS11_S12_EUlS11_E_NS1_11comp_targetILNS1_3genE0ELNS1_11target_archE4294967295ELNS1_3gpuE0ELNS1_3repE0EEENS1_30default_config_static_selectorELNS0_4arch9wavefront6targetE0EEEvT1_,"axG",@progbits,_ZN7rocprim17ROCPRIM_400000_NS6detail17trampoline_kernelINS0_14default_configENS1_25partition_config_selectorILNS1_17partition_subalgoE8ElNS0_10empty_typeEbEEZZNS1_14partition_implILS5_8ELb0ES3_jPKlPS6_PKS6_NS0_5tupleIJPlS6_EEENSE_IJSB_SB_EEENS0_18inequality_wrapperIN6hipcub16HIPCUB_304000_NS8EqualityEEESF_JS6_EEE10hipError_tPvRmT3_T4_T5_T6_T7_T9_mT8_P12ihipStream_tbDpT10_ENKUlT_T0_E_clISt17integral_constantIbLb0EES16_EEDaS11_S12_EUlS11_E_NS1_11comp_targetILNS1_3genE0ELNS1_11target_archE4294967295ELNS1_3gpuE0ELNS1_3repE0EEENS1_30default_config_static_selectorELNS0_4arch9wavefront6targetE0EEEvT1_,comdat
.Lfunc_end479:
	.size	_ZN7rocprim17ROCPRIM_400000_NS6detail17trampoline_kernelINS0_14default_configENS1_25partition_config_selectorILNS1_17partition_subalgoE8ElNS0_10empty_typeEbEEZZNS1_14partition_implILS5_8ELb0ES3_jPKlPS6_PKS6_NS0_5tupleIJPlS6_EEENSE_IJSB_SB_EEENS0_18inequality_wrapperIN6hipcub16HIPCUB_304000_NS8EqualityEEESF_JS6_EEE10hipError_tPvRmT3_T4_T5_T6_T7_T9_mT8_P12ihipStream_tbDpT10_ENKUlT_T0_E_clISt17integral_constantIbLb0EES16_EEDaS11_S12_EUlS11_E_NS1_11comp_targetILNS1_3genE0ELNS1_11target_archE4294967295ELNS1_3gpuE0ELNS1_3repE0EEENS1_30default_config_static_selectorELNS0_4arch9wavefront6targetE0EEEvT1_, .Lfunc_end479-_ZN7rocprim17ROCPRIM_400000_NS6detail17trampoline_kernelINS0_14default_configENS1_25partition_config_selectorILNS1_17partition_subalgoE8ElNS0_10empty_typeEbEEZZNS1_14partition_implILS5_8ELb0ES3_jPKlPS6_PKS6_NS0_5tupleIJPlS6_EEENSE_IJSB_SB_EEENS0_18inequality_wrapperIN6hipcub16HIPCUB_304000_NS8EqualityEEESF_JS6_EEE10hipError_tPvRmT3_T4_T5_T6_T7_T9_mT8_P12ihipStream_tbDpT10_ENKUlT_T0_E_clISt17integral_constantIbLb0EES16_EEDaS11_S12_EUlS11_E_NS1_11comp_targetILNS1_3genE0ELNS1_11target_archE4294967295ELNS1_3gpuE0ELNS1_3repE0EEENS1_30default_config_static_selectorELNS0_4arch9wavefront6targetE0EEEvT1_
                                        ; -- End function
	.set _ZN7rocprim17ROCPRIM_400000_NS6detail17trampoline_kernelINS0_14default_configENS1_25partition_config_selectorILNS1_17partition_subalgoE8ElNS0_10empty_typeEbEEZZNS1_14partition_implILS5_8ELb0ES3_jPKlPS6_PKS6_NS0_5tupleIJPlS6_EEENSE_IJSB_SB_EEENS0_18inequality_wrapperIN6hipcub16HIPCUB_304000_NS8EqualityEEESF_JS6_EEE10hipError_tPvRmT3_T4_T5_T6_T7_T9_mT8_P12ihipStream_tbDpT10_ENKUlT_T0_E_clISt17integral_constantIbLb0EES16_EEDaS11_S12_EUlS11_E_NS1_11comp_targetILNS1_3genE0ELNS1_11target_archE4294967295ELNS1_3gpuE0ELNS1_3repE0EEENS1_30default_config_static_selectorELNS0_4arch9wavefront6targetE0EEEvT1_.num_vgpr, 55
	.set _ZN7rocprim17ROCPRIM_400000_NS6detail17trampoline_kernelINS0_14default_configENS1_25partition_config_selectorILNS1_17partition_subalgoE8ElNS0_10empty_typeEbEEZZNS1_14partition_implILS5_8ELb0ES3_jPKlPS6_PKS6_NS0_5tupleIJPlS6_EEENSE_IJSB_SB_EEENS0_18inequality_wrapperIN6hipcub16HIPCUB_304000_NS8EqualityEEESF_JS6_EEE10hipError_tPvRmT3_T4_T5_T6_T7_T9_mT8_P12ihipStream_tbDpT10_ENKUlT_T0_E_clISt17integral_constantIbLb0EES16_EEDaS11_S12_EUlS11_E_NS1_11comp_targetILNS1_3genE0ELNS1_11target_archE4294967295ELNS1_3gpuE0ELNS1_3repE0EEENS1_30default_config_static_selectorELNS0_4arch9wavefront6targetE0EEEvT1_.num_agpr, 0
	.set _ZN7rocprim17ROCPRIM_400000_NS6detail17trampoline_kernelINS0_14default_configENS1_25partition_config_selectorILNS1_17partition_subalgoE8ElNS0_10empty_typeEbEEZZNS1_14partition_implILS5_8ELb0ES3_jPKlPS6_PKS6_NS0_5tupleIJPlS6_EEENSE_IJSB_SB_EEENS0_18inequality_wrapperIN6hipcub16HIPCUB_304000_NS8EqualityEEESF_JS6_EEE10hipError_tPvRmT3_T4_T5_T6_T7_T9_mT8_P12ihipStream_tbDpT10_ENKUlT_T0_E_clISt17integral_constantIbLb0EES16_EEDaS11_S12_EUlS11_E_NS1_11comp_targetILNS1_3genE0ELNS1_11target_archE4294967295ELNS1_3gpuE0ELNS1_3repE0EEENS1_30default_config_static_selectorELNS0_4arch9wavefront6targetE0EEEvT1_.numbered_sgpr, 24
	.set _ZN7rocprim17ROCPRIM_400000_NS6detail17trampoline_kernelINS0_14default_configENS1_25partition_config_selectorILNS1_17partition_subalgoE8ElNS0_10empty_typeEbEEZZNS1_14partition_implILS5_8ELb0ES3_jPKlPS6_PKS6_NS0_5tupleIJPlS6_EEENSE_IJSB_SB_EEENS0_18inequality_wrapperIN6hipcub16HIPCUB_304000_NS8EqualityEEESF_JS6_EEE10hipError_tPvRmT3_T4_T5_T6_T7_T9_mT8_P12ihipStream_tbDpT10_ENKUlT_T0_E_clISt17integral_constantIbLb0EES16_EEDaS11_S12_EUlS11_E_NS1_11comp_targetILNS1_3genE0ELNS1_11target_archE4294967295ELNS1_3gpuE0ELNS1_3repE0EEENS1_30default_config_static_selectorELNS0_4arch9wavefront6targetE0EEEvT1_.num_named_barrier, 0
	.set _ZN7rocprim17ROCPRIM_400000_NS6detail17trampoline_kernelINS0_14default_configENS1_25partition_config_selectorILNS1_17partition_subalgoE8ElNS0_10empty_typeEbEEZZNS1_14partition_implILS5_8ELb0ES3_jPKlPS6_PKS6_NS0_5tupleIJPlS6_EEENSE_IJSB_SB_EEENS0_18inequality_wrapperIN6hipcub16HIPCUB_304000_NS8EqualityEEESF_JS6_EEE10hipError_tPvRmT3_T4_T5_T6_T7_T9_mT8_P12ihipStream_tbDpT10_ENKUlT_T0_E_clISt17integral_constantIbLb0EES16_EEDaS11_S12_EUlS11_E_NS1_11comp_targetILNS1_3genE0ELNS1_11target_archE4294967295ELNS1_3gpuE0ELNS1_3repE0EEENS1_30default_config_static_selectorELNS0_4arch9wavefront6targetE0EEEvT1_.private_seg_size, 0
	.set _ZN7rocprim17ROCPRIM_400000_NS6detail17trampoline_kernelINS0_14default_configENS1_25partition_config_selectorILNS1_17partition_subalgoE8ElNS0_10empty_typeEbEEZZNS1_14partition_implILS5_8ELb0ES3_jPKlPS6_PKS6_NS0_5tupleIJPlS6_EEENSE_IJSB_SB_EEENS0_18inequality_wrapperIN6hipcub16HIPCUB_304000_NS8EqualityEEESF_JS6_EEE10hipError_tPvRmT3_T4_T5_T6_T7_T9_mT8_P12ihipStream_tbDpT10_ENKUlT_T0_E_clISt17integral_constantIbLb0EES16_EEDaS11_S12_EUlS11_E_NS1_11comp_targetILNS1_3genE0ELNS1_11target_archE4294967295ELNS1_3gpuE0ELNS1_3repE0EEENS1_30default_config_static_selectorELNS0_4arch9wavefront6targetE0EEEvT1_.uses_vcc, 1
	.set _ZN7rocprim17ROCPRIM_400000_NS6detail17trampoline_kernelINS0_14default_configENS1_25partition_config_selectorILNS1_17partition_subalgoE8ElNS0_10empty_typeEbEEZZNS1_14partition_implILS5_8ELb0ES3_jPKlPS6_PKS6_NS0_5tupleIJPlS6_EEENSE_IJSB_SB_EEENS0_18inequality_wrapperIN6hipcub16HIPCUB_304000_NS8EqualityEEESF_JS6_EEE10hipError_tPvRmT3_T4_T5_T6_T7_T9_mT8_P12ihipStream_tbDpT10_ENKUlT_T0_E_clISt17integral_constantIbLb0EES16_EEDaS11_S12_EUlS11_E_NS1_11comp_targetILNS1_3genE0ELNS1_11target_archE4294967295ELNS1_3gpuE0ELNS1_3repE0EEENS1_30default_config_static_selectorELNS0_4arch9wavefront6targetE0EEEvT1_.uses_flat_scratch, 0
	.set _ZN7rocprim17ROCPRIM_400000_NS6detail17trampoline_kernelINS0_14default_configENS1_25partition_config_selectorILNS1_17partition_subalgoE8ElNS0_10empty_typeEbEEZZNS1_14partition_implILS5_8ELb0ES3_jPKlPS6_PKS6_NS0_5tupleIJPlS6_EEENSE_IJSB_SB_EEENS0_18inequality_wrapperIN6hipcub16HIPCUB_304000_NS8EqualityEEESF_JS6_EEE10hipError_tPvRmT3_T4_T5_T6_T7_T9_mT8_P12ihipStream_tbDpT10_ENKUlT_T0_E_clISt17integral_constantIbLb0EES16_EEDaS11_S12_EUlS11_E_NS1_11comp_targetILNS1_3genE0ELNS1_11target_archE4294967295ELNS1_3gpuE0ELNS1_3repE0EEENS1_30default_config_static_selectorELNS0_4arch9wavefront6targetE0EEEvT1_.has_dyn_sized_stack, 0
	.set _ZN7rocprim17ROCPRIM_400000_NS6detail17trampoline_kernelINS0_14default_configENS1_25partition_config_selectorILNS1_17partition_subalgoE8ElNS0_10empty_typeEbEEZZNS1_14partition_implILS5_8ELb0ES3_jPKlPS6_PKS6_NS0_5tupleIJPlS6_EEENSE_IJSB_SB_EEENS0_18inequality_wrapperIN6hipcub16HIPCUB_304000_NS8EqualityEEESF_JS6_EEE10hipError_tPvRmT3_T4_T5_T6_T7_T9_mT8_P12ihipStream_tbDpT10_ENKUlT_T0_E_clISt17integral_constantIbLb0EES16_EEDaS11_S12_EUlS11_E_NS1_11comp_targetILNS1_3genE0ELNS1_11target_archE4294967295ELNS1_3gpuE0ELNS1_3repE0EEENS1_30default_config_static_selectorELNS0_4arch9wavefront6targetE0EEEvT1_.has_recursion, 0
	.set _ZN7rocprim17ROCPRIM_400000_NS6detail17trampoline_kernelINS0_14default_configENS1_25partition_config_selectorILNS1_17partition_subalgoE8ElNS0_10empty_typeEbEEZZNS1_14partition_implILS5_8ELb0ES3_jPKlPS6_PKS6_NS0_5tupleIJPlS6_EEENSE_IJSB_SB_EEENS0_18inequality_wrapperIN6hipcub16HIPCUB_304000_NS8EqualityEEESF_JS6_EEE10hipError_tPvRmT3_T4_T5_T6_T7_T9_mT8_P12ihipStream_tbDpT10_ENKUlT_T0_E_clISt17integral_constantIbLb0EES16_EEDaS11_S12_EUlS11_E_NS1_11comp_targetILNS1_3genE0ELNS1_11target_archE4294967295ELNS1_3gpuE0ELNS1_3repE0EEENS1_30default_config_static_selectorELNS0_4arch9wavefront6targetE0EEEvT1_.has_indirect_call, 0
	.section	.AMDGPU.csdata,"",@progbits
; Kernel info:
; codeLenInByte = 5720
; TotalNumSgprs: 26
; NumVgprs: 55
; ScratchSize: 0
; MemoryBound: 0
; FloatMode: 240
; IeeeMode: 1
; LDSByteSize: 28680 bytes/workgroup (compile time only)
; SGPRBlocks: 0
; VGPRBlocks: 3
; NumSGPRsForWavesPerEU: 26
; NumVGPRsForWavesPerEU: 55
; NamedBarCnt: 0
; Occupancy: 16
; WaveLimiterHint : 1
; COMPUTE_PGM_RSRC2:SCRATCH_EN: 0
; COMPUTE_PGM_RSRC2:USER_SGPR: 2
; COMPUTE_PGM_RSRC2:TRAP_HANDLER: 0
; COMPUTE_PGM_RSRC2:TGID_X_EN: 1
; COMPUTE_PGM_RSRC2:TGID_Y_EN: 0
; COMPUTE_PGM_RSRC2:TGID_Z_EN: 0
; COMPUTE_PGM_RSRC2:TIDIG_COMP_CNT: 0
	.section	.text._ZN7rocprim17ROCPRIM_400000_NS6detail17trampoline_kernelINS0_14default_configENS1_25partition_config_selectorILNS1_17partition_subalgoE8ElNS0_10empty_typeEbEEZZNS1_14partition_implILS5_8ELb0ES3_jPKlPS6_PKS6_NS0_5tupleIJPlS6_EEENSE_IJSB_SB_EEENS0_18inequality_wrapperIN6hipcub16HIPCUB_304000_NS8EqualityEEESF_JS6_EEE10hipError_tPvRmT3_T4_T5_T6_T7_T9_mT8_P12ihipStream_tbDpT10_ENKUlT_T0_E_clISt17integral_constantIbLb0EES16_EEDaS11_S12_EUlS11_E_NS1_11comp_targetILNS1_3genE5ELNS1_11target_archE942ELNS1_3gpuE9ELNS1_3repE0EEENS1_30default_config_static_selectorELNS0_4arch9wavefront6targetE0EEEvT1_,"axG",@progbits,_ZN7rocprim17ROCPRIM_400000_NS6detail17trampoline_kernelINS0_14default_configENS1_25partition_config_selectorILNS1_17partition_subalgoE8ElNS0_10empty_typeEbEEZZNS1_14partition_implILS5_8ELb0ES3_jPKlPS6_PKS6_NS0_5tupleIJPlS6_EEENSE_IJSB_SB_EEENS0_18inequality_wrapperIN6hipcub16HIPCUB_304000_NS8EqualityEEESF_JS6_EEE10hipError_tPvRmT3_T4_T5_T6_T7_T9_mT8_P12ihipStream_tbDpT10_ENKUlT_T0_E_clISt17integral_constantIbLb0EES16_EEDaS11_S12_EUlS11_E_NS1_11comp_targetILNS1_3genE5ELNS1_11target_archE942ELNS1_3gpuE9ELNS1_3repE0EEENS1_30default_config_static_selectorELNS0_4arch9wavefront6targetE0EEEvT1_,comdat
	.protected	_ZN7rocprim17ROCPRIM_400000_NS6detail17trampoline_kernelINS0_14default_configENS1_25partition_config_selectorILNS1_17partition_subalgoE8ElNS0_10empty_typeEbEEZZNS1_14partition_implILS5_8ELb0ES3_jPKlPS6_PKS6_NS0_5tupleIJPlS6_EEENSE_IJSB_SB_EEENS0_18inequality_wrapperIN6hipcub16HIPCUB_304000_NS8EqualityEEESF_JS6_EEE10hipError_tPvRmT3_T4_T5_T6_T7_T9_mT8_P12ihipStream_tbDpT10_ENKUlT_T0_E_clISt17integral_constantIbLb0EES16_EEDaS11_S12_EUlS11_E_NS1_11comp_targetILNS1_3genE5ELNS1_11target_archE942ELNS1_3gpuE9ELNS1_3repE0EEENS1_30default_config_static_selectorELNS0_4arch9wavefront6targetE0EEEvT1_ ; -- Begin function _ZN7rocprim17ROCPRIM_400000_NS6detail17trampoline_kernelINS0_14default_configENS1_25partition_config_selectorILNS1_17partition_subalgoE8ElNS0_10empty_typeEbEEZZNS1_14partition_implILS5_8ELb0ES3_jPKlPS6_PKS6_NS0_5tupleIJPlS6_EEENSE_IJSB_SB_EEENS0_18inequality_wrapperIN6hipcub16HIPCUB_304000_NS8EqualityEEESF_JS6_EEE10hipError_tPvRmT3_T4_T5_T6_T7_T9_mT8_P12ihipStream_tbDpT10_ENKUlT_T0_E_clISt17integral_constantIbLb0EES16_EEDaS11_S12_EUlS11_E_NS1_11comp_targetILNS1_3genE5ELNS1_11target_archE942ELNS1_3gpuE9ELNS1_3repE0EEENS1_30default_config_static_selectorELNS0_4arch9wavefront6targetE0EEEvT1_
	.globl	_ZN7rocprim17ROCPRIM_400000_NS6detail17trampoline_kernelINS0_14default_configENS1_25partition_config_selectorILNS1_17partition_subalgoE8ElNS0_10empty_typeEbEEZZNS1_14partition_implILS5_8ELb0ES3_jPKlPS6_PKS6_NS0_5tupleIJPlS6_EEENSE_IJSB_SB_EEENS0_18inequality_wrapperIN6hipcub16HIPCUB_304000_NS8EqualityEEESF_JS6_EEE10hipError_tPvRmT3_T4_T5_T6_T7_T9_mT8_P12ihipStream_tbDpT10_ENKUlT_T0_E_clISt17integral_constantIbLb0EES16_EEDaS11_S12_EUlS11_E_NS1_11comp_targetILNS1_3genE5ELNS1_11target_archE942ELNS1_3gpuE9ELNS1_3repE0EEENS1_30default_config_static_selectorELNS0_4arch9wavefront6targetE0EEEvT1_
	.p2align	8
	.type	_ZN7rocprim17ROCPRIM_400000_NS6detail17trampoline_kernelINS0_14default_configENS1_25partition_config_selectorILNS1_17partition_subalgoE8ElNS0_10empty_typeEbEEZZNS1_14partition_implILS5_8ELb0ES3_jPKlPS6_PKS6_NS0_5tupleIJPlS6_EEENSE_IJSB_SB_EEENS0_18inequality_wrapperIN6hipcub16HIPCUB_304000_NS8EqualityEEESF_JS6_EEE10hipError_tPvRmT3_T4_T5_T6_T7_T9_mT8_P12ihipStream_tbDpT10_ENKUlT_T0_E_clISt17integral_constantIbLb0EES16_EEDaS11_S12_EUlS11_E_NS1_11comp_targetILNS1_3genE5ELNS1_11target_archE942ELNS1_3gpuE9ELNS1_3repE0EEENS1_30default_config_static_selectorELNS0_4arch9wavefront6targetE0EEEvT1_,@function
_ZN7rocprim17ROCPRIM_400000_NS6detail17trampoline_kernelINS0_14default_configENS1_25partition_config_selectorILNS1_17partition_subalgoE8ElNS0_10empty_typeEbEEZZNS1_14partition_implILS5_8ELb0ES3_jPKlPS6_PKS6_NS0_5tupleIJPlS6_EEENSE_IJSB_SB_EEENS0_18inequality_wrapperIN6hipcub16HIPCUB_304000_NS8EqualityEEESF_JS6_EEE10hipError_tPvRmT3_T4_T5_T6_T7_T9_mT8_P12ihipStream_tbDpT10_ENKUlT_T0_E_clISt17integral_constantIbLb0EES16_EEDaS11_S12_EUlS11_E_NS1_11comp_targetILNS1_3genE5ELNS1_11target_archE942ELNS1_3gpuE9ELNS1_3repE0EEENS1_30default_config_static_selectorELNS0_4arch9wavefront6targetE0EEEvT1_: ; @_ZN7rocprim17ROCPRIM_400000_NS6detail17trampoline_kernelINS0_14default_configENS1_25partition_config_selectorILNS1_17partition_subalgoE8ElNS0_10empty_typeEbEEZZNS1_14partition_implILS5_8ELb0ES3_jPKlPS6_PKS6_NS0_5tupleIJPlS6_EEENSE_IJSB_SB_EEENS0_18inequality_wrapperIN6hipcub16HIPCUB_304000_NS8EqualityEEESF_JS6_EEE10hipError_tPvRmT3_T4_T5_T6_T7_T9_mT8_P12ihipStream_tbDpT10_ENKUlT_T0_E_clISt17integral_constantIbLb0EES16_EEDaS11_S12_EUlS11_E_NS1_11comp_targetILNS1_3genE5ELNS1_11target_archE942ELNS1_3gpuE9ELNS1_3repE0EEENS1_30default_config_static_selectorELNS0_4arch9wavefront6targetE0EEEvT1_
; %bb.0:
	.section	.rodata,"a",@progbits
	.p2align	6, 0x0
	.amdhsa_kernel _ZN7rocprim17ROCPRIM_400000_NS6detail17trampoline_kernelINS0_14default_configENS1_25partition_config_selectorILNS1_17partition_subalgoE8ElNS0_10empty_typeEbEEZZNS1_14partition_implILS5_8ELb0ES3_jPKlPS6_PKS6_NS0_5tupleIJPlS6_EEENSE_IJSB_SB_EEENS0_18inequality_wrapperIN6hipcub16HIPCUB_304000_NS8EqualityEEESF_JS6_EEE10hipError_tPvRmT3_T4_T5_T6_T7_T9_mT8_P12ihipStream_tbDpT10_ENKUlT_T0_E_clISt17integral_constantIbLb0EES16_EEDaS11_S12_EUlS11_E_NS1_11comp_targetILNS1_3genE5ELNS1_11target_archE942ELNS1_3gpuE9ELNS1_3repE0EEENS1_30default_config_static_selectorELNS0_4arch9wavefront6targetE0EEEvT1_
		.amdhsa_group_segment_fixed_size 0
		.amdhsa_private_segment_fixed_size 0
		.amdhsa_kernarg_size 112
		.amdhsa_user_sgpr_count 2
		.amdhsa_user_sgpr_dispatch_ptr 0
		.amdhsa_user_sgpr_queue_ptr 0
		.amdhsa_user_sgpr_kernarg_segment_ptr 1
		.amdhsa_user_sgpr_dispatch_id 0
		.amdhsa_user_sgpr_kernarg_preload_length 0
		.amdhsa_user_sgpr_kernarg_preload_offset 0
		.amdhsa_user_sgpr_private_segment_size 0
		.amdhsa_wavefront_size32 1
		.amdhsa_uses_dynamic_stack 0
		.amdhsa_enable_private_segment 0
		.amdhsa_system_sgpr_workgroup_id_x 1
		.amdhsa_system_sgpr_workgroup_id_y 0
		.amdhsa_system_sgpr_workgroup_id_z 0
		.amdhsa_system_sgpr_workgroup_info 0
		.amdhsa_system_vgpr_workitem_id 0
		.amdhsa_next_free_vgpr 1
		.amdhsa_next_free_sgpr 1
		.amdhsa_named_barrier_count 0
		.amdhsa_reserve_vcc 0
		.amdhsa_float_round_mode_32 0
		.amdhsa_float_round_mode_16_64 0
		.amdhsa_float_denorm_mode_32 3
		.amdhsa_float_denorm_mode_16_64 3
		.amdhsa_fp16_overflow 0
		.amdhsa_memory_ordered 1
		.amdhsa_forward_progress 1
		.amdhsa_inst_pref_size 0
		.amdhsa_round_robin_scheduling 0
		.amdhsa_exception_fp_ieee_invalid_op 0
		.amdhsa_exception_fp_denorm_src 0
		.amdhsa_exception_fp_ieee_div_zero 0
		.amdhsa_exception_fp_ieee_overflow 0
		.amdhsa_exception_fp_ieee_underflow 0
		.amdhsa_exception_fp_ieee_inexact 0
		.amdhsa_exception_int_div_zero 0
	.end_amdhsa_kernel
	.section	.text._ZN7rocprim17ROCPRIM_400000_NS6detail17trampoline_kernelINS0_14default_configENS1_25partition_config_selectorILNS1_17partition_subalgoE8ElNS0_10empty_typeEbEEZZNS1_14partition_implILS5_8ELb0ES3_jPKlPS6_PKS6_NS0_5tupleIJPlS6_EEENSE_IJSB_SB_EEENS0_18inequality_wrapperIN6hipcub16HIPCUB_304000_NS8EqualityEEESF_JS6_EEE10hipError_tPvRmT3_T4_T5_T6_T7_T9_mT8_P12ihipStream_tbDpT10_ENKUlT_T0_E_clISt17integral_constantIbLb0EES16_EEDaS11_S12_EUlS11_E_NS1_11comp_targetILNS1_3genE5ELNS1_11target_archE942ELNS1_3gpuE9ELNS1_3repE0EEENS1_30default_config_static_selectorELNS0_4arch9wavefront6targetE0EEEvT1_,"axG",@progbits,_ZN7rocprim17ROCPRIM_400000_NS6detail17trampoline_kernelINS0_14default_configENS1_25partition_config_selectorILNS1_17partition_subalgoE8ElNS0_10empty_typeEbEEZZNS1_14partition_implILS5_8ELb0ES3_jPKlPS6_PKS6_NS0_5tupleIJPlS6_EEENSE_IJSB_SB_EEENS0_18inequality_wrapperIN6hipcub16HIPCUB_304000_NS8EqualityEEESF_JS6_EEE10hipError_tPvRmT3_T4_T5_T6_T7_T9_mT8_P12ihipStream_tbDpT10_ENKUlT_T0_E_clISt17integral_constantIbLb0EES16_EEDaS11_S12_EUlS11_E_NS1_11comp_targetILNS1_3genE5ELNS1_11target_archE942ELNS1_3gpuE9ELNS1_3repE0EEENS1_30default_config_static_selectorELNS0_4arch9wavefront6targetE0EEEvT1_,comdat
.Lfunc_end480:
	.size	_ZN7rocprim17ROCPRIM_400000_NS6detail17trampoline_kernelINS0_14default_configENS1_25partition_config_selectorILNS1_17partition_subalgoE8ElNS0_10empty_typeEbEEZZNS1_14partition_implILS5_8ELb0ES3_jPKlPS6_PKS6_NS0_5tupleIJPlS6_EEENSE_IJSB_SB_EEENS0_18inequality_wrapperIN6hipcub16HIPCUB_304000_NS8EqualityEEESF_JS6_EEE10hipError_tPvRmT3_T4_T5_T6_T7_T9_mT8_P12ihipStream_tbDpT10_ENKUlT_T0_E_clISt17integral_constantIbLb0EES16_EEDaS11_S12_EUlS11_E_NS1_11comp_targetILNS1_3genE5ELNS1_11target_archE942ELNS1_3gpuE9ELNS1_3repE0EEENS1_30default_config_static_selectorELNS0_4arch9wavefront6targetE0EEEvT1_, .Lfunc_end480-_ZN7rocprim17ROCPRIM_400000_NS6detail17trampoline_kernelINS0_14default_configENS1_25partition_config_selectorILNS1_17partition_subalgoE8ElNS0_10empty_typeEbEEZZNS1_14partition_implILS5_8ELb0ES3_jPKlPS6_PKS6_NS0_5tupleIJPlS6_EEENSE_IJSB_SB_EEENS0_18inequality_wrapperIN6hipcub16HIPCUB_304000_NS8EqualityEEESF_JS6_EEE10hipError_tPvRmT3_T4_T5_T6_T7_T9_mT8_P12ihipStream_tbDpT10_ENKUlT_T0_E_clISt17integral_constantIbLb0EES16_EEDaS11_S12_EUlS11_E_NS1_11comp_targetILNS1_3genE5ELNS1_11target_archE942ELNS1_3gpuE9ELNS1_3repE0EEENS1_30default_config_static_selectorELNS0_4arch9wavefront6targetE0EEEvT1_
                                        ; -- End function
	.set _ZN7rocprim17ROCPRIM_400000_NS6detail17trampoline_kernelINS0_14default_configENS1_25partition_config_selectorILNS1_17partition_subalgoE8ElNS0_10empty_typeEbEEZZNS1_14partition_implILS5_8ELb0ES3_jPKlPS6_PKS6_NS0_5tupleIJPlS6_EEENSE_IJSB_SB_EEENS0_18inequality_wrapperIN6hipcub16HIPCUB_304000_NS8EqualityEEESF_JS6_EEE10hipError_tPvRmT3_T4_T5_T6_T7_T9_mT8_P12ihipStream_tbDpT10_ENKUlT_T0_E_clISt17integral_constantIbLb0EES16_EEDaS11_S12_EUlS11_E_NS1_11comp_targetILNS1_3genE5ELNS1_11target_archE942ELNS1_3gpuE9ELNS1_3repE0EEENS1_30default_config_static_selectorELNS0_4arch9wavefront6targetE0EEEvT1_.num_vgpr, 0
	.set _ZN7rocprim17ROCPRIM_400000_NS6detail17trampoline_kernelINS0_14default_configENS1_25partition_config_selectorILNS1_17partition_subalgoE8ElNS0_10empty_typeEbEEZZNS1_14partition_implILS5_8ELb0ES3_jPKlPS6_PKS6_NS0_5tupleIJPlS6_EEENSE_IJSB_SB_EEENS0_18inequality_wrapperIN6hipcub16HIPCUB_304000_NS8EqualityEEESF_JS6_EEE10hipError_tPvRmT3_T4_T5_T6_T7_T9_mT8_P12ihipStream_tbDpT10_ENKUlT_T0_E_clISt17integral_constantIbLb0EES16_EEDaS11_S12_EUlS11_E_NS1_11comp_targetILNS1_3genE5ELNS1_11target_archE942ELNS1_3gpuE9ELNS1_3repE0EEENS1_30default_config_static_selectorELNS0_4arch9wavefront6targetE0EEEvT1_.num_agpr, 0
	.set _ZN7rocprim17ROCPRIM_400000_NS6detail17trampoline_kernelINS0_14default_configENS1_25partition_config_selectorILNS1_17partition_subalgoE8ElNS0_10empty_typeEbEEZZNS1_14partition_implILS5_8ELb0ES3_jPKlPS6_PKS6_NS0_5tupleIJPlS6_EEENSE_IJSB_SB_EEENS0_18inequality_wrapperIN6hipcub16HIPCUB_304000_NS8EqualityEEESF_JS6_EEE10hipError_tPvRmT3_T4_T5_T6_T7_T9_mT8_P12ihipStream_tbDpT10_ENKUlT_T0_E_clISt17integral_constantIbLb0EES16_EEDaS11_S12_EUlS11_E_NS1_11comp_targetILNS1_3genE5ELNS1_11target_archE942ELNS1_3gpuE9ELNS1_3repE0EEENS1_30default_config_static_selectorELNS0_4arch9wavefront6targetE0EEEvT1_.numbered_sgpr, 0
	.set _ZN7rocprim17ROCPRIM_400000_NS6detail17trampoline_kernelINS0_14default_configENS1_25partition_config_selectorILNS1_17partition_subalgoE8ElNS0_10empty_typeEbEEZZNS1_14partition_implILS5_8ELb0ES3_jPKlPS6_PKS6_NS0_5tupleIJPlS6_EEENSE_IJSB_SB_EEENS0_18inequality_wrapperIN6hipcub16HIPCUB_304000_NS8EqualityEEESF_JS6_EEE10hipError_tPvRmT3_T4_T5_T6_T7_T9_mT8_P12ihipStream_tbDpT10_ENKUlT_T0_E_clISt17integral_constantIbLb0EES16_EEDaS11_S12_EUlS11_E_NS1_11comp_targetILNS1_3genE5ELNS1_11target_archE942ELNS1_3gpuE9ELNS1_3repE0EEENS1_30default_config_static_selectorELNS0_4arch9wavefront6targetE0EEEvT1_.num_named_barrier, 0
	.set _ZN7rocprim17ROCPRIM_400000_NS6detail17trampoline_kernelINS0_14default_configENS1_25partition_config_selectorILNS1_17partition_subalgoE8ElNS0_10empty_typeEbEEZZNS1_14partition_implILS5_8ELb0ES3_jPKlPS6_PKS6_NS0_5tupleIJPlS6_EEENSE_IJSB_SB_EEENS0_18inequality_wrapperIN6hipcub16HIPCUB_304000_NS8EqualityEEESF_JS6_EEE10hipError_tPvRmT3_T4_T5_T6_T7_T9_mT8_P12ihipStream_tbDpT10_ENKUlT_T0_E_clISt17integral_constantIbLb0EES16_EEDaS11_S12_EUlS11_E_NS1_11comp_targetILNS1_3genE5ELNS1_11target_archE942ELNS1_3gpuE9ELNS1_3repE0EEENS1_30default_config_static_selectorELNS0_4arch9wavefront6targetE0EEEvT1_.private_seg_size, 0
	.set _ZN7rocprim17ROCPRIM_400000_NS6detail17trampoline_kernelINS0_14default_configENS1_25partition_config_selectorILNS1_17partition_subalgoE8ElNS0_10empty_typeEbEEZZNS1_14partition_implILS5_8ELb0ES3_jPKlPS6_PKS6_NS0_5tupleIJPlS6_EEENSE_IJSB_SB_EEENS0_18inequality_wrapperIN6hipcub16HIPCUB_304000_NS8EqualityEEESF_JS6_EEE10hipError_tPvRmT3_T4_T5_T6_T7_T9_mT8_P12ihipStream_tbDpT10_ENKUlT_T0_E_clISt17integral_constantIbLb0EES16_EEDaS11_S12_EUlS11_E_NS1_11comp_targetILNS1_3genE5ELNS1_11target_archE942ELNS1_3gpuE9ELNS1_3repE0EEENS1_30default_config_static_selectorELNS0_4arch9wavefront6targetE0EEEvT1_.uses_vcc, 0
	.set _ZN7rocprim17ROCPRIM_400000_NS6detail17trampoline_kernelINS0_14default_configENS1_25partition_config_selectorILNS1_17partition_subalgoE8ElNS0_10empty_typeEbEEZZNS1_14partition_implILS5_8ELb0ES3_jPKlPS6_PKS6_NS0_5tupleIJPlS6_EEENSE_IJSB_SB_EEENS0_18inequality_wrapperIN6hipcub16HIPCUB_304000_NS8EqualityEEESF_JS6_EEE10hipError_tPvRmT3_T4_T5_T6_T7_T9_mT8_P12ihipStream_tbDpT10_ENKUlT_T0_E_clISt17integral_constantIbLb0EES16_EEDaS11_S12_EUlS11_E_NS1_11comp_targetILNS1_3genE5ELNS1_11target_archE942ELNS1_3gpuE9ELNS1_3repE0EEENS1_30default_config_static_selectorELNS0_4arch9wavefront6targetE0EEEvT1_.uses_flat_scratch, 0
	.set _ZN7rocprim17ROCPRIM_400000_NS6detail17trampoline_kernelINS0_14default_configENS1_25partition_config_selectorILNS1_17partition_subalgoE8ElNS0_10empty_typeEbEEZZNS1_14partition_implILS5_8ELb0ES3_jPKlPS6_PKS6_NS0_5tupleIJPlS6_EEENSE_IJSB_SB_EEENS0_18inequality_wrapperIN6hipcub16HIPCUB_304000_NS8EqualityEEESF_JS6_EEE10hipError_tPvRmT3_T4_T5_T6_T7_T9_mT8_P12ihipStream_tbDpT10_ENKUlT_T0_E_clISt17integral_constantIbLb0EES16_EEDaS11_S12_EUlS11_E_NS1_11comp_targetILNS1_3genE5ELNS1_11target_archE942ELNS1_3gpuE9ELNS1_3repE0EEENS1_30default_config_static_selectorELNS0_4arch9wavefront6targetE0EEEvT1_.has_dyn_sized_stack, 0
	.set _ZN7rocprim17ROCPRIM_400000_NS6detail17trampoline_kernelINS0_14default_configENS1_25partition_config_selectorILNS1_17partition_subalgoE8ElNS0_10empty_typeEbEEZZNS1_14partition_implILS5_8ELb0ES3_jPKlPS6_PKS6_NS0_5tupleIJPlS6_EEENSE_IJSB_SB_EEENS0_18inequality_wrapperIN6hipcub16HIPCUB_304000_NS8EqualityEEESF_JS6_EEE10hipError_tPvRmT3_T4_T5_T6_T7_T9_mT8_P12ihipStream_tbDpT10_ENKUlT_T0_E_clISt17integral_constantIbLb0EES16_EEDaS11_S12_EUlS11_E_NS1_11comp_targetILNS1_3genE5ELNS1_11target_archE942ELNS1_3gpuE9ELNS1_3repE0EEENS1_30default_config_static_selectorELNS0_4arch9wavefront6targetE0EEEvT1_.has_recursion, 0
	.set _ZN7rocprim17ROCPRIM_400000_NS6detail17trampoline_kernelINS0_14default_configENS1_25partition_config_selectorILNS1_17partition_subalgoE8ElNS0_10empty_typeEbEEZZNS1_14partition_implILS5_8ELb0ES3_jPKlPS6_PKS6_NS0_5tupleIJPlS6_EEENSE_IJSB_SB_EEENS0_18inequality_wrapperIN6hipcub16HIPCUB_304000_NS8EqualityEEESF_JS6_EEE10hipError_tPvRmT3_T4_T5_T6_T7_T9_mT8_P12ihipStream_tbDpT10_ENKUlT_T0_E_clISt17integral_constantIbLb0EES16_EEDaS11_S12_EUlS11_E_NS1_11comp_targetILNS1_3genE5ELNS1_11target_archE942ELNS1_3gpuE9ELNS1_3repE0EEENS1_30default_config_static_selectorELNS0_4arch9wavefront6targetE0EEEvT1_.has_indirect_call, 0
	.section	.AMDGPU.csdata,"",@progbits
; Kernel info:
; codeLenInByte = 0
; TotalNumSgprs: 0
; NumVgprs: 0
; ScratchSize: 0
; MemoryBound: 0
; FloatMode: 240
; IeeeMode: 1
; LDSByteSize: 0 bytes/workgroup (compile time only)
; SGPRBlocks: 0
; VGPRBlocks: 0
; NumSGPRsForWavesPerEU: 1
; NumVGPRsForWavesPerEU: 1
; NamedBarCnt: 0
; Occupancy: 16
; WaveLimiterHint : 0
; COMPUTE_PGM_RSRC2:SCRATCH_EN: 0
; COMPUTE_PGM_RSRC2:USER_SGPR: 2
; COMPUTE_PGM_RSRC2:TRAP_HANDLER: 0
; COMPUTE_PGM_RSRC2:TGID_X_EN: 1
; COMPUTE_PGM_RSRC2:TGID_Y_EN: 0
; COMPUTE_PGM_RSRC2:TGID_Z_EN: 0
; COMPUTE_PGM_RSRC2:TIDIG_COMP_CNT: 0
	.section	.text._ZN7rocprim17ROCPRIM_400000_NS6detail17trampoline_kernelINS0_14default_configENS1_25partition_config_selectorILNS1_17partition_subalgoE8ElNS0_10empty_typeEbEEZZNS1_14partition_implILS5_8ELb0ES3_jPKlPS6_PKS6_NS0_5tupleIJPlS6_EEENSE_IJSB_SB_EEENS0_18inequality_wrapperIN6hipcub16HIPCUB_304000_NS8EqualityEEESF_JS6_EEE10hipError_tPvRmT3_T4_T5_T6_T7_T9_mT8_P12ihipStream_tbDpT10_ENKUlT_T0_E_clISt17integral_constantIbLb0EES16_EEDaS11_S12_EUlS11_E_NS1_11comp_targetILNS1_3genE4ELNS1_11target_archE910ELNS1_3gpuE8ELNS1_3repE0EEENS1_30default_config_static_selectorELNS0_4arch9wavefront6targetE0EEEvT1_,"axG",@progbits,_ZN7rocprim17ROCPRIM_400000_NS6detail17trampoline_kernelINS0_14default_configENS1_25partition_config_selectorILNS1_17partition_subalgoE8ElNS0_10empty_typeEbEEZZNS1_14partition_implILS5_8ELb0ES3_jPKlPS6_PKS6_NS0_5tupleIJPlS6_EEENSE_IJSB_SB_EEENS0_18inequality_wrapperIN6hipcub16HIPCUB_304000_NS8EqualityEEESF_JS6_EEE10hipError_tPvRmT3_T4_T5_T6_T7_T9_mT8_P12ihipStream_tbDpT10_ENKUlT_T0_E_clISt17integral_constantIbLb0EES16_EEDaS11_S12_EUlS11_E_NS1_11comp_targetILNS1_3genE4ELNS1_11target_archE910ELNS1_3gpuE8ELNS1_3repE0EEENS1_30default_config_static_selectorELNS0_4arch9wavefront6targetE0EEEvT1_,comdat
	.protected	_ZN7rocprim17ROCPRIM_400000_NS6detail17trampoline_kernelINS0_14default_configENS1_25partition_config_selectorILNS1_17partition_subalgoE8ElNS0_10empty_typeEbEEZZNS1_14partition_implILS5_8ELb0ES3_jPKlPS6_PKS6_NS0_5tupleIJPlS6_EEENSE_IJSB_SB_EEENS0_18inequality_wrapperIN6hipcub16HIPCUB_304000_NS8EqualityEEESF_JS6_EEE10hipError_tPvRmT3_T4_T5_T6_T7_T9_mT8_P12ihipStream_tbDpT10_ENKUlT_T0_E_clISt17integral_constantIbLb0EES16_EEDaS11_S12_EUlS11_E_NS1_11comp_targetILNS1_3genE4ELNS1_11target_archE910ELNS1_3gpuE8ELNS1_3repE0EEENS1_30default_config_static_selectorELNS0_4arch9wavefront6targetE0EEEvT1_ ; -- Begin function _ZN7rocprim17ROCPRIM_400000_NS6detail17trampoline_kernelINS0_14default_configENS1_25partition_config_selectorILNS1_17partition_subalgoE8ElNS0_10empty_typeEbEEZZNS1_14partition_implILS5_8ELb0ES3_jPKlPS6_PKS6_NS0_5tupleIJPlS6_EEENSE_IJSB_SB_EEENS0_18inequality_wrapperIN6hipcub16HIPCUB_304000_NS8EqualityEEESF_JS6_EEE10hipError_tPvRmT3_T4_T5_T6_T7_T9_mT8_P12ihipStream_tbDpT10_ENKUlT_T0_E_clISt17integral_constantIbLb0EES16_EEDaS11_S12_EUlS11_E_NS1_11comp_targetILNS1_3genE4ELNS1_11target_archE910ELNS1_3gpuE8ELNS1_3repE0EEENS1_30default_config_static_selectorELNS0_4arch9wavefront6targetE0EEEvT1_
	.globl	_ZN7rocprim17ROCPRIM_400000_NS6detail17trampoline_kernelINS0_14default_configENS1_25partition_config_selectorILNS1_17partition_subalgoE8ElNS0_10empty_typeEbEEZZNS1_14partition_implILS5_8ELb0ES3_jPKlPS6_PKS6_NS0_5tupleIJPlS6_EEENSE_IJSB_SB_EEENS0_18inequality_wrapperIN6hipcub16HIPCUB_304000_NS8EqualityEEESF_JS6_EEE10hipError_tPvRmT3_T4_T5_T6_T7_T9_mT8_P12ihipStream_tbDpT10_ENKUlT_T0_E_clISt17integral_constantIbLb0EES16_EEDaS11_S12_EUlS11_E_NS1_11comp_targetILNS1_3genE4ELNS1_11target_archE910ELNS1_3gpuE8ELNS1_3repE0EEENS1_30default_config_static_selectorELNS0_4arch9wavefront6targetE0EEEvT1_
	.p2align	8
	.type	_ZN7rocprim17ROCPRIM_400000_NS6detail17trampoline_kernelINS0_14default_configENS1_25partition_config_selectorILNS1_17partition_subalgoE8ElNS0_10empty_typeEbEEZZNS1_14partition_implILS5_8ELb0ES3_jPKlPS6_PKS6_NS0_5tupleIJPlS6_EEENSE_IJSB_SB_EEENS0_18inequality_wrapperIN6hipcub16HIPCUB_304000_NS8EqualityEEESF_JS6_EEE10hipError_tPvRmT3_T4_T5_T6_T7_T9_mT8_P12ihipStream_tbDpT10_ENKUlT_T0_E_clISt17integral_constantIbLb0EES16_EEDaS11_S12_EUlS11_E_NS1_11comp_targetILNS1_3genE4ELNS1_11target_archE910ELNS1_3gpuE8ELNS1_3repE0EEENS1_30default_config_static_selectorELNS0_4arch9wavefront6targetE0EEEvT1_,@function
_ZN7rocprim17ROCPRIM_400000_NS6detail17trampoline_kernelINS0_14default_configENS1_25partition_config_selectorILNS1_17partition_subalgoE8ElNS0_10empty_typeEbEEZZNS1_14partition_implILS5_8ELb0ES3_jPKlPS6_PKS6_NS0_5tupleIJPlS6_EEENSE_IJSB_SB_EEENS0_18inequality_wrapperIN6hipcub16HIPCUB_304000_NS8EqualityEEESF_JS6_EEE10hipError_tPvRmT3_T4_T5_T6_T7_T9_mT8_P12ihipStream_tbDpT10_ENKUlT_T0_E_clISt17integral_constantIbLb0EES16_EEDaS11_S12_EUlS11_E_NS1_11comp_targetILNS1_3genE4ELNS1_11target_archE910ELNS1_3gpuE8ELNS1_3repE0EEENS1_30default_config_static_selectorELNS0_4arch9wavefront6targetE0EEEvT1_: ; @_ZN7rocprim17ROCPRIM_400000_NS6detail17trampoline_kernelINS0_14default_configENS1_25partition_config_selectorILNS1_17partition_subalgoE8ElNS0_10empty_typeEbEEZZNS1_14partition_implILS5_8ELb0ES3_jPKlPS6_PKS6_NS0_5tupleIJPlS6_EEENSE_IJSB_SB_EEENS0_18inequality_wrapperIN6hipcub16HIPCUB_304000_NS8EqualityEEESF_JS6_EEE10hipError_tPvRmT3_T4_T5_T6_T7_T9_mT8_P12ihipStream_tbDpT10_ENKUlT_T0_E_clISt17integral_constantIbLb0EES16_EEDaS11_S12_EUlS11_E_NS1_11comp_targetILNS1_3genE4ELNS1_11target_archE910ELNS1_3gpuE8ELNS1_3repE0EEENS1_30default_config_static_selectorELNS0_4arch9wavefront6targetE0EEEvT1_
; %bb.0:
	.section	.rodata,"a",@progbits
	.p2align	6, 0x0
	.amdhsa_kernel _ZN7rocprim17ROCPRIM_400000_NS6detail17trampoline_kernelINS0_14default_configENS1_25partition_config_selectorILNS1_17partition_subalgoE8ElNS0_10empty_typeEbEEZZNS1_14partition_implILS5_8ELb0ES3_jPKlPS6_PKS6_NS0_5tupleIJPlS6_EEENSE_IJSB_SB_EEENS0_18inequality_wrapperIN6hipcub16HIPCUB_304000_NS8EqualityEEESF_JS6_EEE10hipError_tPvRmT3_T4_T5_T6_T7_T9_mT8_P12ihipStream_tbDpT10_ENKUlT_T0_E_clISt17integral_constantIbLb0EES16_EEDaS11_S12_EUlS11_E_NS1_11comp_targetILNS1_3genE4ELNS1_11target_archE910ELNS1_3gpuE8ELNS1_3repE0EEENS1_30default_config_static_selectorELNS0_4arch9wavefront6targetE0EEEvT1_
		.amdhsa_group_segment_fixed_size 0
		.amdhsa_private_segment_fixed_size 0
		.amdhsa_kernarg_size 112
		.amdhsa_user_sgpr_count 2
		.amdhsa_user_sgpr_dispatch_ptr 0
		.amdhsa_user_sgpr_queue_ptr 0
		.amdhsa_user_sgpr_kernarg_segment_ptr 1
		.amdhsa_user_sgpr_dispatch_id 0
		.amdhsa_user_sgpr_kernarg_preload_length 0
		.amdhsa_user_sgpr_kernarg_preload_offset 0
		.amdhsa_user_sgpr_private_segment_size 0
		.amdhsa_wavefront_size32 1
		.amdhsa_uses_dynamic_stack 0
		.amdhsa_enable_private_segment 0
		.amdhsa_system_sgpr_workgroup_id_x 1
		.amdhsa_system_sgpr_workgroup_id_y 0
		.amdhsa_system_sgpr_workgroup_id_z 0
		.amdhsa_system_sgpr_workgroup_info 0
		.amdhsa_system_vgpr_workitem_id 0
		.amdhsa_next_free_vgpr 1
		.amdhsa_next_free_sgpr 1
		.amdhsa_named_barrier_count 0
		.amdhsa_reserve_vcc 0
		.amdhsa_float_round_mode_32 0
		.amdhsa_float_round_mode_16_64 0
		.amdhsa_float_denorm_mode_32 3
		.amdhsa_float_denorm_mode_16_64 3
		.amdhsa_fp16_overflow 0
		.amdhsa_memory_ordered 1
		.amdhsa_forward_progress 1
		.amdhsa_inst_pref_size 0
		.amdhsa_round_robin_scheduling 0
		.amdhsa_exception_fp_ieee_invalid_op 0
		.amdhsa_exception_fp_denorm_src 0
		.amdhsa_exception_fp_ieee_div_zero 0
		.amdhsa_exception_fp_ieee_overflow 0
		.amdhsa_exception_fp_ieee_underflow 0
		.amdhsa_exception_fp_ieee_inexact 0
		.amdhsa_exception_int_div_zero 0
	.end_amdhsa_kernel
	.section	.text._ZN7rocprim17ROCPRIM_400000_NS6detail17trampoline_kernelINS0_14default_configENS1_25partition_config_selectorILNS1_17partition_subalgoE8ElNS0_10empty_typeEbEEZZNS1_14partition_implILS5_8ELb0ES3_jPKlPS6_PKS6_NS0_5tupleIJPlS6_EEENSE_IJSB_SB_EEENS0_18inequality_wrapperIN6hipcub16HIPCUB_304000_NS8EqualityEEESF_JS6_EEE10hipError_tPvRmT3_T4_T5_T6_T7_T9_mT8_P12ihipStream_tbDpT10_ENKUlT_T0_E_clISt17integral_constantIbLb0EES16_EEDaS11_S12_EUlS11_E_NS1_11comp_targetILNS1_3genE4ELNS1_11target_archE910ELNS1_3gpuE8ELNS1_3repE0EEENS1_30default_config_static_selectorELNS0_4arch9wavefront6targetE0EEEvT1_,"axG",@progbits,_ZN7rocprim17ROCPRIM_400000_NS6detail17trampoline_kernelINS0_14default_configENS1_25partition_config_selectorILNS1_17partition_subalgoE8ElNS0_10empty_typeEbEEZZNS1_14partition_implILS5_8ELb0ES3_jPKlPS6_PKS6_NS0_5tupleIJPlS6_EEENSE_IJSB_SB_EEENS0_18inequality_wrapperIN6hipcub16HIPCUB_304000_NS8EqualityEEESF_JS6_EEE10hipError_tPvRmT3_T4_T5_T6_T7_T9_mT8_P12ihipStream_tbDpT10_ENKUlT_T0_E_clISt17integral_constantIbLb0EES16_EEDaS11_S12_EUlS11_E_NS1_11comp_targetILNS1_3genE4ELNS1_11target_archE910ELNS1_3gpuE8ELNS1_3repE0EEENS1_30default_config_static_selectorELNS0_4arch9wavefront6targetE0EEEvT1_,comdat
.Lfunc_end481:
	.size	_ZN7rocprim17ROCPRIM_400000_NS6detail17trampoline_kernelINS0_14default_configENS1_25partition_config_selectorILNS1_17partition_subalgoE8ElNS0_10empty_typeEbEEZZNS1_14partition_implILS5_8ELb0ES3_jPKlPS6_PKS6_NS0_5tupleIJPlS6_EEENSE_IJSB_SB_EEENS0_18inequality_wrapperIN6hipcub16HIPCUB_304000_NS8EqualityEEESF_JS6_EEE10hipError_tPvRmT3_T4_T5_T6_T7_T9_mT8_P12ihipStream_tbDpT10_ENKUlT_T0_E_clISt17integral_constantIbLb0EES16_EEDaS11_S12_EUlS11_E_NS1_11comp_targetILNS1_3genE4ELNS1_11target_archE910ELNS1_3gpuE8ELNS1_3repE0EEENS1_30default_config_static_selectorELNS0_4arch9wavefront6targetE0EEEvT1_, .Lfunc_end481-_ZN7rocprim17ROCPRIM_400000_NS6detail17trampoline_kernelINS0_14default_configENS1_25partition_config_selectorILNS1_17partition_subalgoE8ElNS0_10empty_typeEbEEZZNS1_14partition_implILS5_8ELb0ES3_jPKlPS6_PKS6_NS0_5tupleIJPlS6_EEENSE_IJSB_SB_EEENS0_18inequality_wrapperIN6hipcub16HIPCUB_304000_NS8EqualityEEESF_JS6_EEE10hipError_tPvRmT3_T4_T5_T6_T7_T9_mT8_P12ihipStream_tbDpT10_ENKUlT_T0_E_clISt17integral_constantIbLb0EES16_EEDaS11_S12_EUlS11_E_NS1_11comp_targetILNS1_3genE4ELNS1_11target_archE910ELNS1_3gpuE8ELNS1_3repE0EEENS1_30default_config_static_selectorELNS0_4arch9wavefront6targetE0EEEvT1_
                                        ; -- End function
	.set _ZN7rocprim17ROCPRIM_400000_NS6detail17trampoline_kernelINS0_14default_configENS1_25partition_config_selectorILNS1_17partition_subalgoE8ElNS0_10empty_typeEbEEZZNS1_14partition_implILS5_8ELb0ES3_jPKlPS6_PKS6_NS0_5tupleIJPlS6_EEENSE_IJSB_SB_EEENS0_18inequality_wrapperIN6hipcub16HIPCUB_304000_NS8EqualityEEESF_JS6_EEE10hipError_tPvRmT3_T4_T5_T6_T7_T9_mT8_P12ihipStream_tbDpT10_ENKUlT_T0_E_clISt17integral_constantIbLb0EES16_EEDaS11_S12_EUlS11_E_NS1_11comp_targetILNS1_3genE4ELNS1_11target_archE910ELNS1_3gpuE8ELNS1_3repE0EEENS1_30default_config_static_selectorELNS0_4arch9wavefront6targetE0EEEvT1_.num_vgpr, 0
	.set _ZN7rocprim17ROCPRIM_400000_NS6detail17trampoline_kernelINS0_14default_configENS1_25partition_config_selectorILNS1_17partition_subalgoE8ElNS0_10empty_typeEbEEZZNS1_14partition_implILS5_8ELb0ES3_jPKlPS6_PKS6_NS0_5tupleIJPlS6_EEENSE_IJSB_SB_EEENS0_18inequality_wrapperIN6hipcub16HIPCUB_304000_NS8EqualityEEESF_JS6_EEE10hipError_tPvRmT3_T4_T5_T6_T7_T9_mT8_P12ihipStream_tbDpT10_ENKUlT_T0_E_clISt17integral_constantIbLb0EES16_EEDaS11_S12_EUlS11_E_NS1_11comp_targetILNS1_3genE4ELNS1_11target_archE910ELNS1_3gpuE8ELNS1_3repE0EEENS1_30default_config_static_selectorELNS0_4arch9wavefront6targetE0EEEvT1_.num_agpr, 0
	.set _ZN7rocprim17ROCPRIM_400000_NS6detail17trampoline_kernelINS0_14default_configENS1_25partition_config_selectorILNS1_17partition_subalgoE8ElNS0_10empty_typeEbEEZZNS1_14partition_implILS5_8ELb0ES3_jPKlPS6_PKS6_NS0_5tupleIJPlS6_EEENSE_IJSB_SB_EEENS0_18inequality_wrapperIN6hipcub16HIPCUB_304000_NS8EqualityEEESF_JS6_EEE10hipError_tPvRmT3_T4_T5_T6_T7_T9_mT8_P12ihipStream_tbDpT10_ENKUlT_T0_E_clISt17integral_constantIbLb0EES16_EEDaS11_S12_EUlS11_E_NS1_11comp_targetILNS1_3genE4ELNS1_11target_archE910ELNS1_3gpuE8ELNS1_3repE0EEENS1_30default_config_static_selectorELNS0_4arch9wavefront6targetE0EEEvT1_.numbered_sgpr, 0
	.set _ZN7rocprim17ROCPRIM_400000_NS6detail17trampoline_kernelINS0_14default_configENS1_25partition_config_selectorILNS1_17partition_subalgoE8ElNS0_10empty_typeEbEEZZNS1_14partition_implILS5_8ELb0ES3_jPKlPS6_PKS6_NS0_5tupleIJPlS6_EEENSE_IJSB_SB_EEENS0_18inequality_wrapperIN6hipcub16HIPCUB_304000_NS8EqualityEEESF_JS6_EEE10hipError_tPvRmT3_T4_T5_T6_T7_T9_mT8_P12ihipStream_tbDpT10_ENKUlT_T0_E_clISt17integral_constantIbLb0EES16_EEDaS11_S12_EUlS11_E_NS1_11comp_targetILNS1_3genE4ELNS1_11target_archE910ELNS1_3gpuE8ELNS1_3repE0EEENS1_30default_config_static_selectorELNS0_4arch9wavefront6targetE0EEEvT1_.num_named_barrier, 0
	.set _ZN7rocprim17ROCPRIM_400000_NS6detail17trampoline_kernelINS0_14default_configENS1_25partition_config_selectorILNS1_17partition_subalgoE8ElNS0_10empty_typeEbEEZZNS1_14partition_implILS5_8ELb0ES3_jPKlPS6_PKS6_NS0_5tupleIJPlS6_EEENSE_IJSB_SB_EEENS0_18inequality_wrapperIN6hipcub16HIPCUB_304000_NS8EqualityEEESF_JS6_EEE10hipError_tPvRmT3_T4_T5_T6_T7_T9_mT8_P12ihipStream_tbDpT10_ENKUlT_T0_E_clISt17integral_constantIbLb0EES16_EEDaS11_S12_EUlS11_E_NS1_11comp_targetILNS1_3genE4ELNS1_11target_archE910ELNS1_3gpuE8ELNS1_3repE0EEENS1_30default_config_static_selectorELNS0_4arch9wavefront6targetE0EEEvT1_.private_seg_size, 0
	.set _ZN7rocprim17ROCPRIM_400000_NS6detail17trampoline_kernelINS0_14default_configENS1_25partition_config_selectorILNS1_17partition_subalgoE8ElNS0_10empty_typeEbEEZZNS1_14partition_implILS5_8ELb0ES3_jPKlPS6_PKS6_NS0_5tupleIJPlS6_EEENSE_IJSB_SB_EEENS0_18inequality_wrapperIN6hipcub16HIPCUB_304000_NS8EqualityEEESF_JS6_EEE10hipError_tPvRmT3_T4_T5_T6_T7_T9_mT8_P12ihipStream_tbDpT10_ENKUlT_T0_E_clISt17integral_constantIbLb0EES16_EEDaS11_S12_EUlS11_E_NS1_11comp_targetILNS1_3genE4ELNS1_11target_archE910ELNS1_3gpuE8ELNS1_3repE0EEENS1_30default_config_static_selectorELNS0_4arch9wavefront6targetE0EEEvT1_.uses_vcc, 0
	.set _ZN7rocprim17ROCPRIM_400000_NS6detail17trampoline_kernelINS0_14default_configENS1_25partition_config_selectorILNS1_17partition_subalgoE8ElNS0_10empty_typeEbEEZZNS1_14partition_implILS5_8ELb0ES3_jPKlPS6_PKS6_NS0_5tupleIJPlS6_EEENSE_IJSB_SB_EEENS0_18inequality_wrapperIN6hipcub16HIPCUB_304000_NS8EqualityEEESF_JS6_EEE10hipError_tPvRmT3_T4_T5_T6_T7_T9_mT8_P12ihipStream_tbDpT10_ENKUlT_T0_E_clISt17integral_constantIbLb0EES16_EEDaS11_S12_EUlS11_E_NS1_11comp_targetILNS1_3genE4ELNS1_11target_archE910ELNS1_3gpuE8ELNS1_3repE0EEENS1_30default_config_static_selectorELNS0_4arch9wavefront6targetE0EEEvT1_.uses_flat_scratch, 0
	.set _ZN7rocprim17ROCPRIM_400000_NS6detail17trampoline_kernelINS0_14default_configENS1_25partition_config_selectorILNS1_17partition_subalgoE8ElNS0_10empty_typeEbEEZZNS1_14partition_implILS5_8ELb0ES3_jPKlPS6_PKS6_NS0_5tupleIJPlS6_EEENSE_IJSB_SB_EEENS0_18inequality_wrapperIN6hipcub16HIPCUB_304000_NS8EqualityEEESF_JS6_EEE10hipError_tPvRmT3_T4_T5_T6_T7_T9_mT8_P12ihipStream_tbDpT10_ENKUlT_T0_E_clISt17integral_constantIbLb0EES16_EEDaS11_S12_EUlS11_E_NS1_11comp_targetILNS1_3genE4ELNS1_11target_archE910ELNS1_3gpuE8ELNS1_3repE0EEENS1_30default_config_static_selectorELNS0_4arch9wavefront6targetE0EEEvT1_.has_dyn_sized_stack, 0
	.set _ZN7rocprim17ROCPRIM_400000_NS6detail17trampoline_kernelINS0_14default_configENS1_25partition_config_selectorILNS1_17partition_subalgoE8ElNS0_10empty_typeEbEEZZNS1_14partition_implILS5_8ELb0ES3_jPKlPS6_PKS6_NS0_5tupleIJPlS6_EEENSE_IJSB_SB_EEENS0_18inequality_wrapperIN6hipcub16HIPCUB_304000_NS8EqualityEEESF_JS6_EEE10hipError_tPvRmT3_T4_T5_T6_T7_T9_mT8_P12ihipStream_tbDpT10_ENKUlT_T0_E_clISt17integral_constantIbLb0EES16_EEDaS11_S12_EUlS11_E_NS1_11comp_targetILNS1_3genE4ELNS1_11target_archE910ELNS1_3gpuE8ELNS1_3repE0EEENS1_30default_config_static_selectorELNS0_4arch9wavefront6targetE0EEEvT1_.has_recursion, 0
	.set _ZN7rocprim17ROCPRIM_400000_NS6detail17trampoline_kernelINS0_14default_configENS1_25partition_config_selectorILNS1_17partition_subalgoE8ElNS0_10empty_typeEbEEZZNS1_14partition_implILS5_8ELb0ES3_jPKlPS6_PKS6_NS0_5tupleIJPlS6_EEENSE_IJSB_SB_EEENS0_18inequality_wrapperIN6hipcub16HIPCUB_304000_NS8EqualityEEESF_JS6_EEE10hipError_tPvRmT3_T4_T5_T6_T7_T9_mT8_P12ihipStream_tbDpT10_ENKUlT_T0_E_clISt17integral_constantIbLb0EES16_EEDaS11_S12_EUlS11_E_NS1_11comp_targetILNS1_3genE4ELNS1_11target_archE910ELNS1_3gpuE8ELNS1_3repE0EEENS1_30default_config_static_selectorELNS0_4arch9wavefront6targetE0EEEvT1_.has_indirect_call, 0
	.section	.AMDGPU.csdata,"",@progbits
; Kernel info:
; codeLenInByte = 0
; TotalNumSgprs: 0
; NumVgprs: 0
; ScratchSize: 0
; MemoryBound: 0
; FloatMode: 240
; IeeeMode: 1
; LDSByteSize: 0 bytes/workgroup (compile time only)
; SGPRBlocks: 0
; VGPRBlocks: 0
; NumSGPRsForWavesPerEU: 1
; NumVGPRsForWavesPerEU: 1
; NamedBarCnt: 0
; Occupancy: 16
; WaveLimiterHint : 0
; COMPUTE_PGM_RSRC2:SCRATCH_EN: 0
; COMPUTE_PGM_RSRC2:USER_SGPR: 2
; COMPUTE_PGM_RSRC2:TRAP_HANDLER: 0
; COMPUTE_PGM_RSRC2:TGID_X_EN: 1
; COMPUTE_PGM_RSRC2:TGID_Y_EN: 0
; COMPUTE_PGM_RSRC2:TGID_Z_EN: 0
; COMPUTE_PGM_RSRC2:TIDIG_COMP_CNT: 0
	.section	.text._ZN7rocprim17ROCPRIM_400000_NS6detail17trampoline_kernelINS0_14default_configENS1_25partition_config_selectorILNS1_17partition_subalgoE8ElNS0_10empty_typeEbEEZZNS1_14partition_implILS5_8ELb0ES3_jPKlPS6_PKS6_NS0_5tupleIJPlS6_EEENSE_IJSB_SB_EEENS0_18inequality_wrapperIN6hipcub16HIPCUB_304000_NS8EqualityEEESF_JS6_EEE10hipError_tPvRmT3_T4_T5_T6_T7_T9_mT8_P12ihipStream_tbDpT10_ENKUlT_T0_E_clISt17integral_constantIbLb0EES16_EEDaS11_S12_EUlS11_E_NS1_11comp_targetILNS1_3genE3ELNS1_11target_archE908ELNS1_3gpuE7ELNS1_3repE0EEENS1_30default_config_static_selectorELNS0_4arch9wavefront6targetE0EEEvT1_,"axG",@progbits,_ZN7rocprim17ROCPRIM_400000_NS6detail17trampoline_kernelINS0_14default_configENS1_25partition_config_selectorILNS1_17partition_subalgoE8ElNS0_10empty_typeEbEEZZNS1_14partition_implILS5_8ELb0ES3_jPKlPS6_PKS6_NS0_5tupleIJPlS6_EEENSE_IJSB_SB_EEENS0_18inequality_wrapperIN6hipcub16HIPCUB_304000_NS8EqualityEEESF_JS6_EEE10hipError_tPvRmT3_T4_T5_T6_T7_T9_mT8_P12ihipStream_tbDpT10_ENKUlT_T0_E_clISt17integral_constantIbLb0EES16_EEDaS11_S12_EUlS11_E_NS1_11comp_targetILNS1_3genE3ELNS1_11target_archE908ELNS1_3gpuE7ELNS1_3repE0EEENS1_30default_config_static_selectorELNS0_4arch9wavefront6targetE0EEEvT1_,comdat
	.protected	_ZN7rocprim17ROCPRIM_400000_NS6detail17trampoline_kernelINS0_14default_configENS1_25partition_config_selectorILNS1_17partition_subalgoE8ElNS0_10empty_typeEbEEZZNS1_14partition_implILS5_8ELb0ES3_jPKlPS6_PKS6_NS0_5tupleIJPlS6_EEENSE_IJSB_SB_EEENS0_18inequality_wrapperIN6hipcub16HIPCUB_304000_NS8EqualityEEESF_JS6_EEE10hipError_tPvRmT3_T4_T5_T6_T7_T9_mT8_P12ihipStream_tbDpT10_ENKUlT_T0_E_clISt17integral_constantIbLb0EES16_EEDaS11_S12_EUlS11_E_NS1_11comp_targetILNS1_3genE3ELNS1_11target_archE908ELNS1_3gpuE7ELNS1_3repE0EEENS1_30default_config_static_selectorELNS0_4arch9wavefront6targetE0EEEvT1_ ; -- Begin function _ZN7rocprim17ROCPRIM_400000_NS6detail17trampoline_kernelINS0_14default_configENS1_25partition_config_selectorILNS1_17partition_subalgoE8ElNS0_10empty_typeEbEEZZNS1_14partition_implILS5_8ELb0ES3_jPKlPS6_PKS6_NS0_5tupleIJPlS6_EEENSE_IJSB_SB_EEENS0_18inequality_wrapperIN6hipcub16HIPCUB_304000_NS8EqualityEEESF_JS6_EEE10hipError_tPvRmT3_T4_T5_T6_T7_T9_mT8_P12ihipStream_tbDpT10_ENKUlT_T0_E_clISt17integral_constantIbLb0EES16_EEDaS11_S12_EUlS11_E_NS1_11comp_targetILNS1_3genE3ELNS1_11target_archE908ELNS1_3gpuE7ELNS1_3repE0EEENS1_30default_config_static_selectorELNS0_4arch9wavefront6targetE0EEEvT1_
	.globl	_ZN7rocprim17ROCPRIM_400000_NS6detail17trampoline_kernelINS0_14default_configENS1_25partition_config_selectorILNS1_17partition_subalgoE8ElNS0_10empty_typeEbEEZZNS1_14partition_implILS5_8ELb0ES3_jPKlPS6_PKS6_NS0_5tupleIJPlS6_EEENSE_IJSB_SB_EEENS0_18inequality_wrapperIN6hipcub16HIPCUB_304000_NS8EqualityEEESF_JS6_EEE10hipError_tPvRmT3_T4_T5_T6_T7_T9_mT8_P12ihipStream_tbDpT10_ENKUlT_T0_E_clISt17integral_constantIbLb0EES16_EEDaS11_S12_EUlS11_E_NS1_11comp_targetILNS1_3genE3ELNS1_11target_archE908ELNS1_3gpuE7ELNS1_3repE0EEENS1_30default_config_static_selectorELNS0_4arch9wavefront6targetE0EEEvT1_
	.p2align	8
	.type	_ZN7rocprim17ROCPRIM_400000_NS6detail17trampoline_kernelINS0_14default_configENS1_25partition_config_selectorILNS1_17partition_subalgoE8ElNS0_10empty_typeEbEEZZNS1_14partition_implILS5_8ELb0ES3_jPKlPS6_PKS6_NS0_5tupleIJPlS6_EEENSE_IJSB_SB_EEENS0_18inequality_wrapperIN6hipcub16HIPCUB_304000_NS8EqualityEEESF_JS6_EEE10hipError_tPvRmT3_T4_T5_T6_T7_T9_mT8_P12ihipStream_tbDpT10_ENKUlT_T0_E_clISt17integral_constantIbLb0EES16_EEDaS11_S12_EUlS11_E_NS1_11comp_targetILNS1_3genE3ELNS1_11target_archE908ELNS1_3gpuE7ELNS1_3repE0EEENS1_30default_config_static_selectorELNS0_4arch9wavefront6targetE0EEEvT1_,@function
_ZN7rocprim17ROCPRIM_400000_NS6detail17trampoline_kernelINS0_14default_configENS1_25partition_config_selectorILNS1_17partition_subalgoE8ElNS0_10empty_typeEbEEZZNS1_14partition_implILS5_8ELb0ES3_jPKlPS6_PKS6_NS0_5tupleIJPlS6_EEENSE_IJSB_SB_EEENS0_18inequality_wrapperIN6hipcub16HIPCUB_304000_NS8EqualityEEESF_JS6_EEE10hipError_tPvRmT3_T4_T5_T6_T7_T9_mT8_P12ihipStream_tbDpT10_ENKUlT_T0_E_clISt17integral_constantIbLb0EES16_EEDaS11_S12_EUlS11_E_NS1_11comp_targetILNS1_3genE3ELNS1_11target_archE908ELNS1_3gpuE7ELNS1_3repE0EEENS1_30default_config_static_selectorELNS0_4arch9wavefront6targetE0EEEvT1_: ; @_ZN7rocprim17ROCPRIM_400000_NS6detail17trampoline_kernelINS0_14default_configENS1_25partition_config_selectorILNS1_17partition_subalgoE8ElNS0_10empty_typeEbEEZZNS1_14partition_implILS5_8ELb0ES3_jPKlPS6_PKS6_NS0_5tupleIJPlS6_EEENSE_IJSB_SB_EEENS0_18inequality_wrapperIN6hipcub16HIPCUB_304000_NS8EqualityEEESF_JS6_EEE10hipError_tPvRmT3_T4_T5_T6_T7_T9_mT8_P12ihipStream_tbDpT10_ENKUlT_T0_E_clISt17integral_constantIbLb0EES16_EEDaS11_S12_EUlS11_E_NS1_11comp_targetILNS1_3genE3ELNS1_11target_archE908ELNS1_3gpuE7ELNS1_3repE0EEENS1_30default_config_static_selectorELNS0_4arch9wavefront6targetE0EEEvT1_
; %bb.0:
	.section	.rodata,"a",@progbits
	.p2align	6, 0x0
	.amdhsa_kernel _ZN7rocprim17ROCPRIM_400000_NS6detail17trampoline_kernelINS0_14default_configENS1_25partition_config_selectorILNS1_17partition_subalgoE8ElNS0_10empty_typeEbEEZZNS1_14partition_implILS5_8ELb0ES3_jPKlPS6_PKS6_NS0_5tupleIJPlS6_EEENSE_IJSB_SB_EEENS0_18inequality_wrapperIN6hipcub16HIPCUB_304000_NS8EqualityEEESF_JS6_EEE10hipError_tPvRmT3_T4_T5_T6_T7_T9_mT8_P12ihipStream_tbDpT10_ENKUlT_T0_E_clISt17integral_constantIbLb0EES16_EEDaS11_S12_EUlS11_E_NS1_11comp_targetILNS1_3genE3ELNS1_11target_archE908ELNS1_3gpuE7ELNS1_3repE0EEENS1_30default_config_static_selectorELNS0_4arch9wavefront6targetE0EEEvT1_
		.amdhsa_group_segment_fixed_size 0
		.amdhsa_private_segment_fixed_size 0
		.amdhsa_kernarg_size 112
		.amdhsa_user_sgpr_count 2
		.amdhsa_user_sgpr_dispatch_ptr 0
		.amdhsa_user_sgpr_queue_ptr 0
		.amdhsa_user_sgpr_kernarg_segment_ptr 1
		.amdhsa_user_sgpr_dispatch_id 0
		.amdhsa_user_sgpr_kernarg_preload_length 0
		.amdhsa_user_sgpr_kernarg_preload_offset 0
		.amdhsa_user_sgpr_private_segment_size 0
		.amdhsa_wavefront_size32 1
		.amdhsa_uses_dynamic_stack 0
		.amdhsa_enable_private_segment 0
		.amdhsa_system_sgpr_workgroup_id_x 1
		.amdhsa_system_sgpr_workgroup_id_y 0
		.amdhsa_system_sgpr_workgroup_id_z 0
		.amdhsa_system_sgpr_workgroup_info 0
		.amdhsa_system_vgpr_workitem_id 0
		.amdhsa_next_free_vgpr 1
		.amdhsa_next_free_sgpr 1
		.amdhsa_named_barrier_count 0
		.amdhsa_reserve_vcc 0
		.amdhsa_float_round_mode_32 0
		.amdhsa_float_round_mode_16_64 0
		.amdhsa_float_denorm_mode_32 3
		.amdhsa_float_denorm_mode_16_64 3
		.amdhsa_fp16_overflow 0
		.amdhsa_memory_ordered 1
		.amdhsa_forward_progress 1
		.amdhsa_inst_pref_size 0
		.amdhsa_round_robin_scheduling 0
		.amdhsa_exception_fp_ieee_invalid_op 0
		.amdhsa_exception_fp_denorm_src 0
		.amdhsa_exception_fp_ieee_div_zero 0
		.amdhsa_exception_fp_ieee_overflow 0
		.amdhsa_exception_fp_ieee_underflow 0
		.amdhsa_exception_fp_ieee_inexact 0
		.amdhsa_exception_int_div_zero 0
	.end_amdhsa_kernel
	.section	.text._ZN7rocprim17ROCPRIM_400000_NS6detail17trampoline_kernelINS0_14default_configENS1_25partition_config_selectorILNS1_17partition_subalgoE8ElNS0_10empty_typeEbEEZZNS1_14partition_implILS5_8ELb0ES3_jPKlPS6_PKS6_NS0_5tupleIJPlS6_EEENSE_IJSB_SB_EEENS0_18inequality_wrapperIN6hipcub16HIPCUB_304000_NS8EqualityEEESF_JS6_EEE10hipError_tPvRmT3_T4_T5_T6_T7_T9_mT8_P12ihipStream_tbDpT10_ENKUlT_T0_E_clISt17integral_constantIbLb0EES16_EEDaS11_S12_EUlS11_E_NS1_11comp_targetILNS1_3genE3ELNS1_11target_archE908ELNS1_3gpuE7ELNS1_3repE0EEENS1_30default_config_static_selectorELNS0_4arch9wavefront6targetE0EEEvT1_,"axG",@progbits,_ZN7rocprim17ROCPRIM_400000_NS6detail17trampoline_kernelINS0_14default_configENS1_25partition_config_selectorILNS1_17partition_subalgoE8ElNS0_10empty_typeEbEEZZNS1_14partition_implILS5_8ELb0ES3_jPKlPS6_PKS6_NS0_5tupleIJPlS6_EEENSE_IJSB_SB_EEENS0_18inequality_wrapperIN6hipcub16HIPCUB_304000_NS8EqualityEEESF_JS6_EEE10hipError_tPvRmT3_T4_T5_T6_T7_T9_mT8_P12ihipStream_tbDpT10_ENKUlT_T0_E_clISt17integral_constantIbLb0EES16_EEDaS11_S12_EUlS11_E_NS1_11comp_targetILNS1_3genE3ELNS1_11target_archE908ELNS1_3gpuE7ELNS1_3repE0EEENS1_30default_config_static_selectorELNS0_4arch9wavefront6targetE0EEEvT1_,comdat
.Lfunc_end482:
	.size	_ZN7rocprim17ROCPRIM_400000_NS6detail17trampoline_kernelINS0_14default_configENS1_25partition_config_selectorILNS1_17partition_subalgoE8ElNS0_10empty_typeEbEEZZNS1_14partition_implILS5_8ELb0ES3_jPKlPS6_PKS6_NS0_5tupleIJPlS6_EEENSE_IJSB_SB_EEENS0_18inequality_wrapperIN6hipcub16HIPCUB_304000_NS8EqualityEEESF_JS6_EEE10hipError_tPvRmT3_T4_T5_T6_T7_T9_mT8_P12ihipStream_tbDpT10_ENKUlT_T0_E_clISt17integral_constantIbLb0EES16_EEDaS11_S12_EUlS11_E_NS1_11comp_targetILNS1_3genE3ELNS1_11target_archE908ELNS1_3gpuE7ELNS1_3repE0EEENS1_30default_config_static_selectorELNS0_4arch9wavefront6targetE0EEEvT1_, .Lfunc_end482-_ZN7rocprim17ROCPRIM_400000_NS6detail17trampoline_kernelINS0_14default_configENS1_25partition_config_selectorILNS1_17partition_subalgoE8ElNS0_10empty_typeEbEEZZNS1_14partition_implILS5_8ELb0ES3_jPKlPS6_PKS6_NS0_5tupleIJPlS6_EEENSE_IJSB_SB_EEENS0_18inequality_wrapperIN6hipcub16HIPCUB_304000_NS8EqualityEEESF_JS6_EEE10hipError_tPvRmT3_T4_T5_T6_T7_T9_mT8_P12ihipStream_tbDpT10_ENKUlT_T0_E_clISt17integral_constantIbLb0EES16_EEDaS11_S12_EUlS11_E_NS1_11comp_targetILNS1_3genE3ELNS1_11target_archE908ELNS1_3gpuE7ELNS1_3repE0EEENS1_30default_config_static_selectorELNS0_4arch9wavefront6targetE0EEEvT1_
                                        ; -- End function
	.set _ZN7rocprim17ROCPRIM_400000_NS6detail17trampoline_kernelINS0_14default_configENS1_25partition_config_selectorILNS1_17partition_subalgoE8ElNS0_10empty_typeEbEEZZNS1_14partition_implILS5_8ELb0ES3_jPKlPS6_PKS6_NS0_5tupleIJPlS6_EEENSE_IJSB_SB_EEENS0_18inequality_wrapperIN6hipcub16HIPCUB_304000_NS8EqualityEEESF_JS6_EEE10hipError_tPvRmT3_T4_T5_T6_T7_T9_mT8_P12ihipStream_tbDpT10_ENKUlT_T0_E_clISt17integral_constantIbLb0EES16_EEDaS11_S12_EUlS11_E_NS1_11comp_targetILNS1_3genE3ELNS1_11target_archE908ELNS1_3gpuE7ELNS1_3repE0EEENS1_30default_config_static_selectorELNS0_4arch9wavefront6targetE0EEEvT1_.num_vgpr, 0
	.set _ZN7rocprim17ROCPRIM_400000_NS6detail17trampoline_kernelINS0_14default_configENS1_25partition_config_selectorILNS1_17partition_subalgoE8ElNS0_10empty_typeEbEEZZNS1_14partition_implILS5_8ELb0ES3_jPKlPS6_PKS6_NS0_5tupleIJPlS6_EEENSE_IJSB_SB_EEENS0_18inequality_wrapperIN6hipcub16HIPCUB_304000_NS8EqualityEEESF_JS6_EEE10hipError_tPvRmT3_T4_T5_T6_T7_T9_mT8_P12ihipStream_tbDpT10_ENKUlT_T0_E_clISt17integral_constantIbLb0EES16_EEDaS11_S12_EUlS11_E_NS1_11comp_targetILNS1_3genE3ELNS1_11target_archE908ELNS1_3gpuE7ELNS1_3repE0EEENS1_30default_config_static_selectorELNS0_4arch9wavefront6targetE0EEEvT1_.num_agpr, 0
	.set _ZN7rocprim17ROCPRIM_400000_NS6detail17trampoline_kernelINS0_14default_configENS1_25partition_config_selectorILNS1_17partition_subalgoE8ElNS0_10empty_typeEbEEZZNS1_14partition_implILS5_8ELb0ES3_jPKlPS6_PKS6_NS0_5tupleIJPlS6_EEENSE_IJSB_SB_EEENS0_18inequality_wrapperIN6hipcub16HIPCUB_304000_NS8EqualityEEESF_JS6_EEE10hipError_tPvRmT3_T4_T5_T6_T7_T9_mT8_P12ihipStream_tbDpT10_ENKUlT_T0_E_clISt17integral_constantIbLb0EES16_EEDaS11_S12_EUlS11_E_NS1_11comp_targetILNS1_3genE3ELNS1_11target_archE908ELNS1_3gpuE7ELNS1_3repE0EEENS1_30default_config_static_selectorELNS0_4arch9wavefront6targetE0EEEvT1_.numbered_sgpr, 0
	.set _ZN7rocprim17ROCPRIM_400000_NS6detail17trampoline_kernelINS0_14default_configENS1_25partition_config_selectorILNS1_17partition_subalgoE8ElNS0_10empty_typeEbEEZZNS1_14partition_implILS5_8ELb0ES3_jPKlPS6_PKS6_NS0_5tupleIJPlS6_EEENSE_IJSB_SB_EEENS0_18inequality_wrapperIN6hipcub16HIPCUB_304000_NS8EqualityEEESF_JS6_EEE10hipError_tPvRmT3_T4_T5_T6_T7_T9_mT8_P12ihipStream_tbDpT10_ENKUlT_T0_E_clISt17integral_constantIbLb0EES16_EEDaS11_S12_EUlS11_E_NS1_11comp_targetILNS1_3genE3ELNS1_11target_archE908ELNS1_3gpuE7ELNS1_3repE0EEENS1_30default_config_static_selectorELNS0_4arch9wavefront6targetE0EEEvT1_.num_named_barrier, 0
	.set _ZN7rocprim17ROCPRIM_400000_NS6detail17trampoline_kernelINS0_14default_configENS1_25partition_config_selectorILNS1_17partition_subalgoE8ElNS0_10empty_typeEbEEZZNS1_14partition_implILS5_8ELb0ES3_jPKlPS6_PKS6_NS0_5tupleIJPlS6_EEENSE_IJSB_SB_EEENS0_18inequality_wrapperIN6hipcub16HIPCUB_304000_NS8EqualityEEESF_JS6_EEE10hipError_tPvRmT3_T4_T5_T6_T7_T9_mT8_P12ihipStream_tbDpT10_ENKUlT_T0_E_clISt17integral_constantIbLb0EES16_EEDaS11_S12_EUlS11_E_NS1_11comp_targetILNS1_3genE3ELNS1_11target_archE908ELNS1_3gpuE7ELNS1_3repE0EEENS1_30default_config_static_selectorELNS0_4arch9wavefront6targetE0EEEvT1_.private_seg_size, 0
	.set _ZN7rocprim17ROCPRIM_400000_NS6detail17trampoline_kernelINS0_14default_configENS1_25partition_config_selectorILNS1_17partition_subalgoE8ElNS0_10empty_typeEbEEZZNS1_14partition_implILS5_8ELb0ES3_jPKlPS6_PKS6_NS0_5tupleIJPlS6_EEENSE_IJSB_SB_EEENS0_18inequality_wrapperIN6hipcub16HIPCUB_304000_NS8EqualityEEESF_JS6_EEE10hipError_tPvRmT3_T4_T5_T6_T7_T9_mT8_P12ihipStream_tbDpT10_ENKUlT_T0_E_clISt17integral_constantIbLb0EES16_EEDaS11_S12_EUlS11_E_NS1_11comp_targetILNS1_3genE3ELNS1_11target_archE908ELNS1_3gpuE7ELNS1_3repE0EEENS1_30default_config_static_selectorELNS0_4arch9wavefront6targetE0EEEvT1_.uses_vcc, 0
	.set _ZN7rocprim17ROCPRIM_400000_NS6detail17trampoline_kernelINS0_14default_configENS1_25partition_config_selectorILNS1_17partition_subalgoE8ElNS0_10empty_typeEbEEZZNS1_14partition_implILS5_8ELb0ES3_jPKlPS6_PKS6_NS0_5tupleIJPlS6_EEENSE_IJSB_SB_EEENS0_18inequality_wrapperIN6hipcub16HIPCUB_304000_NS8EqualityEEESF_JS6_EEE10hipError_tPvRmT3_T4_T5_T6_T7_T9_mT8_P12ihipStream_tbDpT10_ENKUlT_T0_E_clISt17integral_constantIbLb0EES16_EEDaS11_S12_EUlS11_E_NS1_11comp_targetILNS1_3genE3ELNS1_11target_archE908ELNS1_3gpuE7ELNS1_3repE0EEENS1_30default_config_static_selectorELNS0_4arch9wavefront6targetE0EEEvT1_.uses_flat_scratch, 0
	.set _ZN7rocprim17ROCPRIM_400000_NS6detail17trampoline_kernelINS0_14default_configENS1_25partition_config_selectorILNS1_17partition_subalgoE8ElNS0_10empty_typeEbEEZZNS1_14partition_implILS5_8ELb0ES3_jPKlPS6_PKS6_NS0_5tupleIJPlS6_EEENSE_IJSB_SB_EEENS0_18inequality_wrapperIN6hipcub16HIPCUB_304000_NS8EqualityEEESF_JS6_EEE10hipError_tPvRmT3_T4_T5_T6_T7_T9_mT8_P12ihipStream_tbDpT10_ENKUlT_T0_E_clISt17integral_constantIbLb0EES16_EEDaS11_S12_EUlS11_E_NS1_11comp_targetILNS1_3genE3ELNS1_11target_archE908ELNS1_3gpuE7ELNS1_3repE0EEENS1_30default_config_static_selectorELNS0_4arch9wavefront6targetE0EEEvT1_.has_dyn_sized_stack, 0
	.set _ZN7rocprim17ROCPRIM_400000_NS6detail17trampoline_kernelINS0_14default_configENS1_25partition_config_selectorILNS1_17partition_subalgoE8ElNS0_10empty_typeEbEEZZNS1_14partition_implILS5_8ELb0ES3_jPKlPS6_PKS6_NS0_5tupleIJPlS6_EEENSE_IJSB_SB_EEENS0_18inequality_wrapperIN6hipcub16HIPCUB_304000_NS8EqualityEEESF_JS6_EEE10hipError_tPvRmT3_T4_T5_T6_T7_T9_mT8_P12ihipStream_tbDpT10_ENKUlT_T0_E_clISt17integral_constantIbLb0EES16_EEDaS11_S12_EUlS11_E_NS1_11comp_targetILNS1_3genE3ELNS1_11target_archE908ELNS1_3gpuE7ELNS1_3repE0EEENS1_30default_config_static_selectorELNS0_4arch9wavefront6targetE0EEEvT1_.has_recursion, 0
	.set _ZN7rocprim17ROCPRIM_400000_NS6detail17trampoline_kernelINS0_14default_configENS1_25partition_config_selectorILNS1_17partition_subalgoE8ElNS0_10empty_typeEbEEZZNS1_14partition_implILS5_8ELb0ES3_jPKlPS6_PKS6_NS0_5tupleIJPlS6_EEENSE_IJSB_SB_EEENS0_18inequality_wrapperIN6hipcub16HIPCUB_304000_NS8EqualityEEESF_JS6_EEE10hipError_tPvRmT3_T4_T5_T6_T7_T9_mT8_P12ihipStream_tbDpT10_ENKUlT_T0_E_clISt17integral_constantIbLb0EES16_EEDaS11_S12_EUlS11_E_NS1_11comp_targetILNS1_3genE3ELNS1_11target_archE908ELNS1_3gpuE7ELNS1_3repE0EEENS1_30default_config_static_selectorELNS0_4arch9wavefront6targetE0EEEvT1_.has_indirect_call, 0
	.section	.AMDGPU.csdata,"",@progbits
; Kernel info:
; codeLenInByte = 0
; TotalNumSgprs: 0
; NumVgprs: 0
; ScratchSize: 0
; MemoryBound: 0
; FloatMode: 240
; IeeeMode: 1
; LDSByteSize: 0 bytes/workgroup (compile time only)
; SGPRBlocks: 0
; VGPRBlocks: 0
; NumSGPRsForWavesPerEU: 1
; NumVGPRsForWavesPerEU: 1
; NamedBarCnt: 0
; Occupancy: 16
; WaveLimiterHint : 0
; COMPUTE_PGM_RSRC2:SCRATCH_EN: 0
; COMPUTE_PGM_RSRC2:USER_SGPR: 2
; COMPUTE_PGM_RSRC2:TRAP_HANDLER: 0
; COMPUTE_PGM_RSRC2:TGID_X_EN: 1
; COMPUTE_PGM_RSRC2:TGID_Y_EN: 0
; COMPUTE_PGM_RSRC2:TGID_Z_EN: 0
; COMPUTE_PGM_RSRC2:TIDIG_COMP_CNT: 0
	.section	.text._ZN7rocprim17ROCPRIM_400000_NS6detail17trampoline_kernelINS0_14default_configENS1_25partition_config_selectorILNS1_17partition_subalgoE8ElNS0_10empty_typeEbEEZZNS1_14partition_implILS5_8ELb0ES3_jPKlPS6_PKS6_NS0_5tupleIJPlS6_EEENSE_IJSB_SB_EEENS0_18inequality_wrapperIN6hipcub16HIPCUB_304000_NS8EqualityEEESF_JS6_EEE10hipError_tPvRmT3_T4_T5_T6_T7_T9_mT8_P12ihipStream_tbDpT10_ENKUlT_T0_E_clISt17integral_constantIbLb0EES16_EEDaS11_S12_EUlS11_E_NS1_11comp_targetILNS1_3genE2ELNS1_11target_archE906ELNS1_3gpuE6ELNS1_3repE0EEENS1_30default_config_static_selectorELNS0_4arch9wavefront6targetE0EEEvT1_,"axG",@progbits,_ZN7rocprim17ROCPRIM_400000_NS6detail17trampoline_kernelINS0_14default_configENS1_25partition_config_selectorILNS1_17partition_subalgoE8ElNS0_10empty_typeEbEEZZNS1_14partition_implILS5_8ELb0ES3_jPKlPS6_PKS6_NS0_5tupleIJPlS6_EEENSE_IJSB_SB_EEENS0_18inequality_wrapperIN6hipcub16HIPCUB_304000_NS8EqualityEEESF_JS6_EEE10hipError_tPvRmT3_T4_T5_T6_T7_T9_mT8_P12ihipStream_tbDpT10_ENKUlT_T0_E_clISt17integral_constantIbLb0EES16_EEDaS11_S12_EUlS11_E_NS1_11comp_targetILNS1_3genE2ELNS1_11target_archE906ELNS1_3gpuE6ELNS1_3repE0EEENS1_30default_config_static_selectorELNS0_4arch9wavefront6targetE0EEEvT1_,comdat
	.protected	_ZN7rocprim17ROCPRIM_400000_NS6detail17trampoline_kernelINS0_14default_configENS1_25partition_config_selectorILNS1_17partition_subalgoE8ElNS0_10empty_typeEbEEZZNS1_14partition_implILS5_8ELb0ES3_jPKlPS6_PKS6_NS0_5tupleIJPlS6_EEENSE_IJSB_SB_EEENS0_18inequality_wrapperIN6hipcub16HIPCUB_304000_NS8EqualityEEESF_JS6_EEE10hipError_tPvRmT3_T4_T5_T6_T7_T9_mT8_P12ihipStream_tbDpT10_ENKUlT_T0_E_clISt17integral_constantIbLb0EES16_EEDaS11_S12_EUlS11_E_NS1_11comp_targetILNS1_3genE2ELNS1_11target_archE906ELNS1_3gpuE6ELNS1_3repE0EEENS1_30default_config_static_selectorELNS0_4arch9wavefront6targetE0EEEvT1_ ; -- Begin function _ZN7rocprim17ROCPRIM_400000_NS6detail17trampoline_kernelINS0_14default_configENS1_25partition_config_selectorILNS1_17partition_subalgoE8ElNS0_10empty_typeEbEEZZNS1_14partition_implILS5_8ELb0ES3_jPKlPS6_PKS6_NS0_5tupleIJPlS6_EEENSE_IJSB_SB_EEENS0_18inequality_wrapperIN6hipcub16HIPCUB_304000_NS8EqualityEEESF_JS6_EEE10hipError_tPvRmT3_T4_T5_T6_T7_T9_mT8_P12ihipStream_tbDpT10_ENKUlT_T0_E_clISt17integral_constantIbLb0EES16_EEDaS11_S12_EUlS11_E_NS1_11comp_targetILNS1_3genE2ELNS1_11target_archE906ELNS1_3gpuE6ELNS1_3repE0EEENS1_30default_config_static_selectorELNS0_4arch9wavefront6targetE0EEEvT1_
	.globl	_ZN7rocprim17ROCPRIM_400000_NS6detail17trampoline_kernelINS0_14default_configENS1_25partition_config_selectorILNS1_17partition_subalgoE8ElNS0_10empty_typeEbEEZZNS1_14partition_implILS5_8ELb0ES3_jPKlPS6_PKS6_NS0_5tupleIJPlS6_EEENSE_IJSB_SB_EEENS0_18inequality_wrapperIN6hipcub16HIPCUB_304000_NS8EqualityEEESF_JS6_EEE10hipError_tPvRmT3_T4_T5_T6_T7_T9_mT8_P12ihipStream_tbDpT10_ENKUlT_T0_E_clISt17integral_constantIbLb0EES16_EEDaS11_S12_EUlS11_E_NS1_11comp_targetILNS1_3genE2ELNS1_11target_archE906ELNS1_3gpuE6ELNS1_3repE0EEENS1_30default_config_static_selectorELNS0_4arch9wavefront6targetE0EEEvT1_
	.p2align	8
	.type	_ZN7rocprim17ROCPRIM_400000_NS6detail17trampoline_kernelINS0_14default_configENS1_25partition_config_selectorILNS1_17partition_subalgoE8ElNS0_10empty_typeEbEEZZNS1_14partition_implILS5_8ELb0ES3_jPKlPS6_PKS6_NS0_5tupleIJPlS6_EEENSE_IJSB_SB_EEENS0_18inequality_wrapperIN6hipcub16HIPCUB_304000_NS8EqualityEEESF_JS6_EEE10hipError_tPvRmT3_T4_T5_T6_T7_T9_mT8_P12ihipStream_tbDpT10_ENKUlT_T0_E_clISt17integral_constantIbLb0EES16_EEDaS11_S12_EUlS11_E_NS1_11comp_targetILNS1_3genE2ELNS1_11target_archE906ELNS1_3gpuE6ELNS1_3repE0EEENS1_30default_config_static_selectorELNS0_4arch9wavefront6targetE0EEEvT1_,@function
_ZN7rocprim17ROCPRIM_400000_NS6detail17trampoline_kernelINS0_14default_configENS1_25partition_config_selectorILNS1_17partition_subalgoE8ElNS0_10empty_typeEbEEZZNS1_14partition_implILS5_8ELb0ES3_jPKlPS6_PKS6_NS0_5tupleIJPlS6_EEENSE_IJSB_SB_EEENS0_18inequality_wrapperIN6hipcub16HIPCUB_304000_NS8EqualityEEESF_JS6_EEE10hipError_tPvRmT3_T4_T5_T6_T7_T9_mT8_P12ihipStream_tbDpT10_ENKUlT_T0_E_clISt17integral_constantIbLb0EES16_EEDaS11_S12_EUlS11_E_NS1_11comp_targetILNS1_3genE2ELNS1_11target_archE906ELNS1_3gpuE6ELNS1_3repE0EEENS1_30default_config_static_selectorELNS0_4arch9wavefront6targetE0EEEvT1_: ; @_ZN7rocprim17ROCPRIM_400000_NS6detail17trampoline_kernelINS0_14default_configENS1_25partition_config_selectorILNS1_17partition_subalgoE8ElNS0_10empty_typeEbEEZZNS1_14partition_implILS5_8ELb0ES3_jPKlPS6_PKS6_NS0_5tupleIJPlS6_EEENSE_IJSB_SB_EEENS0_18inequality_wrapperIN6hipcub16HIPCUB_304000_NS8EqualityEEESF_JS6_EEE10hipError_tPvRmT3_T4_T5_T6_T7_T9_mT8_P12ihipStream_tbDpT10_ENKUlT_T0_E_clISt17integral_constantIbLb0EES16_EEDaS11_S12_EUlS11_E_NS1_11comp_targetILNS1_3genE2ELNS1_11target_archE906ELNS1_3gpuE6ELNS1_3repE0EEENS1_30default_config_static_selectorELNS0_4arch9wavefront6targetE0EEEvT1_
; %bb.0:
	.section	.rodata,"a",@progbits
	.p2align	6, 0x0
	.amdhsa_kernel _ZN7rocprim17ROCPRIM_400000_NS6detail17trampoline_kernelINS0_14default_configENS1_25partition_config_selectorILNS1_17partition_subalgoE8ElNS0_10empty_typeEbEEZZNS1_14partition_implILS5_8ELb0ES3_jPKlPS6_PKS6_NS0_5tupleIJPlS6_EEENSE_IJSB_SB_EEENS0_18inequality_wrapperIN6hipcub16HIPCUB_304000_NS8EqualityEEESF_JS6_EEE10hipError_tPvRmT3_T4_T5_T6_T7_T9_mT8_P12ihipStream_tbDpT10_ENKUlT_T0_E_clISt17integral_constantIbLb0EES16_EEDaS11_S12_EUlS11_E_NS1_11comp_targetILNS1_3genE2ELNS1_11target_archE906ELNS1_3gpuE6ELNS1_3repE0EEENS1_30default_config_static_selectorELNS0_4arch9wavefront6targetE0EEEvT1_
		.amdhsa_group_segment_fixed_size 0
		.amdhsa_private_segment_fixed_size 0
		.amdhsa_kernarg_size 112
		.amdhsa_user_sgpr_count 2
		.amdhsa_user_sgpr_dispatch_ptr 0
		.amdhsa_user_sgpr_queue_ptr 0
		.amdhsa_user_sgpr_kernarg_segment_ptr 1
		.amdhsa_user_sgpr_dispatch_id 0
		.amdhsa_user_sgpr_kernarg_preload_length 0
		.amdhsa_user_sgpr_kernarg_preload_offset 0
		.amdhsa_user_sgpr_private_segment_size 0
		.amdhsa_wavefront_size32 1
		.amdhsa_uses_dynamic_stack 0
		.amdhsa_enable_private_segment 0
		.amdhsa_system_sgpr_workgroup_id_x 1
		.amdhsa_system_sgpr_workgroup_id_y 0
		.amdhsa_system_sgpr_workgroup_id_z 0
		.amdhsa_system_sgpr_workgroup_info 0
		.amdhsa_system_vgpr_workitem_id 0
		.amdhsa_next_free_vgpr 1
		.amdhsa_next_free_sgpr 1
		.amdhsa_named_barrier_count 0
		.amdhsa_reserve_vcc 0
		.amdhsa_float_round_mode_32 0
		.amdhsa_float_round_mode_16_64 0
		.amdhsa_float_denorm_mode_32 3
		.amdhsa_float_denorm_mode_16_64 3
		.amdhsa_fp16_overflow 0
		.amdhsa_memory_ordered 1
		.amdhsa_forward_progress 1
		.amdhsa_inst_pref_size 0
		.amdhsa_round_robin_scheduling 0
		.amdhsa_exception_fp_ieee_invalid_op 0
		.amdhsa_exception_fp_denorm_src 0
		.amdhsa_exception_fp_ieee_div_zero 0
		.amdhsa_exception_fp_ieee_overflow 0
		.amdhsa_exception_fp_ieee_underflow 0
		.amdhsa_exception_fp_ieee_inexact 0
		.amdhsa_exception_int_div_zero 0
	.end_amdhsa_kernel
	.section	.text._ZN7rocprim17ROCPRIM_400000_NS6detail17trampoline_kernelINS0_14default_configENS1_25partition_config_selectorILNS1_17partition_subalgoE8ElNS0_10empty_typeEbEEZZNS1_14partition_implILS5_8ELb0ES3_jPKlPS6_PKS6_NS0_5tupleIJPlS6_EEENSE_IJSB_SB_EEENS0_18inequality_wrapperIN6hipcub16HIPCUB_304000_NS8EqualityEEESF_JS6_EEE10hipError_tPvRmT3_T4_T5_T6_T7_T9_mT8_P12ihipStream_tbDpT10_ENKUlT_T0_E_clISt17integral_constantIbLb0EES16_EEDaS11_S12_EUlS11_E_NS1_11comp_targetILNS1_3genE2ELNS1_11target_archE906ELNS1_3gpuE6ELNS1_3repE0EEENS1_30default_config_static_selectorELNS0_4arch9wavefront6targetE0EEEvT1_,"axG",@progbits,_ZN7rocprim17ROCPRIM_400000_NS6detail17trampoline_kernelINS0_14default_configENS1_25partition_config_selectorILNS1_17partition_subalgoE8ElNS0_10empty_typeEbEEZZNS1_14partition_implILS5_8ELb0ES3_jPKlPS6_PKS6_NS0_5tupleIJPlS6_EEENSE_IJSB_SB_EEENS0_18inequality_wrapperIN6hipcub16HIPCUB_304000_NS8EqualityEEESF_JS6_EEE10hipError_tPvRmT3_T4_T5_T6_T7_T9_mT8_P12ihipStream_tbDpT10_ENKUlT_T0_E_clISt17integral_constantIbLb0EES16_EEDaS11_S12_EUlS11_E_NS1_11comp_targetILNS1_3genE2ELNS1_11target_archE906ELNS1_3gpuE6ELNS1_3repE0EEENS1_30default_config_static_selectorELNS0_4arch9wavefront6targetE0EEEvT1_,comdat
.Lfunc_end483:
	.size	_ZN7rocprim17ROCPRIM_400000_NS6detail17trampoline_kernelINS0_14default_configENS1_25partition_config_selectorILNS1_17partition_subalgoE8ElNS0_10empty_typeEbEEZZNS1_14partition_implILS5_8ELb0ES3_jPKlPS6_PKS6_NS0_5tupleIJPlS6_EEENSE_IJSB_SB_EEENS0_18inequality_wrapperIN6hipcub16HIPCUB_304000_NS8EqualityEEESF_JS6_EEE10hipError_tPvRmT3_T4_T5_T6_T7_T9_mT8_P12ihipStream_tbDpT10_ENKUlT_T0_E_clISt17integral_constantIbLb0EES16_EEDaS11_S12_EUlS11_E_NS1_11comp_targetILNS1_3genE2ELNS1_11target_archE906ELNS1_3gpuE6ELNS1_3repE0EEENS1_30default_config_static_selectorELNS0_4arch9wavefront6targetE0EEEvT1_, .Lfunc_end483-_ZN7rocprim17ROCPRIM_400000_NS6detail17trampoline_kernelINS0_14default_configENS1_25partition_config_selectorILNS1_17partition_subalgoE8ElNS0_10empty_typeEbEEZZNS1_14partition_implILS5_8ELb0ES3_jPKlPS6_PKS6_NS0_5tupleIJPlS6_EEENSE_IJSB_SB_EEENS0_18inequality_wrapperIN6hipcub16HIPCUB_304000_NS8EqualityEEESF_JS6_EEE10hipError_tPvRmT3_T4_T5_T6_T7_T9_mT8_P12ihipStream_tbDpT10_ENKUlT_T0_E_clISt17integral_constantIbLb0EES16_EEDaS11_S12_EUlS11_E_NS1_11comp_targetILNS1_3genE2ELNS1_11target_archE906ELNS1_3gpuE6ELNS1_3repE0EEENS1_30default_config_static_selectorELNS0_4arch9wavefront6targetE0EEEvT1_
                                        ; -- End function
	.set _ZN7rocprim17ROCPRIM_400000_NS6detail17trampoline_kernelINS0_14default_configENS1_25partition_config_selectorILNS1_17partition_subalgoE8ElNS0_10empty_typeEbEEZZNS1_14partition_implILS5_8ELb0ES3_jPKlPS6_PKS6_NS0_5tupleIJPlS6_EEENSE_IJSB_SB_EEENS0_18inequality_wrapperIN6hipcub16HIPCUB_304000_NS8EqualityEEESF_JS6_EEE10hipError_tPvRmT3_T4_T5_T6_T7_T9_mT8_P12ihipStream_tbDpT10_ENKUlT_T0_E_clISt17integral_constantIbLb0EES16_EEDaS11_S12_EUlS11_E_NS1_11comp_targetILNS1_3genE2ELNS1_11target_archE906ELNS1_3gpuE6ELNS1_3repE0EEENS1_30default_config_static_selectorELNS0_4arch9wavefront6targetE0EEEvT1_.num_vgpr, 0
	.set _ZN7rocprim17ROCPRIM_400000_NS6detail17trampoline_kernelINS0_14default_configENS1_25partition_config_selectorILNS1_17partition_subalgoE8ElNS0_10empty_typeEbEEZZNS1_14partition_implILS5_8ELb0ES3_jPKlPS6_PKS6_NS0_5tupleIJPlS6_EEENSE_IJSB_SB_EEENS0_18inequality_wrapperIN6hipcub16HIPCUB_304000_NS8EqualityEEESF_JS6_EEE10hipError_tPvRmT3_T4_T5_T6_T7_T9_mT8_P12ihipStream_tbDpT10_ENKUlT_T0_E_clISt17integral_constantIbLb0EES16_EEDaS11_S12_EUlS11_E_NS1_11comp_targetILNS1_3genE2ELNS1_11target_archE906ELNS1_3gpuE6ELNS1_3repE0EEENS1_30default_config_static_selectorELNS0_4arch9wavefront6targetE0EEEvT1_.num_agpr, 0
	.set _ZN7rocprim17ROCPRIM_400000_NS6detail17trampoline_kernelINS0_14default_configENS1_25partition_config_selectorILNS1_17partition_subalgoE8ElNS0_10empty_typeEbEEZZNS1_14partition_implILS5_8ELb0ES3_jPKlPS6_PKS6_NS0_5tupleIJPlS6_EEENSE_IJSB_SB_EEENS0_18inequality_wrapperIN6hipcub16HIPCUB_304000_NS8EqualityEEESF_JS6_EEE10hipError_tPvRmT3_T4_T5_T6_T7_T9_mT8_P12ihipStream_tbDpT10_ENKUlT_T0_E_clISt17integral_constantIbLb0EES16_EEDaS11_S12_EUlS11_E_NS1_11comp_targetILNS1_3genE2ELNS1_11target_archE906ELNS1_3gpuE6ELNS1_3repE0EEENS1_30default_config_static_selectorELNS0_4arch9wavefront6targetE0EEEvT1_.numbered_sgpr, 0
	.set _ZN7rocprim17ROCPRIM_400000_NS6detail17trampoline_kernelINS0_14default_configENS1_25partition_config_selectorILNS1_17partition_subalgoE8ElNS0_10empty_typeEbEEZZNS1_14partition_implILS5_8ELb0ES3_jPKlPS6_PKS6_NS0_5tupleIJPlS6_EEENSE_IJSB_SB_EEENS0_18inequality_wrapperIN6hipcub16HIPCUB_304000_NS8EqualityEEESF_JS6_EEE10hipError_tPvRmT3_T4_T5_T6_T7_T9_mT8_P12ihipStream_tbDpT10_ENKUlT_T0_E_clISt17integral_constantIbLb0EES16_EEDaS11_S12_EUlS11_E_NS1_11comp_targetILNS1_3genE2ELNS1_11target_archE906ELNS1_3gpuE6ELNS1_3repE0EEENS1_30default_config_static_selectorELNS0_4arch9wavefront6targetE0EEEvT1_.num_named_barrier, 0
	.set _ZN7rocprim17ROCPRIM_400000_NS6detail17trampoline_kernelINS0_14default_configENS1_25partition_config_selectorILNS1_17partition_subalgoE8ElNS0_10empty_typeEbEEZZNS1_14partition_implILS5_8ELb0ES3_jPKlPS6_PKS6_NS0_5tupleIJPlS6_EEENSE_IJSB_SB_EEENS0_18inequality_wrapperIN6hipcub16HIPCUB_304000_NS8EqualityEEESF_JS6_EEE10hipError_tPvRmT3_T4_T5_T6_T7_T9_mT8_P12ihipStream_tbDpT10_ENKUlT_T0_E_clISt17integral_constantIbLb0EES16_EEDaS11_S12_EUlS11_E_NS1_11comp_targetILNS1_3genE2ELNS1_11target_archE906ELNS1_3gpuE6ELNS1_3repE0EEENS1_30default_config_static_selectorELNS0_4arch9wavefront6targetE0EEEvT1_.private_seg_size, 0
	.set _ZN7rocprim17ROCPRIM_400000_NS6detail17trampoline_kernelINS0_14default_configENS1_25partition_config_selectorILNS1_17partition_subalgoE8ElNS0_10empty_typeEbEEZZNS1_14partition_implILS5_8ELb0ES3_jPKlPS6_PKS6_NS0_5tupleIJPlS6_EEENSE_IJSB_SB_EEENS0_18inequality_wrapperIN6hipcub16HIPCUB_304000_NS8EqualityEEESF_JS6_EEE10hipError_tPvRmT3_T4_T5_T6_T7_T9_mT8_P12ihipStream_tbDpT10_ENKUlT_T0_E_clISt17integral_constantIbLb0EES16_EEDaS11_S12_EUlS11_E_NS1_11comp_targetILNS1_3genE2ELNS1_11target_archE906ELNS1_3gpuE6ELNS1_3repE0EEENS1_30default_config_static_selectorELNS0_4arch9wavefront6targetE0EEEvT1_.uses_vcc, 0
	.set _ZN7rocprim17ROCPRIM_400000_NS6detail17trampoline_kernelINS0_14default_configENS1_25partition_config_selectorILNS1_17partition_subalgoE8ElNS0_10empty_typeEbEEZZNS1_14partition_implILS5_8ELb0ES3_jPKlPS6_PKS6_NS0_5tupleIJPlS6_EEENSE_IJSB_SB_EEENS0_18inequality_wrapperIN6hipcub16HIPCUB_304000_NS8EqualityEEESF_JS6_EEE10hipError_tPvRmT3_T4_T5_T6_T7_T9_mT8_P12ihipStream_tbDpT10_ENKUlT_T0_E_clISt17integral_constantIbLb0EES16_EEDaS11_S12_EUlS11_E_NS1_11comp_targetILNS1_3genE2ELNS1_11target_archE906ELNS1_3gpuE6ELNS1_3repE0EEENS1_30default_config_static_selectorELNS0_4arch9wavefront6targetE0EEEvT1_.uses_flat_scratch, 0
	.set _ZN7rocprim17ROCPRIM_400000_NS6detail17trampoline_kernelINS0_14default_configENS1_25partition_config_selectorILNS1_17partition_subalgoE8ElNS0_10empty_typeEbEEZZNS1_14partition_implILS5_8ELb0ES3_jPKlPS6_PKS6_NS0_5tupleIJPlS6_EEENSE_IJSB_SB_EEENS0_18inequality_wrapperIN6hipcub16HIPCUB_304000_NS8EqualityEEESF_JS6_EEE10hipError_tPvRmT3_T4_T5_T6_T7_T9_mT8_P12ihipStream_tbDpT10_ENKUlT_T0_E_clISt17integral_constantIbLb0EES16_EEDaS11_S12_EUlS11_E_NS1_11comp_targetILNS1_3genE2ELNS1_11target_archE906ELNS1_3gpuE6ELNS1_3repE0EEENS1_30default_config_static_selectorELNS0_4arch9wavefront6targetE0EEEvT1_.has_dyn_sized_stack, 0
	.set _ZN7rocprim17ROCPRIM_400000_NS6detail17trampoline_kernelINS0_14default_configENS1_25partition_config_selectorILNS1_17partition_subalgoE8ElNS0_10empty_typeEbEEZZNS1_14partition_implILS5_8ELb0ES3_jPKlPS6_PKS6_NS0_5tupleIJPlS6_EEENSE_IJSB_SB_EEENS0_18inequality_wrapperIN6hipcub16HIPCUB_304000_NS8EqualityEEESF_JS6_EEE10hipError_tPvRmT3_T4_T5_T6_T7_T9_mT8_P12ihipStream_tbDpT10_ENKUlT_T0_E_clISt17integral_constantIbLb0EES16_EEDaS11_S12_EUlS11_E_NS1_11comp_targetILNS1_3genE2ELNS1_11target_archE906ELNS1_3gpuE6ELNS1_3repE0EEENS1_30default_config_static_selectorELNS0_4arch9wavefront6targetE0EEEvT1_.has_recursion, 0
	.set _ZN7rocprim17ROCPRIM_400000_NS6detail17trampoline_kernelINS0_14default_configENS1_25partition_config_selectorILNS1_17partition_subalgoE8ElNS0_10empty_typeEbEEZZNS1_14partition_implILS5_8ELb0ES3_jPKlPS6_PKS6_NS0_5tupleIJPlS6_EEENSE_IJSB_SB_EEENS0_18inequality_wrapperIN6hipcub16HIPCUB_304000_NS8EqualityEEESF_JS6_EEE10hipError_tPvRmT3_T4_T5_T6_T7_T9_mT8_P12ihipStream_tbDpT10_ENKUlT_T0_E_clISt17integral_constantIbLb0EES16_EEDaS11_S12_EUlS11_E_NS1_11comp_targetILNS1_3genE2ELNS1_11target_archE906ELNS1_3gpuE6ELNS1_3repE0EEENS1_30default_config_static_selectorELNS0_4arch9wavefront6targetE0EEEvT1_.has_indirect_call, 0
	.section	.AMDGPU.csdata,"",@progbits
; Kernel info:
; codeLenInByte = 0
; TotalNumSgprs: 0
; NumVgprs: 0
; ScratchSize: 0
; MemoryBound: 0
; FloatMode: 240
; IeeeMode: 1
; LDSByteSize: 0 bytes/workgroup (compile time only)
; SGPRBlocks: 0
; VGPRBlocks: 0
; NumSGPRsForWavesPerEU: 1
; NumVGPRsForWavesPerEU: 1
; NamedBarCnt: 0
; Occupancy: 16
; WaveLimiterHint : 0
; COMPUTE_PGM_RSRC2:SCRATCH_EN: 0
; COMPUTE_PGM_RSRC2:USER_SGPR: 2
; COMPUTE_PGM_RSRC2:TRAP_HANDLER: 0
; COMPUTE_PGM_RSRC2:TGID_X_EN: 1
; COMPUTE_PGM_RSRC2:TGID_Y_EN: 0
; COMPUTE_PGM_RSRC2:TGID_Z_EN: 0
; COMPUTE_PGM_RSRC2:TIDIG_COMP_CNT: 0
	.section	.text._ZN7rocprim17ROCPRIM_400000_NS6detail17trampoline_kernelINS0_14default_configENS1_25partition_config_selectorILNS1_17partition_subalgoE8ElNS0_10empty_typeEbEEZZNS1_14partition_implILS5_8ELb0ES3_jPKlPS6_PKS6_NS0_5tupleIJPlS6_EEENSE_IJSB_SB_EEENS0_18inequality_wrapperIN6hipcub16HIPCUB_304000_NS8EqualityEEESF_JS6_EEE10hipError_tPvRmT3_T4_T5_T6_T7_T9_mT8_P12ihipStream_tbDpT10_ENKUlT_T0_E_clISt17integral_constantIbLb0EES16_EEDaS11_S12_EUlS11_E_NS1_11comp_targetILNS1_3genE10ELNS1_11target_archE1200ELNS1_3gpuE4ELNS1_3repE0EEENS1_30default_config_static_selectorELNS0_4arch9wavefront6targetE0EEEvT1_,"axG",@progbits,_ZN7rocprim17ROCPRIM_400000_NS6detail17trampoline_kernelINS0_14default_configENS1_25partition_config_selectorILNS1_17partition_subalgoE8ElNS0_10empty_typeEbEEZZNS1_14partition_implILS5_8ELb0ES3_jPKlPS6_PKS6_NS0_5tupleIJPlS6_EEENSE_IJSB_SB_EEENS0_18inequality_wrapperIN6hipcub16HIPCUB_304000_NS8EqualityEEESF_JS6_EEE10hipError_tPvRmT3_T4_T5_T6_T7_T9_mT8_P12ihipStream_tbDpT10_ENKUlT_T0_E_clISt17integral_constantIbLb0EES16_EEDaS11_S12_EUlS11_E_NS1_11comp_targetILNS1_3genE10ELNS1_11target_archE1200ELNS1_3gpuE4ELNS1_3repE0EEENS1_30default_config_static_selectorELNS0_4arch9wavefront6targetE0EEEvT1_,comdat
	.protected	_ZN7rocprim17ROCPRIM_400000_NS6detail17trampoline_kernelINS0_14default_configENS1_25partition_config_selectorILNS1_17partition_subalgoE8ElNS0_10empty_typeEbEEZZNS1_14partition_implILS5_8ELb0ES3_jPKlPS6_PKS6_NS0_5tupleIJPlS6_EEENSE_IJSB_SB_EEENS0_18inequality_wrapperIN6hipcub16HIPCUB_304000_NS8EqualityEEESF_JS6_EEE10hipError_tPvRmT3_T4_T5_T6_T7_T9_mT8_P12ihipStream_tbDpT10_ENKUlT_T0_E_clISt17integral_constantIbLb0EES16_EEDaS11_S12_EUlS11_E_NS1_11comp_targetILNS1_3genE10ELNS1_11target_archE1200ELNS1_3gpuE4ELNS1_3repE0EEENS1_30default_config_static_selectorELNS0_4arch9wavefront6targetE0EEEvT1_ ; -- Begin function _ZN7rocprim17ROCPRIM_400000_NS6detail17trampoline_kernelINS0_14default_configENS1_25partition_config_selectorILNS1_17partition_subalgoE8ElNS0_10empty_typeEbEEZZNS1_14partition_implILS5_8ELb0ES3_jPKlPS6_PKS6_NS0_5tupleIJPlS6_EEENSE_IJSB_SB_EEENS0_18inequality_wrapperIN6hipcub16HIPCUB_304000_NS8EqualityEEESF_JS6_EEE10hipError_tPvRmT3_T4_T5_T6_T7_T9_mT8_P12ihipStream_tbDpT10_ENKUlT_T0_E_clISt17integral_constantIbLb0EES16_EEDaS11_S12_EUlS11_E_NS1_11comp_targetILNS1_3genE10ELNS1_11target_archE1200ELNS1_3gpuE4ELNS1_3repE0EEENS1_30default_config_static_selectorELNS0_4arch9wavefront6targetE0EEEvT1_
	.globl	_ZN7rocprim17ROCPRIM_400000_NS6detail17trampoline_kernelINS0_14default_configENS1_25partition_config_selectorILNS1_17partition_subalgoE8ElNS0_10empty_typeEbEEZZNS1_14partition_implILS5_8ELb0ES3_jPKlPS6_PKS6_NS0_5tupleIJPlS6_EEENSE_IJSB_SB_EEENS0_18inequality_wrapperIN6hipcub16HIPCUB_304000_NS8EqualityEEESF_JS6_EEE10hipError_tPvRmT3_T4_T5_T6_T7_T9_mT8_P12ihipStream_tbDpT10_ENKUlT_T0_E_clISt17integral_constantIbLb0EES16_EEDaS11_S12_EUlS11_E_NS1_11comp_targetILNS1_3genE10ELNS1_11target_archE1200ELNS1_3gpuE4ELNS1_3repE0EEENS1_30default_config_static_selectorELNS0_4arch9wavefront6targetE0EEEvT1_
	.p2align	8
	.type	_ZN7rocprim17ROCPRIM_400000_NS6detail17trampoline_kernelINS0_14default_configENS1_25partition_config_selectorILNS1_17partition_subalgoE8ElNS0_10empty_typeEbEEZZNS1_14partition_implILS5_8ELb0ES3_jPKlPS6_PKS6_NS0_5tupleIJPlS6_EEENSE_IJSB_SB_EEENS0_18inequality_wrapperIN6hipcub16HIPCUB_304000_NS8EqualityEEESF_JS6_EEE10hipError_tPvRmT3_T4_T5_T6_T7_T9_mT8_P12ihipStream_tbDpT10_ENKUlT_T0_E_clISt17integral_constantIbLb0EES16_EEDaS11_S12_EUlS11_E_NS1_11comp_targetILNS1_3genE10ELNS1_11target_archE1200ELNS1_3gpuE4ELNS1_3repE0EEENS1_30default_config_static_selectorELNS0_4arch9wavefront6targetE0EEEvT1_,@function
_ZN7rocprim17ROCPRIM_400000_NS6detail17trampoline_kernelINS0_14default_configENS1_25partition_config_selectorILNS1_17partition_subalgoE8ElNS0_10empty_typeEbEEZZNS1_14partition_implILS5_8ELb0ES3_jPKlPS6_PKS6_NS0_5tupleIJPlS6_EEENSE_IJSB_SB_EEENS0_18inequality_wrapperIN6hipcub16HIPCUB_304000_NS8EqualityEEESF_JS6_EEE10hipError_tPvRmT3_T4_T5_T6_T7_T9_mT8_P12ihipStream_tbDpT10_ENKUlT_T0_E_clISt17integral_constantIbLb0EES16_EEDaS11_S12_EUlS11_E_NS1_11comp_targetILNS1_3genE10ELNS1_11target_archE1200ELNS1_3gpuE4ELNS1_3repE0EEENS1_30default_config_static_selectorELNS0_4arch9wavefront6targetE0EEEvT1_: ; @_ZN7rocprim17ROCPRIM_400000_NS6detail17trampoline_kernelINS0_14default_configENS1_25partition_config_selectorILNS1_17partition_subalgoE8ElNS0_10empty_typeEbEEZZNS1_14partition_implILS5_8ELb0ES3_jPKlPS6_PKS6_NS0_5tupleIJPlS6_EEENSE_IJSB_SB_EEENS0_18inequality_wrapperIN6hipcub16HIPCUB_304000_NS8EqualityEEESF_JS6_EEE10hipError_tPvRmT3_T4_T5_T6_T7_T9_mT8_P12ihipStream_tbDpT10_ENKUlT_T0_E_clISt17integral_constantIbLb0EES16_EEDaS11_S12_EUlS11_E_NS1_11comp_targetILNS1_3genE10ELNS1_11target_archE1200ELNS1_3gpuE4ELNS1_3repE0EEENS1_30default_config_static_selectorELNS0_4arch9wavefront6targetE0EEEvT1_
; %bb.0:
	.section	.rodata,"a",@progbits
	.p2align	6, 0x0
	.amdhsa_kernel _ZN7rocprim17ROCPRIM_400000_NS6detail17trampoline_kernelINS0_14default_configENS1_25partition_config_selectorILNS1_17partition_subalgoE8ElNS0_10empty_typeEbEEZZNS1_14partition_implILS5_8ELb0ES3_jPKlPS6_PKS6_NS0_5tupleIJPlS6_EEENSE_IJSB_SB_EEENS0_18inequality_wrapperIN6hipcub16HIPCUB_304000_NS8EqualityEEESF_JS6_EEE10hipError_tPvRmT3_T4_T5_T6_T7_T9_mT8_P12ihipStream_tbDpT10_ENKUlT_T0_E_clISt17integral_constantIbLb0EES16_EEDaS11_S12_EUlS11_E_NS1_11comp_targetILNS1_3genE10ELNS1_11target_archE1200ELNS1_3gpuE4ELNS1_3repE0EEENS1_30default_config_static_selectorELNS0_4arch9wavefront6targetE0EEEvT1_
		.amdhsa_group_segment_fixed_size 0
		.amdhsa_private_segment_fixed_size 0
		.amdhsa_kernarg_size 112
		.amdhsa_user_sgpr_count 2
		.amdhsa_user_sgpr_dispatch_ptr 0
		.amdhsa_user_sgpr_queue_ptr 0
		.amdhsa_user_sgpr_kernarg_segment_ptr 1
		.amdhsa_user_sgpr_dispatch_id 0
		.amdhsa_user_sgpr_kernarg_preload_length 0
		.amdhsa_user_sgpr_kernarg_preload_offset 0
		.amdhsa_user_sgpr_private_segment_size 0
		.amdhsa_wavefront_size32 1
		.amdhsa_uses_dynamic_stack 0
		.amdhsa_enable_private_segment 0
		.amdhsa_system_sgpr_workgroup_id_x 1
		.amdhsa_system_sgpr_workgroup_id_y 0
		.amdhsa_system_sgpr_workgroup_id_z 0
		.amdhsa_system_sgpr_workgroup_info 0
		.amdhsa_system_vgpr_workitem_id 0
		.amdhsa_next_free_vgpr 1
		.amdhsa_next_free_sgpr 1
		.amdhsa_named_barrier_count 0
		.amdhsa_reserve_vcc 0
		.amdhsa_float_round_mode_32 0
		.amdhsa_float_round_mode_16_64 0
		.amdhsa_float_denorm_mode_32 3
		.amdhsa_float_denorm_mode_16_64 3
		.amdhsa_fp16_overflow 0
		.amdhsa_memory_ordered 1
		.amdhsa_forward_progress 1
		.amdhsa_inst_pref_size 0
		.amdhsa_round_robin_scheduling 0
		.amdhsa_exception_fp_ieee_invalid_op 0
		.amdhsa_exception_fp_denorm_src 0
		.amdhsa_exception_fp_ieee_div_zero 0
		.amdhsa_exception_fp_ieee_overflow 0
		.amdhsa_exception_fp_ieee_underflow 0
		.amdhsa_exception_fp_ieee_inexact 0
		.amdhsa_exception_int_div_zero 0
	.end_amdhsa_kernel
	.section	.text._ZN7rocprim17ROCPRIM_400000_NS6detail17trampoline_kernelINS0_14default_configENS1_25partition_config_selectorILNS1_17partition_subalgoE8ElNS0_10empty_typeEbEEZZNS1_14partition_implILS5_8ELb0ES3_jPKlPS6_PKS6_NS0_5tupleIJPlS6_EEENSE_IJSB_SB_EEENS0_18inequality_wrapperIN6hipcub16HIPCUB_304000_NS8EqualityEEESF_JS6_EEE10hipError_tPvRmT3_T4_T5_T6_T7_T9_mT8_P12ihipStream_tbDpT10_ENKUlT_T0_E_clISt17integral_constantIbLb0EES16_EEDaS11_S12_EUlS11_E_NS1_11comp_targetILNS1_3genE10ELNS1_11target_archE1200ELNS1_3gpuE4ELNS1_3repE0EEENS1_30default_config_static_selectorELNS0_4arch9wavefront6targetE0EEEvT1_,"axG",@progbits,_ZN7rocprim17ROCPRIM_400000_NS6detail17trampoline_kernelINS0_14default_configENS1_25partition_config_selectorILNS1_17partition_subalgoE8ElNS0_10empty_typeEbEEZZNS1_14partition_implILS5_8ELb0ES3_jPKlPS6_PKS6_NS0_5tupleIJPlS6_EEENSE_IJSB_SB_EEENS0_18inequality_wrapperIN6hipcub16HIPCUB_304000_NS8EqualityEEESF_JS6_EEE10hipError_tPvRmT3_T4_T5_T6_T7_T9_mT8_P12ihipStream_tbDpT10_ENKUlT_T0_E_clISt17integral_constantIbLb0EES16_EEDaS11_S12_EUlS11_E_NS1_11comp_targetILNS1_3genE10ELNS1_11target_archE1200ELNS1_3gpuE4ELNS1_3repE0EEENS1_30default_config_static_selectorELNS0_4arch9wavefront6targetE0EEEvT1_,comdat
.Lfunc_end484:
	.size	_ZN7rocprim17ROCPRIM_400000_NS6detail17trampoline_kernelINS0_14default_configENS1_25partition_config_selectorILNS1_17partition_subalgoE8ElNS0_10empty_typeEbEEZZNS1_14partition_implILS5_8ELb0ES3_jPKlPS6_PKS6_NS0_5tupleIJPlS6_EEENSE_IJSB_SB_EEENS0_18inequality_wrapperIN6hipcub16HIPCUB_304000_NS8EqualityEEESF_JS6_EEE10hipError_tPvRmT3_T4_T5_T6_T7_T9_mT8_P12ihipStream_tbDpT10_ENKUlT_T0_E_clISt17integral_constantIbLb0EES16_EEDaS11_S12_EUlS11_E_NS1_11comp_targetILNS1_3genE10ELNS1_11target_archE1200ELNS1_3gpuE4ELNS1_3repE0EEENS1_30default_config_static_selectorELNS0_4arch9wavefront6targetE0EEEvT1_, .Lfunc_end484-_ZN7rocprim17ROCPRIM_400000_NS6detail17trampoline_kernelINS0_14default_configENS1_25partition_config_selectorILNS1_17partition_subalgoE8ElNS0_10empty_typeEbEEZZNS1_14partition_implILS5_8ELb0ES3_jPKlPS6_PKS6_NS0_5tupleIJPlS6_EEENSE_IJSB_SB_EEENS0_18inequality_wrapperIN6hipcub16HIPCUB_304000_NS8EqualityEEESF_JS6_EEE10hipError_tPvRmT3_T4_T5_T6_T7_T9_mT8_P12ihipStream_tbDpT10_ENKUlT_T0_E_clISt17integral_constantIbLb0EES16_EEDaS11_S12_EUlS11_E_NS1_11comp_targetILNS1_3genE10ELNS1_11target_archE1200ELNS1_3gpuE4ELNS1_3repE0EEENS1_30default_config_static_selectorELNS0_4arch9wavefront6targetE0EEEvT1_
                                        ; -- End function
	.set _ZN7rocprim17ROCPRIM_400000_NS6detail17trampoline_kernelINS0_14default_configENS1_25partition_config_selectorILNS1_17partition_subalgoE8ElNS0_10empty_typeEbEEZZNS1_14partition_implILS5_8ELb0ES3_jPKlPS6_PKS6_NS0_5tupleIJPlS6_EEENSE_IJSB_SB_EEENS0_18inequality_wrapperIN6hipcub16HIPCUB_304000_NS8EqualityEEESF_JS6_EEE10hipError_tPvRmT3_T4_T5_T6_T7_T9_mT8_P12ihipStream_tbDpT10_ENKUlT_T0_E_clISt17integral_constantIbLb0EES16_EEDaS11_S12_EUlS11_E_NS1_11comp_targetILNS1_3genE10ELNS1_11target_archE1200ELNS1_3gpuE4ELNS1_3repE0EEENS1_30default_config_static_selectorELNS0_4arch9wavefront6targetE0EEEvT1_.num_vgpr, 0
	.set _ZN7rocprim17ROCPRIM_400000_NS6detail17trampoline_kernelINS0_14default_configENS1_25partition_config_selectorILNS1_17partition_subalgoE8ElNS0_10empty_typeEbEEZZNS1_14partition_implILS5_8ELb0ES3_jPKlPS6_PKS6_NS0_5tupleIJPlS6_EEENSE_IJSB_SB_EEENS0_18inequality_wrapperIN6hipcub16HIPCUB_304000_NS8EqualityEEESF_JS6_EEE10hipError_tPvRmT3_T4_T5_T6_T7_T9_mT8_P12ihipStream_tbDpT10_ENKUlT_T0_E_clISt17integral_constantIbLb0EES16_EEDaS11_S12_EUlS11_E_NS1_11comp_targetILNS1_3genE10ELNS1_11target_archE1200ELNS1_3gpuE4ELNS1_3repE0EEENS1_30default_config_static_selectorELNS0_4arch9wavefront6targetE0EEEvT1_.num_agpr, 0
	.set _ZN7rocprim17ROCPRIM_400000_NS6detail17trampoline_kernelINS0_14default_configENS1_25partition_config_selectorILNS1_17partition_subalgoE8ElNS0_10empty_typeEbEEZZNS1_14partition_implILS5_8ELb0ES3_jPKlPS6_PKS6_NS0_5tupleIJPlS6_EEENSE_IJSB_SB_EEENS0_18inequality_wrapperIN6hipcub16HIPCUB_304000_NS8EqualityEEESF_JS6_EEE10hipError_tPvRmT3_T4_T5_T6_T7_T9_mT8_P12ihipStream_tbDpT10_ENKUlT_T0_E_clISt17integral_constantIbLb0EES16_EEDaS11_S12_EUlS11_E_NS1_11comp_targetILNS1_3genE10ELNS1_11target_archE1200ELNS1_3gpuE4ELNS1_3repE0EEENS1_30default_config_static_selectorELNS0_4arch9wavefront6targetE0EEEvT1_.numbered_sgpr, 0
	.set _ZN7rocprim17ROCPRIM_400000_NS6detail17trampoline_kernelINS0_14default_configENS1_25partition_config_selectorILNS1_17partition_subalgoE8ElNS0_10empty_typeEbEEZZNS1_14partition_implILS5_8ELb0ES3_jPKlPS6_PKS6_NS0_5tupleIJPlS6_EEENSE_IJSB_SB_EEENS0_18inequality_wrapperIN6hipcub16HIPCUB_304000_NS8EqualityEEESF_JS6_EEE10hipError_tPvRmT3_T4_T5_T6_T7_T9_mT8_P12ihipStream_tbDpT10_ENKUlT_T0_E_clISt17integral_constantIbLb0EES16_EEDaS11_S12_EUlS11_E_NS1_11comp_targetILNS1_3genE10ELNS1_11target_archE1200ELNS1_3gpuE4ELNS1_3repE0EEENS1_30default_config_static_selectorELNS0_4arch9wavefront6targetE0EEEvT1_.num_named_barrier, 0
	.set _ZN7rocprim17ROCPRIM_400000_NS6detail17trampoline_kernelINS0_14default_configENS1_25partition_config_selectorILNS1_17partition_subalgoE8ElNS0_10empty_typeEbEEZZNS1_14partition_implILS5_8ELb0ES3_jPKlPS6_PKS6_NS0_5tupleIJPlS6_EEENSE_IJSB_SB_EEENS0_18inequality_wrapperIN6hipcub16HIPCUB_304000_NS8EqualityEEESF_JS6_EEE10hipError_tPvRmT3_T4_T5_T6_T7_T9_mT8_P12ihipStream_tbDpT10_ENKUlT_T0_E_clISt17integral_constantIbLb0EES16_EEDaS11_S12_EUlS11_E_NS1_11comp_targetILNS1_3genE10ELNS1_11target_archE1200ELNS1_3gpuE4ELNS1_3repE0EEENS1_30default_config_static_selectorELNS0_4arch9wavefront6targetE0EEEvT1_.private_seg_size, 0
	.set _ZN7rocprim17ROCPRIM_400000_NS6detail17trampoline_kernelINS0_14default_configENS1_25partition_config_selectorILNS1_17partition_subalgoE8ElNS0_10empty_typeEbEEZZNS1_14partition_implILS5_8ELb0ES3_jPKlPS6_PKS6_NS0_5tupleIJPlS6_EEENSE_IJSB_SB_EEENS0_18inequality_wrapperIN6hipcub16HIPCUB_304000_NS8EqualityEEESF_JS6_EEE10hipError_tPvRmT3_T4_T5_T6_T7_T9_mT8_P12ihipStream_tbDpT10_ENKUlT_T0_E_clISt17integral_constantIbLb0EES16_EEDaS11_S12_EUlS11_E_NS1_11comp_targetILNS1_3genE10ELNS1_11target_archE1200ELNS1_3gpuE4ELNS1_3repE0EEENS1_30default_config_static_selectorELNS0_4arch9wavefront6targetE0EEEvT1_.uses_vcc, 0
	.set _ZN7rocprim17ROCPRIM_400000_NS6detail17trampoline_kernelINS0_14default_configENS1_25partition_config_selectorILNS1_17partition_subalgoE8ElNS0_10empty_typeEbEEZZNS1_14partition_implILS5_8ELb0ES3_jPKlPS6_PKS6_NS0_5tupleIJPlS6_EEENSE_IJSB_SB_EEENS0_18inequality_wrapperIN6hipcub16HIPCUB_304000_NS8EqualityEEESF_JS6_EEE10hipError_tPvRmT3_T4_T5_T6_T7_T9_mT8_P12ihipStream_tbDpT10_ENKUlT_T0_E_clISt17integral_constantIbLb0EES16_EEDaS11_S12_EUlS11_E_NS1_11comp_targetILNS1_3genE10ELNS1_11target_archE1200ELNS1_3gpuE4ELNS1_3repE0EEENS1_30default_config_static_selectorELNS0_4arch9wavefront6targetE0EEEvT1_.uses_flat_scratch, 0
	.set _ZN7rocprim17ROCPRIM_400000_NS6detail17trampoline_kernelINS0_14default_configENS1_25partition_config_selectorILNS1_17partition_subalgoE8ElNS0_10empty_typeEbEEZZNS1_14partition_implILS5_8ELb0ES3_jPKlPS6_PKS6_NS0_5tupleIJPlS6_EEENSE_IJSB_SB_EEENS0_18inequality_wrapperIN6hipcub16HIPCUB_304000_NS8EqualityEEESF_JS6_EEE10hipError_tPvRmT3_T4_T5_T6_T7_T9_mT8_P12ihipStream_tbDpT10_ENKUlT_T0_E_clISt17integral_constantIbLb0EES16_EEDaS11_S12_EUlS11_E_NS1_11comp_targetILNS1_3genE10ELNS1_11target_archE1200ELNS1_3gpuE4ELNS1_3repE0EEENS1_30default_config_static_selectorELNS0_4arch9wavefront6targetE0EEEvT1_.has_dyn_sized_stack, 0
	.set _ZN7rocprim17ROCPRIM_400000_NS6detail17trampoline_kernelINS0_14default_configENS1_25partition_config_selectorILNS1_17partition_subalgoE8ElNS0_10empty_typeEbEEZZNS1_14partition_implILS5_8ELb0ES3_jPKlPS6_PKS6_NS0_5tupleIJPlS6_EEENSE_IJSB_SB_EEENS0_18inequality_wrapperIN6hipcub16HIPCUB_304000_NS8EqualityEEESF_JS6_EEE10hipError_tPvRmT3_T4_T5_T6_T7_T9_mT8_P12ihipStream_tbDpT10_ENKUlT_T0_E_clISt17integral_constantIbLb0EES16_EEDaS11_S12_EUlS11_E_NS1_11comp_targetILNS1_3genE10ELNS1_11target_archE1200ELNS1_3gpuE4ELNS1_3repE0EEENS1_30default_config_static_selectorELNS0_4arch9wavefront6targetE0EEEvT1_.has_recursion, 0
	.set _ZN7rocprim17ROCPRIM_400000_NS6detail17trampoline_kernelINS0_14default_configENS1_25partition_config_selectorILNS1_17partition_subalgoE8ElNS0_10empty_typeEbEEZZNS1_14partition_implILS5_8ELb0ES3_jPKlPS6_PKS6_NS0_5tupleIJPlS6_EEENSE_IJSB_SB_EEENS0_18inequality_wrapperIN6hipcub16HIPCUB_304000_NS8EqualityEEESF_JS6_EEE10hipError_tPvRmT3_T4_T5_T6_T7_T9_mT8_P12ihipStream_tbDpT10_ENKUlT_T0_E_clISt17integral_constantIbLb0EES16_EEDaS11_S12_EUlS11_E_NS1_11comp_targetILNS1_3genE10ELNS1_11target_archE1200ELNS1_3gpuE4ELNS1_3repE0EEENS1_30default_config_static_selectorELNS0_4arch9wavefront6targetE0EEEvT1_.has_indirect_call, 0
	.section	.AMDGPU.csdata,"",@progbits
; Kernel info:
; codeLenInByte = 0
; TotalNumSgprs: 0
; NumVgprs: 0
; ScratchSize: 0
; MemoryBound: 0
; FloatMode: 240
; IeeeMode: 1
; LDSByteSize: 0 bytes/workgroup (compile time only)
; SGPRBlocks: 0
; VGPRBlocks: 0
; NumSGPRsForWavesPerEU: 1
; NumVGPRsForWavesPerEU: 1
; NamedBarCnt: 0
; Occupancy: 16
; WaveLimiterHint : 0
; COMPUTE_PGM_RSRC2:SCRATCH_EN: 0
; COMPUTE_PGM_RSRC2:USER_SGPR: 2
; COMPUTE_PGM_RSRC2:TRAP_HANDLER: 0
; COMPUTE_PGM_RSRC2:TGID_X_EN: 1
; COMPUTE_PGM_RSRC2:TGID_Y_EN: 0
; COMPUTE_PGM_RSRC2:TGID_Z_EN: 0
; COMPUTE_PGM_RSRC2:TIDIG_COMP_CNT: 0
	.section	.text._ZN7rocprim17ROCPRIM_400000_NS6detail17trampoline_kernelINS0_14default_configENS1_25partition_config_selectorILNS1_17partition_subalgoE8ElNS0_10empty_typeEbEEZZNS1_14partition_implILS5_8ELb0ES3_jPKlPS6_PKS6_NS0_5tupleIJPlS6_EEENSE_IJSB_SB_EEENS0_18inequality_wrapperIN6hipcub16HIPCUB_304000_NS8EqualityEEESF_JS6_EEE10hipError_tPvRmT3_T4_T5_T6_T7_T9_mT8_P12ihipStream_tbDpT10_ENKUlT_T0_E_clISt17integral_constantIbLb0EES16_EEDaS11_S12_EUlS11_E_NS1_11comp_targetILNS1_3genE9ELNS1_11target_archE1100ELNS1_3gpuE3ELNS1_3repE0EEENS1_30default_config_static_selectorELNS0_4arch9wavefront6targetE0EEEvT1_,"axG",@progbits,_ZN7rocprim17ROCPRIM_400000_NS6detail17trampoline_kernelINS0_14default_configENS1_25partition_config_selectorILNS1_17partition_subalgoE8ElNS0_10empty_typeEbEEZZNS1_14partition_implILS5_8ELb0ES3_jPKlPS6_PKS6_NS0_5tupleIJPlS6_EEENSE_IJSB_SB_EEENS0_18inequality_wrapperIN6hipcub16HIPCUB_304000_NS8EqualityEEESF_JS6_EEE10hipError_tPvRmT3_T4_T5_T6_T7_T9_mT8_P12ihipStream_tbDpT10_ENKUlT_T0_E_clISt17integral_constantIbLb0EES16_EEDaS11_S12_EUlS11_E_NS1_11comp_targetILNS1_3genE9ELNS1_11target_archE1100ELNS1_3gpuE3ELNS1_3repE0EEENS1_30default_config_static_selectorELNS0_4arch9wavefront6targetE0EEEvT1_,comdat
	.protected	_ZN7rocprim17ROCPRIM_400000_NS6detail17trampoline_kernelINS0_14default_configENS1_25partition_config_selectorILNS1_17partition_subalgoE8ElNS0_10empty_typeEbEEZZNS1_14partition_implILS5_8ELb0ES3_jPKlPS6_PKS6_NS0_5tupleIJPlS6_EEENSE_IJSB_SB_EEENS0_18inequality_wrapperIN6hipcub16HIPCUB_304000_NS8EqualityEEESF_JS6_EEE10hipError_tPvRmT3_T4_T5_T6_T7_T9_mT8_P12ihipStream_tbDpT10_ENKUlT_T0_E_clISt17integral_constantIbLb0EES16_EEDaS11_S12_EUlS11_E_NS1_11comp_targetILNS1_3genE9ELNS1_11target_archE1100ELNS1_3gpuE3ELNS1_3repE0EEENS1_30default_config_static_selectorELNS0_4arch9wavefront6targetE0EEEvT1_ ; -- Begin function _ZN7rocprim17ROCPRIM_400000_NS6detail17trampoline_kernelINS0_14default_configENS1_25partition_config_selectorILNS1_17partition_subalgoE8ElNS0_10empty_typeEbEEZZNS1_14partition_implILS5_8ELb0ES3_jPKlPS6_PKS6_NS0_5tupleIJPlS6_EEENSE_IJSB_SB_EEENS0_18inequality_wrapperIN6hipcub16HIPCUB_304000_NS8EqualityEEESF_JS6_EEE10hipError_tPvRmT3_T4_T5_T6_T7_T9_mT8_P12ihipStream_tbDpT10_ENKUlT_T0_E_clISt17integral_constantIbLb0EES16_EEDaS11_S12_EUlS11_E_NS1_11comp_targetILNS1_3genE9ELNS1_11target_archE1100ELNS1_3gpuE3ELNS1_3repE0EEENS1_30default_config_static_selectorELNS0_4arch9wavefront6targetE0EEEvT1_
	.globl	_ZN7rocprim17ROCPRIM_400000_NS6detail17trampoline_kernelINS0_14default_configENS1_25partition_config_selectorILNS1_17partition_subalgoE8ElNS0_10empty_typeEbEEZZNS1_14partition_implILS5_8ELb0ES3_jPKlPS6_PKS6_NS0_5tupleIJPlS6_EEENSE_IJSB_SB_EEENS0_18inequality_wrapperIN6hipcub16HIPCUB_304000_NS8EqualityEEESF_JS6_EEE10hipError_tPvRmT3_T4_T5_T6_T7_T9_mT8_P12ihipStream_tbDpT10_ENKUlT_T0_E_clISt17integral_constantIbLb0EES16_EEDaS11_S12_EUlS11_E_NS1_11comp_targetILNS1_3genE9ELNS1_11target_archE1100ELNS1_3gpuE3ELNS1_3repE0EEENS1_30default_config_static_selectorELNS0_4arch9wavefront6targetE0EEEvT1_
	.p2align	8
	.type	_ZN7rocprim17ROCPRIM_400000_NS6detail17trampoline_kernelINS0_14default_configENS1_25partition_config_selectorILNS1_17partition_subalgoE8ElNS0_10empty_typeEbEEZZNS1_14partition_implILS5_8ELb0ES3_jPKlPS6_PKS6_NS0_5tupleIJPlS6_EEENSE_IJSB_SB_EEENS0_18inequality_wrapperIN6hipcub16HIPCUB_304000_NS8EqualityEEESF_JS6_EEE10hipError_tPvRmT3_T4_T5_T6_T7_T9_mT8_P12ihipStream_tbDpT10_ENKUlT_T0_E_clISt17integral_constantIbLb0EES16_EEDaS11_S12_EUlS11_E_NS1_11comp_targetILNS1_3genE9ELNS1_11target_archE1100ELNS1_3gpuE3ELNS1_3repE0EEENS1_30default_config_static_selectorELNS0_4arch9wavefront6targetE0EEEvT1_,@function
_ZN7rocprim17ROCPRIM_400000_NS6detail17trampoline_kernelINS0_14default_configENS1_25partition_config_selectorILNS1_17partition_subalgoE8ElNS0_10empty_typeEbEEZZNS1_14partition_implILS5_8ELb0ES3_jPKlPS6_PKS6_NS0_5tupleIJPlS6_EEENSE_IJSB_SB_EEENS0_18inequality_wrapperIN6hipcub16HIPCUB_304000_NS8EqualityEEESF_JS6_EEE10hipError_tPvRmT3_T4_T5_T6_T7_T9_mT8_P12ihipStream_tbDpT10_ENKUlT_T0_E_clISt17integral_constantIbLb0EES16_EEDaS11_S12_EUlS11_E_NS1_11comp_targetILNS1_3genE9ELNS1_11target_archE1100ELNS1_3gpuE3ELNS1_3repE0EEENS1_30default_config_static_selectorELNS0_4arch9wavefront6targetE0EEEvT1_: ; @_ZN7rocprim17ROCPRIM_400000_NS6detail17trampoline_kernelINS0_14default_configENS1_25partition_config_selectorILNS1_17partition_subalgoE8ElNS0_10empty_typeEbEEZZNS1_14partition_implILS5_8ELb0ES3_jPKlPS6_PKS6_NS0_5tupleIJPlS6_EEENSE_IJSB_SB_EEENS0_18inequality_wrapperIN6hipcub16HIPCUB_304000_NS8EqualityEEESF_JS6_EEE10hipError_tPvRmT3_T4_T5_T6_T7_T9_mT8_P12ihipStream_tbDpT10_ENKUlT_T0_E_clISt17integral_constantIbLb0EES16_EEDaS11_S12_EUlS11_E_NS1_11comp_targetILNS1_3genE9ELNS1_11target_archE1100ELNS1_3gpuE3ELNS1_3repE0EEENS1_30default_config_static_selectorELNS0_4arch9wavefront6targetE0EEEvT1_
; %bb.0:
	.section	.rodata,"a",@progbits
	.p2align	6, 0x0
	.amdhsa_kernel _ZN7rocprim17ROCPRIM_400000_NS6detail17trampoline_kernelINS0_14default_configENS1_25partition_config_selectorILNS1_17partition_subalgoE8ElNS0_10empty_typeEbEEZZNS1_14partition_implILS5_8ELb0ES3_jPKlPS6_PKS6_NS0_5tupleIJPlS6_EEENSE_IJSB_SB_EEENS0_18inequality_wrapperIN6hipcub16HIPCUB_304000_NS8EqualityEEESF_JS6_EEE10hipError_tPvRmT3_T4_T5_T6_T7_T9_mT8_P12ihipStream_tbDpT10_ENKUlT_T0_E_clISt17integral_constantIbLb0EES16_EEDaS11_S12_EUlS11_E_NS1_11comp_targetILNS1_3genE9ELNS1_11target_archE1100ELNS1_3gpuE3ELNS1_3repE0EEENS1_30default_config_static_selectorELNS0_4arch9wavefront6targetE0EEEvT1_
		.amdhsa_group_segment_fixed_size 0
		.amdhsa_private_segment_fixed_size 0
		.amdhsa_kernarg_size 112
		.amdhsa_user_sgpr_count 2
		.amdhsa_user_sgpr_dispatch_ptr 0
		.amdhsa_user_sgpr_queue_ptr 0
		.amdhsa_user_sgpr_kernarg_segment_ptr 1
		.amdhsa_user_sgpr_dispatch_id 0
		.amdhsa_user_sgpr_kernarg_preload_length 0
		.amdhsa_user_sgpr_kernarg_preload_offset 0
		.amdhsa_user_sgpr_private_segment_size 0
		.amdhsa_wavefront_size32 1
		.amdhsa_uses_dynamic_stack 0
		.amdhsa_enable_private_segment 0
		.amdhsa_system_sgpr_workgroup_id_x 1
		.amdhsa_system_sgpr_workgroup_id_y 0
		.amdhsa_system_sgpr_workgroup_id_z 0
		.amdhsa_system_sgpr_workgroup_info 0
		.amdhsa_system_vgpr_workitem_id 0
		.amdhsa_next_free_vgpr 1
		.amdhsa_next_free_sgpr 1
		.amdhsa_named_barrier_count 0
		.amdhsa_reserve_vcc 0
		.amdhsa_float_round_mode_32 0
		.amdhsa_float_round_mode_16_64 0
		.amdhsa_float_denorm_mode_32 3
		.amdhsa_float_denorm_mode_16_64 3
		.amdhsa_fp16_overflow 0
		.amdhsa_memory_ordered 1
		.amdhsa_forward_progress 1
		.amdhsa_inst_pref_size 0
		.amdhsa_round_robin_scheduling 0
		.amdhsa_exception_fp_ieee_invalid_op 0
		.amdhsa_exception_fp_denorm_src 0
		.amdhsa_exception_fp_ieee_div_zero 0
		.amdhsa_exception_fp_ieee_overflow 0
		.amdhsa_exception_fp_ieee_underflow 0
		.amdhsa_exception_fp_ieee_inexact 0
		.amdhsa_exception_int_div_zero 0
	.end_amdhsa_kernel
	.section	.text._ZN7rocprim17ROCPRIM_400000_NS6detail17trampoline_kernelINS0_14default_configENS1_25partition_config_selectorILNS1_17partition_subalgoE8ElNS0_10empty_typeEbEEZZNS1_14partition_implILS5_8ELb0ES3_jPKlPS6_PKS6_NS0_5tupleIJPlS6_EEENSE_IJSB_SB_EEENS0_18inequality_wrapperIN6hipcub16HIPCUB_304000_NS8EqualityEEESF_JS6_EEE10hipError_tPvRmT3_T4_T5_T6_T7_T9_mT8_P12ihipStream_tbDpT10_ENKUlT_T0_E_clISt17integral_constantIbLb0EES16_EEDaS11_S12_EUlS11_E_NS1_11comp_targetILNS1_3genE9ELNS1_11target_archE1100ELNS1_3gpuE3ELNS1_3repE0EEENS1_30default_config_static_selectorELNS0_4arch9wavefront6targetE0EEEvT1_,"axG",@progbits,_ZN7rocprim17ROCPRIM_400000_NS6detail17trampoline_kernelINS0_14default_configENS1_25partition_config_selectorILNS1_17partition_subalgoE8ElNS0_10empty_typeEbEEZZNS1_14partition_implILS5_8ELb0ES3_jPKlPS6_PKS6_NS0_5tupleIJPlS6_EEENSE_IJSB_SB_EEENS0_18inequality_wrapperIN6hipcub16HIPCUB_304000_NS8EqualityEEESF_JS6_EEE10hipError_tPvRmT3_T4_T5_T6_T7_T9_mT8_P12ihipStream_tbDpT10_ENKUlT_T0_E_clISt17integral_constantIbLb0EES16_EEDaS11_S12_EUlS11_E_NS1_11comp_targetILNS1_3genE9ELNS1_11target_archE1100ELNS1_3gpuE3ELNS1_3repE0EEENS1_30default_config_static_selectorELNS0_4arch9wavefront6targetE0EEEvT1_,comdat
.Lfunc_end485:
	.size	_ZN7rocprim17ROCPRIM_400000_NS6detail17trampoline_kernelINS0_14default_configENS1_25partition_config_selectorILNS1_17partition_subalgoE8ElNS0_10empty_typeEbEEZZNS1_14partition_implILS5_8ELb0ES3_jPKlPS6_PKS6_NS0_5tupleIJPlS6_EEENSE_IJSB_SB_EEENS0_18inequality_wrapperIN6hipcub16HIPCUB_304000_NS8EqualityEEESF_JS6_EEE10hipError_tPvRmT3_T4_T5_T6_T7_T9_mT8_P12ihipStream_tbDpT10_ENKUlT_T0_E_clISt17integral_constantIbLb0EES16_EEDaS11_S12_EUlS11_E_NS1_11comp_targetILNS1_3genE9ELNS1_11target_archE1100ELNS1_3gpuE3ELNS1_3repE0EEENS1_30default_config_static_selectorELNS0_4arch9wavefront6targetE0EEEvT1_, .Lfunc_end485-_ZN7rocprim17ROCPRIM_400000_NS6detail17trampoline_kernelINS0_14default_configENS1_25partition_config_selectorILNS1_17partition_subalgoE8ElNS0_10empty_typeEbEEZZNS1_14partition_implILS5_8ELb0ES3_jPKlPS6_PKS6_NS0_5tupleIJPlS6_EEENSE_IJSB_SB_EEENS0_18inequality_wrapperIN6hipcub16HIPCUB_304000_NS8EqualityEEESF_JS6_EEE10hipError_tPvRmT3_T4_T5_T6_T7_T9_mT8_P12ihipStream_tbDpT10_ENKUlT_T0_E_clISt17integral_constantIbLb0EES16_EEDaS11_S12_EUlS11_E_NS1_11comp_targetILNS1_3genE9ELNS1_11target_archE1100ELNS1_3gpuE3ELNS1_3repE0EEENS1_30default_config_static_selectorELNS0_4arch9wavefront6targetE0EEEvT1_
                                        ; -- End function
	.set _ZN7rocprim17ROCPRIM_400000_NS6detail17trampoline_kernelINS0_14default_configENS1_25partition_config_selectorILNS1_17partition_subalgoE8ElNS0_10empty_typeEbEEZZNS1_14partition_implILS5_8ELb0ES3_jPKlPS6_PKS6_NS0_5tupleIJPlS6_EEENSE_IJSB_SB_EEENS0_18inequality_wrapperIN6hipcub16HIPCUB_304000_NS8EqualityEEESF_JS6_EEE10hipError_tPvRmT3_T4_T5_T6_T7_T9_mT8_P12ihipStream_tbDpT10_ENKUlT_T0_E_clISt17integral_constantIbLb0EES16_EEDaS11_S12_EUlS11_E_NS1_11comp_targetILNS1_3genE9ELNS1_11target_archE1100ELNS1_3gpuE3ELNS1_3repE0EEENS1_30default_config_static_selectorELNS0_4arch9wavefront6targetE0EEEvT1_.num_vgpr, 0
	.set _ZN7rocprim17ROCPRIM_400000_NS6detail17trampoline_kernelINS0_14default_configENS1_25partition_config_selectorILNS1_17partition_subalgoE8ElNS0_10empty_typeEbEEZZNS1_14partition_implILS5_8ELb0ES3_jPKlPS6_PKS6_NS0_5tupleIJPlS6_EEENSE_IJSB_SB_EEENS0_18inequality_wrapperIN6hipcub16HIPCUB_304000_NS8EqualityEEESF_JS6_EEE10hipError_tPvRmT3_T4_T5_T6_T7_T9_mT8_P12ihipStream_tbDpT10_ENKUlT_T0_E_clISt17integral_constantIbLb0EES16_EEDaS11_S12_EUlS11_E_NS1_11comp_targetILNS1_3genE9ELNS1_11target_archE1100ELNS1_3gpuE3ELNS1_3repE0EEENS1_30default_config_static_selectorELNS0_4arch9wavefront6targetE0EEEvT1_.num_agpr, 0
	.set _ZN7rocprim17ROCPRIM_400000_NS6detail17trampoline_kernelINS0_14default_configENS1_25partition_config_selectorILNS1_17partition_subalgoE8ElNS0_10empty_typeEbEEZZNS1_14partition_implILS5_8ELb0ES3_jPKlPS6_PKS6_NS0_5tupleIJPlS6_EEENSE_IJSB_SB_EEENS0_18inequality_wrapperIN6hipcub16HIPCUB_304000_NS8EqualityEEESF_JS6_EEE10hipError_tPvRmT3_T4_T5_T6_T7_T9_mT8_P12ihipStream_tbDpT10_ENKUlT_T0_E_clISt17integral_constantIbLb0EES16_EEDaS11_S12_EUlS11_E_NS1_11comp_targetILNS1_3genE9ELNS1_11target_archE1100ELNS1_3gpuE3ELNS1_3repE0EEENS1_30default_config_static_selectorELNS0_4arch9wavefront6targetE0EEEvT1_.numbered_sgpr, 0
	.set _ZN7rocprim17ROCPRIM_400000_NS6detail17trampoline_kernelINS0_14default_configENS1_25partition_config_selectorILNS1_17partition_subalgoE8ElNS0_10empty_typeEbEEZZNS1_14partition_implILS5_8ELb0ES3_jPKlPS6_PKS6_NS0_5tupleIJPlS6_EEENSE_IJSB_SB_EEENS0_18inequality_wrapperIN6hipcub16HIPCUB_304000_NS8EqualityEEESF_JS6_EEE10hipError_tPvRmT3_T4_T5_T6_T7_T9_mT8_P12ihipStream_tbDpT10_ENKUlT_T0_E_clISt17integral_constantIbLb0EES16_EEDaS11_S12_EUlS11_E_NS1_11comp_targetILNS1_3genE9ELNS1_11target_archE1100ELNS1_3gpuE3ELNS1_3repE0EEENS1_30default_config_static_selectorELNS0_4arch9wavefront6targetE0EEEvT1_.num_named_barrier, 0
	.set _ZN7rocprim17ROCPRIM_400000_NS6detail17trampoline_kernelINS0_14default_configENS1_25partition_config_selectorILNS1_17partition_subalgoE8ElNS0_10empty_typeEbEEZZNS1_14partition_implILS5_8ELb0ES3_jPKlPS6_PKS6_NS0_5tupleIJPlS6_EEENSE_IJSB_SB_EEENS0_18inequality_wrapperIN6hipcub16HIPCUB_304000_NS8EqualityEEESF_JS6_EEE10hipError_tPvRmT3_T4_T5_T6_T7_T9_mT8_P12ihipStream_tbDpT10_ENKUlT_T0_E_clISt17integral_constantIbLb0EES16_EEDaS11_S12_EUlS11_E_NS1_11comp_targetILNS1_3genE9ELNS1_11target_archE1100ELNS1_3gpuE3ELNS1_3repE0EEENS1_30default_config_static_selectorELNS0_4arch9wavefront6targetE0EEEvT1_.private_seg_size, 0
	.set _ZN7rocprim17ROCPRIM_400000_NS6detail17trampoline_kernelINS0_14default_configENS1_25partition_config_selectorILNS1_17partition_subalgoE8ElNS0_10empty_typeEbEEZZNS1_14partition_implILS5_8ELb0ES3_jPKlPS6_PKS6_NS0_5tupleIJPlS6_EEENSE_IJSB_SB_EEENS0_18inequality_wrapperIN6hipcub16HIPCUB_304000_NS8EqualityEEESF_JS6_EEE10hipError_tPvRmT3_T4_T5_T6_T7_T9_mT8_P12ihipStream_tbDpT10_ENKUlT_T0_E_clISt17integral_constantIbLb0EES16_EEDaS11_S12_EUlS11_E_NS1_11comp_targetILNS1_3genE9ELNS1_11target_archE1100ELNS1_3gpuE3ELNS1_3repE0EEENS1_30default_config_static_selectorELNS0_4arch9wavefront6targetE0EEEvT1_.uses_vcc, 0
	.set _ZN7rocprim17ROCPRIM_400000_NS6detail17trampoline_kernelINS0_14default_configENS1_25partition_config_selectorILNS1_17partition_subalgoE8ElNS0_10empty_typeEbEEZZNS1_14partition_implILS5_8ELb0ES3_jPKlPS6_PKS6_NS0_5tupleIJPlS6_EEENSE_IJSB_SB_EEENS0_18inequality_wrapperIN6hipcub16HIPCUB_304000_NS8EqualityEEESF_JS6_EEE10hipError_tPvRmT3_T4_T5_T6_T7_T9_mT8_P12ihipStream_tbDpT10_ENKUlT_T0_E_clISt17integral_constantIbLb0EES16_EEDaS11_S12_EUlS11_E_NS1_11comp_targetILNS1_3genE9ELNS1_11target_archE1100ELNS1_3gpuE3ELNS1_3repE0EEENS1_30default_config_static_selectorELNS0_4arch9wavefront6targetE0EEEvT1_.uses_flat_scratch, 0
	.set _ZN7rocprim17ROCPRIM_400000_NS6detail17trampoline_kernelINS0_14default_configENS1_25partition_config_selectorILNS1_17partition_subalgoE8ElNS0_10empty_typeEbEEZZNS1_14partition_implILS5_8ELb0ES3_jPKlPS6_PKS6_NS0_5tupleIJPlS6_EEENSE_IJSB_SB_EEENS0_18inequality_wrapperIN6hipcub16HIPCUB_304000_NS8EqualityEEESF_JS6_EEE10hipError_tPvRmT3_T4_T5_T6_T7_T9_mT8_P12ihipStream_tbDpT10_ENKUlT_T0_E_clISt17integral_constantIbLb0EES16_EEDaS11_S12_EUlS11_E_NS1_11comp_targetILNS1_3genE9ELNS1_11target_archE1100ELNS1_3gpuE3ELNS1_3repE0EEENS1_30default_config_static_selectorELNS0_4arch9wavefront6targetE0EEEvT1_.has_dyn_sized_stack, 0
	.set _ZN7rocprim17ROCPRIM_400000_NS6detail17trampoline_kernelINS0_14default_configENS1_25partition_config_selectorILNS1_17partition_subalgoE8ElNS0_10empty_typeEbEEZZNS1_14partition_implILS5_8ELb0ES3_jPKlPS6_PKS6_NS0_5tupleIJPlS6_EEENSE_IJSB_SB_EEENS0_18inequality_wrapperIN6hipcub16HIPCUB_304000_NS8EqualityEEESF_JS6_EEE10hipError_tPvRmT3_T4_T5_T6_T7_T9_mT8_P12ihipStream_tbDpT10_ENKUlT_T0_E_clISt17integral_constantIbLb0EES16_EEDaS11_S12_EUlS11_E_NS1_11comp_targetILNS1_3genE9ELNS1_11target_archE1100ELNS1_3gpuE3ELNS1_3repE0EEENS1_30default_config_static_selectorELNS0_4arch9wavefront6targetE0EEEvT1_.has_recursion, 0
	.set _ZN7rocprim17ROCPRIM_400000_NS6detail17trampoline_kernelINS0_14default_configENS1_25partition_config_selectorILNS1_17partition_subalgoE8ElNS0_10empty_typeEbEEZZNS1_14partition_implILS5_8ELb0ES3_jPKlPS6_PKS6_NS0_5tupleIJPlS6_EEENSE_IJSB_SB_EEENS0_18inequality_wrapperIN6hipcub16HIPCUB_304000_NS8EqualityEEESF_JS6_EEE10hipError_tPvRmT3_T4_T5_T6_T7_T9_mT8_P12ihipStream_tbDpT10_ENKUlT_T0_E_clISt17integral_constantIbLb0EES16_EEDaS11_S12_EUlS11_E_NS1_11comp_targetILNS1_3genE9ELNS1_11target_archE1100ELNS1_3gpuE3ELNS1_3repE0EEENS1_30default_config_static_selectorELNS0_4arch9wavefront6targetE0EEEvT1_.has_indirect_call, 0
	.section	.AMDGPU.csdata,"",@progbits
; Kernel info:
; codeLenInByte = 0
; TotalNumSgprs: 0
; NumVgprs: 0
; ScratchSize: 0
; MemoryBound: 0
; FloatMode: 240
; IeeeMode: 1
; LDSByteSize: 0 bytes/workgroup (compile time only)
; SGPRBlocks: 0
; VGPRBlocks: 0
; NumSGPRsForWavesPerEU: 1
; NumVGPRsForWavesPerEU: 1
; NamedBarCnt: 0
; Occupancy: 16
; WaveLimiterHint : 0
; COMPUTE_PGM_RSRC2:SCRATCH_EN: 0
; COMPUTE_PGM_RSRC2:USER_SGPR: 2
; COMPUTE_PGM_RSRC2:TRAP_HANDLER: 0
; COMPUTE_PGM_RSRC2:TGID_X_EN: 1
; COMPUTE_PGM_RSRC2:TGID_Y_EN: 0
; COMPUTE_PGM_RSRC2:TGID_Z_EN: 0
; COMPUTE_PGM_RSRC2:TIDIG_COMP_CNT: 0
	.section	.text._ZN7rocprim17ROCPRIM_400000_NS6detail17trampoline_kernelINS0_14default_configENS1_25partition_config_selectorILNS1_17partition_subalgoE8ElNS0_10empty_typeEbEEZZNS1_14partition_implILS5_8ELb0ES3_jPKlPS6_PKS6_NS0_5tupleIJPlS6_EEENSE_IJSB_SB_EEENS0_18inequality_wrapperIN6hipcub16HIPCUB_304000_NS8EqualityEEESF_JS6_EEE10hipError_tPvRmT3_T4_T5_T6_T7_T9_mT8_P12ihipStream_tbDpT10_ENKUlT_T0_E_clISt17integral_constantIbLb0EES16_EEDaS11_S12_EUlS11_E_NS1_11comp_targetILNS1_3genE8ELNS1_11target_archE1030ELNS1_3gpuE2ELNS1_3repE0EEENS1_30default_config_static_selectorELNS0_4arch9wavefront6targetE0EEEvT1_,"axG",@progbits,_ZN7rocprim17ROCPRIM_400000_NS6detail17trampoline_kernelINS0_14default_configENS1_25partition_config_selectorILNS1_17partition_subalgoE8ElNS0_10empty_typeEbEEZZNS1_14partition_implILS5_8ELb0ES3_jPKlPS6_PKS6_NS0_5tupleIJPlS6_EEENSE_IJSB_SB_EEENS0_18inequality_wrapperIN6hipcub16HIPCUB_304000_NS8EqualityEEESF_JS6_EEE10hipError_tPvRmT3_T4_T5_T6_T7_T9_mT8_P12ihipStream_tbDpT10_ENKUlT_T0_E_clISt17integral_constantIbLb0EES16_EEDaS11_S12_EUlS11_E_NS1_11comp_targetILNS1_3genE8ELNS1_11target_archE1030ELNS1_3gpuE2ELNS1_3repE0EEENS1_30default_config_static_selectorELNS0_4arch9wavefront6targetE0EEEvT1_,comdat
	.protected	_ZN7rocprim17ROCPRIM_400000_NS6detail17trampoline_kernelINS0_14default_configENS1_25partition_config_selectorILNS1_17partition_subalgoE8ElNS0_10empty_typeEbEEZZNS1_14partition_implILS5_8ELb0ES3_jPKlPS6_PKS6_NS0_5tupleIJPlS6_EEENSE_IJSB_SB_EEENS0_18inequality_wrapperIN6hipcub16HIPCUB_304000_NS8EqualityEEESF_JS6_EEE10hipError_tPvRmT3_T4_T5_T6_T7_T9_mT8_P12ihipStream_tbDpT10_ENKUlT_T0_E_clISt17integral_constantIbLb0EES16_EEDaS11_S12_EUlS11_E_NS1_11comp_targetILNS1_3genE8ELNS1_11target_archE1030ELNS1_3gpuE2ELNS1_3repE0EEENS1_30default_config_static_selectorELNS0_4arch9wavefront6targetE0EEEvT1_ ; -- Begin function _ZN7rocprim17ROCPRIM_400000_NS6detail17trampoline_kernelINS0_14default_configENS1_25partition_config_selectorILNS1_17partition_subalgoE8ElNS0_10empty_typeEbEEZZNS1_14partition_implILS5_8ELb0ES3_jPKlPS6_PKS6_NS0_5tupleIJPlS6_EEENSE_IJSB_SB_EEENS0_18inequality_wrapperIN6hipcub16HIPCUB_304000_NS8EqualityEEESF_JS6_EEE10hipError_tPvRmT3_T4_T5_T6_T7_T9_mT8_P12ihipStream_tbDpT10_ENKUlT_T0_E_clISt17integral_constantIbLb0EES16_EEDaS11_S12_EUlS11_E_NS1_11comp_targetILNS1_3genE8ELNS1_11target_archE1030ELNS1_3gpuE2ELNS1_3repE0EEENS1_30default_config_static_selectorELNS0_4arch9wavefront6targetE0EEEvT1_
	.globl	_ZN7rocprim17ROCPRIM_400000_NS6detail17trampoline_kernelINS0_14default_configENS1_25partition_config_selectorILNS1_17partition_subalgoE8ElNS0_10empty_typeEbEEZZNS1_14partition_implILS5_8ELb0ES3_jPKlPS6_PKS6_NS0_5tupleIJPlS6_EEENSE_IJSB_SB_EEENS0_18inequality_wrapperIN6hipcub16HIPCUB_304000_NS8EqualityEEESF_JS6_EEE10hipError_tPvRmT3_T4_T5_T6_T7_T9_mT8_P12ihipStream_tbDpT10_ENKUlT_T0_E_clISt17integral_constantIbLb0EES16_EEDaS11_S12_EUlS11_E_NS1_11comp_targetILNS1_3genE8ELNS1_11target_archE1030ELNS1_3gpuE2ELNS1_3repE0EEENS1_30default_config_static_selectorELNS0_4arch9wavefront6targetE0EEEvT1_
	.p2align	8
	.type	_ZN7rocprim17ROCPRIM_400000_NS6detail17trampoline_kernelINS0_14default_configENS1_25partition_config_selectorILNS1_17partition_subalgoE8ElNS0_10empty_typeEbEEZZNS1_14partition_implILS5_8ELb0ES3_jPKlPS6_PKS6_NS0_5tupleIJPlS6_EEENSE_IJSB_SB_EEENS0_18inequality_wrapperIN6hipcub16HIPCUB_304000_NS8EqualityEEESF_JS6_EEE10hipError_tPvRmT3_T4_T5_T6_T7_T9_mT8_P12ihipStream_tbDpT10_ENKUlT_T0_E_clISt17integral_constantIbLb0EES16_EEDaS11_S12_EUlS11_E_NS1_11comp_targetILNS1_3genE8ELNS1_11target_archE1030ELNS1_3gpuE2ELNS1_3repE0EEENS1_30default_config_static_selectorELNS0_4arch9wavefront6targetE0EEEvT1_,@function
_ZN7rocprim17ROCPRIM_400000_NS6detail17trampoline_kernelINS0_14default_configENS1_25partition_config_selectorILNS1_17partition_subalgoE8ElNS0_10empty_typeEbEEZZNS1_14partition_implILS5_8ELb0ES3_jPKlPS6_PKS6_NS0_5tupleIJPlS6_EEENSE_IJSB_SB_EEENS0_18inequality_wrapperIN6hipcub16HIPCUB_304000_NS8EqualityEEESF_JS6_EEE10hipError_tPvRmT3_T4_T5_T6_T7_T9_mT8_P12ihipStream_tbDpT10_ENKUlT_T0_E_clISt17integral_constantIbLb0EES16_EEDaS11_S12_EUlS11_E_NS1_11comp_targetILNS1_3genE8ELNS1_11target_archE1030ELNS1_3gpuE2ELNS1_3repE0EEENS1_30default_config_static_selectorELNS0_4arch9wavefront6targetE0EEEvT1_: ; @_ZN7rocprim17ROCPRIM_400000_NS6detail17trampoline_kernelINS0_14default_configENS1_25partition_config_selectorILNS1_17partition_subalgoE8ElNS0_10empty_typeEbEEZZNS1_14partition_implILS5_8ELb0ES3_jPKlPS6_PKS6_NS0_5tupleIJPlS6_EEENSE_IJSB_SB_EEENS0_18inequality_wrapperIN6hipcub16HIPCUB_304000_NS8EqualityEEESF_JS6_EEE10hipError_tPvRmT3_T4_T5_T6_T7_T9_mT8_P12ihipStream_tbDpT10_ENKUlT_T0_E_clISt17integral_constantIbLb0EES16_EEDaS11_S12_EUlS11_E_NS1_11comp_targetILNS1_3genE8ELNS1_11target_archE1030ELNS1_3gpuE2ELNS1_3repE0EEENS1_30default_config_static_selectorELNS0_4arch9wavefront6targetE0EEEvT1_
; %bb.0:
	.section	.rodata,"a",@progbits
	.p2align	6, 0x0
	.amdhsa_kernel _ZN7rocprim17ROCPRIM_400000_NS6detail17trampoline_kernelINS0_14default_configENS1_25partition_config_selectorILNS1_17partition_subalgoE8ElNS0_10empty_typeEbEEZZNS1_14partition_implILS5_8ELb0ES3_jPKlPS6_PKS6_NS0_5tupleIJPlS6_EEENSE_IJSB_SB_EEENS0_18inequality_wrapperIN6hipcub16HIPCUB_304000_NS8EqualityEEESF_JS6_EEE10hipError_tPvRmT3_T4_T5_T6_T7_T9_mT8_P12ihipStream_tbDpT10_ENKUlT_T0_E_clISt17integral_constantIbLb0EES16_EEDaS11_S12_EUlS11_E_NS1_11comp_targetILNS1_3genE8ELNS1_11target_archE1030ELNS1_3gpuE2ELNS1_3repE0EEENS1_30default_config_static_selectorELNS0_4arch9wavefront6targetE0EEEvT1_
		.amdhsa_group_segment_fixed_size 0
		.amdhsa_private_segment_fixed_size 0
		.amdhsa_kernarg_size 112
		.amdhsa_user_sgpr_count 2
		.amdhsa_user_sgpr_dispatch_ptr 0
		.amdhsa_user_sgpr_queue_ptr 0
		.amdhsa_user_sgpr_kernarg_segment_ptr 1
		.amdhsa_user_sgpr_dispatch_id 0
		.amdhsa_user_sgpr_kernarg_preload_length 0
		.amdhsa_user_sgpr_kernarg_preload_offset 0
		.amdhsa_user_sgpr_private_segment_size 0
		.amdhsa_wavefront_size32 1
		.amdhsa_uses_dynamic_stack 0
		.amdhsa_enable_private_segment 0
		.amdhsa_system_sgpr_workgroup_id_x 1
		.amdhsa_system_sgpr_workgroup_id_y 0
		.amdhsa_system_sgpr_workgroup_id_z 0
		.amdhsa_system_sgpr_workgroup_info 0
		.amdhsa_system_vgpr_workitem_id 0
		.amdhsa_next_free_vgpr 1
		.amdhsa_next_free_sgpr 1
		.amdhsa_named_barrier_count 0
		.amdhsa_reserve_vcc 0
		.amdhsa_float_round_mode_32 0
		.amdhsa_float_round_mode_16_64 0
		.amdhsa_float_denorm_mode_32 3
		.amdhsa_float_denorm_mode_16_64 3
		.amdhsa_fp16_overflow 0
		.amdhsa_memory_ordered 1
		.amdhsa_forward_progress 1
		.amdhsa_inst_pref_size 0
		.amdhsa_round_robin_scheduling 0
		.amdhsa_exception_fp_ieee_invalid_op 0
		.amdhsa_exception_fp_denorm_src 0
		.amdhsa_exception_fp_ieee_div_zero 0
		.amdhsa_exception_fp_ieee_overflow 0
		.amdhsa_exception_fp_ieee_underflow 0
		.amdhsa_exception_fp_ieee_inexact 0
		.amdhsa_exception_int_div_zero 0
	.end_amdhsa_kernel
	.section	.text._ZN7rocprim17ROCPRIM_400000_NS6detail17trampoline_kernelINS0_14default_configENS1_25partition_config_selectorILNS1_17partition_subalgoE8ElNS0_10empty_typeEbEEZZNS1_14partition_implILS5_8ELb0ES3_jPKlPS6_PKS6_NS0_5tupleIJPlS6_EEENSE_IJSB_SB_EEENS0_18inequality_wrapperIN6hipcub16HIPCUB_304000_NS8EqualityEEESF_JS6_EEE10hipError_tPvRmT3_T4_T5_T6_T7_T9_mT8_P12ihipStream_tbDpT10_ENKUlT_T0_E_clISt17integral_constantIbLb0EES16_EEDaS11_S12_EUlS11_E_NS1_11comp_targetILNS1_3genE8ELNS1_11target_archE1030ELNS1_3gpuE2ELNS1_3repE0EEENS1_30default_config_static_selectorELNS0_4arch9wavefront6targetE0EEEvT1_,"axG",@progbits,_ZN7rocprim17ROCPRIM_400000_NS6detail17trampoline_kernelINS0_14default_configENS1_25partition_config_selectorILNS1_17partition_subalgoE8ElNS0_10empty_typeEbEEZZNS1_14partition_implILS5_8ELb0ES3_jPKlPS6_PKS6_NS0_5tupleIJPlS6_EEENSE_IJSB_SB_EEENS0_18inequality_wrapperIN6hipcub16HIPCUB_304000_NS8EqualityEEESF_JS6_EEE10hipError_tPvRmT3_T4_T5_T6_T7_T9_mT8_P12ihipStream_tbDpT10_ENKUlT_T0_E_clISt17integral_constantIbLb0EES16_EEDaS11_S12_EUlS11_E_NS1_11comp_targetILNS1_3genE8ELNS1_11target_archE1030ELNS1_3gpuE2ELNS1_3repE0EEENS1_30default_config_static_selectorELNS0_4arch9wavefront6targetE0EEEvT1_,comdat
.Lfunc_end486:
	.size	_ZN7rocprim17ROCPRIM_400000_NS6detail17trampoline_kernelINS0_14default_configENS1_25partition_config_selectorILNS1_17partition_subalgoE8ElNS0_10empty_typeEbEEZZNS1_14partition_implILS5_8ELb0ES3_jPKlPS6_PKS6_NS0_5tupleIJPlS6_EEENSE_IJSB_SB_EEENS0_18inequality_wrapperIN6hipcub16HIPCUB_304000_NS8EqualityEEESF_JS6_EEE10hipError_tPvRmT3_T4_T5_T6_T7_T9_mT8_P12ihipStream_tbDpT10_ENKUlT_T0_E_clISt17integral_constantIbLb0EES16_EEDaS11_S12_EUlS11_E_NS1_11comp_targetILNS1_3genE8ELNS1_11target_archE1030ELNS1_3gpuE2ELNS1_3repE0EEENS1_30default_config_static_selectorELNS0_4arch9wavefront6targetE0EEEvT1_, .Lfunc_end486-_ZN7rocprim17ROCPRIM_400000_NS6detail17trampoline_kernelINS0_14default_configENS1_25partition_config_selectorILNS1_17partition_subalgoE8ElNS0_10empty_typeEbEEZZNS1_14partition_implILS5_8ELb0ES3_jPKlPS6_PKS6_NS0_5tupleIJPlS6_EEENSE_IJSB_SB_EEENS0_18inequality_wrapperIN6hipcub16HIPCUB_304000_NS8EqualityEEESF_JS6_EEE10hipError_tPvRmT3_T4_T5_T6_T7_T9_mT8_P12ihipStream_tbDpT10_ENKUlT_T0_E_clISt17integral_constantIbLb0EES16_EEDaS11_S12_EUlS11_E_NS1_11comp_targetILNS1_3genE8ELNS1_11target_archE1030ELNS1_3gpuE2ELNS1_3repE0EEENS1_30default_config_static_selectorELNS0_4arch9wavefront6targetE0EEEvT1_
                                        ; -- End function
	.set _ZN7rocprim17ROCPRIM_400000_NS6detail17trampoline_kernelINS0_14default_configENS1_25partition_config_selectorILNS1_17partition_subalgoE8ElNS0_10empty_typeEbEEZZNS1_14partition_implILS5_8ELb0ES3_jPKlPS6_PKS6_NS0_5tupleIJPlS6_EEENSE_IJSB_SB_EEENS0_18inequality_wrapperIN6hipcub16HIPCUB_304000_NS8EqualityEEESF_JS6_EEE10hipError_tPvRmT3_T4_T5_T6_T7_T9_mT8_P12ihipStream_tbDpT10_ENKUlT_T0_E_clISt17integral_constantIbLb0EES16_EEDaS11_S12_EUlS11_E_NS1_11comp_targetILNS1_3genE8ELNS1_11target_archE1030ELNS1_3gpuE2ELNS1_3repE0EEENS1_30default_config_static_selectorELNS0_4arch9wavefront6targetE0EEEvT1_.num_vgpr, 0
	.set _ZN7rocprim17ROCPRIM_400000_NS6detail17trampoline_kernelINS0_14default_configENS1_25partition_config_selectorILNS1_17partition_subalgoE8ElNS0_10empty_typeEbEEZZNS1_14partition_implILS5_8ELb0ES3_jPKlPS6_PKS6_NS0_5tupleIJPlS6_EEENSE_IJSB_SB_EEENS0_18inequality_wrapperIN6hipcub16HIPCUB_304000_NS8EqualityEEESF_JS6_EEE10hipError_tPvRmT3_T4_T5_T6_T7_T9_mT8_P12ihipStream_tbDpT10_ENKUlT_T0_E_clISt17integral_constantIbLb0EES16_EEDaS11_S12_EUlS11_E_NS1_11comp_targetILNS1_3genE8ELNS1_11target_archE1030ELNS1_3gpuE2ELNS1_3repE0EEENS1_30default_config_static_selectorELNS0_4arch9wavefront6targetE0EEEvT1_.num_agpr, 0
	.set _ZN7rocprim17ROCPRIM_400000_NS6detail17trampoline_kernelINS0_14default_configENS1_25partition_config_selectorILNS1_17partition_subalgoE8ElNS0_10empty_typeEbEEZZNS1_14partition_implILS5_8ELb0ES3_jPKlPS6_PKS6_NS0_5tupleIJPlS6_EEENSE_IJSB_SB_EEENS0_18inequality_wrapperIN6hipcub16HIPCUB_304000_NS8EqualityEEESF_JS6_EEE10hipError_tPvRmT3_T4_T5_T6_T7_T9_mT8_P12ihipStream_tbDpT10_ENKUlT_T0_E_clISt17integral_constantIbLb0EES16_EEDaS11_S12_EUlS11_E_NS1_11comp_targetILNS1_3genE8ELNS1_11target_archE1030ELNS1_3gpuE2ELNS1_3repE0EEENS1_30default_config_static_selectorELNS0_4arch9wavefront6targetE0EEEvT1_.numbered_sgpr, 0
	.set _ZN7rocprim17ROCPRIM_400000_NS6detail17trampoline_kernelINS0_14default_configENS1_25partition_config_selectorILNS1_17partition_subalgoE8ElNS0_10empty_typeEbEEZZNS1_14partition_implILS5_8ELb0ES3_jPKlPS6_PKS6_NS0_5tupleIJPlS6_EEENSE_IJSB_SB_EEENS0_18inequality_wrapperIN6hipcub16HIPCUB_304000_NS8EqualityEEESF_JS6_EEE10hipError_tPvRmT3_T4_T5_T6_T7_T9_mT8_P12ihipStream_tbDpT10_ENKUlT_T0_E_clISt17integral_constantIbLb0EES16_EEDaS11_S12_EUlS11_E_NS1_11comp_targetILNS1_3genE8ELNS1_11target_archE1030ELNS1_3gpuE2ELNS1_3repE0EEENS1_30default_config_static_selectorELNS0_4arch9wavefront6targetE0EEEvT1_.num_named_barrier, 0
	.set _ZN7rocprim17ROCPRIM_400000_NS6detail17trampoline_kernelINS0_14default_configENS1_25partition_config_selectorILNS1_17partition_subalgoE8ElNS0_10empty_typeEbEEZZNS1_14partition_implILS5_8ELb0ES3_jPKlPS6_PKS6_NS0_5tupleIJPlS6_EEENSE_IJSB_SB_EEENS0_18inequality_wrapperIN6hipcub16HIPCUB_304000_NS8EqualityEEESF_JS6_EEE10hipError_tPvRmT3_T4_T5_T6_T7_T9_mT8_P12ihipStream_tbDpT10_ENKUlT_T0_E_clISt17integral_constantIbLb0EES16_EEDaS11_S12_EUlS11_E_NS1_11comp_targetILNS1_3genE8ELNS1_11target_archE1030ELNS1_3gpuE2ELNS1_3repE0EEENS1_30default_config_static_selectorELNS0_4arch9wavefront6targetE0EEEvT1_.private_seg_size, 0
	.set _ZN7rocprim17ROCPRIM_400000_NS6detail17trampoline_kernelINS0_14default_configENS1_25partition_config_selectorILNS1_17partition_subalgoE8ElNS0_10empty_typeEbEEZZNS1_14partition_implILS5_8ELb0ES3_jPKlPS6_PKS6_NS0_5tupleIJPlS6_EEENSE_IJSB_SB_EEENS0_18inequality_wrapperIN6hipcub16HIPCUB_304000_NS8EqualityEEESF_JS6_EEE10hipError_tPvRmT3_T4_T5_T6_T7_T9_mT8_P12ihipStream_tbDpT10_ENKUlT_T0_E_clISt17integral_constantIbLb0EES16_EEDaS11_S12_EUlS11_E_NS1_11comp_targetILNS1_3genE8ELNS1_11target_archE1030ELNS1_3gpuE2ELNS1_3repE0EEENS1_30default_config_static_selectorELNS0_4arch9wavefront6targetE0EEEvT1_.uses_vcc, 0
	.set _ZN7rocprim17ROCPRIM_400000_NS6detail17trampoline_kernelINS0_14default_configENS1_25partition_config_selectorILNS1_17partition_subalgoE8ElNS0_10empty_typeEbEEZZNS1_14partition_implILS5_8ELb0ES3_jPKlPS6_PKS6_NS0_5tupleIJPlS6_EEENSE_IJSB_SB_EEENS0_18inequality_wrapperIN6hipcub16HIPCUB_304000_NS8EqualityEEESF_JS6_EEE10hipError_tPvRmT3_T4_T5_T6_T7_T9_mT8_P12ihipStream_tbDpT10_ENKUlT_T0_E_clISt17integral_constantIbLb0EES16_EEDaS11_S12_EUlS11_E_NS1_11comp_targetILNS1_3genE8ELNS1_11target_archE1030ELNS1_3gpuE2ELNS1_3repE0EEENS1_30default_config_static_selectorELNS0_4arch9wavefront6targetE0EEEvT1_.uses_flat_scratch, 0
	.set _ZN7rocprim17ROCPRIM_400000_NS6detail17trampoline_kernelINS0_14default_configENS1_25partition_config_selectorILNS1_17partition_subalgoE8ElNS0_10empty_typeEbEEZZNS1_14partition_implILS5_8ELb0ES3_jPKlPS6_PKS6_NS0_5tupleIJPlS6_EEENSE_IJSB_SB_EEENS0_18inequality_wrapperIN6hipcub16HIPCUB_304000_NS8EqualityEEESF_JS6_EEE10hipError_tPvRmT3_T4_T5_T6_T7_T9_mT8_P12ihipStream_tbDpT10_ENKUlT_T0_E_clISt17integral_constantIbLb0EES16_EEDaS11_S12_EUlS11_E_NS1_11comp_targetILNS1_3genE8ELNS1_11target_archE1030ELNS1_3gpuE2ELNS1_3repE0EEENS1_30default_config_static_selectorELNS0_4arch9wavefront6targetE0EEEvT1_.has_dyn_sized_stack, 0
	.set _ZN7rocprim17ROCPRIM_400000_NS6detail17trampoline_kernelINS0_14default_configENS1_25partition_config_selectorILNS1_17partition_subalgoE8ElNS0_10empty_typeEbEEZZNS1_14partition_implILS5_8ELb0ES3_jPKlPS6_PKS6_NS0_5tupleIJPlS6_EEENSE_IJSB_SB_EEENS0_18inequality_wrapperIN6hipcub16HIPCUB_304000_NS8EqualityEEESF_JS6_EEE10hipError_tPvRmT3_T4_T5_T6_T7_T9_mT8_P12ihipStream_tbDpT10_ENKUlT_T0_E_clISt17integral_constantIbLb0EES16_EEDaS11_S12_EUlS11_E_NS1_11comp_targetILNS1_3genE8ELNS1_11target_archE1030ELNS1_3gpuE2ELNS1_3repE0EEENS1_30default_config_static_selectorELNS0_4arch9wavefront6targetE0EEEvT1_.has_recursion, 0
	.set _ZN7rocprim17ROCPRIM_400000_NS6detail17trampoline_kernelINS0_14default_configENS1_25partition_config_selectorILNS1_17partition_subalgoE8ElNS0_10empty_typeEbEEZZNS1_14partition_implILS5_8ELb0ES3_jPKlPS6_PKS6_NS0_5tupleIJPlS6_EEENSE_IJSB_SB_EEENS0_18inequality_wrapperIN6hipcub16HIPCUB_304000_NS8EqualityEEESF_JS6_EEE10hipError_tPvRmT3_T4_T5_T6_T7_T9_mT8_P12ihipStream_tbDpT10_ENKUlT_T0_E_clISt17integral_constantIbLb0EES16_EEDaS11_S12_EUlS11_E_NS1_11comp_targetILNS1_3genE8ELNS1_11target_archE1030ELNS1_3gpuE2ELNS1_3repE0EEENS1_30default_config_static_selectorELNS0_4arch9wavefront6targetE0EEEvT1_.has_indirect_call, 0
	.section	.AMDGPU.csdata,"",@progbits
; Kernel info:
; codeLenInByte = 0
; TotalNumSgprs: 0
; NumVgprs: 0
; ScratchSize: 0
; MemoryBound: 0
; FloatMode: 240
; IeeeMode: 1
; LDSByteSize: 0 bytes/workgroup (compile time only)
; SGPRBlocks: 0
; VGPRBlocks: 0
; NumSGPRsForWavesPerEU: 1
; NumVGPRsForWavesPerEU: 1
; NamedBarCnt: 0
; Occupancy: 16
; WaveLimiterHint : 0
; COMPUTE_PGM_RSRC2:SCRATCH_EN: 0
; COMPUTE_PGM_RSRC2:USER_SGPR: 2
; COMPUTE_PGM_RSRC2:TRAP_HANDLER: 0
; COMPUTE_PGM_RSRC2:TGID_X_EN: 1
; COMPUTE_PGM_RSRC2:TGID_Y_EN: 0
; COMPUTE_PGM_RSRC2:TGID_Z_EN: 0
; COMPUTE_PGM_RSRC2:TIDIG_COMP_CNT: 0
	.section	.text._ZN7rocprim17ROCPRIM_400000_NS6detail17trampoline_kernelINS0_14default_configENS1_25partition_config_selectorILNS1_17partition_subalgoE8ElNS0_10empty_typeEbEEZZNS1_14partition_implILS5_8ELb0ES3_jPKlPS6_PKS6_NS0_5tupleIJPlS6_EEENSE_IJSB_SB_EEENS0_18inequality_wrapperIN6hipcub16HIPCUB_304000_NS8EqualityEEESF_JS6_EEE10hipError_tPvRmT3_T4_T5_T6_T7_T9_mT8_P12ihipStream_tbDpT10_ENKUlT_T0_E_clISt17integral_constantIbLb1EES16_EEDaS11_S12_EUlS11_E_NS1_11comp_targetILNS1_3genE0ELNS1_11target_archE4294967295ELNS1_3gpuE0ELNS1_3repE0EEENS1_30default_config_static_selectorELNS0_4arch9wavefront6targetE0EEEvT1_,"axG",@progbits,_ZN7rocprim17ROCPRIM_400000_NS6detail17trampoline_kernelINS0_14default_configENS1_25partition_config_selectorILNS1_17partition_subalgoE8ElNS0_10empty_typeEbEEZZNS1_14partition_implILS5_8ELb0ES3_jPKlPS6_PKS6_NS0_5tupleIJPlS6_EEENSE_IJSB_SB_EEENS0_18inequality_wrapperIN6hipcub16HIPCUB_304000_NS8EqualityEEESF_JS6_EEE10hipError_tPvRmT3_T4_T5_T6_T7_T9_mT8_P12ihipStream_tbDpT10_ENKUlT_T0_E_clISt17integral_constantIbLb1EES16_EEDaS11_S12_EUlS11_E_NS1_11comp_targetILNS1_3genE0ELNS1_11target_archE4294967295ELNS1_3gpuE0ELNS1_3repE0EEENS1_30default_config_static_selectorELNS0_4arch9wavefront6targetE0EEEvT1_,comdat
	.protected	_ZN7rocprim17ROCPRIM_400000_NS6detail17trampoline_kernelINS0_14default_configENS1_25partition_config_selectorILNS1_17partition_subalgoE8ElNS0_10empty_typeEbEEZZNS1_14partition_implILS5_8ELb0ES3_jPKlPS6_PKS6_NS0_5tupleIJPlS6_EEENSE_IJSB_SB_EEENS0_18inequality_wrapperIN6hipcub16HIPCUB_304000_NS8EqualityEEESF_JS6_EEE10hipError_tPvRmT3_T4_T5_T6_T7_T9_mT8_P12ihipStream_tbDpT10_ENKUlT_T0_E_clISt17integral_constantIbLb1EES16_EEDaS11_S12_EUlS11_E_NS1_11comp_targetILNS1_3genE0ELNS1_11target_archE4294967295ELNS1_3gpuE0ELNS1_3repE0EEENS1_30default_config_static_selectorELNS0_4arch9wavefront6targetE0EEEvT1_ ; -- Begin function _ZN7rocprim17ROCPRIM_400000_NS6detail17trampoline_kernelINS0_14default_configENS1_25partition_config_selectorILNS1_17partition_subalgoE8ElNS0_10empty_typeEbEEZZNS1_14partition_implILS5_8ELb0ES3_jPKlPS6_PKS6_NS0_5tupleIJPlS6_EEENSE_IJSB_SB_EEENS0_18inequality_wrapperIN6hipcub16HIPCUB_304000_NS8EqualityEEESF_JS6_EEE10hipError_tPvRmT3_T4_T5_T6_T7_T9_mT8_P12ihipStream_tbDpT10_ENKUlT_T0_E_clISt17integral_constantIbLb1EES16_EEDaS11_S12_EUlS11_E_NS1_11comp_targetILNS1_3genE0ELNS1_11target_archE4294967295ELNS1_3gpuE0ELNS1_3repE0EEENS1_30default_config_static_selectorELNS0_4arch9wavefront6targetE0EEEvT1_
	.globl	_ZN7rocprim17ROCPRIM_400000_NS6detail17trampoline_kernelINS0_14default_configENS1_25partition_config_selectorILNS1_17partition_subalgoE8ElNS0_10empty_typeEbEEZZNS1_14partition_implILS5_8ELb0ES3_jPKlPS6_PKS6_NS0_5tupleIJPlS6_EEENSE_IJSB_SB_EEENS0_18inequality_wrapperIN6hipcub16HIPCUB_304000_NS8EqualityEEESF_JS6_EEE10hipError_tPvRmT3_T4_T5_T6_T7_T9_mT8_P12ihipStream_tbDpT10_ENKUlT_T0_E_clISt17integral_constantIbLb1EES16_EEDaS11_S12_EUlS11_E_NS1_11comp_targetILNS1_3genE0ELNS1_11target_archE4294967295ELNS1_3gpuE0ELNS1_3repE0EEENS1_30default_config_static_selectorELNS0_4arch9wavefront6targetE0EEEvT1_
	.p2align	8
	.type	_ZN7rocprim17ROCPRIM_400000_NS6detail17trampoline_kernelINS0_14default_configENS1_25partition_config_selectorILNS1_17partition_subalgoE8ElNS0_10empty_typeEbEEZZNS1_14partition_implILS5_8ELb0ES3_jPKlPS6_PKS6_NS0_5tupleIJPlS6_EEENSE_IJSB_SB_EEENS0_18inequality_wrapperIN6hipcub16HIPCUB_304000_NS8EqualityEEESF_JS6_EEE10hipError_tPvRmT3_T4_T5_T6_T7_T9_mT8_P12ihipStream_tbDpT10_ENKUlT_T0_E_clISt17integral_constantIbLb1EES16_EEDaS11_S12_EUlS11_E_NS1_11comp_targetILNS1_3genE0ELNS1_11target_archE4294967295ELNS1_3gpuE0ELNS1_3repE0EEENS1_30default_config_static_selectorELNS0_4arch9wavefront6targetE0EEEvT1_,@function
_ZN7rocprim17ROCPRIM_400000_NS6detail17trampoline_kernelINS0_14default_configENS1_25partition_config_selectorILNS1_17partition_subalgoE8ElNS0_10empty_typeEbEEZZNS1_14partition_implILS5_8ELb0ES3_jPKlPS6_PKS6_NS0_5tupleIJPlS6_EEENSE_IJSB_SB_EEENS0_18inequality_wrapperIN6hipcub16HIPCUB_304000_NS8EqualityEEESF_JS6_EEE10hipError_tPvRmT3_T4_T5_T6_T7_T9_mT8_P12ihipStream_tbDpT10_ENKUlT_T0_E_clISt17integral_constantIbLb1EES16_EEDaS11_S12_EUlS11_E_NS1_11comp_targetILNS1_3genE0ELNS1_11target_archE4294967295ELNS1_3gpuE0ELNS1_3repE0EEENS1_30default_config_static_selectorELNS0_4arch9wavefront6targetE0EEEvT1_: ; @_ZN7rocprim17ROCPRIM_400000_NS6detail17trampoline_kernelINS0_14default_configENS1_25partition_config_selectorILNS1_17partition_subalgoE8ElNS0_10empty_typeEbEEZZNS1_14partition_implILS5_8ELb0ES3_jPKlPS6_PKS6_NS0_5tupleIJPlS6_EEENSE_IJSB_SB_EEENS0_18inequality_wrapperIN6hipcub16HIPCUB_304000_NS8EqualityEEESF_JS6_EEE10hipError_tPvRmT3_T4_T5_T6_T7_T9_mT8_P12ihipStream_tbDpT10_ENKUlT_T0_E_clISt17integral_constantIbLb1EES16_EEDaS11_S12_EUlS11_E_NS1_11comp_targetILNS1_3genE0ELNS1_11target_archE4294967295ELNS1_3gpuE0ELNS1_3repE0EEENS1_30default_config_static_selectorELNS0_4arch9wavefront6targetE0EEEvT1_
; %bb.0:
	s_endpgm
	.section	.rodata,"a",@progbits
	.p2align	6, 0x0
	.amdhsa_kernel _ZN7rocprim17ROCPRIM_400000_NS6detail17trampoline_kernelINS0_14default_configENS1_25partition_config_selectorILNS1_17partition_subalgoE8ElNS0_10empty_typeEbEEZZNS1_14partition_implILS5_8ELb0ES3_jPKlPS6_PKS6_NS0_5tupleIJPlS6_EEENSE_IJSB_SB_EEENS0_18inequality_wrapperIN6hipcub16HIPCUB_304000_NS8EqualityEEESF_JS6_EEE10hipError_tPvRmT3_T4_T5_T6_T7_T9_mT8_P12ihipStream_tbDpT10_ENKUlT_T0_E_clISt17integral_constantIbLb1EES16_EEDaS11_S12_EUlS11_E_NS1_11comp_targetILNS1_3genE0ELNS1_11target_archE4294967295ELNS1_3gpuE0ELNS1_3repE0EEENS1_30default_config_static_selectorELNS0_4arch9wavefront6targetE0EEEvT1_
		.amdhsa_group_segment_fixed_size 0
		.amdhsa_private_segment_fixed_size 0
		.amdhsa_kernarg_size 128
		.amdhsa_user_sgpr_count 2
		.amdhsa_user_sgpr_dispatch_ptr 0
		.amdhsa_user_sgpr_queue_ptr 0
		.amdhsa_user_sgpr_kernarg_segment_ptr 1
		.amdhsa_user_sgpr_dispatch_id 0
		.amdhsa_user_sgpr_kernarg_preload_length 0
		.amdhsa_user_sgpr_kernarg_preload_offset 0
		.amdhsa_user_sgpr_private_segment_size 0
		.amdhsa_wavefront_size32 1
		.amdhsa_uses_dynamic_stack 0
		.amdhsa_enable_private_segment 0
		.amdhsa_system_sgpr_workgroup_id_x 1
		.amdhsa_system_sgpr_workgroup_id_y 0
		.amdhsa_system_sgpr_workgroup_id_z 0
		.amdhsa_system_sgpr_workgroup_info 0
		.amdhsa_system_vgpr_workitem_id 0
		.amdhsa_next_free_vgpr 1
		.amdhsa_next_free_sgpr 1
		.amdhsa_named_barrier_count 0
		.amdhsa_reserve_vcc 0
		.amdhsa_float_round_mode_32 0
		.amdhsa_float_round_mode_16_64 0
		.amdhsa_float_denorm_mode_32 3
		.amdhsa_float_denorm_mode_16_64 3
		.amdhsa_fp16_overflow 0
		.amdhsa_memory_ordered 1
		.amdhsa_forward_progress 1
		.amdhsa_inst_pref_size 1
		.amdhsa_round_robin_scheduling 0
		.amdhsa_exception_fp_ieee_invalid_op 0
		.amdhsa_exception_fp_denorm_src 0
		.amdhsa_exception_fp_ieee_div_zero 0
		.amdhsa_exception_fp_ieee_overflow 0
		.amdhsa_exception_fp_ieee_underflow 0
		.amdhsa_exception_fp_ieee_inexact 0
		.amdhsa_exception_int_div_zero 0
	.end_amdhsa_kernel
	.section	.text._ZN7rocprim17ROCPRIM_400000_NS6detail17trampoline_kernelINS0_14default_configENS1_25partition_config_selectorILNS1_17partition_subalgoE8ElNS0_10empty_typeEbEEZZNS1_14partition_implILS5_8ELb0ES3_jPKlPS6_PKS6_NS0_5tupleIJPlS6_EEENSE_IJSB_SB_EEENS0_18inequality_wrapperIN6hipcub16HIPCUB_304000_NS8EqualityEEESF_JS6_EEE10hipError_tPvRmT3_T4_T5_T6_T7_T9_mT8_P12ihipStream_tbDpT10_ENKUlT_T0_E_clISt17integral_constantIbLb1EES16_EEDaS11_S12_EUlS11_E_NS1_11comp_targetILNS1_3genE0ELNS1_11target_archE4294967295ELNS1_3gpuE0ELNS1_3repE0EEENS1_30default_config_static_selectorELNS0_4arch9wavefront6targetE0EEEvT1_,"axG",@progbits,_ZN7rocprim17ROCPRIM_400000_NS6detail17trampoline_kernelINS0_14default_configENS1_25partition_config_selectorILNS1_17partition_subalgoE8ElNS0_10empty_typeEbEEZZNS1_14partition_implILS5_8ELb0ES3_jPKlPS6_PKS6_NS0_5tupleIJPlS6_EEENSE_IJSB_SB_EEENS0_18inequality_wrapperIN6hipcub16HIPCUB_304000_NS8EqualityEEESF_JS6_EEE10hipError_tPvRmT3_T4_T5_T6_T7_T9_mT8_P12ihipStream_tbDpT10_ENKUlT_T0_E_clISt17integral_constantIbLb1EES16_EEDaS11_S12_EUlS11_E_NS1_11comp_targetILNS1_3genE0ELNS1_11target_archE4294967295ELNS1_3gpuE0ELNS1_3repE0EEENS1_30default_config_static_selectorELNS0_4arch9wavefront6targetE0EEEvT1_,comdat
.Lfunc_end487:
	.size	_ZN7rocprim17ROCPRIM_400000_NS6detail17trampoline_kernelINS0_14default_configENS1_25partition_config_selectorILNS1_17partition_subalgoE8ElNS0_10empty_typeEbEEZZNS1_14partition_implILS5_8ELb0ES3_jPKlPS6_PKS6_NS0_5tupleIJPlS6_EEENSE_IJSB_SB_EEENS0_18inequality_wrapperIN6hipcub16HIPCUB_304000_NS8EqualityEEESF_JS6_EEE10hipError_tPvRmT3_T4_T5_T6_T7_T9_mT8_P12ihipStream_tbDpT10_ENKUlT_T0_E_clISt17integral_constantIbLb1EES16_EEDaS11_S12_EUlS11_E_NS1_11comp_targetILNS1_3genE0ELNS1_11target_archE4294967295ELNS1_3gpuE0ELNS1_3repE0EEENS1_30default_config_static_selectorELNS0_4arch9wavefront6targetE0EEEvT1_, .Lfunc_end487-_ZN7rocprim17ROCPRIM_400000_NS6detail17trampoline_kernelINS0_14default_configENS1_25partition_config_selectorILNS1_17partition_subalgoE8ElNS0_10empty_typeEbEEZZNS1_14partition_implILS5_8ELb0ES3_jPKlPS6_PKS6_NS0_5tupleIJPlS6_EEENSE_IJSB_SB_EEENS0_18inequality_wrapperIN6hipcub16HIPCUB_304000_NS8EqualityEEESF_JS6_EEE10hipError_tPvRmT3_T4_T5_T6_T7_T9_mT8_P12ihipStream_tbDpT10_ENKUlT_T0_E_clISt17integral_constantIbLb1EES16_EEDaS11_S12_EUlS11_E_NS1_11comp_targetILNS1_3genE0ELNS1_11target_archE4294967295ELNS1_3gpuE0ELNS1_3repE0EEENS1_30default_config_static_selectorELNS0_4arch9wavefront6targetE0EEEvT1_
                                        ; -- End function
	.set _ZN7rocprim17ROCPRIM_400000_NS6detail17trampoline_kernelINS0_14default_configENS1_25partition_config_selectorILNS1_17partition_subalgoE8ElNS0_10empty_typeEbEEZZNS1_14partition_implILS5_8ELb0ES3_jPKlPS6_PKS6_NS0_5tupleIJPlS6_EEENSE_IJSB_SB_EEENS0_18inequality_wrapperIN6hipcub16HIPCUB_304000_NS8EqualityEEESF_JS6_EEE10hipError_tPvRmT3_T4_T5_T6_T7_T9_mT8_P12ihipStream_tbDpT10_ENKUlT_T0_E_clISt17integral_constantIbLb1EES16_EEDaS11_S12_EUlS11_E_NS1_11comp_targetILNS1_3genE0ELNS1_11target_archE4294967295ELNS1_3gpuE0ELNS1_3repE0EEENS1_30default_config_static_selectorELNS0_4arch9wavefront6targetE0EEEvT1_.num_vgpr, 0
	.set _ZN7rocprim17ROCPRIM_400000_NS6detail17trampoline_kernelINS0_14default_configENS1_25partition_config_selectorILNS1_17partition_subalgoE8ElNS0_10empty_typeEbEEZZNS1_14partition_implILS5_8ELb0ES3_jPKlPS6_PKS6_NS0_5tupleIJPlS6_EEENSE_IJSB_SB_EEENS0_18inequality_wrapperIN6hipcub16HIPCUB_304000_NS8EqualityEEESF_JS6_EEE10hipError_tPvRmT3_T4_T5_T6_T7_T9_mT8_P12ihipStream_tbDpT10_ENKUlT_T0_E_clISt17integral_constantIbLb1EES16_EEDaS11_S12_EUlS11_E_NS1_11comp_targetILNS1_3genE0ELNS1_11target_archE4294967295ELNS1_3gpuE0ELNS1_3repE0EEENS1_30default_config_static_selectorELNS0_4arch9wavefront6targetE0EEEvT1_.num_agpr, 0
	.set _ZN7rocprim17ROCPRIM_400000_NS6detail17trampoline_kernelINS0_14default_configENS1_25partition_config_selectorILNS1_17partition_subalgoE8ElNS0_10empty_typeEbEEZZNS1_14partition_implILS5_8ELb0ES3_jPKlPS6_PKS6_NS0_5tupleIJPlS6_EEENSE_IJSB_SB_EEENS0_18inequality_wrapperIN6hipcub16HIPCUB_304000_NS8EqualityEEESF_JS6_EEE10hipError_tPvRmT3_T4_T5_T6_T7_T9_mT8_P12ihipStream_tbDpT10_ENKUlT_T0_E_clISt17integral_constantIbLb1EES16_EEDaS11_S12_EUlS11_E_NS1_11comp_targetILNS1_3genE0ELNS1_11target_archE4294967295ELNS1_3gpuE0ELNS1_3repE0EEENS1_30default_config_static_selectorELNS0_4arch9wavefront6targetE0EEEvT1_.numbered_sgpr, 0
	.set _ZN7rocprim17ROCPRIM_400000_NS6detail17trampoline_kernelINS0_14default_configENS1_25partition_config_selectorILNS1_17partition_subalgoE8ElNS0_10empty_typeEbEEZZNS1_14partition_implILS5_8ELb0ES3_jPKlPS6_PKS6_NS0_5tupleIJPlS6_EEENSE_IJSB_SB_EEENS0_18inequality_wrapperIN6hipcub16HIPCUB_304000_NS8EqualityEEESF_JS6_EEE10hipError_tPvRmT3_T4_T5_T6_T7_T9_mT8_P12ihipStream_tbDpT10_ENKUlT_T0_E_clISt17integral_constantIbLb1EES16_EEDaS11_S12_EUlS11_E_NS1_11comp_targetILNS1_3genE0ELNS1_11target_archE4294967295ELNS1_3gpuE0ELNS1_3repE0EEENS1_30default_config_static_selectorELNS0_4arch9wavefront6targetE0EEEvT1_.num_named_barrier, 0
	.set _ZN7rocprim17ROCPRIM_400000_NS6detail17trampoline_kernelINS0_14default_configENS1_25partition_config_selectorILNS1_17partition_subalgoE8ElNS0_10empty_typeEbEEZZNS1_14partition_implILS5_8ELb0ES3_jPKlPS6_PKS6_NS0_5tupleIJPlS6_EEENSE_IJSB_SB_EEENS0_18inequality_wrapperIN6hipcub16HIPCUB_304000_NS8EqualityEEESF_JS6_EEE10hipError_tPvRmT3_T4_T5_T6_T7_T9_mT8_P12ihipStream_tbDpT10_ENKUlT_T0_E_clISt17integral_constantIbLb1EES16_EEDaS11_S12_EUlS11_E_NS1_11comp_targetILNS1_3genE0ELNS1_11target_archE4294967295ELNS1_3gpuE0ELNS1_3repE0EEENS1_30default_config_static_selectorELNS0_4arch9wavefront6targetE0EEEvT1_.private_seg_size, 0
	.set _ZN7rocprim17ROCPRIM_400000_NS6detail17trampoline_kernelINS0_14default_configENS1_25partition_config_selectorILNS1_17partition_subalgoE8ElNS0_10empty_typeEbEEZZNS1_14partition_implILS5_8ELb0ES3_jPKlPS6_PKS6_NS0_5tupleIJPlS6_EEENSE_IJSB_SB_EEENS0_18inequality_wrapperIN6hipcub16HIPCUB_304000_NS8EqualityEEESF_JS6_EEE10hipError_tPvRmT3_T4_T5_T6_T7_T9_mT8_P12ihipStream_tbDpT10_ENKUlT_T0_E_clISt17integral_constantIbLb1EES16_EEDaS11_S12_EUlS11_E_NS1_11comp_targetILNS1_3genE0ELNS1_11target_archE4294967295ELNS1_3gpuE0ELNS1_3repE0EEENS1_30default_config_static_selectorELNS0_4arch9wavefront6targetE0EEEvT1_.uses_vcc, 0
	.set _ZN7rocprim17ROCPRIM_400000_NS6detail17trampoline_kernelINS0_14default_configENS1_25partition_config_selectorILNS1_17partition_subalgoE8ElNS0_10empty_typeEbEEZZNS1_14partition_implILS5_8ELb0ES3_jPKlPS6_PKS6_NS0_5tupleIJPlS6_EEENSE_IJSB_SB_EEENS0_18inequality_wrapperIN6hipcub16HIPCUB_304000_NS8EqualityEEESF_JS6_EEE10hipError_tPvRmT3_T4_T5_T6_T7_T9_mT8_P12ihipStream_tbDpT10_ENKUlT_T0_E_clISt17integral_constantIbLb1EES16_EEDaS11_S12_EUlS11_E_NS1_11comp_targetILNS1_3genE0ELNS1_11target_archE4294967295ELNS1_3gpuE0ELNS1_3repE0EEENS1_30default_config_static_selectorELNS0_4arch9wavefront6targetE0EEEvT1_.uses_flat_scratch, 0
	.set _ZN7rocprim17ROCPRIM_400000_NS6detail17trampoline_kernelINS0_14default_configENS1_25partition_config_selectorILNS1_17partition_subalgoE8ElNS0_10empty_typeEbEEZZNS1_14partition_implILS5_8ELb0ES3_jPKlPS6_PKS6_NS0_5tupleIJPlS6_EEENSE_IJSB_SB_EEENS0_18inequality_wrapperIN6hipcub16HIPCUB_304000_NS8EqualityEEESF_JS6_EEE10hipError_tPvRmT3_T4_T5_T6_T7_T9_mT8_P12ihipStream_tbDpT10_ENKUlT_T0_E_clISt17integral_constantIbLb1EES16_EEDaS11_S12_EUlS11_E_NS1_11comp_targetILNS1_3genE0ELNS1_11target_archE4294967295ELNS1_3gpuE0ELNS1_3repE0EEENS1_30default_config_static_selectorELNS0_4arch9wavefront6targetE0EEEvT1_.has_dyn_sized_stack, 0
	.set _ZN7rocprim17ROCPRIM_400000_NS6detail17trampoline_kernelINS0_14default_configENS1_25partition_config_selectorILNS1_17partition_subalgoE8ElNS0_10empty_typeEbEEZZNS1_14partition_implILS5_8ELb0ES3_jPKlPS6_PKS6_NS0_5tupleIJPlS6_EEENSE_IJSB_SB_EEENS0_18inequality_wrapperIN6hipcub16HIPCUB_304000_NS8EqualityEEESF_JS6_EEE10hipError_tPvRmT3_T4_T5_T6_T7_T9_mT8_P12ihipStream_tbDpT10_ENKUlT_T0_E_clISt17integral_constantIbLb1EES16_EEDaS11_S12_EUlS11_E_NS1_11comp_targetILNS1_3genE0ELNS1_11target_archE4294967295ELNS1_3gpuE0ELNS1_3repE0EEENS1_30default_config_static_selectorELNS0_4arch9wavefront6targetE0EEEvT1_.has_recursion, 0
	.set _ZN7rocprim17ROCPRIM_400000_NS6detail17trampoline_kernelINS0_14default_configENS1_25partition_config_selectorILNS1_17partition_subalgoE8ElNS0_10empty_typeEbEEZZNS1_14partition_implILS5_8ELb0ES3_jPKlPS6_PKS6_NS0_5tupleIJPlS6_EEENSE_IJSB_SB_EEENS0_18inequality_wrapperIN6hipcub16HIPCUB_304000_NS8EqualityEEESF_JS6_EEE10hipError_tPvRmT3_T4_T5_T6_T7_T9_mT8_P12ihipStream_tbDpT10_ENKUlT_T0_E_clISt17integral_constantIbLb1EES16_EEDaS11_S12_EUlS11_E_NS1_11comp_targetILNS1_3genE0ELNS1_11target_archE4294967295ELNS1_3gpuE0ELNS1_3repE0EEENS1_30default_config_static_selectorELNS0_4arch9wavefront6targetE0EEEvT1_.has_indirect_call, 0
	.section	.AMDGPU.csdata,"",@progbits
; Kernel info:
; codeLenInByte = 4
; TotalNumSgprs: 0
; NumVgprs: 0
; ScratchSize: 0
; MemoryBound: 0
; FloatMode: 240
; IeeeMode: 1
; LDSByteSize: 0 bytes/workgroup (compile time only)
; SGPRBlocks: 0
; VGPRBlocks: 0
; NumSGPRsForWavesPerEU: 1
; NumVGPRsForWavesPerEU: 1
; NamedBarCnt: 0
; Occupancy: 16
; WaveLimiterHint : 0
; COMPUTE_PGM_RSRC2:SCRATCH_EN: 0
; COMPUTE_PGM_RSRC2:USER_SGPR: 2
; COMPUTE_PGM_RSRC2:TRAP_HANDLER: 0
; COMPUTE_PGM_RSRC2:TGID_X_EN: 1
; COMPUTE_PGM_RSRC2:TGID_Y_EN: 0
; COMPUTE_PGM_RSRC2:TGID_Z_EN: 0
; COMPUTE_PGM_RSRC2:TIDIG_COMP_CNT: 0
	.section	.text._ZN7rocprim17ROCPRIM_400000_NS6detail17trampoline_kernelINS0_14default_configENS1_25partition_config_selectorILNS1_17partition_subalgoE8ElNS0_10empty_typeEbEEZZNS1_14partition_implILS5_8ELb0ES3_jPKlPS6_PKS6_NS0_5tupleIJPlS6_EEENSE_IJSB_SB_EEENS0_18inequality_wrapperIN6hipcub16HIPCUB_304000_NS8EqualityEEESF_JS6_EEE10hipError_tPvRmT3_T4_T5_T6_T7_T9_mT8_P12ihipStream_tbDpT10_ENKUlT_T0_E_clISt17integral_constantIbLb1EES16_EEDaS11_S12_EUlS11_E_NS1_11comp_targetILNS1_3genE5ELNS1_11target_archE942ELNS1_3gpuE9ELNS1_3repE0EEENS1_30default_config_static_selectorELNS0_4arch9wavefront6targetE0EEEvT1_,"axG",@progbits,_ZN7rocprim17ROCPRIM_400000_NS6detail17trampoline_kernelINS0_14default_configENS1_25partition_config_selectorILNS1_17partition_subalgoE8ElNS0_10empty_typeEbEEZZNS1_14partition_implILS5_8ELb0ES3_jPKlPS6_PKS6_NS0_5tupleIJPlS6_EEENSE_IJSB_SB_EEENS0_18inequality_wrapperIN6hipcub16HIPCUB_304000_NS8EqualityEEESF_JS6_EEE10hipError_tPvRmT3_T4_T5_T6_T7_T9_mT8_P12ihipStream_tbDpT10_ENKUlT_T0_E_clISt17integral_constantIbLb1EES16_EEDaS11_S12_EUlS11_E_NS1_11comp_targetILNS1_3genE5ELNS1_11target_archE942ELNS1_3gpuE9ELNS1_3repE0EEENS1_30default_config_static_selectorELNS0_4arch9wavefront6targetE0EEEvT1_,comdat
	.protected	_ZN7rocprim17ROCPRIM_400000_NS6detail17trampoline_kernelINS0_14default_configENS1_25partition_config_selectorILNS1_17partition_subalgoE8ElNS0_10empty_typeEbEEZZNS1_14partition_implILS5_8ELb0ES3_jPKlPS6_PKS6_NS0_5tupleIJPlS6_EEENSE_IJSB_SB_EEENS0_18inequality_wrapperIN6hipcub16HIPCUB_304000_NS8EqualityEEESF_JS6_EEE10hipError_tPvRmT3_T4_T5_T6_T7_T9_mT8_P12ihipStream_tbDpT10_ENKUlT_T0_E_clISt17integral_constantIbLb1EES16_EEDaS11_S12_EUlS11_E_NS1_11comp_targetILNS1_3genE5ELNS1_11target_archE942ELNS1_3gpuE9ELNS1_3repE0EEENS1_30default_config_static_selectorELNS0_4arch9wavefront6targetE0EEEvT1_ ; -- Begin function _ZN7rocprim17ROCPRIM_400000_NS6detail17trampoline_kernelINS0_14default_configENS1_25partition_config_selectorILNS1_17partition_subalgoE8ElNS0_10empty_typeEbEEZZNS1_14partition_implILS5_8ELb0ES3_jPKlPS6_PKS6_NS0_5tupleIJPlS6_EEENSE_IJSB_SB_EEENS0_18inequality_wrapperIN6hipcub16HIPCUB_304000_NS8EqualityEEESF_JS6_EEE10hipError_tPvRmT3_T4_T5_T6_T7_T9_mT8_P12ihipStream_tbDpT10_ENKUlT_T0_E_clISt17integral_constantIbLb1EES16_EEDaS11_S12_EUlS11_E_NS1_11comp_targetILNS1_3genE5ELNS1_11target_archE942ELNS1_3gpuE9ELNS1_3repE0EEENS1_30default_config_static_selectorELNS0_4arch9wavefront6targetE0EEEvT1_
	.globl	_ZN7rocprim17ROCPRIM_400000_NS6detail17trampoline_kernelINS0_14default_configENS1_25partition_config_selectorILNS1_17partition_subalgoE8ElNS0_10empty_typeEbEEZZNS1_14partition_implILS5_8ELb0ES3_jPKlPS6_PKS6_NS0_5tupleIJPlS6_EEENSE_IJSB_SB_EEENS0_18inequality_wrapperIN6hipcub16HIPCUB_304000_NS8EqualityEEESF_JS6_EEE10hipError_tPvRmT3_T4_T5_T6_T7_T9_mT8_P12ihipStream_tbDpT10_ENKUlT_T0_E_clISt17integral_constantIbLb1EES16_EEDaS11_S12_EUlS11_E_NS1_11comp_targetILNS1_3genE5ELNS1_11target_archE942ELNS1_3gpuE9ELNS1_3repE0EEENS1_30default_config_static_selectorELNS0_4arch9wavefront6targetE0EEEvT1_
	.p2align	8
	.type	_ZN7rocprim17ROCPRIM_400000_NS6detail17trampoline_kernelINS0_14default_configENS1_25partition_config_selectorILNS1_17partition_subalgoE8ElNS0_10empty_typeEbEEZZNS1_14partition_implILS5_8ELb0ES3_jPKlPS6_PKS6_NS0_5tupleIJPlS6_EEENSE_IJSB_SB_EEENS0_18inequality_wrapperIN6hipcub16HIPCUB_304000_NS8EqualityEEESF_JS6_EEE10hipError_tPvRmT3_T4_T5_T6_T7_T9_mT8_P12ihipStream_tbDpT10_ENKUlT_T0_E_clISt17integral_constantIbLb1EES16_EEDaS11_S12_EUlS11_E_NS1_11comp_targetILNS1_3genE5ELNS1_11target_archE942ELNS1_3gpuE9ELNS1_3repE0EEENS1_30default_config_static_selectorELNS0_4arch9wavefront6targetE0EEEvT1_,@function
_ZN7rocprim17ROCPRIM_400000_NS6detail17trampoline_kernelINS0_14default_configENS1_25partition_config_selectorILNS1_17partition_subalgoE8ElNS0_10empty_typeEbEEZZNS1_14partition_implILS5_8ELb0ES3_jPKlPS6_PKS6_NS0_5tupleIJPlS6_EEENSE_IJSB_SB_EEENS0_18inequality_wrapperIN6hipcub16HIPCUB_304000_NS8EqualityEEESF_JS6_EEE10hipError_tPvRmT3_T4_T5_T6_T7_T9_mT8_P12ihipStream_tbDpT10_ENKUlT_T0_E_clISt17integral_constantIbLb1EES16_EEDaS11_S12_EUlS11_E_NS1_11comp_targetILNS1_3genE5ELNS1_11target_archE942ELNS1_3gpuE9ELNS1_3repE0EEENS1_30default_config_static_selectorELNS0_4arch9wavefront6targetE0EEEvT1_: ; @_ZN7rocprim17ROCPRIM_400000_NS6detail17trampoline_kernelINS0_14default_configENS1_25partition_config_selectorILNS1_17partition_subalgoE8ElNS0_10empty_typeEbEEZZNS1_14partition_implILS5_8ELb0ES3_jPKlPS6_PKS6_NS0_5tupleIJPlS6_EEENSE_IJSB_SB_EEENS0_18inequality_wrapperIN6hipcub16HIPCUB_304000_NS8EqualityEEESF_JS6_EEE10hipError_tPvRmT3_T4_T5_T6_T7_T9_mT8_P12ihipStream_tbDpT10_ENKUlT_T0_E_clISt17integral_constantIbLb1EES16_EEDaS11_S12_EUlS11_E_NS1_11comp_targetILNS1_3genE5ELNS1_11target_archE942ELNS1_3gpuE9ELNS1_3repE0EEENS1_30default_config_static_selectorELNS0_4arch9wavefront6targetE0EEEvT1_
; %bb.0:
	.section	.rodata,"a",@progbits
	.p2align	6, 0x0
	.amdhsa_kernel _ZN7rocprim17ROCPRIM_400000_NS6detail17trampoline_kernelINS0_14default_configENS1_25partition_config_selectorILNS1_17partition_subalgoE8ElNS0_10empty_typeEbEEZZNS1_14partition_implILS5_8ELb0ES3_jPKlPS6_PKS6_NS0_5tupleIJPlS6_EEENSE_IJSB_SB_EEENS0_18inequality_wrapperIN6hipcub16HIPCUB_304000_NS8EqualityEEESF_JS6_EEE10hipError_tPvRmT3_T4_T5_T6_T7_T9_mT8_P12ihipStream_tbDpT10_ENKUlT_T0_E_clISt17integral_constantIbLb1EES16_EEDaS11_S12_EUlS11_E_NS1_11comp_targetILNS1_3genE5ELNS1_11target_archE942ELNS1_3gpuE9ELNS1_3repE0EEENS1_30default_config_static_selectorELNS0_4arch9wavefront6targetE0EEEvT1_
		.amdhsa_group_segment_fixed_size 0
		.amdhsa_private_segment_fixed_size 0
		.amdhsa_kernarg_size 128
		.amdhsa_user_sgpr_count 2
		.amdhsa_user_sgpr_dispatch_ptr 0
		.amdhsa_user_sgpr_queue_ptr 0
		.amdhsa_user_sgpr_kernarg_segment_ptr 1
		.amdhsa_user_sgpr_dispatch_id 0
		.amdhsa_user_sgpr_kernarg_preload_length 0
		.amdhsa_user_sgpr_kernarg_preload_offset 0
		.amdhsa_user_sgpr_private_segment_size 0
		.amdhsa_wavefront_size32 1
		.amdhsa_uses_dynamic_stack 0
		.amdhsa_enable_private_segment 0
		.amdhsa_system_sgpr_workgroup_id_x 1
		.amdhsa_system_sgpr_workgroup_id_y 0
		.amdhsa_system_sgpr_workgroup_id_z 0
		.amdhsa_system_sgpr_workgroup_info 0
		.amdhsa_system_vgpr_workitem_id 0
		.amdhsa_next_free_vgpr 1
		.amdhsa_next_free_sgpr 1
		.amdhsa_named_barrier_count 0
		.amdhsa_reserve_vcc 0
		.amdhsa_float_round_mode_32 0
		.amdhsa_float_round_mode_16_64 0
		.amdhsa_float_denorm_mode_32 3
		.amdhsa_float_denorm_mode_16_64 3
		.amdhsa_fp16_overflow 0
		.amdhsa_memory_ordered 1
		.amdhsa_forward_progress 1
		.amdhsa_inst_pref_size 0
		.amdhsa_round_robin_scheduling 0
		.amdhsa_exception_fp_ieee_invalid_op 0
		.amdhsa_exception_fp_denorm_src 0
		.amdhsa_exception_fp_ieee_div_zero 0
		.amdhsa_exception_fp_ieee_overflow 0
		.amdhsa_exception_fp_ieee_underflow 0
		.amdhsa_exception_fp_ieee_inexact 0
		.amdhsa_exception_int_div_zero 0
	.end_amdhsa_kernel
	.section	.text._ZN7rocprim17ROCPRIM_400000_NS6detail17trampoline_kernelINS0_14default_configENS1_25partition_config_selectorILNS1_17partition_subalgoE8ElNS0_10empty_typeEbEEZZNS1_14partition_implILS5_8ELb0ES3_jPKlPS6_PKS6_NS0_5tupleIJPlS6_EEENSE_IJSB_SB_EEENS0_18inequality_wrapperIN6hipcub16HIPCUB_304000_NS8EqualityEEESF_JS6_EEE10hipError_tPvRmT3_T4_T5_T6_T7_T9_mT8_P12ihipStream_tbDpT10_ENKUlT_T0_E_clISt17integral_constantIbLb1EES16_EEDaS11_S12_EUlS11_E_NS1_11comp_targetILNS1_3genE5ELNS1_11target_archE942ELNS1_3gpuE9ELNS1_3repE0EEENS1_30default_config_static_selectorELNS0_4arch9wavefront6targetE0EEEvT1_,"axG",@progbits,_ZN7rocprim17ROCPRIM_400000_NS6detail17trampoline_kernelINS0_14default_configENS1_25partition_config_selectorILNS1_17partition_subalgoE8ElNS0_10empty_typeEbEEZZNS1_14partition_implILS5_8ELb0ES3_jPKlPS6_PKS6_NS0_5tupleIJPlS6_EEENSE_IJSB_SB_EEENS0_18inequality_wrapperIN6hipcub16HIPCUB_304000_NS8EqualityEEESF_JS6_EEE10hipError_tPvRmT3_T4_T5_T6_T7_T9_mT8_P12ihipStream_tbDpT10_ENKUlT_T0_E_clISt17integral_constantIbLb1EES16_EEDaS11_S12_EUlS11_E_NS1_11comp_targetILNS1_3genE5ELNS1_11target_archE942ELNS1_3gpuE9ELNS1_3repE0EEENS1_30default_config_static_selectorELNS0_4arch9wavefront6targetE0EEEvT1_,comdat
.Lfunc_end488:
	.size	_ZN7rocprim17ROCPRIM_400000_NS6detail17trampoline_kernelINS0_14default_configENS1_25partition_config_selectorILNS1_17partition_subalgoE8ElNS0_10empty_typeEbEEZZNS1_14partition_implILS5_8ELb0ES3_jPKlPS6_PKS6_NS0_5tupleIJPlS6_EEENSE_IJSB_SB_EEENS0_18inequality_wrapperIN6hipcub16HIPCUB_304000_NS8EqualityEEESF_JS6_EEE10hipError_tPvRmT3_T4_T5_T6_T7_T9_mT8_P12ihipStream_tbDpT10_ENKUlT_T0_E_clISt17integral_constantIbLb1EES16_EEDaS11_S12_EUlS11_E_NS1_11comp_targetILNS1_3genE5ELNS1_11target_archE942ELNS1_3gpuE9ELNS1_3repE0EEENS1_30default_config_static_selectorELNS0_4arch9wavefront6targetE0EEEvT1_, .Lfunc_end488-_ZN7rocprim17ROCPRIM_400000_NS6detail17trampoline_kernelINS0_14default_configENS1_25partition_config_selectorILNS1_17partition_subalgoE8ElNS0_10empty_typeEbEEZZNS1_14partition_implILS5_8ELb0ES3_jPKlPS6_PKS6_NS0_5tupleIJPlS6_EEENSE_IJSB_SB_EEENS0_18inequality_wrapperIN6hipcub16HIPCUB_304000_NS8EqualityEEESF_JS6_EEE10hipError_tPvRmT3_T4_T5_T6_T7_T9_mT8_P12ihipStream_tbDpT10_ENKUlT_T0_E_clISt17integral_constantIbLb1EES16_EEDaS11_S12_EUlS11_E_NS1_11comp_targetILNS1_3genE5ELNS1_11target_archE942ELNS1_3gpuE9ELNS1_3repE0EEENS1_30default_config_static_selectorELNS0_4arch9wavefront6targetE0EEEvT1_
                                        ; -- End function
	.set _ZN7rocprim17ROCPRIM_400000_NS6detail17trampoline_kernelINS0_14default_configENS1_25partition_config_selectorILNS1_17partition_subalgoE8ElNS0_10empty_typeEbEEZZNS1_14partition_implILS5_8ELb0ES3_jPKlPS6_PKS6_NS0_5tupleIJPlS6_EEENSE_IJSB_SB_EEENS0_18inequality_wrapperIN6hipcub16HIPCUB_304000_NS8EqualityEEESF_JS6_EEE10hipError_tPvRmT3_T4_T5_T6_T7_T9_mT8_P12ihipStream_tbDpT10_ENKUlT_T0_E_clISt17integral_constantIbLb1EES16_EEDaS11_S12_EUlS11_E_NS1_11comp_targetILNS1_3genE5ELNS1_11target_archE942ELNS1_3gpuE9ELNS1_3repE0EEENS1_30default_config_static_selectorELNS0_4arch9wavefront6targetE0EEEvT1_.num_vgpr, 0
	.set _ZN7rocprim17ROCPRIM_400000_NS6detail17trampoline_kernelINS0_14default_configENS1_25partition_config_selectorILNS1_17partition_subalgoE8ElNS0_10empty_typeEbEEZZNS1_14partition_implILS5_8ELb0ES3_jPKlPS6_PKS6_NS0_5tupleIJPlS6_EEENSE_IJSB_SB_EEENS0_18inequality_wrapperIN6hipcub16HIPCUB_304000_NS8EqualityEEESF_JS6_EEE10hipError_tPvRmT3_T4_T5_T6_T7_T9_mT8_P12ihipStream_tbDpT10_ENKUlT_T0_E_clISt17integral_constantIbLb1EES16_EEDaS11_S12_EUlS11_E_NS1_11comp_targetILNS1_3genE5ELNS1_11target_archE942ELNS1_3gpuE9ELNS1_3repE0EEENS1_30default_config_static_selectorELNS0_4arch9wavefront6targetE0EEEvT1_.num_agpr, 0
	.set _ZN7rocprim17ROCPRIM_400000_NS6detail17trampoline_kernelINS0_14default_configENS1_25partition_config_selectorILNS1_17partition_subalgoE8ElNS0_10empty_typeEbEEZZNS1_14partition_implILS5_8ELb0ES3_jPKlPS6_PKS6_NS0_5tupleIJPlS6_EEENSE_IJSB_SB_EEENS0_18inequality_wrapperIN6hipcub16HIPCUB_304000_NS8EqualityEEESF_JS6_EEE10hipError_tPvRmT3_T4_T5_T6_T7_T9_mT8_P12ihipStream_tbDpT10_ENKUlT_T0_E_clISt17integral_constantIbLb1EES16_EEDaS11_S12_EUlS11_E_NS1_11comp_targetILNS1_3genE5ELNS1_11target_archE942ELNS1_3gpuE9ELNS1_3repE0EEENS1_30default_config_static_selectorELNS0_4arch9wavefront6targetE0EEEvT1_.numbered_sgpr, 0
	.set _ZN7rocprim17ROCPRIM_400000_NS6detail17trampoline_kernelINS0_14default_configENS1_25partition_config_selectorILNS1_17partition_subalgoE8ElNS0_10empty_typeEbEEZZNS1_14partition_implILS5_8ELb0ES3_jPKlPS6_PKS6_NS0_5tupleIJPlS6_EEENSE_IJSB_SB_EEENS0_18inequality_wrapperIN6hipcub16HIPCUB_304000_NS8EqualityEEESF_JS6_EEE10hipError_tPvRmT3_T4_T5_T6_T7_T9_mT8_P12ihipStream_tbDpT10_ENKUlT_T0_E_clISt17integral_constantIbLb1EES16_EEDaS11_S12_EUlS11_E_NS1_11comp_targetILNS1_3genE5ELNS1_11target_archE942ELNS1_3gpuE9ELNS1_3repE0EEENS1_30default_config_static_selectorELNS0_4arch9wavefront6targetE0EEEvT1_.num_named_barrier, 0
	.set _ZN7rocprim17ROCPRIM_400000_NS6detail17trampoline_kernelINS0_14default_configENS1_25partition_config_selectorILNS1_17partition_subalgoE8ElNS0_10empty_typeEbEEZZNS1_14partition_implILS5_8ELb0ES3_jPKlPS6_PKS6_NS0_5tupleIJPlS6_EEENSE_IJSB_SB_EEENS0_18inequality_wrapperIN6hipcub16HIPCUB_304000_NS8EqualityEEESF_JS6_EEE10hipError_tPvRmT3_T4_T5_T6_T7_T9_mT8_P12ihipStream_tbDpT10_ENKUlT_T0_E_clISt17integral_constantIbLb1EES16_EEDaS11_S12_EUlS11_E_NS1_11comp_targetILNS1_3genE5ELNS1_11target_archE942ELNS1_3gpuE9ELNS1_3repE0EEENS1_30default_config_static_selectorELNS0_4arch9wavefront6targetE0EEEvT1_.private_seg_size, 0
	.set _ZN7rocprim17ROCPRIM_400000_NS6detail17trampoline_kernelINS0_14default_configENS1_25partition_config_selectorILNS1_17partition_subalgoE8ElNS0_10empty_typeEbEEZZNS1_14partition_implILS5_8ELb0ES3_jPKlPS6_PKS6_NS0_5tupleIJPlS6_EEENSE_IJSB_SB_EEENS0_18inequality_wrapperIN6hipcub16HIPCUB_304000_NS8EqualityEEESF_JS6_EEE10hipError_tPvRmT3_T4_T5_T6_T7_T9_mT8_P12ihipStream_tbDpT10_ENKUlT_T0_E_clISt17integral_constantIbLb1EES16_EEDaS11_S12_EUlS11_E_NS1_11comp_targetILNS1_3genE5ELNS1_11target_archE942ELNS1_3gpuE9ELNS1_3repE0EEENS1_30default_config_static_selectorELNS0_4arch9wavefront6targetE0EEEvT1_.uses_vcc, 0
	.set _ZN7rocprim17ROCPRIM_400000_NS6detail17trampoline_kernelINS0_14default_configENS1_25partition_config_selectorILNS1_17partition_subalgoE8ElNS0_10empty_typeEbEEZZNS1_14partition_implILS5_8ELb0ES3_jPKlPS6_PKS6_NS0_5tupleIJPlS6_EEENSE_IJSB_SB_EEENS0_18inequality_wrapperIN6hipcub16HIPCUB_304000_NS8EqualityEEESF_JS6_EEE10hipError_tPvRmT3_T4_T5_T6_T7_T9_mT8_P12ihipStream_tbDpT10_ENKUlT_T0_E_clISt17integral_constantIbLb1EES16_EEDaS11_S12_EUlS11_E_NS1_11comp_targetILNS1_3genE5ELNS1_11target_archE942ELNS1_3gpuE9ELNS1_3repE0EEENS1_30default_config_static_selectorELNS0_4arch9wavefront6targetE0EEEvT1_.uses_flat_scratch, 0
	.set _ZN7rocprim17ROCPRIM_400000_NS6detail17trampoline_kernelINS0_14default_configENS1_25partition_config_selectorILNS1_17partition_subalgoE8ElNS0_10empty_typeEbEEZZNS1_14partition_implILS5_8ELb0ES3_jPKlPS6_PKS6_NS0_5tupleIJPlS6_EEENSE_IJSB_SB_EEENS0_18inequality_wrapperIN6hipcub16HIPCUB_304000_NS8EqualityEEESF_JS6_EEE10hipError_tPvRmT3_T4_T5_T6_T7_T9_mT8_P12ihipStream_tbDpT10_ENKUlT_T0_E_clISt17integral_constantIbLb1EES16_EEDaS11_S12_EUlS11_E_NS1_11comp_targetILNS1_3genE5ELNS1_11target_archE942ELNS1_3gpuE9ELNS1_3repE0EEENS1_30default_config_static_selectorELNS0_4arch9wavefront6targetE0EEEvT1_.has_dyn_sized_stack, 0
	.set _ZN7rocprim17ROCPRIM_400000_NS6detail17trampoline_kernelINS0_14default_configENS1_25partition_config_selectorILNS1_17partition_subalgoE8ElNS0_10empty_typeEbEEZZNS1_14partition_implILS5_8ELb0ES3_jPKlPS6_PKS6_NS0_5tupleIJPlS6_EEENSE_IJSB_SB_EEENS0_18inequality_wrapperIN6hipcub16HIPCUB_304000_NS8EqualityEEESF_JS6_EEE10hipError_tPvRmT3_T4_T5_T6_T7_T9_mT8_P12ihipStream_tbDpT10_ENKUlT_T0_E_clISt17integral_constantIbLb1EES16_EEDaS11_S12_EUlS11_E_NS1_11comp_targetILNS1_3genE5ELNS1_11target_archE942ELNS1_3gpuE9ELNS1_3repE0EEENS1_30default_config_static_selectorELNS0_4arch9wavefront6targetE0EEEvT1_.has_recursion, 0
	.set _ZN7rocprim17ROCPRIM_400000_NS6detail17trampoline_kernelINS0_14default_configENS1_25partition_config_selectorILNS1_17partition_subalgoE8ElNS0_10empty_typeEbEEZZNS1_14partition_implILS5_8ELb0ES3_jPKlPS6_PKS6_NS0_5tupleIJPlS6_EEENSE_IJSB_SB_EEENS0_18inequality_wrapperIN6hipcub16HIPCUB_304000_NS8EqualityEEESF_JS6_EEE10hipError_tPvRmT3_T4_T5_T6_T7_T9_mT8_P12ihipStream_tbDpT10_ENKUlT_T0_E_clISt17integral_constantIbLb1EES16_EEDaS11_S12_EUlS11_E_NS1_11comp_targetILNS1_3genE5ELNS1_11target_archE942ELNS1_3gpuE9ELNS1_3repE0EEENS1_30default_config_static_selectorELNS0_4arch9wavefront6targetE0EEEvT1_.has_indirect_call, 0
	.section	.AMDGPU.csdata,"",@progbits
; Kernel info:
; codeLenInByte = 0
; TotalNumSgprs: 0
; NumVgprs: 0
; ScratchSize: 0
; MemoryBound: 0
; FloatMode: 240
; IeeeMode: 1
; LDSByteSize: 0 bytes/workgroup (compile time only)
; SGPRBlocks: 0
; VGPRBlocks: 0
; NumSGPRsForWavesPerEU: 1
; NumVGPRsForWavesPerEU: 1
; NamedBarCnt: 0
; Occupancy: 16
; WaveLimiterHint : 0
; COMPUTE_PGM_RSRC2:SCRATCH_EN: 0
; COMPUTE_PGM_RSRC2:USER_SGPR: 2
; COMPUTE_PGM_RSRC2:TRAP_HANDLER: 0
; COMPUTE_PGM_RSRC2:TGID_X_EN: 1
; COMPUTE_PGM_RSRC2:TGID_Y_EN: 0
; COMPUTE_PGM_RSRC2:TGID_Z_EN: 0
; COMPUTE_PGM_RSRC2:TIDIG_COMP_CNT: 0
	.section	.text._ZN7rocprim17ROCPRIM_400000_NS6detail17trampoline_kernelINS0_14default_configENS1_25partition_config_selectorILNS1_17partition_subalgoE8ElNS0_10empty_typeEbEEZZNS1_14partition_implILS5_8ELb0ES3_jPKlPS6_PKS6_NS0_5tupleIJPlS6_EEENSE_IJSB_SB_EEENS0_18inequality_wrapperIN6hipcub16HIPCUB_304000_NS8EqualityEEESF_JS6_EEE10hipError_tPvRmT3_T4_T5_T6_T7_T9_mT8_P12ihipStream_tbDpT10_ENKUlT_T0_E_clISt17integral_constantIbLb1EES16_EEDaS11_S12_EUlS11_E_NS1_11comp_targetILNS1_3genE4ELNS1_11target_archE910ELNS1_3gpuE8ELNS1_3repE0EEENS1_30default_config_static_selectorELNS0_4arch9wavefront6targetE0EEEvT1_,"axG",@progbits,_ZN7rocprim17ROCPRIM_400000_NS6detail17trampoline_kernelINS0_14default_configENS1_25partition_config_selectorILNS1_17partition_subalgoE8ElNS0_10empty_typeEbEEZZNS1_14partition_implILS5_8ELb0ES3_jPKlPS6_PKS6_NS0_5tupleIJPlS6_EEENSE_IJSB_SB_EEENS0_18inequality_wrapperIN6hipcub16HIPCUB_304000_NS8EqualityEEESF_JS6_EEE10hipError_tPvRmT3_T4_T5_T6_T7_T9_mT8_P12ihipStream_tbDpT10_ENKUlT_T0_E_clISt17integral_constantIbLb1EES16_EEDaS11_S12_EUlS11_E_NS1_11comp_targetILNS1_3genE4ELNS1_11target_archE910ELNS1_3gpuE8ELNS1_3repE0EEENS1_30default_config_static_selectorELNS0_4arch9wavefront6targetE0EEEvT1_,comdat
	.protected	_ZN7rocprim17ROCPRIM_400000_NS6detail17trampoline_kernelINS0_14default_configENS1_25partition_config_selectorILNS1_17partition_subalgoE8ElNS0_10empty_typeEbEEZZNS1_14partition_implILS5_8ELb0ES3_jPKlPS6_PKS6_NS0_5tupleIJPlS6_EEENSE_IJSB_SB_EEENS0_18inequality_wrapperIN6hipcub16HIPCUB_304000_NS8EqualityEEESF_JS6_EEE10hipError_tPvRmT3_T4_T5_T6_T7_T9_mT8_P12ihipStream_tbDpT10_ENKUlT_T0_E_clISt17integral_constantIbLb1EES16_EEDaS11_S12_EUlS11_E_NS1_11comp_targetILNS1_3genE4ELNS1_11target_archE910ELNS1_3gpuE8ELNS1_3repE0EEENS1_30default_config_static_selectorELNS0_4arch9wavefront6targetE0EEEvT1_ ; -- Begin function _ZN7rocprim17ROCPRIM_400000_NS6detail17trampoline_kernelINS0_14default_configENS1_25partition_config_selectorILNS1_17partition_subalgoE8ElNS0_10empty_typeEbEEZZNS1_14partition_implILS5_8ELb0ES3_jPKlPS6_PKS6_NS0_5tupleIJPlS6_EEENSE_IJSB_SB_EEENS0_18inequality_wrapperIN6hipcub16HIPCUB_304000_NS8EqualityEEESF_JS6_EEE10hipError_tPvRmT3_T4_T5_T6_T7_T9_mT8_P12ihipStream_tbDpT10_ENKUlT_T0_E_clISt17integral_constantIbLb1EES16_EEDaS11_S12_EUlS11_E_NS1_11comp_targetILNS1_3genE4ELNS1_11target_archE910ELNS1_3gpuE8ELNS1_3repE0EEENS1_30default_config_static_selectorELNS0_4arch9wavefront6targetE0EEEvT1_
	.globl	_ZN7rocprim17ROCPRIM_400000_NS6detail17trampoline_kernelINS0_14default_configENS1_25partition_config_selectorILNS1_17partition_subalgoE8ElNS0_10empty_typeEbEEZZNS1_14partition_implILS5_8ELb0ES3_jPKlPS6_PKS6_NS0_5tupleIJPlS6_EEENSE_IJSB_SB_EEENS0_18inequality_wrapperIN6hipcub16HIPCUB_304000_NS8EqualityEEESF_JS6_EEE10hipError_tPvRmT3_T4_T5_T6_T7_T9_mT8_P12ihipStream_tbDpT10_ENKUlT_T0_E_clISt17integral_constantIbLb1EES16_EEDaS11_S12_EUlS11_E_NS1_11comp_targetILNS1_3genE4ELNS1_11target_archE910ELNS1_3gpuE8ELNS1_3repE0EEENS1_30default_config_static_selectorELNS0_4arch9wavefront6targetE0EEEvT1_
	.p2align	8
	.type	_ZN7rocprim17ROCPRIM_400000_NS6detail17trampoline_kernelINS0_14default_configENS1_25partition_config_selectorILNS1_17partition_subalgoE8ElNS0_10empty_typeEbEEZZNS1_14partition_implILS5_8ELb0ES3_jPKlPS6_PKS6_NS0_5tupleIJPlS6_EEENSE_IJSB_SB_EEENS0_18inequality_wrapperIN6hipcub16HIPCUB_304000_NS8EqualityEEESF_JS6_EEE10hipError_tPvRmT3_T4_T5_T6_T7_T9_mT8_P12ihipStream_tbDpT10_ENKUlT_T0_E_clISt17integral_constantIbLb1EES16_EEDaS11_S12_EUlS11_E_NS1_11comp_targetILNS1_3genE4ELNS1_11target_archE910ELNS1_3gpuE8ELNS1_3repE0EEENS1_30default_config_static_selectorELNS0_4arch9wavefront6targetE0EEEvT1_,@function
_ZN7rocprim17ROCPRIM_400000_NS6detail17trampoline_kernelINS0_14default_configENS1_25partition_config_selectorILNS1_17partition_subalgoE8ElNS0_10empty_typeEbEEZZNS1_14partition_implILS5_8ELb0ES3_jPKlPS6_PKS6_NS0_5tupleIJPlS6_EEENSE_IJSB_SB_EEENS0_18inequality_wrapperIN6hipcub16HIPCUB_304000_NS8EqualityEEESF_JS6_EEE10hipError_tPvRmT3_T4_T5_T6_T7_T9_mT8_P12ihipStream_tbDpT10_ENKUlT_T0_E_clISt17integral_constantIbLb1EES16_EEDaS11_S12_EUlS11_E_NS1_11comp_targetILNS1_3genE4ELNS1_11target_archE910ELNS1_3gpuE8ELNS1_3repE0EEENS1_30default_config_static_selectorELNS0_4arch9wavefront6targetE0EEEvT1_: ; @_ZN7rocprim17ROCPRIM_400000_NS6detail17trampoline_kernelINS0_14default_configENS1_25partition_config_selectorILNS1_17partition_subalgoE8ElNS0_10empty_typeEbEEZZNS1_14partition_implILS5_8ELb0ES3_jPKlPS6_PKS6_NS0_5tupleIJPlS6_EEENSE_IJSB_SB_EEENS0_18inequality_wrapperIN6hipcub16HIPCUB_304000_NS8EqualityEEESF_JS6_EEE10hipError_tPvRmT3_T4_T5_T6_T7_T9_mT8_P12ihipStream_tbDpT10_ENKUlT_T0_E_clISt17integral_constantIbLb1EES16_EEDaS11_S12_EUlS11_E_NS1_11comp_targetILNS1_3genE4ELNS1_11target_archE910ELNS1_3gpuE8ELNS1_3repE0EEENS1_30default_config_static_selectorELNS0_4arch9wavefront6targetE0EEEvT1_
; %bb.0:
	.section	.rodata,"a",@progbits
	.p2align	6, 0x0
	.amdhsa_kernel _ZN7rocprim17ROCPRIM_400000_NS6detail17trampoline_kernelINS0_14default_configENS1_25partition_config_selectorILNS1_17partition_subalgoE8ElNS0_10empty_typeEbEEZZNS1_14partition_implILS5_8ELb0ES3_jPKlPS6_PKS6_NS0_5tupleIJPlS6_EEENSE_IJSB_SB_EEENS0_18inequality_wrapperIN6hipcub16HIPCUB_304000_NS8EqualityEEESF_JS6_EEE10hipError_tPvRmT3_T4_T5_T6_T7_T9_mT8_P12ihipStream_tbDpT10_ENKUlT_T0_E_clISt17integral_constantIbLb1EES16_EEDaS11_S12_EUlS11_E_NS1_11comp_targetILNS1_3genE4ELNS1_11target_archE910ELNS1_3gpuE8ELNS1_3repE0EEENS1_30default_config_static_selectorELNS0_4arch9wavefront6targetE0EEEvT1_
		.amdhsa_group_segment_fixed_size 0
		.amdhsa_private_segment_fixed_size 0
		.amdhsa_kernarg_size 128
		.amdhsa_user_sgpr_count 2
		.amdhsa_user_sgpr_dispatch_ptr 0
		.amdhsa_user_sgpr_queue_ptr 0
		.amdhsa_user_sgpr_kernarg_segment_ptr 1
		.amdhsa_user_sgpr_dispatch_id 0
		.amdhsa_user_sgpr_kernarg_preload_length 0
		.amdhsa_user_sgpr_kernarg_preload_offset 0
		.amdhsa_user_sgpr_private_segment_size 0
		.amdhsa_wavefront_size32 1
		.amdhsa_uses_dynamic_stack 0
		.amdhsa_enable_private_segment 0
		.amdhsa_system_sgpr_workgroup_id_x 1
		.amdhsa_system_sgpr_workgroup_id_y 0
		.amdhsa_system_sgpr_workgroup_id_z 0
		.amdhsa_system_sgpr_workgroup_info 0
		.amdhsa_system_vgpr_workitem_id 0
		.amdhsa_next_free_vgpr 1
		.amdhsa_next_free_sgpr 1
		.amdhsa_named_barrier_count 0
		.amdhsa_reserve_vcc 0
		.amdhsa_float_round_mode_32 0
		.amdhsa_float_round_mode_16_64 0
		.amdhsa_float_denorm_mode_32 3
		.amdhsa_float_denorm_mode_16_64 3
		.amdhsa_fp16_overflow 0
		.amdhsa_memory_ordered 1
		.amdhsa_forward_progress 1
		.amdhsa_inst_pref_size 0
		.amdhsa_round_robin_scheduling 0
		.amdhsa_exception_fp_ieee_invalid_op 0
		.amdhsa_exception_fp_denorm_src 0
		.amdhsa_exception_fp_ieee_div_zero 0
		.amdhsa_exception_fp_ieee_overflow 0
		.amdhsa_exception_fp_ieee_underflow 0
		.amdhsa_exception_fp_ieee_inexact 0
		.amdhsa_exception_int_div_zero 0
	.end_amdhsa_kernel
	.section	.text._ZN7rocprim17ROCPRIM_400000_NS6detail17trampoline_kernelINS0_14default_configENS1_25partition_config_selectorILNS1_17partition_subalgoE8ElNS0_10empty_typeEbEEZZNS1_14partition_implILS5_8ELb0ES3_jPKlPS6_PKS6_NS0_5tupleIJPlS6_EEENSE_IJSB_SB_EEENS0_18inequality_wrapperIN6hipcub16HIPCUB_304000_NS8EqualityEEESF_JS6_EEE10hipError_tPvRmT3_T4_T5_T6_T7_T9_mT8_P12ihipStream_tbDpT10_ENKUlT_T0_E_clISt17integral_constantIbLb1EES16_EEDaS11_S12_EUlS11_E_NS1_11comp_targetILNS1_3genE4ELNS1_11target_archE910ELNS1_3gpuE8ELNS1_3repE0EEENS1_30default_config_static_selectorELNS0_4arch9wavefront6targetE0EEEvT1_,"axG",@progbits,_ZN7rocprim17ROCPRIM_400000_NS6detail17trampoline_kernelINS0_14default_configENS1_25partition_config_selectorILNS1_17partition_subalgoE8ElNS0_10empty_typeEbEEZZNS1_14partition_implILS5_8ELb0ES3_jPKlPS6_PKS6_NS0_5tupleIJPlS6_EEENSE_IJSB_SB_EEENS0_18inequality_wrapperIN6hipcub16HIPCUB_304000_NS8EqualityEEESF_JS6_EEE10hipError_tPvRmT3_T4_T5_T6_T7_T9_mT8_P12ihipStream_tbDpT10_ENKUlT_T0_E_clISt17integral_constantIbLb1EES16_EEDaS11_S12_EUlS11_E_NS1_11comp_targetILNS1_3genE4ELNS1_11target_archE910ELNS1_3gpuE8ELNS1_3repE0EEENS1_30default_config_static_selectorELNS0_4arch9wavefront6targetE0EEEvT1_,comdat
.Lfunc_end489:
	.size	_ZN7rocprim17ROCPRIM_400000_NS6detail17trampoline_kernelINS0_14default_configENS1_25partition_config_selectorILNS1_17partition_subalgoE8ElNS0_10empty_typeEbEEZZNS1_14partition_implILS5_8ELb0ES3_jPKlPS6_PKS6_NS0_5tupleIJPlS6_EEENSE_IJSB_SB_EEENS0_18inequality_wrapperIN6hipcub16HIPCUB_304000_NS8EqualityEEESF_JS6_EEE10hipError_tPvRmT3_T4_T5_T6_T7_T9_mT8_P12ihipStream_tbDpT10_ENKUlT_T0_E_clISt17integral_constantIbLb1EES16_EEDaS11_S12_EUlS11_E_NS1_11comp_targetILNS1_3genE4ELNS1_11target_archE910ELNS1_3gpuE8ELNS1_3repE0EEENS1_30default_config_static_selectorELNS0_4arch9wavefront6targetE0EEEvT1_, .Lfunc_end489-_ZN7rocprim17ROCPRIM_400000_NS6detail17trampoline_kernelINS0_14default_configENS1_25partition_config_selectorILNS1_17partition_subalgoE8ElNS0_10empty_typeEbEEZZNS1_14partition_implILS5_8ELb0ES3_jPKlPS6_PKS6_NS0_5tupleIJPlS6_EEENSE_IJSB_SB_EEENS0_18inequality_wrapperIN6hipcub16HIPCUB_304000_NS8EqualityEEESF_JS6_EEE10hipError_tPvRmT3_T4_T5_T6_T7_T9_mT8_P12ihipStream_tbDpT10_ENKUlT_T0_E_clISt17integral_constantIbLb1EES16_EEDaS11_S12_EUlS11_E_NS1_11comp_targetILNS1_3genE4ELNS1_11target_archE910ELNS1_3gpuE8ELNS1_3repE0EEENS1_30default_config_static_selectorELNS0_4arch9wavefront6targetE0EEEvT1_
                                        ; -- End function
	.set _ZN7rocprim17ROCPRIM_400000_NS6detail17trampoline_kernelINS0_14default_configENS1_25partition_config_selectorILNS1_17partition_subalgoE8ElNS0_10empty_typeEbEEZZNS1_14partition_implILS5_8ELb0ES3_jPKlPS6_PKS6_NS0_5tupleIJPlS6_EEENSE_IJSB_SB_EEENS0_18inequality_wrapperIN6hipcub16HIPCUB_304000_NS8EqualityEEESF_JS6_EEE10hipError_tPvRmT3_T4_T5_T6_T7_T9_mT8_P12ihipStream_tbDpT10_ENKUlT_T0_E_clISt17integral_constantIbLb1EES16_EEDaS11_S12_EUlS11_E_NS1_11comp_targetILNS1_3genE4ELNS1_11target_archE910ELNS1_3gpuE8ELNS1_3repE0EEENS1_30default_config_static_selectorELNS0_4arch9wavefront6targetE0EEEvT1_.num_vgpr, 0
	.set _ZN7rocprim17ROCPRIM_400000_NS6detail17trampoline_kernelINS0_14default_configENS1_25partition_config_selectorILNS1_17partition_subalgoE8ElNS0_10empty_typeEbEEZZNS1_14partition_implILS5_8ELb0ES3_jPKlPS6_PKS6_NS0_5tupleIJPlS6_EEENSE_IJSB_SB_EEENS0_18inequality_wrapperIN6hipcub16HIPCUB_304000_NS8EqualityEEESF_JS6_EEE10hipError_tPvRmT3_T4_T5_T6_T7_T9_mT8_P12ihipStream_tbDpT10_ENKUlT_T0_E_clISt17integral_constantIbLb1EES16_EEDaS11_S12_EUlS11_E_NS1_11comp_targetILNS1_3genE4ELNS1_11target_archE910ELNS1_3gpuE8ELNS1_3repE0EEENS1_30default_config_static_selectorELNS0_4arch9wavefront6targetE0EEEvT1_.num_agpr, 0
	.set _ZN7rocprim17ROCPRIM_400000_NS6detail17trampoline_kernelINS0_14default_configENS1_25partition_config_selectorILNS1_17partition_subalgoE8ElNS0_10empty_typeEbEEZZNS1_14partition_implILS5_8ELb0ES3_jPKlPS6_PKS6_NS0_5tupleIJPlS6_EEENSE_IJSB_SB_EEENS0_18inequality_wrapperIN6hipcub16HIPCUB_304000_NS8EqualityEEESF_JS6_EEE10hipError_tPvRmT3_T4_T5_T6_T7_T9_mT8_P12ihipStream_tbDpT10_ENKUlT_T0_E_clISt17integral_constantIbLb1EES16_EEDaS11_S12_EUlS11_E_NS1_11comp_targetILNS1_3genE4ELNS1_11target_archE910ELNS1_3gpuE8ELNS1_3repE0EEENS1_30default_config_static_selectorELNS0_4arch9wavefront6targetE0EEEvT1_.numbered_sgpr, 0
	.set _ZN7rocprim17ROCPRIM_400000_NS6detail17trampoline_kernelINS0_14default_configENS1_25partition_config_selectorILNS1_17partition_subalgoE8ElNS0_10empty_typeEbEEZZNS1_14partition_implILS5_8ELb0ES3_jPKlPS6_PKS6_NS0_5tupleIJPlS6_EEENSE_IJSB_SB_EEENS0_18inequality_wrapperIN6hipcub16HIPCUB_304000_NS8EqualityEEESF_JS6_EEE10hipError_tPvRmT3_T4_T5_T6_T7_T9_mT8_P12ihipStream_tbDpT10_ENKUlT_T0_E_clISt17integral_constantIbLb1EES16_EEDaS11_S12_EUlS11_E_NS1_11comp_targetILNS1_3genE4ELNS1_11target_archE910ELNS1_3gpuE8ELNS1_3repE0EEENS1_30default_config_static_selectorELNS0_4arch9wavefront6targetE0EEEvT1_.num_named_barrier, 0
	.set _ZN7rocprim17ROCPRIM_400000_NS6detail17trampoline_kernelINS0_14default_configENS1_25partition_config_selectorILNS1_17partition_subalgoE8ElNS0_10empty_typeEbEEZZNS1_14partition_implILS5_8ELb0ES3_jPKlPS6_PKS6_NS0_5tupleIJPlS6_EEENSE_IJSB_SB_EEENS0_18inequality_wrapperIN6hipcub16HIPCUB_304000_NS8EqualityEEESF_JS6_EEE10hipError_tPvRmT3_T4_T5_T6_T7_T9_mT8_P12ihipStream_tbDpT10_ENKUlT_T0_E_clISt17integral_constantIbLb1EES16_EEDaS11_S12_EUlS11_E_NS1_11comp_targetILNS1_3genE4ELNS1_11target_archE910ELNS1_3gpuE8ELNS1_3repE0EEENS1_30default_config_static_selectorELNS0_4arch9wavefront6targetE0EEEvT1_.private_seg_size, 0
	.set _ZN7rocprim17ROCPRIM_400000_NS6detail17trampoline_kernelINS0_14default_configENS1_25partition_config_selectorILNS1_17partition_subalgoE8ElNS0_10empty_typeEbEEZZNS1_14partition_implILS5_8ELb0ES3_jPKlPS6_PKS6_NS0_5tupleIJPlS6_EEENSE_IJSB_SB_EEENS0_18inequality_wrapperIN6hipcub16HIPCUB_304000_NS8EqualityEEESF_JS6_EEE10hipError_tPvRmT3_T4_T5_T6_T7_T9_mT8_P12ihipStream_tbDpT10_ENKUlT_T0_E_clISt17integral_constantIbLb1EES16_EEDaS11_S12_EUlS11_E_NS1_11comp_targetILNS1_3genE4ELNS1_11target_archE910ELNS1_3gpuE8ELNS1_3repE0EEENS1_30default_config_static_selectorELNS0_4arch9wavefront6targetE0EEEvT1_.uses_vcc, 0
	.set _ZN7rocprim17ROCPRIM_400000_NS6detail17trampoline_kernelINS0_14default_configENS1_25partition_config_selectorILNS1_17partition_subalgoE8ElNS0_10empty_typeEbEEZZNS1_14partition_implILS5_8ELb0ES3_jPKlPS6_PKS6_NS0_5tupleIJPlS6_EEENSE_IJSB_SB_EEENS0_18inequality_wrapperIN6hipcub16HIPCUB_304000_NS8EqualityEEESF_JS6_EEE10hipError_tPvRmT3_T4_T5_T6_T7_T9_mT8_P12ihipStream_tbDpT10_ENKUlT_T0_E_clISt17integral_constantIbLb1EES16_EEDaS11_S12_EUlS11_E_NS1_11comp_targetILNS1_3genE4ELNS1_11target_archE910ELNS1_3gpuE8ELNS1_3repE0EEENS1_30default_config_static_selectorELNS0_4arch9wavefront6targetE0EEEvT1_.uses_flat_scratch, 0
	.set _ZN7rocprim17ROCPRIM_400000_NS6detail17trampoline_kernelINS0_14default_configENS1_25partition_config_selectorILNS1_17partition_subalgoE8ElNS0_10empty_typeEbEEZZNS1_14partition_implILS5_8ELb0ES3_jPKlPS6_PKS6_NS0_5tupleIJPlS6_EEENSE_IJSB_SB_EEENS0_18inequality_wrapperIN6hipcub16HIPCUB_304000_NS8EqualityEEESF_JS6_EEE10hipError_tPvRmT3_T4_T5_T6_T7_T9_mT8_P12ihipStream_tbDpT10_ENKUlT_T0_E_clISt17integral_constantIbLb1EES16_EEDaS11_S12_EUlS11_E_NS1_11comp_targetILNS1_3genE4ELNS1_11target_archE910ELNS1_3gpuE8ELNS1_3repE0EEENS1_30default_config_static_selectorELNS0_4arch9wavefront6targetE0EEEvT1_.has_dyn_sized_stack, 0
	.set _ZN7rocprim17ROCPRIM_400000_NS6detail17trampoline_kernelINS0_14default_configENS1_25partition_config_selectorILNS1_17partition_subalgoE8ElNS0_10empty_typeEbEEZZNS1_14partition_implILS5_8ELb0ES3_jPKlPS6_PKS6_NS0_5tupleIJPlS6_EEENSE_IJSB_SB_EEENS0_18inequality_wrapperIN6hipcub16HIPCUB_304000_NS8EqualityEEESF_JS6_EEE10hipError_tPvRmT3_T4_T5_T6_T7_T9_mT8_P12ihipStream_tbDpT10_ENKUlT_T0_E_clISt17integral_constantIbLb1EES16_EEDaS11_S12_EUlS11_E_NS1_11comp_targetILNS1_3genE4ELNS1_11target_archE910ELNS1_3gpuE8ELNS1_3repE0EEENS1_30default_config_static_selectorELNS0_4arch9wavefront6targetE0EEEvT1_.has_recursion, 0
	.set _ZN7rocprim17ROCPRIM_400000_NS6detail17trampoline_kernelINS0_14default_configENS1_25partition_config_selectorILNS1_17partition_subalgoE8ElNS0_10empty_typeEbEEZZNS1_14partition_implILS5_8ELb0ES3_jPKlPS6_PKS6_NS0_5tupleIJPlS6_EEENSE_IJSB_SB_EEENS0_18inequality_wrapperIN6hipcub16HIPCUB_304000_NS8EqualityEEESF_JS6_EEE10hipError_tPvRmT3_T4_T5_T6_T7_T9_mT8_P12ihipStream_tbDpT10_ENKUlT_T0_E_clISt17integral_constantIbLb1EES16_EEDaS11_S12_EUlS11_E_NS1_11comp_targetILNS1_3genE4ELNS1_11target_archE910ELNS1_3gpuE8ELNS1_3repE0EEENS1_30default_config_static_selectorELNS0_4arch9wavefront6targetE0EEEvT1_.has_indirect_call, 0
	.section	.AMDGPU.csdata,"",@progbits
; Kernel info:
; codeLenInByte = 0
; TotalNumSgprs: 0
; NumVgprs: 0
; ScratchSize: 0
; MemoryBound: 0
; FloatMode: 240
; IeeeMode: 1
; LDSByteSize: 0 bytes/workgroup (compile time only)
; SGPRBlocks: 0
; VGPRBlocks: 0
; NumSGPRsForWavesPerEU: 1
; NumVGPRsForWavesPerEU: 1
; NamedBarCnt: 0
; Occupancy: 16
; WaveLimiterHint : 0
; COMPUTE_PGM_RSRC2:SCRATCH_EN: 0
; COMPUTE_PGM_RSRC2:USER_SGPR: 2
; COMPUTE_PGM_RSRC2:TRAP_HANDLER: 0
; COMPUTE_PGM_RSRC2:TGID_X_EN: 1
; COMPUTE_PGM_RSRC2:TGID_Y_EN: 0
; COMPUTE_PGM_RSRC2:TGID_Z_EN: 0
; COMPUTE_PGM_RSRC2:TIDIG_COMP_CNT: 0
	.section	.text._ZN7rocprim17ROCPRIM_400000_NS6detail17trampoline_kernelINS0_14default_configENS1_25partition_config_selectorILNS1_17partition_subalgoE8ElNS0_10empty_typeEbEEZZNS1_14partition_implILS5_8ELb0ES3_jPKlPS6_PKS6_NS0_5tupleIJPlS6_EEENSE_IJSB_SB_EEENS0_18inequality_wrapperIN6hipcub16HIPCUB_304000_NS8EqualityEEESF_JS6_EEE10hipError_tPvRmT3_T4_T5_T6_T7_T9_mT8_P12ihipStream_tbDpT10_ENKUlT_T0_E_clISt17integral_constantIbLb1EES16_EEDaS11_S12_EUlS11_E_NS1_11comp_targetILNS1_3genE3ELNS1_11target_archE908ELNS1_3gpuE7ELNS1_3repE0EEENS1_30default_config_static_selectorELNS0_4arch9wavefront6targetE0EEEvT1_,"axG",@progbits,_ZN7rocprim17ROCPRIM_400000_NS6detail17trampoline_kernelINS0_14default_configENS1_25partition_config_selectorILNS1_17partition_subalgoE8ElNS0_10empty_typeEbEEZZNS1_14partition_implILS5_8ELb0ES3_jPKlPS6_PKS6_NS0_5tupleIJPlS6_EEENSE_IJSB_SB_EEENS0_18inequality_wrapperIN6hipcub16HIPCUB_304000_NS8EqualityEEESF_JS6_EEE10hipError_tPvRmT3_T4_T5_T6_T7_T9_mT8_P12ihipStream_tbDpT10_ENKUlT_T0_E_clISt17integral_constantIbLb1EES16_EEDaS11_S12_EUlS11_E_NS1_11comp_targetILNS1_3genE3ELNS1_11target_archE908ELNS1_3gpuE7ELNS1_3repE0EEENS1_30default_config_static_selectorELNS0_4arch9wavefront6targetE0EEEvT1_,comdat
	.protected	_ZN7rocprim17ROCPRIM_400000_NS6detail17trampoline_kernelINS0_14default_configENS1_25partition_config_selectorILNS1_17partition_subalgoE8ElNS0_10empty_typeEbEEZZNS1_14partition_implILS5_8ELb0ES3_jPKlPS6_PKS6_NS0_5tupleIJPlS6_EEENSE_IJSB_SB_EEENS0_18inequality_wrapperIN6hipcub16HIPCUB_304000_NS8EqualityEEESF_JS6_EEE10hipError_tPvRmT3_T4_T5_T6_T7_T9_mT8_P12ihipStream_tbDpT10_ENKUlT_T0_E_clISt17integral_constantIbLb1EES16_EEDaS11_S12_EUlS11_E_NS1_11comp_targetILNS1_3genE3ELNS1_11target_archE908ELNS1_3gpuE7ELNS1_3repE0EEENS1_30default_config_static_selectorELNS0_4arch9wavefront6targetE0EEEvT1_ ; -- Begin function _ZN7rocprim17ROCPRIM_400000_NS6detail17trampoline_kernelINS0_14default_configENS1_25partition_config_selectorILNS1_17partition_subalgoE8ElNS0_10empty_typeEbEEZZNS1_14partition_implILS5_8ELb0ES3_jPKlPS6_PKS6_NS0_5tupleIJPlS6_EEENSE_IJSB_SB_EEENS0_18inequality_wrapperIN6hipcub16HIPCUB_304000_NS8EqualityEEESF_JS6_EEE10hipError_tPvRmT3_T4_T5_T6_T7_T9_mT8_P12ihipStream_tbDpT10_ENKUlT_T0_E_clISt17integral_constantIbLb1EES16_EEDaS11_S12_EUlS11_E_NS1_11comp_targetILNS1_3genE3ELNS1_11target_archE908ELNS1_3gpuE7ELNS1_3repE0EEENS1_30default_config_static_selectorELNS0_4arch9wavefront6targetE0EEEvT1_
	.globl	_ZN7rocprim17ROCPRIM_400000_NS6detail17trampoline_kernelINS0_14default_configENS1_25partition_config_selectorILNS1_17partition_subalgoE8ElNS0_10empty_typeEbEEZZNS1_14partition_implILS5_8ELb0ES3_jPKlPS6_PKS6_NS0_5tupleIJPlS6_EEENSE_IJSB_SB_EEENS0_18inequality_wrapperIN6hipcub16HIPCUB_304000_NS8EqualityEEESF_JS6_EEE10hipError_tPvRmT3_T4_T5_T6_T7_T9_mT8_P12ihipStream_tbDpT10_ENKUlT_T0_E_clISt17integral_constantIbLb1EES16_EEDaS11_S12_EUlS11_E_NS1_11comp_targetILNS1_3genE3ELNS1_11target_archE908ELNS1_3gpuE7ELNS1_3repE0EEENS1_30default_config_static_selectorELNS0_4arch9wavefront6targetE0EEEvT1_
	.p2align	8
	.type	_ZN7rocprim17ROCPRIM_400000_NS6detail17trampoline_kernelINS0_14default_configENS1_25partition_config_selectorILNS1_17partition_subalgoE8ElNS0_10empty_typeEbEEZZNS1_14partition_implILS5_8ELb0ES3_jPKlPS6_PKS6_NS0_5tupleIJPlS6_EEENSE_IJSB_SB_EEENS0_18inequality_wrapperIN6hipcub16HIPCUB_304000_NS8EqualityEEESF_JS6_EEE10hipError_tPvRmT3_T4_T5_T6_T7_T9_mT8_P12ihipStream_tbDpT10_ENKUlT_T0_E_clISt17integral_constantIbLb1EES16_EEDaS11_S12_EUlS11_E_NS1_11comp_targetILNS1_3genE3ELNS1_11target_archE908ELNS1_3gpuE7ELNS1_3repE0EEENS1_30default_config_static_selectorELNS0_4arch9wavefront6targetE0EEEvT1_,@function
_ZN7rocprim17ROCPRIM_400000_NS6detail17trampoline_kernelINS0_14default_configENS1_25partition_config_selectorILNS1_17partition_subalgoE8ElNS0_10empty_typeEbEEZZNS1_14partition_implILS5_8ELb0ES3_jPKlPS6_PKS6_NS0_5tupleIJPlS6_EEENSE_IJSB_SB_EEENS0_18inequality_wrapperIN6hipcub16HIPCUB_304000_NS8EqualityEEESF_JS6_EEE10hipError_tPvRmT3_T4_T5_T6_T7_T9_mT8_P12ihipStream_tbDpT10_ENKUlT_T0_E_clISt17integral_constantIbLb1EES16_EEDaS11_S12_EUlS11_E_NS1_11comp_targetILNS1_3genE3ELNS1_11target_archE908ELNS1_3gpuE7ELNS1_3repE0EEENS1_30default_config_static_selectorELNS0_4arch9wavefront6targetE0EEEvT1_: ; @_ZN7rocprim17ROCPRIM_400000_NS6detail17trampoline_kernelINS0_14default_configENS1_25partition_config_selectorILNS1_17partition_subalgoE8ElNS0_10empty_typeEbEEZZNS1_14partition_implILS5_8ELb0ES3_jPKlPS6_PKS6_NS0_5tupleIJPlS6_EEENSE_IJSB_SB_EEENS0_18inequality_wrapperIN6hipcub16HIPCUB_304000_NS8EqualityEEESF_JS6_EEE10hipError_tPvRmT3_T4_T5_T6_T7_T9_mT8_P12ihipStream_tbDpT10_ENKUlT_T0_E_clISt17integral_constantIbLb1EES16_EEDaS11_S12_EUlS11_E_NS1_11comp_targetILNS1_3genE3ELNS1_11target_archE908ELNS1_3gpuE7ELNS1_3repE0EEENS1_30default_config_static_selectorELNS0_4arch9wavefront6targetE0EEEvT1_
; %bb.0:
	.section	.rodata,"a",@progbits
	.p2align	6, 0x0
	.amdhsa_kernel _ZN7rocprim17ROCPRIM_400000_NS6detail17trampoline_kernelINS0_14default_configENS1_25partition_config_selectorILNS1_17partition_subalgoE8ElNS0_10empty_typeEbEEZZNS1_14partition_implILS5_8ELb0ES3_jPKlPS6_PKS6_NS0_5tupleIJPlS6_EEENSE_IJSB_SB_EEENS0_18inequality_wrapperIN6hipcub16HIPCUB_304000_NS8EqualityEEESF_JS6_EEE10hipError_tPvRmT3_T4_T5_T6_T7_T9_mT8_P12ihipStream_tbDpT10_ENKUlT_T0_E_clISt17integral_constantIbLb1EES16_EEDaS11_S12_EUlS11_E_NS1_11comp_targetILNS1_3genE3ELNS1_11target_archE908ELNS1_3gpuE7ELNS1_3repE0EEENS1_30default_config_static_selectorELNS0_4arch9wavefront6targetE0EEEvT1_
		.amdhsa_group_segment_fixed_size 0
		.amdhsa_private_segment_fixed_size 0
		.amdhsa_kernarg_size 128
		.amdhsa_user_sgpr_count 2
		.amdhsa_user_sgpr_dispatch_ptr 0
		.amdhsa_user_sgpr_queue_ptr 0
		.amdhsa_user_sgpr_kernarg_segment_ptr 1
		.amdhsa_user_sgpr_dispatch_id 0
		.amdhsa_user_sgpr_kernarg_preload_length 0
		.amdhsa_user_sgpr_kernarg_preload_offset 0
		.amdhsa_user_sgpr_private_segment_size 0
		.amdhsa_wavefront_size32 1
		.amdhsa_uses_dynamic_stack 0
		.amdhsa_enable_private_segment 0
		.amdhsa_system_sgpr_workgroup_id_x 1
		.amdhsa_system_sgpr_workgroup_id_y 0
		.amdhsa_system_sgpr_workgroup_id_z 0
		.amdhsa_system_sgpr_workgroup_info 0
		.amdhsa_system_vgpr_workitem_id 0
		.amdhsa_next_free_vgpr 1
		.amdhsa_next_free_sgpr 1
		.amdhsa_named_barrier_count 0
		.amdhsa_reserve_vcc 0
		.amdhsa_float_round_mode_32 0
		.amdhsa_float_round_mode_16_64 0
		.amdhsa_float_denorm_mode_32 3
		.amdhsa_float_denorm_mode_16_64 3
		.amdhsa_fp16_overflow 0
		.amdhsa_memory_ordered 1
		.amdhsa_forward_progress 1
		.amdhsa_inst_pref_size 0
		.amdhsa_round_robin_scheduling 0
		.amdhsa_exception_fp_ieee_invalid_op 0
		.amdhsa_exception_fp_denorm_src 0
		.amdhsa_exception_fp_ieee_div_zero 0
		.amdhsa_exception_fp_ieee_overflow 0
		.amdhsa_exception_fp_ieee_underflow 0
		.amdhsa_exception_fp_ieee_inexact 0
		.amdhsa_exception_int_div_zero 0
	.end_amdhsa_kernel
	.section	.text._ZN7rocprim17ROCPRIM_400000_NS6detail17trampoline_kernelINS0_14default_configENS1_25partition_config_selectorILNS1_17partition_subalgoE8ElNS0_10empty_typeEbEEZZNS1_14partition_implILS5_8ELb0ES3_jPKlPS6_PKS6_NS0_5tupleIJPlS6_EEENSE_IJSB_SB_EEENS0_18inequality_wrapperIN6hipcub16HIPCUB_304000_NS8EqualityEEESF_JS6_EEE10hipError_tPvRmT3_T4_T5_T6_T7_T9_mT8_P12ihipStream_tbDpT10_ENKUlT_T0_E_clISt17integral_constantIbLb1EES16_EEDaS11_S12_EUlS11_E_NS1_11comp_targetILNS1_3genE3ELNS1_11target_archE908ELNS1_3gpuE7ELNS1_3repE0EEENS1_30default_config_static_selectorELNS0_4arch9wavefront6targetE0EEEvT1_,"axG",@progbits,_ZN7rocprim17ROCPRIM_400000_NS6detail17trampoline_kernelINS0_14default_configENS1_25partition_config_selectorILNS1_17partition_subalgoE8ElNS0_10empty_typeEbEEZZNS1_14partition_implILS5_8ELb0ES3_jPKlPS6_PKS6_NS0_5tupleIJPlS6_EEENSE_IJSB_SB_EEENS0_18inequality_wrapperIN6hipcub16HIPCUB_304000_NS8EqualityEEESF_JS6_EEE10hipError_tPvRmT3_T4_T5_T6_T7_T9_mT8_P12ihipStream_tbDpT10_ENKUlT_T0_E_clISt17integral_constantIbLb1EES16_EEDaS11_S12_EUlS11_E_NS1_11comp_targetILNS1_3genE3ELNS1_11target_archE908ELNS1_3gpuE7ELNS1_3repE0EEENS1_30default_config_static_selectorELNS0_4arch9wavefront6targetE0EEEvT1_,comdat
.Lfunc_end490:
	.size	_ZN7rocprim17ROCPRIM_400000_NS6detail17trampoline_kernelINS0_14default_configENS1_25partition_config_selectorILNS1_17partition_subalgoE8ElNS0_10empty_typeEbEEZZNS1_14partition_implILS5_8ELb0ES3_jPKlPS6_PKS6_NS0_5tupleIJPlS6_EEENSE_IJSB_SB_EEENS0_18inequality_wrapperIN6hipcub16HIPCUB_304000_NS8EqualityEEESF_JS6_EEE10hipError_tPvRmT3_T4_T5_T6_T7_T9_mT8_P12ihipStream_tbDpT10_ENKUlT_T0_E_clISt17integral_constantIbLb1EES16_EEDaS11_S12_EUlS11_E_NS1_11comp_targetILNS1_3genE3ELNS1_11target_archE908ELNS1_3gpuE7ELNS1_3repE0EEENS1_30default_config_static_selectorELNS0_4arch9wavefront6targetE0EEEvT1_, .Lfunc_end490-_ZN7rocprim17ROCPRIM_400000_NS6detail17trampoline_kernelINS0_14default_configENS1_25partition_config_selectorILNS1_17partition_subalgoE8ElNS0_10empty_typeEbEEZZNS1_14partition_implILS5_8ELb0ES3_jPKlPS6_PKS6_NS0_5tupleIJPlS6_EEENSE_IJSB_SB_EEENS0_18inequality_wrapperIN6hipcub16HIPCUB_304000_NS8EqualityEEESF_JS6_EEE10hipError_tPvRmT3_T4_T5_T6_T7_T9_mT8_P12ihipStream_tbDpT10_ENKUlT_T0_E_clISt17integral_constantIbLb1EES16_EEDaS11_S12_EUlS11_E_NS1_11comp_targetILNS1_3genE3ELNS1_11target_archE908ELNS1_3gpuE7ELNS1_3repE0EEENS1_30default_config_static_selectorELNS0_4arch9wavefront6targetE0EEEvT1_
                                        ; -- End function
	.set _ZN7rocprim17ROCPRIM_400000_NS6detail17trampoline_kernelINS0_14default_configENS1_25partition_config_selectorILNS1_17partition_subalgoE8ElNS0_10empty_typeEbEEZZNS1_14partition_implILS5_8ELb0ES3_jPKlPS6_PKS6_NS0_5tupleIJPlS6_EEENSE_IJSB_SB_EEENS0_18inequality_wrapperIN6hipcub16HIPCUB_304000_NS8EqualityEEESF_JS6_EEE10hipError_tPvRmT3_T4_T5_T6_T7_T9_mT8_P12ihipStream_tbDpT10_ENKUlT_T0_E_clISt17integral_constantIbLb1EES16_EEDaS11_S12_EUlS11_E_NS1_11comp_targetILNS1_3genE3ELNS1_11target_archE908ELNS1_3gpuE7ELNS1_3repE0EEENS1_30default_config_static_selectorELNS0_4arch9wavefront6targetE0EEEvT1_.num_vgpr, 0
	.set _ZN7rocprim17ROCPRIM_400000_NS6detail17trampoline_kernelINS0_14default_configENS1_25partition_config_selectorILNS1_17partition_subalgoE8ElNS0_10empty_typeEbEEZZNS1_14partition_implILS5_8ELb0ES3_jPKlPS6_PKS6_NS0_5tupleIJPlS6_EEENSE_IJSB_SB_EEENS0_18inequality_wrapperIN6hipcub16HIPCUB_304000_NS8EqualityEEESF_JS6_EEE10hipError_tPvRmT3_T4_T5_T6_T7_T9_mT8_P12ihipStream_tbDpT10_ENKUlT_T0_E_clISt17integral_constantIbLb1EES16_EEDaS11_S12_EUlS11_E_NS1_11comp_targetILNS1_3genE3ELNS1_11target_archE908ELNS1_3gpuE7ELNS1_3repE0EEENS1_30default_config_static_selectorELNS0_4arch9wavefront6targetE0EEEvT1_.num_agpr, 0
	.set _ZN7rocprim17ROCPRIM_400000_NS6detail17trampoline_kernelINS0_14default_configENS1_25partition_config_selectorILNS1_17partition_subalgoE8ElNS0_10empty_typeEbEEZZNS1_14partition_implILS5_8ELb0ES3_jPKlPS6_PKS6_NS0_5tupleIJPlS6_EEENSE_IJSB_SB_EEENS0_18inequality_wrapperIN6hipcub16HIPCUB_304000_NS8EqualityEEESF_JS6_EEE10hipError_tPvRmT3_T4_T5_T6_T7_T9_mT8_P12ihipStream_tbDpT10_ENKUlT_T0_E_clISt17integral_constantIbLb1EES16_EEDaS11_S12_EUlS11_E_NS1_11comp_targetILNS1_3genE3ELNS1_11target_archE908ELNS1_3gpuE7ELNS1_3repE0EEENS1_30default_config_static_selectorELNS0_4arch9wavefront6targetE0EEEvT1_.numbered_sgpr, 0
	.set _ZN7rocprim17ROCPRIM_400000_NS6detail17trampoline_kernelINS0_14default_configENS1_25partition_config_selectorILNS1_17partition_subalgoE8ElNS0_10empty_typeEbEEZZNS1_14partition_implILS5_8ELb0ES3_jPKlPS6_PKS6_NS0_5tupleIJPlS6_EEENSE_IJSB_SB_EEENS0_18inequality_wrapperIN6hipcub16HIPCUB_304000_NS8EqualityEEESF_JS6_EEE10hipError_tPvRmT3_T4_T5_T6_T7_T9_mT8_P12ihipStream_tbDpT10_ENKUlT_T0_E_clISt17integral_constantIbLb1EES16_EEDaS11_S12_EUlS11_E_NS1_11comp_targetILNS1_3genE3ELNS1_11target_archE908ELNS1_3gpuE7ELNS1_3repE0EEENS1_30default_config_static_selectorELNS0_4arch9wavefront6targetE0EEEvT1_.num_named_barrier, 0
	.set _ZN7rocprim17ROCPRIM_400000_NS6detail17trampoline_kernelINS0_14default_configENS1_25partition_config_selectorILNS1_17partition_subalgoE8ElNS0_10empty_typeEbEEZZNS1_14partition_implILS5_8ELb0ES3_jPKlPS6_PKS6_NS0_5tupleIJPlS6_EEENSE_IJSB_SB_EEENS0_18inequality_wrapperIN6hipcub16HIPCUB_304000_NS8EqualityEEESF_JS6_EEE10hipError_tPvRmT3_T4_T5_T6_T7_T9_mT8_P12ihipStream_tbDpT10_ENKUlT_T0_E_clISt17integral_constantIbLb1EES16_EEDaS11_S12_EUlS11_E_NS1_11comp_targetILNS1_3genE3ELNS1_11target_archE908ELNS1_3gpuE7ELNS1_3repE0EEENS1_30default_config_static_selectorELNS0_4arch9wavefront6targetE0EEEvT1_.private_seg_size, 0
	.set _ZN7rocprim17ROCPRIM_400000_NS6detail17trampoline_kernelINS0_14default_configENS1_25partition_config_selectorILNS1_17partition_subalgoE8ElNS0_10empty_typeEbEEZZNS1_14partition_implILS5_8ELb0ES3_jPKlPS6_PKS6_NS0_5tupleIJPlS6_EEENSE_IJSB_SB_EEENS0_18inequality_wrapperIN6hipcub16HIPCUB_304000_NS8EqualityEEESF_JS6_EEE10hipError_tPvRmT3_T4_T5_T6_T7_T9_mT8_P12ihipStream_tbDpT10_ENKUlT_T0_E_clISt17integral_constantIbLb1EES16_EEDaS11_S12_EUlS11_E_NS1_11comp_targetILNS1_3genE3ELNS1_11target_archE908ELNS1_3gpuE7ELNS1_3repE0EEENS1_30default_config_static_selectorELNS0_4arch9wavefront6targetE0EEEvT1_.uses_vcc, 0
	.set _ZN7rocprim17ROCPRIM_400000_NS6detail17trampoline_kernelINS0_14default_configENS1_25partition_config_selectorILNS1_17partition_subalgoE8ElNS0_10empty_typeEbEEZZNS1_14partition_implILS5_8ELb0ES3_jPKlPS6_PKS6_NS0_5tupleIJPlS6_EEENSE_IJSB_SB_EEENS0_18inequality_wrapperIN6hipcub16HIPCUB_304000_NS8EqualityEEESF_JS6_EEE10hipError_tPvRmT3_T4_T5_T6_T7_T9_mT8_P12ihipStream_tbDpT10_ENKUlT_T0_E_clISt17integral_constantIbLb1EES16_EEDaS11_S12_EUlS11_E_NS1_11comp_targetILNS1_3genE3ELNS1_11target_archE908ELNS1_3gpuE7ELNS1_3repE0EEENS1_30default_config_static_selectorELNS0_4arch9wavefront6targetE0EEEvT1_.uses_flat_scratch, 0
	.set _ZN7rocprim17ROCPRIM_400000_NS6detail17trampoline_kernelINS0_14default_configENS1_25partition_config_selectorILNS1_17partition_subalgoE8ElNS0_10empty_typeEbEEZZNS1_14partition_implILS5_8ELb0ES3_jPKlPS6_PKS6_NS0_5tupleIJPlS6_EEENSE_IJSB_SB_EEENS0_18inequality_wrapperIN6hipcub16HIPCUB_304000_NS8EqualityEEESF_JS6_EEE10hipError_tPvRmT3_T4_T5_T6_T7_T9_mT8_P12ihipStream_tbDpT10_ENKUlT_T0_E_clISt17integral_constantIbLb1EES16_EEDaS11_S12_EUlS11_E_NS1_11comp_targetILNS1_3genE3ELNS1_11target_archE908ELNS1_3gpuE7ELNS1_3repE0EEENS1_30default_config_static_selectorELNS0_4arch9wavefront6targetE0EEEvT1_.has_dyn_sized_stack, 0
	.set _ZN7rocprim17ROCPRIM_400000_NS6detail17trampoline_kernelINS0_14default_configENS1_25partition_config_selectorILNS1_17partition_subalgoE8ElNS0_10empty_typeEbEEZZNS1_14partition_implILS5_8ELb0ES3_jPKlPS6_PKS6_NS0_5tupleIJPlS6_EEENSE_IJSB_SB_EEENS0_18inequality_wrapperIN6hipcub16HIPCUB_304000_NS8EqualityEEESF_JS6_EEE10hipError_tPvRmT3_T4_T5_T6_T7_T9_mT8_P12ihipStream_tbDpT10_ENKUlT_T0_E_clISt17integral_constantIbLb1EES16_EEDaS11_S12_EUlS11_E_NS1_11comp_targetILNS1_3genE3ELNS1_11target_archE908ELNS1_3gpuE7ELNS1_3repE0EEENS1_30default_config_static_selectorELNS0_4arch9wavefront6targetE0EEEvT1_.has_recursion, 0
	.set _ZN7rocprim17ROCPRIM_400000_NS6detail17trampoline_kernelINS0_14default_configENS1_25partition_config_selectorILNS1_17partition_subalgoE8ElNS0_10empty_typeEbEEZZNS1_14partition_implILS5_8ELb0ES3_jPKlPS6_PKS6_NS0_5tupleIJPlS6_EEENSE_IJSB_SB_EEENS0_18inequality_wrapperIN6hipcub16HIPCUB_304000_NS8EqualityEEESF_JS6_EEE10hipError_tPvRmT3_T4_T5_T6_T7_T9_mT8_P12ihipStream_tbDpT10_ENKUlT_T0_E_clISt17integral_constantIbLb1EES16_EEDaS11_S12_EUlS11_E_NS1_11comp_targetILNS1_3genE3ELNS1_11target_archE908ELNS1_3gpuE7ELNS1_3repE0EEENS1_30default_config_static_selectorELNS0_4arch9wavefront6targetE0EEEvT1_.has_indirect_call, 0
	.section	.AMDGPU.csdata,"",@progbits
; Kernel info:
; codeLenInByte = 0
; TotalNumSgprs: 0
; NumVgprs: 0
; ScratchSize: 0
; MemoryBound: 0
; FloatMode: 240
; IeeeMode: 1
; LDSByteSize: 0 bytes/workgroup (compile time only)
; SGPRBlocks: 0
; VGPRBlocks: 0
; NumSGPRsForWavesPerEU: 1
; NumVGPRsForWavesPerEU: 1
; NamedBarCnt: 0
; Occupancy: 16
; WaveLimiterHint : 0
; COMPUTE_PGM_RSRC2:SCRATCH_EN: 0
; COMPUTE_PGM_RSRC2:USER_SGPR: 2
; COMPUTE_PGM_RSRC2:TRAP_HANDLER: 0
; COMPUTE_PGM_RSRC2:TGID_X_EN: 1
; COMPUTE_PGM_RSRC2:TGID_Y_EN: 0
; COMPUTE_PGM_RSRC2:TGID_Z_EN: 0
; COMPUTE_PGM_RSRC2:TIDIG_COMP_CNT: 0
	.section	.text._ZN7rocprim17ROCPRIM_400000_NS6detail17trampoline_kernelINS0_14default_configENS1_25partition_config_selectorILNS1_17partition_subalgoE8ElNS0_10empty_typeEbEEZZNS1_14partition_implILS5_8ELb0ES3_jPKlPS6_PKS6_NS0_5tupleIJPlS6_EEENSE_IJSB_SB_EEENS0_18inequality_wrapperIN6hipcub16HIPCUB_304000_NS8EqualityEEESF_JS6_EEE10hipError_tPvRmT3_T4_T5_T6_T7_T9_mT8_P12ihipStream_tbDpT10_ENKUlT_T0_E_clISt17integral_constantIbLb1EES16_EEDaS11_S12_EUlS11_E_NS1_11comp_targetILNS1_3genE2ELNS1_11target_archE906ELNS1_3gpuE6ELNS1_3repE0EEENS1_30default_config_static_selectorELNS0_4arch9wavefront6targetE0EEEvT1_,"axG",@progbits,_ZN7rocprim17ROCPRIM_400000_NS6detail17trampoline_kernelINS0_14default_configENS1_25partition_config_selectorILNS1_17partition_subalgoE8ElNS0_10empty_typeEbEEZZNS1_14partition_implILS5_8ELb0ES3_jPKlPS6_PKS6_NS0_5tupleIJPlS6_EEENSE_IJSB_SB_EEENS0_18inequality_wrapperIN6hipcub16HIPCUB_304000_NS8EqualityEEESF_JS6_EEE10hipError_tPvRmT3_T4_T5_T6_T7_T9_mT8_P12ihipStream_tbDpT10_ENKUlT_T0_E_clISt17integral_constantIbLb1EES16_EEDaS11_S12_EUlS11_E_NS1_11comp_targetILNS1_3genE2ELNS1_11target_archE906ELNS1_3gpuE6ELNS1_3repE0EEENS1_30default_config_static_selectorELNS0_4arch9wavefront6targetE0EEEvT1_,comdat
	.protected	_ZN7rocprim17ROCPRIM_400000_NS6detail17trampoline_kernelINS0_14default_configENS1_25partition_config_selectorILNS1_17partition_subalgoE8ElNS0_10empty_typeEbEEZZNS1_14partition_implILS5_8ELb0ES3_jPKlPS6_PKS6_NS0_5tupleIJPlS6_EEENSE_IJSB_SB_EEENS0_18inequality_wrapperIN6hipcub16HIPCUB_304000_NS8EqualityEEESF_JS6_EEE10hipError_tPvRmT3_T4_T5_T6_T7_T9_mT8_P12ihipStream_tbDpT10_ENKUlT_T0_E_clISt17integral_constantIbLb1EES16_EEDaS11_S12_EUlS11_E_NS1_11comp_targetILNS1_3genE2ELNS1_11target_archE906ELNS1_3gpuE6ELNS1_3repE0EEENS1_30default_config_static_selectorELNS0_4arch9wavefront6targetE0EEEvT1_ ; -- Begin function _ZN7rocprim17ROCPRIM_400000_NS6detail17trampoline_kernelINS0_14default_configENS1_25partition_config_selectorILNS1_17partition_subalgoE8ElNS0_10empty_typeEbEEZZNS1_14partition_implILS5_8ELb0ES3_jPKlPS6_PKS6_NS0_5tupleIJPlS6_EEENSE_IJSB_SB_EEENS0_18inequality_wrapperIN6hipcub16HIPCUB_304000_NS8EqualityEEESF_JS6_EEE10hipError_tPvRmT3_T4_T5_T6_T7_T9_mT8_P12ihipStream_tbDpT10_ENKUlT_T0_E_clISt17integral_constantIbLb1EES16_EEDaS11_S12_EUlS11_E_NS1_11comp_targetILNS1_3genE2ELNS1_11target_archE906ELNS1_3gpuE6ELNS1_3repE0EEENS1_30default_config_static_selectorELNS0_4arch9wavefront6targetE0EEEvT1_
	.globl	_ZN7rocprim17ROCPRIM_400000_NS6detail17trampoline_kernelINS0_14default_configENS1_25partition_config_selectorILNS1_17partition_subalgoE8ElNS0_10empty_typeEbEEZZNS1_14partition_implILS5_8ELb0ES3_jPKlPS6_PKS6_NS0_5tupleIJPlS6_EEENSE_IJSB_SB_EEENS0_18inequality_wrapperIN6hipcub16HIPCUB_304000_NS8EqualityEEESF_JS6_EEE10hipError_tPvRmT3_T4_T5_T6_T7_T9_mT8_P12ihipStream_tbDpT10_ENKUlT_T0_E_clISt17integral_constantIbLb1EES16_EEDaS11_S12_EUlS11_E_NS1_11comp_targetILNS1_3genE2ELNS1_11target_archE906ELNS1_3gpuE6ELNS1_3repE0EEENS1_30default_config_static_selectorELNS0_4arch9wavefront6targetE0EEEvT1_
	.p2align	8
	.type	_ZN7rocprim17ROCPRIM_400000_NS6detail17trampoline_kernelINS0_14default_configENS1_25partition_config_selectorILNS1_17partition_subalgoE8ElNS0_10empty_typeEbEEZZNS1_14partition_implILS5_8ELb0ES3_jPKlPS6_PKS6_NS0_5tupleIJPlS6_EEENSE_IJSB_SB_EEENS0_18inequality_wrapperIN6hipcub16HIPCUB_304000_NS8EqualityEEESF_JS6_EEE10hipError_tPvRmT3_T4_T5_T6_T7_T9_mT8_P12ihipStream_tbDpT10_ENKUlT_T0_E_clISt17integral_constantIbLb1EES16_EEDaS11_S12_EUlS11_E_NS1_11comp_targetILNS1_3genE2ELNS1_11target_archE906ELNS1_3gpuE6ELNS1_3repE0EEENS1_30default_config_static_selectorELNS0_4arch9wavefront6targetE0EEEvT1_,@function
_ZN7rocprim17ROCPRIM_400000_NS6detail17trampoline_kernelINS0_14default_configENS1_25partition_config_selectorILNS1_17partition_subalgoE8ElNS0_10empty_typeEbEEZZNS1_14partition_implILS5_8ELb0ES3_jPKlPS6_PKS6_NS0_5tupleIJPlS6_EEENSE_IJSB_SB_EEENS0_18inequality_wrapperIN6hipcub16HIPCUB_304000_NS8EqualityEEESF_JS6_EEE10hipError_tPvRmT3_T4_T5_T6_T7_T9_mT8_P12ihipStream_tbDpT10_ENKUlT_T0_E_clISt17integral_constantIbLb1EES16_EEDaS11_S12_EUlS11_E_NS1_11comp_targetILNS1_3genE2ELNS1_11target_archE906ELNS1_3gpuE6ELNS1_3repE0EEENS1_30default_config_static_selectorELNS0_4arch9wavefront6targetE0EEEvT1_: ; @_ZN7rocprim17ROCPRIM_400000_NS6detail17trampoline_kernelINS0_14default_configENS1_25partition_config_selectorILNS1_17partition_subalgoE8ElNS0_10empty_typeEbEEZZNS1_14partition_implILS5_8ELb0ES3_jPKlPS6_PKS6_NS0_5tupleIJPlS6_EEENSE_IJSB_SB_EEENS0_18inequality_wrapperIN6hipcub16HIPCUB_304000_NS8EqualityEEESF_JS6_EEE10hipError_tPvRmT3_T4_T5_T6_T7_T9_mT8_P12ihipStream_tbDpT10_ENKUlT_T0_E_clISt17integral_constantIbLb1EES16_EEDaS11_S12_EUlS11_E_NS1_11comp_targetILNS1_3genE2ELNS1_11target_archE906ELNS1_3gpuE6ELNS1_3repE0EEENS1_30default_config_static_selectorELNS0_4arch9wavefront6targetE0EEEvT1_
; %bb.0:
	.section	.rodata,"a",@progbits
	.p2align	6, 0x0
	.amdhsa_kernel _ZN7rocprim17ROCPRIM_400000_NS6detail17trampoline_kernelINS0_14default_configENS1_25partition_config_selectorILNS1_17partition_subalgoE8ElNS0_10empty_typeEbEEZZNS1_14partition_implILS5_8ELb0ES3_jPKlPS6_PKS6_NS0_5tupleIJPlS6_EEENSE_IJSB_SB_EEENS0_18inequality_wrapperIN6hipcub16HIPCUB_304000_NS8EqualityEEESF_JS6_EEE10hipError_tPvRmT3_T4_T5_T6_T7_T9_mT8_P12ihipStream_tbDpT10_ENKUlT_T0_E_clISt17integral_constantIbLb1EES16_EEDaS11_S12_EUlS11_E_NS1_11comp_targetILNS1_3genE2ELNS1_11target_archE906ELNS1_3gpuE6ELNS1_3repE0EEENS1_30default_config_static_selectorELNS0_4arch9wavefront6targetE0EEEvT1_
		.amdhsa_group_segment_fixed_size 0
		.amdhsa_private_segment_fixed_size 0
		.amdhsa_kernarg_size 128
		.amdhsa_user_sgpr_count 2
		.amdhsa_user_sgpr_dispatch_ptr 0
		.amdhsa_user_sgpr_queue_ptr 0
		.amdhsa_user_sgpr_kernarg_segment_ptr 1
		.amdhsa_user_sgpr_dispatch_id 0
		.amdhsa_user_sgpr_kernarg_preload_length 0
		.amdhsa_user_sgpr_kernarg_preload_offset 0
		.amdhsa_user_sgpr_private_segment_size 0
		.amdhsa_wavefront_size32 1
		.amdhsa_uses_dynamic_stack 0
		.amdhsa_enable_private_segment 0
		.amdhsa_system_sgpr_workgroup_id_x 1
		.amdhsa_system_sgpr_workgroup_id_y 0
		.amdhsa_system_sgpr_workgroup_id_z 0
		.amdhsa_system_sgpr_workgroup_info 0
		.amdhsa_system_vgpr_workitem_id 0
		.amdhsa_next_free_vgpr 1
		.amdhsa_next_free_sgpr 1
		.amdhsa_named_barrier_count 0
		.amdhsa_reserve_vcc 0
		.amdhsa_float_round_mode_32 0
		.amdhsa_float_round_mode_16_64 0
		.amdhsa_float_denorm_mode_32 3
		.amdhsa_float_denorm_mode_16_64 3
		.amdhsa_fp16_overflow 0
		.amdhsa_memory_ordered 1
		.amdhsa_forward_progress 1
		.amdhsa_inst_pref_size 0
		.amdhsa_round_robin_scheduling 0
		.amdhsa_exception_fp_ieee_invalid_op 0
		.amdhsa_exception_fp_denorm_src 0
		.amdhsa_exception_fp_ieee_div_zero 0
		.amdhsa_exception_fp_ieee_overflow 0
		.amdhsa_exception_fp_ieee_underflow 0
		.amdhsa_exception_fp_ieee_inexact 0
		.amdhsa_exception_int_div_zero 0
	.end_amdhsa_kernel
	.section	.text._ZN7rocprim17ROCPRIM_400000_NS6detail17trampoline_kernelINS0_14default_configENS1_25partition_config_selectorILNS1_17partition_subalgoE8ElNS0_10empty_typeEbEEZZNS1_14partition_implILS5_8ELb0ES3_jPKlPS6_PKS6_NS0_5tupleIJPlS6_EEENSE_IJSB_SB_EEENS0_18inequality_wrapperIN6hipcub16HIPCUB_304000_NS8EqualityEEESF_JS6_EEE10hipError_tPvRmT3_T4_T5_T6_T7_T9_mT8_P12ihipStream_tbDpT10_ENKUlT_T0_E_clISt17integral_constantIbLb1EES16_EEDaS11_S12_EUlS11_E_NS1_11comp_targetILNS1_3genE2ELNS1_11target_archE906ELNS1_3gpuE6ELNS1_3repE0EEENS1_30default_config_static_selectorELNS0_4arch9wavefront6targetE0EEEvT1_,"axG",@progbits,_ZN7rocprim17ROCPRIM_400000_NS6detail17trampoline_kernelINS0_14default_configENS1_25partition_config_selectorILNS1_17partition_subalgoE8ElNS0_10empty_typeEbEEZZNS1_14partition_implILS5_8ELb0ES3_jPKlPS6_PKS6_NS0_5tupleIJPlS6_EEENSE_IJSB_SB_EEENS0_18inequality_wrapperIN6hipcub16HIPCUB_304000_NS8EqualityEEESF_JS6_EEE10hipError_tPvRmT3_T4_T5_T6_T7_T9_mT8_P12ihipStream_tbDpT10_ENKUlT_T0_E_clISt17integral_constantIbLb1EES16_EEDaS11_S12_EUlS11_E_NS1_11comp_targetILNS1_3genE2ELNS1_11target_archE906ELNS1_3gpuE6ELNS1_3repE0EEENS1_30default_config_static_selectorELNS0_4arch9wavefront6targetE0EEEvT1_,comdat
.Lfunc_end491:
	.size	_ZN7rocprim17ROCPRIM_400000_NS6detail17trampoline_kernelINS0_14default_configENS1_25partition_config_selectorILNS1_17partition_subalgoE8ElNS0_10empty_typeEbEEZZNS1_14partition_implILS5_8ELb0ES3_jPKlPS6_PKS6_NS0_5tupleIJPlS6_EEENSE_IJSB_SB_EEENS0_18inequality_wrapperIN6hipcub16HIPCUB_304000_NS8EqualityEEESF_JS6_EEE10hipError_tPvRmT3_T4_T5_T6_T7_T9_mT8_P12ihipStream_tbDpT10_ENKUlT_T0_E_clISt17integral_constantIbLb1EES16_EEDaS11_S12_EUlS11_E_NS1_11comp_targetILNS1_3genE2ELNS1_11target_archE906ELNS1_3gpuE6ELNS1_3repE0EEENS1_30default_config_static_selectorELNS0_4arch9wavefront6targetE0EEEvT1_, .Lfunc_end491-_ZN7rocprim17ROCPRIM_400000_NS6detail17trampoline_kernelINS0_14default_configENS1_25partition_config_selectorILNS1_17partition_subalgoE8ElNS0_10empty_typeEbEEZZNS1_14partition_implILS5_8ELb0ES3_jPKlPS6_PKS6_NS0_5tupleIJPlS6_EEENSE_IJSB_SB_EEENS0_18inequality_wrapperIN6hipcub16HIPCUB_304000_NS8EqualityEEESF_JS6_EEE10hipError_tPvRmT3_T4_T5_T6_T7_T9_mT8_P12ihipStream_tbDpT10_ENKUlT_T0_E_clISt17integral_constantIbLb1EES16_EEDaS11_S12_EUlS11_E_NS1_11comp_targetILNS1_3genE2ELNS1_11target_archE906ELNS1_3gpuE6ELNS1_3repE0EEENS1_30default_config_static_selectorELNS0_4arch9wavefront6targetE0EEEvT1_
                                        ; -- End function
	.set _ZN7rocprim17ROCPRIM_400000_NS6detail17trampoline_kernelINS0_14default_configENS1_25partition_config_selectorILNS1_17partition_subalgoE8ElNS0_10empty_typeEbEEZZNS1_14partition_implILS5_8ELb0ES3_jPKlPS6_PKS6_NS0_5tupleIJPlS6_EEENSE_IJSB_SB_EEENS0_18inequality_wrapperIN6hipcub16HIPCUB_304000_NS8EqualityEEESF_JS6_EEE10hipError_tPvRmT3_T4_T5_T6_T7_T9_mT8_P12ihipStream_tbDpT10_ENKUlT_T0_E_clISt17integral_constantIbLb1EES16_EEDaS11_S12_EUlS11_E_NS1_11comp_targetILNS1_3genE2ELNS1_11target_archE906ELNS1_3gpuE6ELNS1_3repE0EEENS1_30default_config_static_selectorELNS0_4arch9wavefront6targetE0EEEvT1_.num_vgpr, 0
	.set _ZN7rocprim17ROCPRIM_400000_NS6detail17trampoline_kernelINS0_14default_configENS1_25partition_config_selectorILNS1_17partition_subalgoE8ElNS0_10empty_typeEbEEZZNS1_14partition_implILS5_8ELb0ES3_jPKlPS6_PKS6_NS0_5tupleIJPlS6_EEENSE_IJSB_SB_EEENS0_18inequality_wrapperIN6hipcub16HIPCUB_304000_NS8EqualityEEESF_JS6_EEE10hipError_tPvRmT3_T4_T5_T6_T7_T9_mT8_P12ihipStream_tbDpT10_ENKUlT_T0_E_clISt17integral_constantIbLb1EES16_EEDaS11_S12_EUlS11_E_NS1_11comp_targetILNS1_3genE2ELNS1_11target_archE906ELNS1_3gpuE6ELNS1_3repE0EEENS1_30default_config_static_selectorELNS0_4arch9wavefront6targetE0EEEvT1_.num_agpr, 0
	.set _ZN7rocprim17ROCPRIM_400000_NS6detail17trampoline_kernelINS0_14default_configENS1_25partition_config_selectorILNS1_17partition_subalgoE8ElNS0_10empty_typeEbEEZZNS1_14partition_implILS5_8ELb0ES3_jPKlPS6_PKS6_NS0_5tupleIJPlS6_EEENSE_IJSB_SB_EEENS0_18inequality_wrapperIN6hipcub16HIPCUB_304000_NS8EqualityEEESF_JS6_EEE10hipError_tPvRmT3_T4_T5_T6_T7_T9_mT8_P12ihipStream_tbDpT10_ENKUlT_T0_E_clISt17integral_constantIbLb1EES16_EEDaS11_S12_EUlS11_E_NS1_11comp_targetILNS1_3genE2ELNS1_11target_archE906ELNS1_3gpuE6ELNS1_3repE0EEENS1_30default_config_static_selectorELNS0_4arch9wavefront6targetE0EEEvT1_.numbered_sgpr, 0
	.set _ZN7rocprim17ROCPRIM_400000_NS6detail17trampoline_kernelINS0_14default_configENS1_25partition_config_selectorILNS1_17partition_subalgoE8ElNS0_10empty_typeEbEEZZNS1_14partition_implILS5_8ELb0ES3_jPKlPS6_PKS6_NS0_5tupleIJPlS6_EEENSE_IJSB_SB_EEENS0_18inequality_wrapperIN6hipcub16HIPCUB_304000_NS8EqualityEEESF_JS6_EEE10hipError_tPvRmT3_T4_T5_T6_T7_T9_mT8_P12ihipStream_tbDpT10_ENKUlT_T0_E_clISt17integral_constantIbLb1EES16_EEDaS11_S12_EUlS11_E_NS1_11comp_targetILNS1_3genE2ELNS1_11target_archE906ELNS1_3gpuE6ELNS1_3repE0EEENS1_30default_config_static_selectorELNS0_4arch9wavefront6targetE0EEEvT1_.num_named_barrier, 0
	.set _ZN7rocprim17ROCPRIM_400000_NS6detail17trampoline_kernelINS0_14default_configENS1_25partition_config_selectorILNS1_17partition_subalgoE8ElNS0_10empty_typeEbEEZZNS1_14partition_implILS5_8ELb0ES3_jPKlPS6_PKS6_NS0_5tupleIJPlS6_EEENSE_IJSB_SB_EEENS0_18inequality_wrapperIN6hipcub16HIPCUB_304000_NS8EqualityEEESF_JS6_EEE10hipError_tPvRmT3_T4_T5_T6_T7_T9_mT8_P12ihipStream_tbDpT10_ENKUlT_T0_E_clISt17integral_constantIbLb1EES16_EEDaS11_S12_EUlS11_E_NS1_11comp_targetILNS1_3genE2ELNS1_11target_archE906ELNS1_3gpuE6ELNS1_3repE0EEENS1_30default_config_static_selectorELNS0_4arch9wavefront6targetE0EEEvT1_.private_seg_size, 0
	.set _ZN7rocprim17ROCPRIM_400000_NS6detail17trampoline_kernelINS0_14default_configENS1_25partition_config_selectorILNS1_17partition_subalgoE8ElNS0_10empty_typeEbEEZZNS1_14partition_implILS5_8ELb0ES3_jPKlPS6_PKS6_NS0_5tupleIJPlS6_EEENSE_IJSB_SB_EEENS0_18inequality_wrapperIN6hipcub16HIPCUB_304000_NS8EqualityEEESF_JS6_EEE10hipError_tPvRmT3_T4_T5_T6_T7_T9_mT8_P12ihipStream_tbDpT10_ENKUlT_T0_E_clISt17integral_constantIbLb1EES16_EEDaS11_S12_EUlS11_E_NS1_11comp_targetILNS1_3genE2ELNS1_11target_archE906ELNS1_3gpuE6ELNS1_3repE0EEENS1_30default_config_static_selectorELNS0_4arch9wavefront6targetE0EEEvT1_.uses_vcc, 0
	.set _ZN7rocprim17ROCPRIM_400000_NS6detail17trampoline_kernelINS0_14default_configENS1_25partition_config_selectorILNS1_17partition_subalgoE8ElNS0_10empty_typeEbEEZZNS1_14partition_implILS5_8ELb0ES3_jPKlPS6_PKS6_NS0_5tupleIJPlS6_EEENSE_IJSB_SB_EEENS0_18inequality_wrapperIN6hipcub16HIPCUB_304000_NS8EqualityEEESF_JS6_EEE10hipError_tPvRmT3_T4_T5_T6_T7_T9_mT8_P12ihipStream_tbDpT10_ENKUlT_T0_E_clISt17integral_constantIbLb1EES16_EEDaS11_S12_EUlS11_E_NS1_11comp_targetILNS1_3genE2ELNS1_11target_archE906ELNS1_3gpuE6ELNS1_3repE0EEENS1_30default_config_static_selectorELNS0_4arch9wavefront6targetE0EEEvT1_.uses_flat_scratch, 0
	.set _ZN7rocprim17ROCPRIM_400000_NS6detail17trampoline_kernelINS0_14default_configENS1_25partition_config_selectorILNS1_17partition_subalgoE8ElNS0_10empty_typeEbEEZZNS1_14partition_implILS5_8ELb0ES3_jPKlPS6_PKS6_NS0_5tupleIJPlS6_EEENSE_IJSB_SB_EEENS0_18inequality_wrapperIN6hipcub16HIPCUB_304000_NS8EqualityEEESF_JS6_EEE10hipError_tPvRmT3_T4_T5_T6_T7_T9_mT8_P12ihipStream_tbDpT10_ENKUlT_T0_E_clISt17integral_constantIbLb1EES16_EEDaS11_S12_EUlS11_E_NS1_11comp_targetILNS1_3genE2ELNS1_11target_archE906ELNS1_3gpuE6ELNS1_3repE0EEENS1_30default_config_static_selectorELNS0_4arch9wavefront6targetE0EEEvT1_.has_dyn_sized_stack, 0
	.set _ZN7rocprim17ROCPRIM_400000_NS6detail17trampoline_kernelINS0_14default_configENS1_25partition_config_selectorILNS1_17partition_subalgoE8ElNS0_10empty_typeEbEEZZNS1_14partition_implILS5_8ELb0ES3_jPKlPS6_PKS6_NS0_5tupleIJPlS6_EEENSE_IJSB_SB_EEENS0_18inequality_wrapperIN6hipcub16HIPCUB_304000_NS8EqualityEEESF_JS6_EEE10hipError_tPvRmT3_T4_T5_T6_T7_T9_mT8_P12ihipStream_tbDpT10_ENKUlT_T0_E_clISt17integral_constantIbLb1EES16_EEDaS11_S12_EUlS11_E_NS1_11comp_targetILNS1_3genE2ELNS1_11target_archE906ELNS1_3gpuE6ELNS1_3repE0EEENS1_30default_config_static_selectorELNS0_4arch9wavefront6targetE0EEEvT1_.has_recursion, 0
	.set _ZN7rocprim17ROCPRIM_400000_NS6detail17trampoline_kernelINS0_14default_configENS1_25partition_config_selectorILNS1_17partition_subalgoE8ElNS0_10empty_typeEbEEZZNS1_14partition_implILS5_8ELb0ES3_jPKlPS6_PKS6_NS0_5tupleIJPlS6_EEENSE_IJSB_SB_EEENS0_18inequality_wrapperIN6hipcub16HIPCUB_304000_NS8EqualityEEESF_JS6_EEE10hipError_tPvRmT3_T4_T5_T6_T7_T9_mT8_P12ihipStream_tbDpT10_ENKUlT_T0_E_clISt17integral_constantIbLb1EES16_EEDaS11_S12_EUlS11_E_NS1_11comp_targetILNS1_3genE2ELNS1_11target_archE906ELNS1_3gpuE6ELNS1_3repE0EEENS1_30default_config_static_selectorELNS0_4arch9wavefront6targetE0EEEvT1_.has_indirect_call, 0
	.section	.AMDGPU.csdata,"",@progbits
; Kernel info:
; codeLenInByte = 0
; TotalNumSgprs: 0
; NumVgprs: 0
; ScratchSize: 0
; MemoryBound: 0
; FloatMode: 240
; IeeeMode: 1
; LDSByteSize: 0 bytes/workgroup (compile time only)
; SGPRBlocks: 0
; VGPRBlocks: 0
; NumSGPRsForWavesPerEU: 1
; NumVGPRsForWavesPerEU: 1
; NamedBarCnt: 0
; Occupancy: 16
; WaveLimiterHint : 0
; COMPUTE_PGM_RSRC2:SCRATCH_EN: 0
; COMPUTE_PGM_RSRC2:USER_SGPR: 2
; COMPUTE_PGM_RSRC2:TRAP_HANDLER: 0
; COMPUTE_PGM_RSRC2:TGID_X_EN: 1
; COMPUTE_PGM_RSRC2:TGID_Y_EN: 0
; COMPUTE_PGM_RSRC2:TGID_Z_EN: 0
; COMPUTE_PGM_RSRC2:TIDIG_COMP_CNT: 0
	.section	.text._ZN7rocprim17ROCPRIM_400000_NS6detail17trampoline_kernelINS0_14default_configENS1_25partition_config_selectorILNS1_17partition_subalgoE8ElNS0_10empty_typeEbEEZZNS1_14partition_implILS5_8ELb0ES3_jPKlPS6_PKS6_NS0_5tupleIJPlS6_EEENSE_IJSB_SB_EEENS0_18inequality_wrapperIN6hipcub16HIPCUB_304000_NS8EqualityEEESF_JS6_EEE10hipError_tPvRmT3_T4_T5_T6_T7_T9_mT8_P12ihipStream_tbDpT10_ENKUlT_T0_E_clISt17integral_constantIbLb1EES16_EEDaS11_S12_EUlS11_E_NS1_11comp_targetILNS1_3genE10ELNS1_11target_archE1200ELNS1_3gpuE4ELNS1_3repE0EEENS1_30default_config_static_selectorELNS0_4arch9wavefront6targetE0EEEvT1_,"axG",@progbits,_ZN7rocprim17ROCPRIM_400000_NS6detail17trampoline_kernelINS0_14default_configENS1_25partition_config_selectorILNS1_17partition_subalgoE8ElNS0_10empty_typeEbEEZZNS1_14partition_implILS5_8ELb0ES3_jPKlPS6_PKS6_NS0_5tupleIJPlS6_EEENSE_IJSB_SB_EEENS0_18inequality_wrapperIN6hipcub16HIPCUB_304000_NS8EqualityEEESF_JS6_EEE10hipError_tPvRmT3_T4_T5_T6_T7_T9_mT8_P12ihipStream_tbDpT10_ENKUlT_T0_E_clISt17integral_constantIbLb1EES16_EEDaS11_S12_EUlS11_E_NS1_11comp_targetILNS1_3genE10ELNS1_11target_archE1200ELNS1_3gpuE4ELNS1_3repE0EEENS1_30default_config_static_selectorELNS0_4arch9wavefront6targetE0EEEvT1_,comdat
	.protected	_ZN7rocprim17ROCPRIM_400000_NS6detail17trampoline_kernelINS0_14default_configENS1_25partition_config_selectorILNS1_17partition_subalgoE8ElNS0_10empty_typeEbEEZZNS1_14partition_implILS5_8ELb0ES3_jPKlPS6_PKS6_NS0_5tupleIJPlS6_EEENSE_IJSB_SB_EEENS0_18inequality_wrapperIN6hipcub16HIPCUB_304000_NS8EqualityEEESF_JS6_EEE10hipError_tPvRmT3_T4_T5_T6_T7_T9_mT8_P12ihipStream_tbDpT10_ENKUlT_T0_E_clISt17integral_constantIbLb1EES16_EEDaS11_S12_EUlS11_E_NS1_11comp_targetILNS1_3genE10ELNS1_11target_archE1200ELNS1_3gpuE4ELNS1_3repE0EEENS1_30default_config_static_selectorELNS0_4arch9wavefront6targetE0EEEvT1_ ; -- Begin function _ZN7rocprim17ROCPRIM_400000_NS6detail17trampoline_kernelINS0_14default_configENS1_25partition_config_selectorILNS1_17partition_subalgoE8ElNS0_10empty_typeEbEEZZNS1_14partition_implILS5_8ELb0ES3_jPKlPS6_PKS6_NS0_5tupleIJPlS6_EEENSE_IJSB_SB_EEENS0_18inequality_wrapperIN6hipcub16HIPCUB_304000_NS8EqualityEEESF_JS6_EEE10hipError_tPvRmT3_T4_T5_T6_T7_T9_mT8_P12ihipStream_tbDpT10_ENKUlT_T0_E_clISt17integral_constantIbLb1EES16_EEDaS11_S12_EUlS11_E_NS1_11comp_targetILNS1_3genE10ELNS1_11target_archE1200ELNS1_3gpuE4ELNS1_3repE0EEENS1_30default_config_static_selectorELNS0_4arch9wavefront6targetE0EEEvT1_
	.globl	_ZN7rocprim17ROCPRIM_400000_NS6detail17trampoline_kernelINS0_14default_configENS1_25partition_config_selectorILNS1_17partition_subalgoE8ElNS0_10empty_typeEbEEZZNS1_14partition_implILS5_8ELb0ES3_jPKlPS6_PKS6_NS0_5tupleIJPlS6_EEENSE_IJSB_SB_EEENS0_18inequality_wrapperIN6hipcub16HIPCUB_304000_NS8EqualityEEESF_JS6_EEE10hipError_tPvRmT3_T4_T5_T6_T7_T9_mT8_P12ihipStream_tbDpT10_ENKUlT_T0_E_clISt17integral_constantIbLb1EES16_EEDaS11_S12_EUlS11_E_NS1_11comp_targetILNS1_3genE10ELNS1_11target_archE1200ELNS1_3gpuE4ELNS1_3repE0EEENS1_30default_config_static_selectorELNS0_4arch9wavefront6targetE0EEEvT1_
	.p2align	8
	.type	_ZN7rocprim17ROCPRIM_400000_NS6detail17trampoline_kernelINS0_14default_configENS1_25partition_config_selectorILNS1_17partition_subalgoE8ElNS0_10empty_typeEbEEZZNS1_14partition_implILS5_8ELb0ES3_jPKlPS6_PKS6_NS0_5tupleIJPlS6_EEENSE_IJSB_SB_EEENS0_18inequality_wrapperIN6hipcub16HIPCUB_304000_NS8EqualityEEESF_JS6_EEE10hipError_tPvRmT3_T4_T5_T6_T7_T9_mT8_P12ihipStream_tbDpT10_ENKUlT_T0_E_clISt17integral_constantIbLb1EES16_EEDaS11_S12_EUlS11_E_NS1_11comp_targetILNS1_3genE10ELNS1_11target_archE1200ELNS1_3gpuE4ELNS1_3repE0EEENS1_30default_config_static_selectorELNS0_4arch9wavefront6targetE0EEEvT1_,@function
_ZN7rocprim17ROCPRIM_400000_NS6detail17trampoline_kernelINS0_14default_configENS1_25partition_config_selectorILNS1_17partition_subalgoE8ElNS0_10empty_typeEbEEZZNS1_14partition_implILS5_8ELb0ES3_jPKlPS6_PKS6_NS0_5tupleIJPlS6_EEENSE_IJSB_SB_EEENS0_18inequality_wrapperIN6hipcub16HIPCUB_304000_NS8EqualityEEESF_JS6_EEE10hipError_tPvRmT3_T4_T5_T6_T7_T9_mT8_P12ihipStream_tbDpT10_ENKUlT_T0_E_clISt17integral_constantIbLb1EES16_EEDaS11_S12_EUlS11_E_NS1_11comp_targetILNS1_3genE10ELNS1_11target_archE1200ELNS1_3gpuE4ELNS1_3repE0EEENS1_30default_config_static_selectorELNS0_4arch9wavefront6targetE0EEEvT1_: ; @_ZN7rocprim17ROCPRIM_400000_NS6detail17trampoline_kernelINS0_14default_configENS1_25partition_config_selectorILNS1_17partition_subalgoE8ElNS0_10empty_typeEbEEZZNS1_14partition_implILS5_8ELb0ES3_jPKlPS6_PKS6_NS0_5tupleIJPlS6_EEENSE_IJSB_SB_EEENS0_18inequality_wrapperIN6hipcub16HIPCUB_304000_NS8EqualityEEESF_JS6_EEE10hipError_tPvRmT3_T4_T5_T6_T7_T9_mT8_P12ihipStream_tbDpT10_ENKUlT_T0_E_clISt17integral_constantIbLb1EES16_EEDaS11_S12_EUlS11_E_NS1_11comp_targetILNS1_3genE10ELNS1_11target_archE1200ELNS1_3gpuE4ELNS1_3repE0EEENS1_30default_config_static_selectorELNS0_4arch9wavefront6targetE0EEEvT1_
; %bb.0:
	.section	.rodata,"a",@progbits
	.p2align	6, 0x0
	.amdhsa_kernel _ZN7rocprim17ROCPRIM_400000_NS6detail17trampoline_kernelINS0_14default_configENS1_25partition_config_selectorILNS1_17partition_subalgoE8ElNS0_10empty_typeEbEEZZNS1_14partition_implILS5_8ELb0ES3_jPKlPS6_PKS6_NS0_5tupleIJPlS6_EEENSE_IJSB_SB_EEENS0_18inequality_wrapperIN6hipcub16HIPCUB_304000_NS8EqualityEEESF_JS6_EEE10hipError_tPvRmT3_T4_T5_T6_T7_T9_mT8_P12ihipStream_tbDpT10_ENKUlT_T0_E_clISt17integral_constantIbLb1EES16_EEDaS11_S12_EUlS11_E_NS1_11comp_targetILNS1_3genE10ELNS1_11target_archE1200ELNS1_3gpuE4ELNS1_3repE0EEENS1_30default_config_static_selectorELNS0_4arch9wavefront6targetE0EEEvT1_
		.amdhsa_group_segment_fixed_size 0
		.amdhsa_private_segment_fixed_size 0
		.amdhsa_kernarg_size 128
		.amdhsa_user_sgpr_count 2
		.amdhsa_user_sgpr_dispatch_ptr 0
		.amdhsa_user_sgpr_queue_ptr 0
		.amdhsa_user_sgpr_kernarg_segment_ptr 1
		.amdhsa_user_sgpr_dispatch_id 0
		.amdhsa_user_sgpr_kernarg_preload_length 0
		.amdhsa_user_sgpr_kernarg_preload_offset 0
		.amdhsa_user_sgpr_private_segment_size 0
		.amdhsa_wavefront_size32 1
		.amdhsa_uses_dynamic_stack 0
		.amdhsa_enable_private_segment 0
		.amdhsa_system_sgpr_workgroup_id_x 1
		.amdhsa_system_sgpr_workgroup_id_y 0
		.amdhsa_system_sgpr_workgroup_id_z 0
		.amdhsa_system_sgpr_workgroup_info 0
		.amdhsa_system_vgpr_workitem_id 0
		.amdhsa_next_free_vgpr 1
		.amdhsa_next_free_sgpr 1
		.amdhsa_named_barrier_count 0
		.amdhsa_reserve_vcc 0
		.amdhsa_float_round_mode_32 0
		.amdhsa_float_round_mode_16_64 0
		.amdhsa_float_denorm_mode_32 3
		.amdhsa_float_denorm_mode_16_64 3
		.amdhsa_fp16_overflow 0
		.amdhsa_memory_ordered 1
		.amdhsa_forward_progress 1
		.amdhsa_inst_pref_size 0
		.amdhsa_round_robin_scheduling 0
		.amdhsa_exception_fp_ieee_invalid_op 0
		.amdhsa_exception_fp_denorm_src 0
		.amdhsa_exception_fp_ieee_div_zero 0
		.amdhsa_exception_fp_ieee_overflow 0
		.amdhsa_exception_fp_ieee_underflow 0
		.amdhsa_exception_fp_ieee_inexact 0
		.amdhsa_exception_int_div_zero 0
	.end_amdhsa_kernel
	.section	.text._ZN7rocprim17ROCPRIM_400000_NS6detail17trampoline_kernelINS0_14default_configENS1_25partition_config_selectorILNS1_17partition_subalgoE8ElNS0_10empty_typeEbEEZZNS1_14partition_implILS5_8ELb0ES3_jPKlPS6_PKS6_NS0_5tupleIJPlS6_EEENSE_IJSB_SB_EEENS0_18inequality_wrapperIN6hipcub16HIPCUB_304000_NS8EqualityEEESF_JS6_EEE10hipError_tPvRmT3_T4_T5_T6_T7_T9_mT8_P12ihipStream_tbDpT10_ENKUlT_T0_E_clISt17integral_constantIbLb1EES16_EEDaS11_S12_EUlS11_E_NS1_11comp_targetILNS1_3genE10ELNS1_11target_archE1200ELNS1_3gpuE4ELNS1_3repE0EEENS1_30default_config_static_selectorELNS0_4arch9wavefront6targetE0EEEvT1_,"axG",@progbits,_ZN7rocprim17ROCPRIM_400000_NS6detail17trampoline_kernelINS0_14default_configENS1_25partition_config_selectorILNS1_17partition_subalgoE8ElNS0_10empty_typeEbEEZZNS1_14partition_implILS5_8ELb0ES3_jPKlPS6_PKS6_NS0_5tupleIJPlS6_EEENSE_IJSB_SB_EEENS0_18inequality_wrapperIN6hipcub16HIPCUB_304000_NS8EqualityEEESF_JS6_EEE10hipError_tPvRmT3_T4_T5_T6_T7_T9_mT8_P12ihipStream_tbDpT10_ENKUlT_T0_E_clISt17integral_constantIbLb1EES16_EEDaS11_S12_EUlS11_E_NS1_11comp_targetILNS1_3genE10ELNS1_11target_archE1200ELNS1_3gpuE4ELNS1_3repE0EEENS1_30default_config_static_selectorELNS0_4arch9wavefront6targetE0EEEvT1_,comdat
.Lfunc_end492:
	.size	_ZN7rocprim17ROCPRIM_400000_NS6detail17trampoline_kernelINS0_14default_configENS1_25partition_config_selectorILNS1_17partition_subalgoE8ElNS0_10empty_typeEbEEZZNS1_14partition_implILS5_8ELb0ES3_jPKlPS6_PKS6_NS0_5tupleIJPlS6_EEENSE_IJSB_SB_EEENS0_18inequality_wrapperIN6hipcub16HIPCUB_304000_NS8EqualityEEESF_JS6_EEE10hipError_tPvRmT3_T4_T5_T6_T7_T9_mT8_P12ihipStream_tbDpT10_ENKUlT_T0_E_clISt17integral_constantIbLb1EES16_EEDaS11_S12_EUlS11_E_NS1_11comp_targetILNS1_3genE10ELNS1_11target_archE1200ELNS1_3gpuE4ELNS1_3repE0EEENS1_30default_config_static_selectorELNS0_4arch9wavefront6targetE0EEEvT1_, .Lfunc_end492-_ZN7rocprim17ROCPRIM_400000_NS6detail17trampoline_kernelINS0_14default_configENS1_25partition_config_selectorILNS1_17partition_subalgoE8ElNS0_10empty_typeEbEEZZNS1_14partition_implILS5_8ELb0ES3_jPKlPS6_PKS6_NS0_5tupleIJPlS6_EEENSE_IJSB_SB_EEENS0_18inequality_wrapperIN6hipcub16HIPCUB_304000_NS8EqualityEEESF_JS6_EEE10hipError_tPvRmT3_T4_T5_T6_T7_T9_mT8_P12ihipStream_tbDpT10_ENKUlT_T0_E_clISt17integral_constantIbLb1EES16_EEDaS11_S12_EUlS11_E_NS1_11comp_targetILNS1_3genE10ELNS1_11target_archE1200ELNS1_3gpuE4ELNS1_3repE0EEENS1_30default_config_static_selectorELNS0_4arch9wavefront6targetE0EEEvT1_
                                        ; -- End function
	.set _ZN7rocprim17ROCPRIM_400000_NS6detail17trampoline_kernelINS0_14default_configENS1_25partition_config_selectorILNS1_17partition_subalgoE8ElNS0_10empty_typeEbEEZZNS1_14partition_implILS5_8ELb0ES3_jPKlPS6_PKS6_NS0_5tupleIJPlS6_EEENSE_IJSB_SB_EEENS0_18inequality_wrapperIN6hipcub16HIPCUB_304000_NS8EqualityEEESF_JS6_EEE10hipError_tPvRmT3_T4_T5_T6_T7_T9_mT8_P12ihipStream_tbDpT10_ENKUlT_T0_E_clISt17integral_constantIbLb1EES16_EEDaS11_S12_EUlS11_E_NS1_11comp_targetILNS1_3genE10ELNS1_11target_archE1200ELNS1_3gpuE4ELNS1_3repE0EEENS1_30default_config_static_selectorELNS0_4arch9wavefront6targetE0EEEvT1_.num_vgpr, 0
	.set _ZN7rocprim17ROCPRIM_400000_NS6detail17trampoline_kernelINS0_14default_configENS1_25partition_config_selectorILNS1_17partition_subalgoE8ElNS0_10empty_typeEbEEZZNS1_14partition_implILS5_8ELb0ES3_jPKlPS6_PKS6_NS0_5tupleIJPlS6_EEENSE_IJSB_SB_EEENS0_18inequality_wrapperIN6hipcub16HIPCUB_304000_NS8EqualityEEESF_JS6_EEE10hipError_tPvRmT3_T4_T5_T6_T7_T9_mT8_P12ihipStream_tbDpT10_ENKUlT_T0_E_clISt17integral_constantIbLb1EES16_EEDaS11_S12_EUlS11_E_NS1_11comp_targetILNS1_3genE10ELNS1_11target_archE1200ELNS1_3gpuE4ELNS1_3repE0EEENS1_30default_config_static_selectorELNS0_4arch9wavefront6targetE0EEEvT1_.num_agpr, 0
	.set _ZN7rocprim17ROCPRIM_400000_NS6detail17trampoline_kernelINS0_14default_configENS1_25partition_config_selectorILNS1_17partition_subalgoE8ElNS0_10empty_typeEbEEZZNS1_14partition_implILS5_8ELb0ES3_jPKlPS6_PKS6_NS0_5tupleIJPlS6_EEENSE_IJSB_SB_EEENS0_18inequality_wrapperIN6hipcub16HIPCUB_304000_NS8EqualityEEESF_JS6_EEE10hipError_tPvRmT3_T4_T5_T6_T7_T9_mT8_P12ihipStream_tbDpT10_ENKUlT_T0_E_clISt17integral_constantIbLb1EES16_EEDaS11_S12_EUlS11_E_NS1_11comp_targetILNS1_3genE10ELNS1_11target_archE1200ELNS1_3gpuE4ELNS1_3repE0EEENS1_30default_config_static_selectorELNS0_4arch9wavefront6targetE0EEEvT1_.numbered_sgpr, 0
	.set _ZN7rocprim17ROCPRIM_400000_NS6detail17trampoline_kernelINS0_14default_configENS1_25partition_config_selectorILNS1_17partition_subalgoE8ElNS0_10empty_typeEbEEZZNS1_14partition_implILS5_8ELb0ES3_jPKlPS6_PKS6_NS0_5tupleIJPlS6_EEENSE_IJSB_SB_EEENS0_18inequality_wrapperIN6hipcub16HIPCUB_304000_NS8EqualityEEESF_JS6_EEE10hipError_tPvRmT3_T4_T5_T6_T7_T9_mT8_P12ihipStream_tbDpT10_ENKUlT_T0_E_clISt17integral_constantIbLb1EES16_EEDaS11_S12_EUlS11_E_NS1_11comp_targetILNS1_3genE10ELNS1_11target_archE1200ELNS1_3gpuE4ELNS1_3repE0EEENS1_30default_config_static_selectorELNS0_4arch9wavefront6targetE0EEEvT1_.num_named_barrier, 0
	.set _ZN7rocprim17ROCPRIM_400000_NS6detail17trampoline_kernelINS0_14default_configENS1_25partition_config_selectorILNS1_17partition_subalgoE8ElNS0_10empty_typeEbEEZZNS1_14partition_implILS5_8ELb0ES3_jPKlPS6_PKS6_NS0_5tupleIJPlS6_EEENSE_IJSB_SB_EEENS0_18inequality_wrapperIN6hipcub16HIPCUB_304000_NS8EqualityEEESF_JS6_EEE10hipError_tPvRmT3_T4_T5_T6_T7_T9_mT8_P12ihipStream_tbDpT10_ENKUlT_T0_E_clISt17integral_constantIbLb1EES16_EEDaS11_S12_EUlS11_E_NS1_11comp_targetILNS1_3genE10ELNS1_11target_archE1200ELNS1_3gpuE4ELNS1_3repE0EEENS1_30default_config_static_selectorELNS0_4arch9wavefront6targetE0EEEvT1_.private_seg_size, 0
	.set _ZN7rocprim17ROCPRIM_400000_NS6detail17trampoline_kernelINS0_14default_configENS1_25partition_config_selectorILNS1_17partition_subalgoE8ElNS0_10empty_typeEbEEZZNS1_14partition_implILS5_8ELb0ES3_jPKlPS6_PKS6_NS0_5tupleIJPlS6_EEENSE_IJSB_SB_EEENS0_18inequality_wrapperIN6hipcub16HIPCUB_304000_NS8EqualityEEESF_JS6_EEE10hipError_tPvRmT3_T4_T5_T6_T7_T9_mT8_P12ihipStream_tbDpT10_ENKUlT_T0_E_clISt17integral_constantIbLb1EES16_EEDaS11_S12_EUlS11_E_NS1_11comp_targetILNS1_3genE10ELNS1_11target_archE1200ELNS1_3gpuE4ELNS1_3repE0EEENS1_30default_config_static_selectorELNS0_4arch9wavefront6targetE0EEEvT1_.uses_vcc, 0
	.set _ZN7rocprim17ROCPRIM_400000_NS6detail17trampoline_kernelINS0_14default_configENS1_25partition_config_selectorILNS1_17partition_subalgoE8ElNS0_10empty_typeEbEEZZNS1_14partition_implILS5_8ELb0ES3_jPKlPS6_PKS6_NS0_5tupleIJPlS6_EEENSE_IJSB_SB_EEENS0_18inequality_wrapperIN6hipcub16HIPCUB_304000_NS8EqualityEEESF_JS6_EEE10hipError_tPvRmT3_T4_T5_T6_T7_T9_mT8_P12ihipStream_tbDpT10_ENKUlT_T0_E_clISt17integral_constantIbLb1EES16_EEDaS11_S12_EUlS11_E_NS1_11comp_targetILNS1_3genE10ELNS1_11target_archE1200ELNS1_3gpuE4ELNS1_3repE0EEENS1_30default_config_static_selectorELNS0_4arch9wavefront6targetE0EEEvT1_.uses_flat_scratch, 0
	.set _ZN7rocprim17ROCPRIM_400000_NS6detail17trampoline_kernelINS0_14default_configENS1_25partition_config_selectorILNS1_17partition_subalgoE8ElNS0_10empty_typeEbEEZZNS1_14partition_implILS5_8ELb0ES3_jPKlPS6_PKS6_NS0_5tupleIJPlS6_EEENSE_IJSB_SB_EEENS0_18inequality_wrapperIN6hipcub16HIPCUB_304000_NS8EqualityEEESF_JS6_EEE10hipError_tPvRmT3_T4_T5_T6_T7_T9_mT8_P12ihipStream_tbDpT10_ENKUlT_T0_E_clISt17integral_constantIbLb1EES16_EEDaS11_S12_EUlS11_E_NS1_11comp_targetILNS1_3genE10ELNS1_11target_archE1200ELNS1_3gpuE4ELNS1_3repE0EEENS1_30default_config_static_selectorELNS0_4arch9wavefront6targetE0EEEvT1_.has_dyn_sized_stack, 0
	.set _ZN7rocprim17ROCPRIM_400000_NS6detail17trampoline_kernelINS0_14default_configENS1_25partition_config_selectorILNS1_17partition_subalgoE8ElNS0_10empty_typeEbEEZZNS1_14partition_implILS5_8ELb0ES3_jPKlPS6_PKS6_NS0_5tupleIJPlS6_EEENSE_IJSB_SB_EEENS0_18inequality_wrapperIN6hipcub16HIPCUB_304000_NS8EqualityEEESF_JS6_EEE10hipError_tPvRmT3_T4_T5_T6_T7_T9_mT8_P12ihipStream_tbDpT10_ENKUlT_T0_E_clISt17integral_constantIbLb1EES16_EEDaS11_S12_EUlS11_E_NS1_11comp_targetILNS1_3genE10ELNS1_11target_archE1200ELNS1_3gpuE4ELNS1_3repE0EEENS1_30default_config_static_selectorELNS0_4arch9wavefront6targetE0EEEvT1_.has_recursion, 0
	.set _ZN7rocprim17ROCPRIM_400000_NS6detail17trampoline_kernelINS0_14default_configENS1_25partition_config_selectorILNS1_17partition_subalgoE8ElNS0_10empty_typeEbEEZZNS1_14partition_implILS5_8ELb0ES3_jPKlPS6_PKS6_NS0_5tupleIJPlS6_EEENSE_IJSB_SB_EEENS0_18inequality_wrapperIN6hipcub16HIPCUB_304000_NS8EqualityEEESF_JS6_EEE10hipError_tPvRmT3_T4_T5_T6_T7_T9_mT8_P12ihipStream_tbDpT10_ENKUlT_T0_E_clISt17integral_constantIbLb1EES16_EEDaS11_S12_EUlS11_E_NS1_11comp_targetILNS1_3genE10ELNS1_11target_archE1200ELNS1_3gpuE4ELNS1_3repE0EEENS1_30default_config_static_selectorELNS0_4arch9wavefront6targetE0EEEvT1_.has_indirect_call, 0
	.section	.AMDGPU.csdata,"",@progbits
; Kernel info:
; codeLenInByte = 0
; TotalNumSgprs: 0
; NumVgprs: 0
; ScratchSize: 0
; MemoryBound: 0
; FloatMode: 240
; IeeeMode: 1
; LDSByteSize: 0 bytes/workgroup (compile time only)
; SGPRBlocks: 0
; VGPRBlocks: 0
; NumSGPRsForWavesPerEU: 1
; NumVGPRsForWavesPerEU: 1
; NamedBarCnt: 0
; Occupancy: 16
; WaveLimiterHint : 0
; COMPUTE_PGM_RSRC2:SCRATCH_EN: 0
; COMPUTE_PGM_RSRC2:USER_SGPR: 2
; COMPUTE_PGM_RSRC2:TRAP_HANDLER: 0
; COMPUTE_PGM_RSRC2:TGID_X_EN: 1
; COMPUTE_PGM_RSRC2:TGID_Y_EN: 0
; COMPUTE_PGM_RSRC2:TGID_Z_EN: 0
; COMPUTE_PGM_RSRC2:TIDIG_COMP_CNT: 0
	.section	.text._ZN7rocprim17ROCPRIM_400000_NS6detail17trampoline_kernelINS0_14default_configENS1_25partition_config_selectorILNS1_17partition_subalgoE8ElNS0_10empty_typeEbEEZZNS1_14partition_implILS5_8ELb0ES3_jPKlPS6_PKS6_NS0_5tupleIJPlS6_EEENSE_IJSB_SB_EEENS0_18inequality_wrapperIN6hipcub16HIPCUB_304000_NS8EqualityEEESF_JS6_EEE10hipError_tPvRmT3_T4_T5_T6_T7_T9_mT8_P12ihipStream_tbDpT10_ENKUlT_T0_E_clISt17integral_constantIbLb1EES16_EEDaS11_S12_EUlS11_E_NS1_11comp_targetILNS1_3genE9ELNS1_11target_archE1100ELNS1_3gpuE3ELNS1_3repE0EEENS1_30default_config_static_selectorELNS0_4arch9wavefront6targetE0EEEvT1_,"axG",@progbits,_ZN7rocprim17ROCPRIM_400000_NS6detail17trampoline_kernelINS0_14default_configENS1_25partition_config_selectorILNS1_17partition_subalgoE8ElNS0_10empty_typeEbEEZZNS1_14partition_implILS5_8ELb0ES3_jPKlPS6_PKS6_NS0_5tupleIJPlS6_EEENSE_IJSB_SB_EEENS0_18inequality_wrapperIN6hipcub16HIPCUB_304000_NS8EqualityEEESF_JS6_EEE10hipError_tPvRmT3_T4_T5_T6_T7_T9_mT8_P12ihipStream_tbDpT10_ENKUlT_T0_E_clISt17integral_constantIbLb1EES16_EEDaS11_S12_EUlS11_E_NS1_11comp_targetILNS1_3genE9ELNS1_11target_archE1100ELNS1_3gpuE3ELNS1_3repE0EEENS1_30default_config_static_selectorELNS0_4arch9wavefront6targetE0EEEvT1_,comdat
	.protected	_ZN7rocprim17ROCPRIM_400000_NS6detail17trampoline_kernelINS0_14default_configENS1_25partition_config_selectorILNS1_17partition_subalgoE8ElNS0_10empty_typeEbEEZZNS1_14partition_implILS5_8ELb0ES3_jPKlPS6_PKS6_NS0_5tupleIJPlS6_EEENSE_IJSB_SB_EEENS0_18inequality_wrapperIN6hipcub16HIPCUB_304000_NS8EqualityEEESF_JS6_EEE10hipError_tPvRmT3_T4_T5_T6_T7_T9_mT8_P12ihipStream_tbDpT10_ENKUlT_T0_E_clISt17integral_constantIbLb1EES16_EEDaS11_S12_EUlS11_E_NS1_11comp_targetILNS1_3genE9ELNS1_11target_archE1100ELNS1_3gpuE3ELNS1_3repE0EEENS1_30default_config_static_selectorELNS0_4arch9wavefront6targetE0EEEvT1_ ; -- Begin function _ZN7rocprim17ROCPRIM_400000_NS6detail17trampoline_kernelINS0_14default_configENS1_25partition_config_selectorILNS1_17partition_subalgoE8ElNS0_10empty_typeEbEEZZNS1_14partition_implILS5_8ELb0ES3_jPKlPS6_PKS6_NS0_5tupleIJPlS6_EEENSE_IJSB_SB_EEENS0_18inequality_wrapperIN6hipcub16HIPCUB_304000_NS8EqualityEEESF_JS6_EEE10hipError_tPvRmT3_T4_T5_T6_T7_T9_mT8_P12ihipStream_tbDpT10_ENKUlT_T0_E_clISt17integral_constantIbLb1EES16_EEDaS11_S12_EUlS11_E_NS1_11comp_targetILNS1_3genE9ELNS1_11target_archE1100ELNS1_3gpuE3ELNS1_3repE0EEENS1_30default_config_static_selectorELNS0_4arch9wavefront6targetE0EEEvT1_
	.globl	_ZN7rocprim17ROCPRIM_400000_NS6detail17trampoline_kernelINS0_14default_configENS1_25partition_config_selectorILNS1_17partition_subalgoE8ElNS0_10empty_typeEbEEZZNS1_14partition_implILS5_8ELb0ES3_jPKlPS6_PKS6_NS0_5tupleIJPlS6_EEENSE_IJSB_SB_EEENS0_18inequality_wrapperIN6hipcub16HIPCUB_304000_NS8EqualityEEESF_JS6_EEE10hipError_tPvRmT3_T4_T5_T6_T7_T9_mT8_P12ihipStream_tbDpT10_ENKUlT_T0_E_clISt17integral_constantIbLb1EES16_EEDaS11_S12_EUlS11_E_NS1_11comp_targetILNS1_3genE9ELNS1_11target_archE1100ELNS1_3gpuE3ELNS1_3repE0EEENS1_30default_config_static_selectorELNS0_4arch9wavefront6targetE0EEEvT1_
	.p2align	8
	.type	_ZN7rocprim17ROCPRIM_400000_NS6detail17trampoline_kernelINS0_14default_configENS1_25partition_config_selectorILNS1_17partition_subalgoE8ElNS0_10empty_typeEbEEZZNS1_14partition_implILS5_8ELb0ES3_jPKlPS6_PKS6_NS0_5tupleIJPlS6_EEENSE_IJSB_SB_EEENS0_18inequality_wrapperIN6hipcub16HIPCUB_304000_NS8EqualityEEESF_JS6_EEE10hipError_tPvRmT3_T4_T5_T6_T7_T9_mT8_P12ihipStream_tbDpT10_ENKUlT_T0_E_clISt17integral_constantIbLb1EES16_EEDaS11_S12_EUlS11_E_NS1_11comp_targetILNS1_3genE9ELNS1_11target_archE1100ELNS1_3gpuE3ELNS1_3repE0EEENS1_30default_config_static_selectorELNS0_4arch9wavefront6targetE0EEEvT1_,@function
_ZN7rocprim17ROCPRIM_400000_NS6detail17trampoline_kernelINS0_14default_configENS1_25partition_config_selectorILNS1_17partition_subalgoE8ElNS0_10empty_typeEbEEZZNS1_14partition_implILS5_8ELb0ES3_jPKlPS6_PKS6_NS0_5tupleIJPlS6_EEENSE_IJSB_SB_EEENS0_18inequality_wrapperIN6hipcub16HIPCUB_304000_NS8EqualityEEESF_JS6_EEE10hipError_tPvRmT3_T4_T5_T6_T7_T9_mT8_P12ihipStream_tbDpT10_ENKUlT_T0_E_clISt17integral_constantIbLb1EES16_EEDaS11_S12_EUlS11_E_NS1_11comp_targetILNS1_3genE9ELNS1_11target_archE1100ELNS1_3gpuE3ELNS1_3repE0EEENS1_30default_config_static_selectorELNS0_4arch9wavefront6targetE0EEEvT1_: ; @_ZN7rocprim17ROCPRIM_400000_NS6detail17trampoline_kernelINS0_14default_configENS1_25partition_config_selectorILNS1_17partition_subalgoE8ElNS0_10empty_typeEbEEZZNS1_14partition_implILS5_8ELb0ES3_jPKlPS6_PKS6_NS0_5tupleIJPlS6_EEENSE_IJSB_SB_EEENS0_18inequality_wrapperIN6hipcub16HIPCUB_304000_NS8EqualityEEESF_JS6_EEE10hipError_tPvRmT3_T4_T5_T6_T7_T9_mT8_P12ihipStream_tbDpT10_ENKUlT_T0_E_clISt17integral_constantIbLb1EES16_EEDaS11_S12_EUlS11_E_NS1_11comp_targetILNS1_3genE9ELNS1_11target_archE1100ELNS1_3gpuE3ELNS1_3repE0EEENS1_30default_config_static_selectorELNS0_4arch9wavefront6targetE0EEEvT1_
; %bb.0:
	.section	.rodata,"a",@progbits
	.p2align	6, 0x0
	.amdhsa_kernel _ZN7rocprim17ROCPRIM_400000_NS6detail17trampoline_kernelINS0_14default_configENS1_25partition_config_selectorILNS1_17partition_subalgoE8ElNS0_10empty_typeEbEEZZNS1_14partition_implILS5_8ELb0ES3_jPKlPS6_PKS6_NS0_5tupleIJPlS6_EEENSE_IJSB_SB_EEENS0_18inequality_wrapperIN6hipcub16HIPCUB_304000_NS8EqualityEEESF_JS6_EEE10hipError_tPvRmT3_T4_T5_T6_T7_T9_mT8_P12ihipStream_tbDpT10_ENKUlT_T0_E_clISt17integral_constantIbLb1EES16_EEDaS11_S12_EUlS11_E_NS1_11comp_targetILNS1_3genE9ELNS1_11target_archE1100ELNS1_3gpuE3ELNS1_3repE0EEENS1_30default_config_static_selectorELNS0_4arch9wavefront6targetE0EEEvT1_
		.amdhsa_group_segment_fixed_size 0
		.amdhsa_private_segment_fixed_size 0
		.amdhsa_kernarg_size 128
		.amdhsa_user_sgpr_count 2
		.amdhsa_user_sgpr_dispatch_ptr 0
		.amdhsa_user_sgpr_queue_ptr 0
		.amdhsa_user_sgpr_kernarg_segment_ptr 1
		.amdhsa_user_sgpr_dispatch_id 0
		.amdhsa_user_sgpr_kernarg_preload_length 0
		.amdhsa_user_sgpr_kernarg_preload_offset 0
		.amdhsa_user_sgpr_private_segment_size 0
		.amdhsa_wavefront_size32 1
		.amdhsa_uses_dynamic_stack 0
		.amdhsa_enable_private_segment 0
		.amdhsa_system_sgpr_workgroup_id_x 1
		.amdhsa_system_sgpr_workgroup_id_y 0
		.amdhsa_system_sgpr_workgroup_id_z 0
		.amdhsa_system_sgpr_workgroup_info 0
		.amdhsa_system_vgpr_workitem_id 0
		.amdhsa_next_free_vgpr 1
		.amdhsa_next_free_sgpr 1
		.amdhsa_named_barrier_count 0
		.amdhsa_reserve_vcc 0
		.amdhsa_float_round_mode_32 0
		.amdhsa_float_round_mode_16_64 0
		.amdhsa_float_denorm_mode_32 3
		.amdhsa_float_denorm_mode_16_64 3
		.amdhsa_fp16_overflow 0
		.amdhsa_memory_ordered 1
		.amdhsa_forward_progress 1
		.amdhsa_inst_pref_size 0
		.amdhsa_round_robin_scheduling 0
		.amdhsa_exception_fp_ieee_invalid_op 0
		.amdhsa_exception_fp_denorm_src 0
		.amdhsa_exception_fp_ieee_div_zero 0
		.amdhsa_exception_fp_ieee_overflow 0
		.amdhsa_exception_fp_ieee_underflow 0
		.amdhsa_exception_fp_ieee_inexact 0
		.amdhsa_exception_int_div_zero 0
	.end_amdhsa_kernel
	.section	.text._ZN7rocprim17ROCPRIM_400000_NS6detail17trampoline_kernelINS0_14default_configENS1_25partition_config_selectorILNS1_17partition_subalgoE8ElNS0_10empty_typeEbEEZZNS1_14partition_implILS5_8ELb0ES3_jPKlPS6_PKS6_NS0_5tupleIJPlS6_EEENSE_IJSB_SB_EEENS0_18inequality_wrapperIN6hipcub16HIPCUB_304000_NS8EqualityEEESF_JS6_EEE10hipError_tPvRmT3_T4_T5_T6_T7_T9_mT8_P12ihipStream_tbDpT10_ENKUlT_T0_E_clISt17integral_constantIbLb1EES16_EEDaS11_S12_EUlS11_E_NS1_11comp_targetILNS1_3genE9ELNS1_11target_archE1100ELNS1_3gpuE3ELNS1_3repE0EEENS1_30default_config_static_selectorELNS0_4arch9wavefront6targetE0EEEvT1_,"axG",@progbits,_ZN7rocprim17ROCPRIM_400000_NS6detail17trampoline_kernelINS0_14default_configENS1_25partition_config_selectorILNS1_17partition_subalgoE8ElNS0_10empty_typeEbEEZZNS1_14partition_implILS5_8ELb0ES3_jPKlPS6_PKS6_NS0_5tupleIJPlS6_EEENSE_IJSB_SB_EEENS0_18inequality_wrapperIN6hipcub16HIPCUB_304000_NS8EqualityEEESF_JS6_EEE10hipError_tPvRmT3_T4_T5_T6_T7_T9_mT8_P12ihipStream_tbDpT10_ENKUlT_T0_E_clISt17integral_constantIbLb1EES16_EEDaS11_S12_EUlS11_E_NS1_11comp_targetILNS1_3genE9ELNS1_11target_archE1100ELNS1_3gpuE3ELNS1_3repE0EEENS1_30default_config_static_selectorELNS0_4arch9wavefront6targetE0EEEvT1_,comdat
.Lfunc_end493:
	.size	_ZN7rocprim17ROCPRIM_400000_NS6detail17trampoline_kernelINS0_14default_configENS1_25partition_config_selectorILNS1_17partition_subalgoE8ElNS0_10empty_typeEbEEZZNS1_14partition_implILS5_8ELb0ES3_jPKlPS6_PKS6_NS0_5tupleIJPlS6_EEENSE_IJSB_SB_EEENS0_18inequality_wrapperIN6hipcub16HIPCUB_304000_NS8EqualityEEESF_JS6_EEE10hipError_tPvRmT3_T4_T5_T6_T7_T9_mT8_P12ihipStream_tbDpT10_ENKUlT_T0_E_clISt17integral_constantIbLb1EES16_EEDaS11_S12_EUlS11_E_NS1_11comp_targetILNS1_3genE9ELNS1_11target_archE1100ELNS1_3gpuE3ELNS1_3repE0EEENS1_30default_config_static_selectorELNS0_4arch9wavefront6targetE0EEEvT1_, .Lfunc_end493-_ZN7rocprim17ROCPRIM_400000_NS6detail17trampoline_kernelINS0_14default_configENS1_25partition_config_selectorILNS1_17partition_subalgoE8ElNS0_10empty_typeEbEEZZNS1_14partition_implILS5_8ELb0ES3_jPKlPS6_PKS6_NS0_5tupleIJPlS6_EEENSE_IJSB_SB_EEENS0_18inequality_wrapperIN6hipcub16HIPCUB_304000_NS8EqualityEEESF_JS6_EEE10hipError_tPvRmT3_T4_T5_T6_T7_T9_mT8_P12ihipStream_tbDpT10_ENKUlT_T0_E_clISt17integral_constantIbLb1EES16_EEDaS11_S12_EUlS11_E_NS1_11comp_targetILNS1_3genE9ELNS1_11target_archE1100ELNS1_3gpuE3ELNS1_3repE0EEENS1_30default_config_static_selectorELNS0_4arch9wavefront6targetE0EEEvT1_
                                        ; -- End function
	.set _ZN7rocprim17ROCPRIM_400000_NS6detail17trampoline_kernelINS0_14default_configENS1_25partition_config_selectorILNS1_17partition_subalgoE8ElNS0_10empty_typeEbEEZZNS1_14partition_implILS5_8ELb0ES3_jPKlPS6_PKS6_NS0_5tupleIJPlS6_EEENSE_IJSB_SB_EEENS0_18inequality_wrapperIN6hipcub16HIPCUB_304000_NS8EqualityEEESF_JS6_EEE10hipError_tPvRmT3_T4_T5_T6_T7_T9_mT8_P12ihipStream_tbDpT10_ENKUlT_T0_E_clISt17integral_constantIbLb1EES16_EEDaS11_S12_EUlS11_E_NS1_11comp_targetILNS1_3genE9ELNS1_11target_archE1100ELNS1_3gpuE3ELNS1_3repE0EEENS1_30default_config_static_selectorELNS0_4arch9wavefront6targetE0EEEvT1_.num_vgpr, 0
	.set _ZN7rocprim17ROCPRIM_400000_NS6detail17trampoline_kernelINS0_14default_configENS1_25partition_config_selectorILNS1_17partition_subalgoE8ElNS0_10empty_typeEbEEZZNS1_14partition_implILS5_8ELb0ES3_jPKlPS6_PKS6_NS0_5tupleIJPlS6_EEENSE_IJSB_SB_EEENS0_18inequality_wrapperIN6hipcub16HIPCUB_304000_NS8EqualityEEESF_JS6_EEE10hipError_tPvRmT3_T4_T5_T6_T7_T9_mT8_P12ihipStream_tbDpT10_ENKUlT_T0_E_clISt17integral_constantIbLb1EES16_EEDaS11_S12_EUlS11_E_NS1_11comp_targetILNS1_3genE9ELNS1_11target_archE1100ELNS1_3gpuE3ELNS1_3repE0EEENS1_30default_config_static_selectorELNS0_4arch9wavefront6targetE0EEEvT1_.num_agpr, 0
	.set _ZN7rocprim17ROCPRIM_400000_NS6detail17trampoline_kernelINS0_14default_configENS1_25partition_config_selectorILNS1_17partition_subalgoE8ElNS0_10empty_typeEbEEZZNS1_14partition_implILS5_8ELb0ES3_jPKlPS6_PKS6_NS0_5tupleIJPlS6_EEENSE_IJSB_SB_EEENS0_18inequality_wrapperIN6hipcub16HIPCUB_304000_NS8EqualityEEESF_JS6_EEE10hipError_tPvRmT3_T4_T5_T6_T7_T9_mT8_P12ihipStream_tbDpT10_ENKUlT_T0_E_clISt17integral_constantIbLb1EES16_EEDaS11_S12_EUlS11_E_NS1_11comp_targetILNS1_3genE9ELNS1_11target_archE1100ELNS1_3gpuE3ELNS1_3repE0EEENS1_30default_config_static_selectorELNS0_4arch9wavefront6targetE0EEEvT1_.numbered_sgpr, 0
	.set _ZN7rocprim17ROCPRIM_400000_NS6detail17trampoline_kernelINS0_14default_configENS1_25partition_config_selectorILNS1_17partition_subalgoE8ElNS0_10empty_typeEbEEZZNS1_14partition_implILS5_8ELb0ES3_jPKlPS6_PKS6_NS0_5tupleIJPlS6_EEENSE_IJSB_SB_EEENS0_18inequality_wrapperIN6hipcub16HIPCUB_304000_NS8EqualityEEESF_JS6_EEE10hipError_tPvRmT3_T4_T5_T6_T7_T9_mT8_P12ihipStream_tbDpT10_ENKUlT_T0_E_clISt17integral_constantIbLb1EES16_EEDaS11_S12_EUlS11_E_NS1_11comp_targetILNS1_3genE9ELNS1_11target_archE1100ELNS1_3gpuE3ELNS1_3repE0EEENS1_30default_config_static_selectorELNS0_4arch9wavefront6targetE0EEEvT1_.num_named_barrier, 0
	.set _ZN7rocprim17ROCPRIM_400000_NS6detail17trampoline_kernelINS0_14default_configENS1_25partition_config_selectorILNS1_17partition_subalgoE8ElNS0_10empty_typeEbEEZZNS1_14partition_implILS5_8ELb0ES3_jPKlPS6_PKS6_NS0_5tupleIJPlS6_EEENSE_IJSB_SB_EEENS0_18inequality_wrapperIN6hipcub16HIPCUB_304000_NS8EqualityEEESF_JS6_EEE10hipError_tPvRmT3_T4_T5_T6_T7_T9_mT8_P12ihipStream_tbDpT10_ENKUlT_T0_E_clISt17integral_constantIbLb1EES16_EEDaS11_S12_EUlS11_E_NS1_11comp_targetILNS1_3genE9ELNS1_11target_archE1100ELNS1_3gpuE3ELNS1_3repE0EEENS1_30default_config_static_selectorELNS0_4arch9wavefront6targetE0EEEvT1_.private_seg_size, 0
	.set _ZN7rocprim17ROCPRIM_400000_NS6detail17trampoline_kernelINS0_14default_configENS1_25partition_config_selectorILNS1_17partition_subalgoE8ElNS0_10empty_typeEbEEZZNS1_14partition_implILS5_8ELb0ES3_jPKlPS6_PKS6_NS0_5tupleIJPlS6_EEENSE_IJSB_SB_EEENS0_18inequality_wrapperIN6hipcub16HIPCUB_304000_NS8EqualityEEESF_JS6_EEE10hipError_tPvRmT3_T4_T5_T6_T7_T9_mT8_P12ihipStream_tbDpT10_ENKUlT_T0_E_clISt17integral_constantIbLb1EES16_EEDaS11_S12_EUlS11_E_NS1_11comp_targetILNS1_3genE9ELNS1_11target_archE1100ELNS1_3gpuE3ELNS1_3repE0EEENS1_30default_config_static_selectorELNS0_4arch9wavefront6targetE0EEEvT1_.uses_vcc, 0
	.set _ZN7rocprim17ROCPRIM_400000_NS6detail17trampoline_kernelINS0_14default_configENS1_25partition_config_selectorILNS1_17partition_subalgoE8ElNS0_10empty_typeEbEEZZNS1_14partition_implILS5_8ELb0ES3_jPKlPS6_PKS6_NS0_5tupleIJPlS6_EEENSE_IJSB_SB_EEENS0_18inequality_wrapperIN6hipcub16HIPCUB_304000_NS8EqualityEEESF_JS6_EEE10hipError_tPvRmT3_T4_T5_T6_T7_T9_mT8_P12ihipStream_tbDpT10_ENKUlT_T0_E_clISt17integral_constantIbLb1EES16_EEDaS11_S12_EUlS11_E_NS1_11comp_targetILNS1_3genE9ELNS1_11target_archE1100ELNS1_3gpuE3ELNS1_3repE0EEENS1_30default_config_static_selectorELNS0_4arch9wavefront6targetE0EEEvT1_.uses_flat_scratch, 0
	.set _ZN7rocprim17ROCPRIM_400000_NS6detail17trampoline_kernelINS0_14default_configENS1_25partition_config_selectorILNS1_17partition_subalgoE8ElNS0_10empty_typeEbEEZZNS1_14partition_implILS5_8ELb0ES3_jPKlPS6_PKS6_NS0_5tupleIJPlS6_EEENSE_IJSB_SB_EEENS0_18inequality_wrapperIN6hipcub16HIPCUB_304000_NS8EqualityEEESF_JS6_EEE10hipError_tPvRmT3_T4_T5_T6_T7_T9_mT8_P12ihipStream_tbDpT10_ENKUlT_T0_E_clISt17integral_constantIbLb1EES16_EEDaS11_S12_EUlS11_E_NS1_11comp_targetILNS1_3genE9ELNS1_11target_archE1100ELNS1_3gpuE3ELNS1_3repE0EEENS1_30default_config_static_selectorELNS0_4arch9wavefront6targetE0EEEvT1_.has_dyn_sized_stack, 0
	.set _ZN7rocprim17ROCPRIM_400000_NS6detail17trampoline_kernelINS0_14default_configENS1_25partition_config_selectorILNS1_17partition_subalgoE8ElNS0_10empty_typeEbEEZZNS1_14partition_implILS5_8ELb0ES3_jPKlPS6_PKS6_NS0_5tupleIJPlS6_EEENSE_IJSB_SB_EEENS0_18inequality_wrapperIN6hipcub16HIPCUB_304000_NS8EqualityEEESF_JS6_EEE10hipError_tPvRmT3_T4_T5_T6_T7_T9_mT8_P12ihipStream_tbDpT10_ENKUlT_T0_E_clISt17integral_constantIbLb1EES16_EEDaS11_S12_EUlS11_E_NS1_11comp_targetILNS1_3genE9ELNS1_11target_archE1100ELNS1_3gpuE3ELNS1_3repE0EEENS1_30default_config_static_selectorELNS0_4arch9wavefront6targetE0EEEvT1_.has_recursion, 0
	.set _ZN7rocprim17ROCPRIM_400000_NS6detail17trampoline_kernelINS0_14default_configENS1_25partition_config_selectorILNS1_17partition_subalgoE8ElNS0_10empty_typeEbEEZZNS1_14partition_implILS5_8ELb0ES3_jPKlPS6_PKS6_NS0_5tupleIJPlS6_EEENSE_IJSB_SB_EEENS0_18inequality_wrapperIN6hipcub16HIPCUB_304000_NS8EqualityEEESF_JS6_EEE10hipError_tPvRmT3_T4_T5_T6_T7_T9_mT8_P12ihipStream_tbDpT10_ENKUlT_T0_E_clISt17integral_constantIbLb1EES16_EEDaS11_S12_EUlS11_E_NS1_11comp_targetILNS1_3genE9ELNS1_11target_archE1100ELNS1_3gpuE3ELNS1_3repE0EEENS1_30default_config_static_selectorELNS0_4arch9wavefront6targetE0EEEvT1_.has_indirect_call, 0
	.section	.AMDGPU.csdata,"",@progbits
; Kernel info:
; codeLenInByte = 0
; TotalNumSgprs: 0
; NumVgprs: 0
; ScratchSize: 0
; MemoryBound: 0
; FloatMode: 240
; IeeeMode: 1
; LDSByteSize: 0 bytes/workgroup (compile time only)
; SGPRBlocks: 0
; VGPRBlocks: 0
; NumSGPRsForWavesPerEU: 1
; NumVGPRsForWavesPerEU: 1
; NamedBarCnt: 0
; Occupancy: 16
; WaveLimiterHint : 0
; COMPUTE_PGM_RSRC2:SCRATCH_EN: 0
; COMPUTE_PGM_RSRC2:USER_SGPR: 2
; COMPUTE_PGM_RSRC2:TRAP_HANDLER: 0
; COMPUTE_PGM_RSRC2:TGID_X_EN: 1
; COMPUTE_PGM_RSRC2:TGID_Y_EN: 0
; COMPUTE_PGM_RSRC2:TGID_Z_EN: 0
; COMPUTE_PGM_RSRC2:TIDIG_COMP_CNT: 0
	.section	.text._ZN7rocprim17ROCPRIM_400000_NS6detail17trampoline_kernelINS0_14default_configENS1_25partition_config_selectorILNS1_17partition_subalgoE8ElNS0_10empty_typeEbEEZZNS1_14partition_implILS5_8ELb0ES3_jPKlPS6_PKS6_NS0_5tupleIJPlS6_EEENSE_IJSB_SB_EEENS0_18inequality_wrapperIN6hipcub16HIPCUB_304000_NS8EqualityEEESF_JS6_EEE10hipError_tPvRmT3_T4_T5_T6_T7_T9_mT8_P12ihipStream_tbDpT10_ENKUlT_T0_E_clISt17integral_constantIbLb1EES16_EEDaS11_S12_EUlS11_E_NS1_11comp_targetILNS1_3genE8ELNS1_11target_archE1030ELNS1_3gpuE2ELNS1_3repE0EEENS1_30default_config_static_selectorELNS0_4arch9wavefront6targetE0EEEvT1_,"axG",@progbits,_ZN7rocprim17ROCPRIM_400000_NS6detail17trampoline_kernelINS0_14default_configENS1_25partition_config_selectorILNS1_17partition_subalgoE8ElNS0_10empty_typeEbEEZZNS1_14partition_implILS5_8ELb0ES3_jPKlPS6_PKS6_NS0_5tupleIJPlS6_EEENSE_IJSB_SB_EEENS0_18inequality_wrapperIN6hipcub16HIPCUB_304000_NS8EqualityEEESF_JS6_EEE10hipError_tPvRmT3_T4_T5_T6_T7_T9_mT8_P12ihipStream_tbDpT10_ENKUlT_T0_E_clISt17integral_constantIbLb1EES16_EEDaS11_S12_EUlS11_E_NS1_11comp_targetILNS1_3genE8ELNS1_11target_archE1030ELNS1_3gpuE2ELNS1_3repE0EEENS1_30default_config_static_selectorELNS0_4arch9wavefront6targetE0EEEvT1_,comdat
	.protected	_ZN7rocprim17ROCPRIM_400000_NS6detail17trampoline_kernelINS0_14default_configENS1_25partition_config_selectorILNS1_17partition_subalgoE8ElNS0_10empty_typeEbEEZZNS1_14partition_implILS5_8ELb0ES3_jPKlPS6_PKS6_NS0_5tupleIJPlS6_EEENSE_IJSB_SB_EEENS0_18inequality_wrapperIN6hipcub16HIPCUB_304000_NS8EqualityEEESF_JS6_EEE10hipError_tPvRmT3_T4_T5_T6_T7_T9_mT8_P12ihipStream_tbDpT10_ENKUlT_T0_E_clISt17integral_constantIbLb1EES16_EEDaS11_S12_EUlS11_E_NS1_11comp_targetILNS1_3genE8ELNS1_11target_archE1030ELNS1_3gpuE2ELNS1_3repE0EEENS1_30default_config_static_selectorELNS0_4arch9wavefront6targetE0EEEvT1_ ; -- Begin function _ZN7rocprim17ROCPRIM_400000_NS6detail17trampoline_kernelINS0_14default_configENS1_25partition_config_selectorILNS1_17partition_subalgoE8ElNS0_10empty_typeEbEEZZNS1_14partition_implILS5_8ELb0ES3_jPKlPS6_PKS6_NS0_5tupleIJPlS6_EEENSE_IJSB_SB_EEENS0_18inequality_wrapperIN6hipcub16HIPCUB_304000_NS8EqualityEEESF_JS6_EEE10hipError_tPvRmT3_T4_T5_T6_T7_T9_mT8_P12ihipStream_tbDpT10_ENKUlT_T0_E_clISt17integral_constantIbLb1EES16_EEDaS11_S12_EUlS11_E_NS1_11comp_targetILNS1_3genE8ELNS1_11target_archE1030ELNS1_3gpuE2ELNS1_3repE0EEENS1_30default_config_static_selectorELNS0_4arch9wavefront6targetE0EEEvT1_
	.globl	_ZN7rocprim17ROCPRIM_400000_NS6detail17trampoline_kernelINS0_14default_configENS1_25partition_config_selectorILNS1_17partition_subalgoE8ElNS0_10empty_typeEbEEZZNS1_14partition_implILS5_8ELb0ES3_jPKlPS6_PKS6_NS0_5tupleIJPlS6_EEENSE_IJSB_SB_EEENS0_18inequality_wrapperIN6hipcub16HIPCUB_304000_NS8EqualityEEESF_JS6_EEE10hipError_tPvRmT3_T4_T5_T6_T7_T9_mT8_P12ihipStream_tbDpT10_ENKUlT_T0_E_clISt17integral_constantIbLb1EES16_EEDaS11_S12_EUlS11_E_NS1_11comp_targetILNS1_3genE8ELNS1_11target_archE1030ELNS1_3gpuE2ELNS1_3repE0EEENS1_30default_config_static_selectorELNS0_4arch9wavefront6targetE0EEEvT1_
	.p2align	8
	.type	_ZN7rocprim17ROCPRIM_400000_NS6detail17trampoline_kernelINS0_14default_configENS1_25partition_config_selectorILNS1_17partition_subalgoE8ElNS0_10empty_typeEbEEZZNS1_14partition_implILS5_8ELb0ES3_jPKlPS6_PKS6_NS0_5tupleIJPlS6_EEENSE_IJSB_SB_EEENS0_18inequality_wrapperIN6hipcub16HIPCUB_304000_NS8EqualityEEESF_JS6_EEE10hipError_tPvRmT3_T4_T5_T6_T7_T9_mT8_P12ihipStream_tbDpT10_ENKUlT_T0_E_clISt17integral_constantIbLb1EES16_EEDaS11_S12_EUlS11_E_NS1_11comp_targetILNS1_3genE8ELNS1_11target_archE1030ELNS1_3gpuE2ELNS1_3repE0EEENS1_30default_config_static_selectorELNS0_4arch9wavefront6targetE0EEEvT1_,@function
_ZN7rocprim17ROCPRIM_400000_NS6detail17trampoline_kernelINS0_14default_configENS1_25partition_config_selectorILNS1_17partition_subalgoE8ElNS0_10empty_typeEbEEZZNS1_14partition_implILS5_8ELb0ES3_jPKlPS6_PKS6_NS0_5tupleIJPlS6_EEENSE_IJSB_SB_EEENS0_18inequality_wrapperIN6hipcub16HIPCUB_304000_NS8EqualityEEESF_JS6_EEE10hipError_tPvRmT3_T4_T5_T6_T7_T9_mT8_P12ihipStream_tbDpT10_ENKUlT_T0_E_clISt17integral_constantIbLb1EES16_EEDaS11_S12_EUlS11_E_NS1_11comp_targetILNS1_3genE8ELNS1_11target_archE1030ELNS1_3gpuE2ELNS1_3repE0EEENS1_30default_config_static_selectorELNS0_4arch9wavefront6targetE0EEEvT1_: ; @_ZN7rocprim17ROCPRIM_400000_NS6detail17trampoline_kernelINS0_14default_configENS1_25partition_config_selectorILNS1_17partition_subalgoE8ElNS0_10empty_typeEbEEZZNS1_14partition_implILS5_8ELb0ES3_jPKlPS6_PKS6_NS0_5tupleIJPlS6_EEENSE_IJSB_SB_EEENS0_18inequality_wrapperIN6hipcub16HIPCUB_304000_NS8EqualityEEESF_JS6_EEE10hipError_tPvRmT3_T4_T5_T6_T7_T9_mT8_P12ihipStream_tbDpT10_ENKUlT_T0_E_clISt17integral_constantIbLb1EES16_EEDaS11_S12_EUlS11_E_NS1_11comp_targetILNS1_3genE8ELNS1_11target_archE1030ELNS1_3gpuE2ELNS1_3repE0EEENS1_30default_config_static_selectorELNS0_4arch9wavefront6targetE0EEEvT1_
; %bb.0:
	.section	.rodata,"a",@progbits
	.p2align	6, 0x0
	.amdhsa_kernel _ZN7rocprim17ROCPRIM_400000_NS6detail17trampoline_kernelINS0_14default_configENS1_25partition_config_selectorILNS1_17partition_subalgoE8ElNS0_10empty_typeEbEEZZNS1_14partition_implILS5_8ELb0ES3_jPKlPS6_PKS6_NS0_5tupleIJPlS6_EEENSE_IJSB_SB_EEENS0_18inequality_wrapperIN6hipcub16HIPCUB_304000_NS8EqualityEEESF_JS6_EEE10hipError_tPvRmT3_T4_T5_T6_T7_T9_mT8_P12ihipStream_tbDpT10_ENKUlT_T0_E_clISt17integral_constantIbLb1EES16_EEDaS11_S12_EUlS11_E_NS1_11comp_targetILNS1_3genE8ELNS1_11target_archE1030ELNS1_3gpuE2ELNS1_3repE0EEENS1_30default_config_static_selectorELNS0_4arch9wavefront6targetE0EEEvT1_
		.amdhsa_group_segment_fixed_size 0
		.amdhsa_private_segment_fixed_size 0
		.amdhsa_kernarg_size 128
		.amdhsa_user_sgpr_count 2
		.amdhsa_user_sgpr_dispatch_ptr 0
		.amdhsa_user_sgpr_queue_ptr 0
		.amdhsa_user_sgpr_kernarg_segment_ptr 1
		.amdhsa_user_sgpr_dispatch_id 0
		.amdhsa_user_sgpr_kernarg_preload_length 0
		.amdhsa_user_sgpr_kernarg_preload_offset 0
		.amdhsa_user_sgpr_private_segment_size 0
		.amdhsa_wavefront_size32 1
		.amdhsa_uses_dynamic_stack 0
		.amdhsa_enable_private_segment 0
		.amdhsa_system_sgpr_workgroup_id_x 1
		.amdhsa_system_sgpr_workgroup_id_y 0
		.amdhsa_system_sgpr_workgroup_id_z 0
		.amdhsa_system_sgpr_workgroup_info 0
		.amdhsa_system_vgpr_workitem_id 0
		.amdhsa_next_free_vgpr 1
		.amdhsa_next_free_sgpr 1
		.amdhsa_named_barrier_count 0
		.amdhsa_reserve_vcc 0
		.amdhsa_float_round_mode_32 0
		.amdhsa_float_round_mode_16_64 0
		.amdhsa_float_denorm_mode_32 3
		.amdhsa_float_denorm_mode_16_64 3
		.amdhsa_fp16_overflow 0
		.amdhsa_memory_ordered 1
		.amdhsa_forward_progress 1
		.amdhsa_inst_pref_size 0
		.amdhsa_round_robin_scheduling 0
		.amdhsa_exception_fp_ieee_invalid_op 0
		.amdhsa_exception_fp_denorm_src 0
		.amdhsa_exception_fp_ieee_div_zero 0
		.amdhsa_exception_fp_ieee_overflow 0
		.amdhsa_exception_fp_ieee_underflow 0
		.amdhsa_exception_fp_ieee_inexact 0
		.amdhsa_exception_int_div_zero 0
	.end_amdhsa_kernel
	.section	.text._ZN7rocprim17ROCPRIM_400000_NS6detail17trampoline_kernelINS0_14default_configENS1_25partition_config_selectorILNS1_17partition_subalgoE8ElNS0_10empty_typeEbEEZZNS1_14partition_implILS5_8ELb0ES3_jPKlPS6_PKS6_NS0_5tupleIJPlS6_EEENSE_IJSB_SB_EEENS0_18inequality_wrapperIN6hipcub16HIPCUB_304000_NS8EqualityEEESF_JS6_EEE10hipError_tPvRmT3_T4_T5_T6_T7_T9_mT8_P12ihipStream_tbDpT10_ENKUlT_T0_E_clISt17integral_constantIbLb1EES16_EEDaS11_S12_EUlS11_E_NS1_11comp_targetILNS1_3genE8ELNS1_11target_archE1030ELNS1_3gpuE2ELNS1_3repE0EEENS1_30default_config_static_selectorELNS0_4arch9wavefront6targetE0EEEvT1_,"axG",@progbits,_ZN7rocprim17ROCPRIM_400000_NS6detail17trampoline_kernelINS0_14default_configENS1_25partition_config_selectorILNS1_17partition_subalgoE8ElNS0_10empty_typeEbEEZZNS1_14partition_implILS5_8ELb0ES3_jPKlPS6_PKS6_NS0_5tupleIJPlS6_EEENSE_IJSB_SB_EEENS0_18inequality_wrapperIN6hipcub16HIPCUB_304000_NS8EqualityEEESF_JS6_EEE10hipError_tPvRmT3_T4_T5_T6_T7_T9_mT8_P12ihipStream_tbDpT10_ENKUlT_T0_E_clISt17integral_constantIbLb1EES16_EEDaS11_S12_EUlS11_E_NS1_11comp_targetILNS1_3genE8ELNS1_11target_archE1030ELNS1_3gpuE2ELNS1_3repE0EEENS1_30default_config_static_selectorELNS0_4arch9wavefront6targetE0EEEvT1_,comdat
.Lfunc_end494:
	.size	_ZN7rocprim17ROCPRIM_400000_NS6detail17trampoline_kernelINS0_14default_configENS1_25partition_config_selectorILNS1_17partition_subalgoE8ElNS0_10empty_typeEbEEZZNS1_14partition_implILS5_8ELb0ES3_jPKlPS6_PKS6_NS0_5tupleIJPlS6_EEENSE_IJSB_SB_EEENS0_18inequality_wrapperIN6hipcub16HIPCUB_304000_NS8EqualityEEESF_JS6_EEE10hipError_tPvRmT3_T4_T5_T6_T7_T9_mT8_P12ihipStream_tbDpT10_ENKUlT_T0_E_clISt17integral_constantIbLb1EES16_EEDaS11_S12_EUlS11_E_NS1_11comp_targetILNS1_3genE8ELNS1_11target_archE1030ELNS1_3gpuE2ELNS1_3repE0EEENS1_30default_config_static_selectorELNS0_4arch9wavefront6targetE0EEEvT1_, .Lfunc_end494-_ZN7rocprim17ROCPRIM_400000_NS6detail17trampoline_kernelINS0_14default_configENS1_25partition_config_selectorILNS1_17partition_subalgoE8ElNS0_10empty_typeEbEEZZNS1_14partition_implILS5_8ELb0ES3_jPKlPS6_PKS6_NS0_5tupleIJPlS6_EEENSE_IJSB_SB_EEENS0_18inequality_wrapperIN6hipcub16HIPCUB_304000_NS8EqualityEEESF_JS6_EEE10hipError_tPvRmT3_T4_T5_T6_T7_T9_mT8_P12ihipStream_tbDpT10_ENKUlT_T0_E_clISt17integral_constantIbLb1EES16_EEDaS11_S12_EUlS11_E_NS1_11comp_targetILNS1_3genE8ELNS1_11target_archE1030ELNS1_3gpuE2ELNS1_3repE0EEENS1_30default_config_static_selectorELNS0_4arch9wavefront6targetE0EEEvT1_
                                        ; -- End function
	.set _ZN7rocprim17ROCPRIM_400000_NS6detail17trampoline_kernelINS0_14default_configENS1_25partition_config_selectorILNS1_17partition_subalgoE8ElNS0_10empty_typeEbEEZZNS1_14partition_implILS5_8ELb0ES3_jPKlPS6_PKS6_NS0_5tupleIJPlS6_EEENSE_IJSB_SB_EEENS0_18inequality_wrapperIN6hipcub16HIPCUB_304000_NS8EqualityEEESF_JS6_EEE10hipError_tPvRmT3_T4_T5_T6_T7_T9_mT8_P12ihipStream_tbDpT10_ENKUlT_T0_E_clISt17integral_constantIbLb1EES16_EEDaS11_S12_EUlS11_E_NS1_11comp_targetILNS1_3genE8ELNS1_11target_archE1030ELNS1_3gpuE2ELNS1_3repE0EEENS1_30default_config_static_selectorELNS0_4arch9wavefront6targetE0EEEvT1_.num_vgpr, 0
	.set _ZN7rocprim17ROCPRIM_400000_NS6detail17trampoline_kernelINS0_14default_configENS1_25partition_config_selectorILNS1_17partition_subalgoE8ElNS0_10empty_typeEbEEZZNS1_14partition_implILS5_8ELb0ES3_jPKlPS6_PKS6_NS0_5tupleIJPlS6_EEENSE_IJSB_SB_EEENS0_18inequality_wrapperIN6hipcub16HIPCUB_304000_NS8EqualityEEESF_JS6_EEE10hipError_tPvRmT3_T4_T5_T6_T7_T9_mT8_P12ihipStream_tbDpT10_ENKUlT_T0_E_clISt17integral_constantIbLb1EES16_EEDaS11_S12_EUlS11_E_NS1_11comp_targetILNS1_3genE8ELNS1_11target_archE1030ELNS1_3gpuE2ELNS1_3repE0EEENS1_30default_config_static_selectorELNS0_4arch9wavefront6targetE0EEEvT1_.num_agpr, 0
	.set _ZN7rocprim17ROCPRIM_400000_NS6detail17trampoline_kernelINS0_14default_configENS1_25partition_config_selectorILNS1_17partition_subalgoE8ElNS0_10empty_typeEbEEZZNS1_14partition_implILS5_8ELb0ES3_jPKlPS6_PKS6_NS0_5tupleIJPlS6_EEENSE_IJSB_SB_EEENS0_18inequality_wrapperIN6hipcub16HIPCUB_304000_NS8EqualityEEESF_JS6_EEE10hipError_tPvRmT3_T4_T5_T6_T7_T9_mT8_P12ihipStream_tbDpT10_ENKUlT_T0_E_clISt17integral_constantIbLb1EES16_EEDaS11_S12_EUlS11_E_NS1_11comp_targetILNS1_3genE8ELNS1_11target_archE1030ELNS1_3gpuE2ELNS1_3repE0EEENS1_30default_config_static_selectorELNS0_4arch9wavefront6targetE0EEEvT1_.numbered_sgpr, 0
	.set _ZN7rocprim17ROCPRIM_400000_NS6detail17trampoline_kernelINS0_14default_configENS1_25partition_config_selectorILNS1_17partition_subalgoE8ElNS0_10empty_typeEbEEZZNS1_14partition_implILS5_8ELb0ES3_jPKlPS6_PKS6_NS0_5tupleIJPlS6_EEENSE_IJSB_SB_EEENS0_18inequality_wrapperIN6hipcub16HIPCUB_304000_NS8EqualityEEESF_JS6_EEE10hipError_tPvRmT3_T4_T5_T6_T7_T9_mT8_P12ihipStream_tbDpT10_ENKUlT_T0_E_clISt17integral_constantIbLb1EES16_EEDaS11_S12_EUlS11_E_NS1_11comp_targetILNS1_3genE8ELNS1_11target_archE1030ELNS1_3gpuE2ELNS1_3repE0EEENS1_30default_config_static_selectorELNS0_4arch9wavefront6targetE0EEEvT1_.num_named_barrier, 0
	.set _ZN7rocprim17ROCPRIM_400000_NS6detail17trampoline_kernelINS0_14default_configENS1_25partition_config_selectorILNS1_17partition_subalgoE8ElNS0_10empty_typeEbEEZZNS1_14partition_implILS5_8ELb0ES3_jPKlPS6_PKS6_NS0_5tupleIJPlS6_EEENSE_IJSB_SB_EEENS0_18inequality_wrapperIN6hipcub16HIPCUB_304000_NS8EqualityEEESF_JS6_EEE10hipError_tPvRmT3_T4_T5_T6_T7_T9_mT8_P12ihipStream_tbDpT10_ENKUlT_T0_E_clISt17integral_constantIbLb1EES16_EEDaS11_S12_EUlS11_E_NS1_11comp_targetILNS1_3genE8ELNS1_11target_archE1030ELNS1_3gpuE2ELNS1_3repE0EEENS1_30default_config_static_selectorELNS0_4arch9wavefront6targetE0EEEvT1_.private_seg_size, 0
	.set _ZN7rocprim17ROCPRIM_400000_NS6detail17trampoline_kernelINS0_14default_configENS1_25partition_config_selectorILNS1_17partition_subalgoE8ElNS0_10empty_typeEbEEZZNS1_14partition_implILS5_8ELb0ES3_jPKlPS6_PKS6_NS0_5tupleIJPlS6_EEENSE_IJSB_SB_EEENS0_18inequality_wrapperIN6hipcub16HIPCUB_304000_NS8EqualityEEESF_JS6_EEE10hipError_tPvRmT3_T4_T5_T6_T7_T9_mT8_P12ihipStream_tbDpT10_ENKUlT_T0_E_clISt17integral_constantIbLb1EES16_EEDaS11_S12_EUlS11_E_NS1_11comp_targetILNS1_3genE8ELNS1_11target_archE1030ELNS1_3gpuE2ELNS1_3repE0EEENS1_30default_config_static_selectorELNS0_4arch9wavefront6targetE0EEEvT1_.uses_vcc, 0
	.set _ZN7rocprim17ROCPRIM_400000_NS6detail17trampoline_kernelINS0_14default_configENS1_25partition_config_selectorILNS1_17partition_subalgoE8ElNS0_10empty_typeEbEEZZNS1_14partition_implILS5_8ELb0ES3_jPKlPS6_PKS6_NS0_5tupleIJPlS6_EEENSE_IJSB_SB_EEENS0_18inequality_wrapperIN6hipcub16HIPCUB_304000_NS8EqualityEEESF_JS6_EEE10hipError_tPvRmT3_T4_T5_T6_T7_T9_mT8_P12ihipStream_tbDpT10_ENKUlT_T0_E_clISt17integral_constantIbLb1EES16_EEDaS11_S12_EUlS11_E_NS1_11comp_targetILNS1_3genE8ELNS1_11target_archE1030ELNS1_3gpuE2ELNS1_3repE0EEENS1_30default_config_static_selectorELNS0_4arch9wavefront6targetE0EEEvT1_.uses_flat_scratch, 0
	.set _ZN7rocprim17ROCPRIM_400000_NS6detail17trampoline_kernelINS0_14default_configENS1_25partition_config_selectorILNS1_17partition_subalgoE8ElNS0_10empty_typeEbEEZZNS1_14partition_implILS5_8ELb0ES3_jPKlPS6_PKS6_NS0_5tupleIJPlS6_EEENSE_IJSB_SB_EEENS0_18inequality_wrapperIN6hipcub16HIPCUB_304000_NS8EqualityEEESF_JS6_EEE10hipError_tPvRmT3_T4_T5_T6_T7_T9_mT8_P12ihipStream_tbDpT10_ENKUlT_T0_E_clISt17integral_constantIbLb1EES16_EEDaS11_S12_EUlS11_E_NS1_11comp_targetILNS1_3genE8ELNS1_11target_archE1030ELNS1_3gpuE2ELNS1_3repE0EEENS1_30default_config_static_selectorELNS0_4arch9wavefront6targetE0EEEvT1_.has_dyn_sized_stack, 0
	.set _ZN7rocprim17ROCPRIM_400000_NS6detail17trampoline_kernelINS0_14default_configENS1_25partition_config_selectorILNS1_17partition_subalgoE8ElNS0_10empty_typeEbEEZZNS1_14partition_implILS5_8ELb0ES3_jPKlPS6_PKS6_NS0_5tupleIJPlS6_EEENSE_IJSB_SB_EEENS0_18inequality_wrapperIN6hipcub16HIPCUB_304000_NS8EqualityEEESF_JS6_EEE10hipError_tPvRmT3_T4_T5_T6_T7_T9_mT8_P12ihipStream_tbDpT10_ENKUlT_T0_E_clISt17integral_constantIbLb1EES16_EEDaS11_S12_EUlS11_E_NS1_11comp_targetILNS1_3genE8ELNS1_11target_archE1030ELNS1_3gpuE2ELNS1_3repE0EEENS1_30default_config_static_selectorELNS0_4arch9wavefront6targetE0EEEvT1_.has_recursion, 0
	.set _ZN7rocprim17ROCPRIM_400000_NS6detail17trampoline_kernelINS0_14default_configENS1_25partition_config_selectorILNS1_17partition_subalgoE8ElNS0_10empty_typeEbEEZZNS1_14partition_implILS5_8ELb0ES3_jPKlPS6_PKS6_NS0_5tupleIJPlS6_EEENSE_IJSB_SB_EEENS0_18inequality_wrapperIN6hipcub16HIPCUB_304000_NS8EqualityEEESF_JS6_EEE10hipError_tPvRmT3_T4_T5_T6_T7_T9_mT8_P12ihipStream_tbDpT10_ENKUlT_T0_E_clISt17integral_constantIbLb1EES16_EEDaS11_S12_EUlS11_E_NS1_11comp_targetILNS1_3genE8ELNS1_11target_archE1030ELNS1_3gpuE2ELNS1_3repE0EEENS1_30default_config_static_selectorELNS0_4arch9wavefront6targetE0EEEvT1_.has_indirect_call, 0
	.section	.AMDGPU.csdata,"",@progbits
; Kernel info:
; codeLenInByte = 0
; TotalNumSgprs: 0
; NumVgprs: 0
; ScratchSize: 0
; MemoryBound: 0
; FloatMode: 240
; IeeeMode: 1
; LDSByteSize: 0 bytes/workgroup (compile time only)
; SGPRBlocks: 0
; VGPRBlocks: 0
; NumSGPRsForWavesPerEU: 1
; NumVGPRsForWavesPerEU: 1
; NamedBarCnt: 0
; Occupancy: 16
; WaveLimiterHint : 0
; COMPUTE_PGM_RSRC2:SCRATCH_EN: 0
; COMPUTE_PGM_RSRC2:USER_SGPR: 2
; COMPUTE_PGM_RSRC2:TRAP_HANDLER: 0
; COMPUTE_PGM_RSRC2:TGID_X_EN: 1
; COMPUTE_PGM_RSRC2:TGID_Y_EN: 0
; COMPUTE_PGM_RSRC2:TGID_Z_EN: 0
; COMPUTE_PGM_RSRC2:TIDIG_COMP_CNT: 0
	.section	.text._ZN7rocprim17ROCPRIM_400000_NS6detail17trampoline_kernelINS0_14default_configENS1_25partition_config_selectorILNS1_17partition_subalgoE8ElNS0_10empty_typeEbEEZZNS1_14partition_implILS5_8ELb0ES3_jPKlPS6_PKS6_NS0_5tupleIJPlS6_EEENSE_IJSB_SB_EEENS0_18inequality_wrapperIN6hipcub16HIPCUB_304000_NS8EqualityEEESF_JS6_EEE10hipError_tPvRmT3_T4_T5_T6_T7_T9_mT8_P12ihipStream_tbDpT10_ENKUlT_T0_E_clISt17integral_constantIbLb1EES15_IbLb0EEEEDaS11_S12_EUlS11_E_NS1_11comp_targetILNS1_3genE0ELNS1_11target_archE4294967295ELNS1_3gpuE0ELNS1_3repE0EEENS1_30default_config_static_selectorELNS0_4arch9wavefront6targetE0EEEvT1_,"axG",@progbits,_ZN7rocprim17ROCPRIM_400000_NS6detail17trampoline_kernelINS0_14default_configENS1_25partition_config_selectorILNS1_17partition_subalgoE8ElNS0_10empty_typeEbEEZZNS1_14partition_implILS5_8ELb0ES3_jPKlPS6_PKS6_NS0_5tupleIJPlS6_EEENSE_IJSB_SB_EEENS0_18inequality_wrapperIN6hipcub16HIPCUB_304000_NS8EqualityEEESF_JS6_EEE10hipError_tPvRmT3_T4_T5_T6_T7_T9_mT8_P12ihipStream_tbDpT10_ENKUlT_T0_E_clISt17integral_constantIbLb1EES15_IbLb0EEEEDaS11_S12_EUlS11_E_NS1_11comp_targetILNS1_3genE0ELNS1_11target_archE4294967295ELNS1_3gpuE0ELNS1_3repE0EEENS1_30default_config_static_selectorELNS0_4arch9wavefront6targetE0EEEvT1_,comdat
	.protected	_ZN7rocprim17ROCPRIM_400000_NS6detail17trampoline_kernelINS0_14default_configENS1_25partition_config_selectorILNS1_17partition_subalgoE8ElNS0_10empty_typeEbEEZZNS1_14partition_implILS5_8ELb0ES3_jPKlPS6_PKS6_NS0_5tupleIJPlS6_EEENSE_IJSB_SB_EEENS0_18inequality_wrapperIN6hipcub16HIPCUB_304000_NS8EqualityEEESF_JS6_EEE10hipError_tPvRmT3_T4_T5_T6_T7_T9_mT8_P12ihipStream_tbDpT10_ENKUlT_T0_E_clISt17integral_constantIbLb1EES15_IbLb0EEEEDaS11_S12_EUlS11_E_NS1_11comp_targetILNS1_3genE0ELNS1_11target_archE4294967295ELNS1_3gpuE0ELNS1_3repE0EEENS1_30default_config_static_selectorELNS0_4arch9wavefront6targetE0EEEvT1_ ; -- Begin function _ZN7rocprim17ROCPRIM_400000_NS6detail17trampoline_kernelINS0_14default_configENS1_25partition_config_selectorILNS1_17partition_subalgoE8ElNS0_10empty_typeEbEEZZNS1_14partition_implILS5_8ELb0ES3_jPKlPS6_PKS6_NS0_5tupleIJPlS6_EEENSE_IJSB_SB_EEENS0_18inequality_wrapperIN6hipcub16HIPCUB_304000_NS8EqualityEEESF_JS6_EEE10hipError_tPvRmT3_T4_T5_T6_T7_T9_mT8_P12ihipStream_tbDpT10_ENKUlT_T0_E_clISt17integral_constantIbLb1EES15_IbLb0EEEEDaS11_S12_EUlS11_E_NS1_11comp_targetILNS1_3genE0ELNS1_11target_archE4294967295ELNS1_3gpuE0ELNS1_3repE0EEENS1_30default_config_static_selectorELNS0_4arch9wavefront6targetE0EEEvT1_
	.globl	_ZN7rocprim17ROCPRIM_400000_NS6detail17trampoline_kernelINS0_14default_configENS1_25partition_config_selectorILNS1_17partition_subalgoE8ElNS0_10empty_typeEbEEZZNS1_14partition_implILS5_8ELb0ES3_jPKlPS6_PKS6_NS0_5tupleIJPlS6_EEENSE_IJSB_SB_EEENS0_18inequality_wrapperIN6hipcub16HIPCUB_304000_NS8EqualityEEESF_JS6_EEE10hipError_tPvRmT3_T4_T5_T6_T7_T9_mT8_P12ihipStream_tbDpT10_ENKUlT_T0_E_clISt17integral_constantIbLb1EES15_IbLb0EEEEDaS11_S12_EUlS11_E_NS1_11comp_targetILNS1_3genE0ELNS1_11target_archE4294967295ELNS1_3gpuE0ELNS1_3repE0EEENS1_30default_config_static_selectorELNS0_4arch9wavefront6targetE0EEEvT1_
	.p2align	8
	.type	_ZN7rocprim17ROCPRIM_400000_NS6detail17trampoline_kernelINS0_14default_configENS1_25partition_config_selectorILNS1_17partition_subalgoE8ElNS0_10empty_typeEbEEZZNS1_14partition_implILS5_8ELb0ES3_jPKlPS6_PKS6_NS0_5tupleIJPlS6_EEENSE_IJSB_SB_EEENS0_18inequality_wrapperIN6hipcub16HIPCUB_304000_NS8EqualityEEESF_JS6_EEE10hipError_tPvRmT3_T4_T5_T6_T7_T9_mT8_P12ihipStream_tbDpT10_ENKUlT_T0_E_clISt17integral_constantIbLb1EES15_IbLb0EEEEDaS11_S12_EUlS11_E_NS1_11comp_targetILNS1_3genE0ELNS1_11target_archE4294967295ELNS1_3gpuE0ELNS1_3repE0EEENS1_30default_config_static_selectorELNS0_4arch9wavefront6targetE0EEEvT1_,@function
_ZN7rocprim17ROCPRIM_400000_NS6detail17trampoline_kernelINS0_14default_configENS1_25partition_config_selectorILNS1_17partition_subalgoE8ElNS0_10empty_typeEbEEZZNS1_14partition_implILS5_8ELb0ES3_jPKlPS6_PKS6_NS0_5tupleIJPlS6_EEENSE_IJSB_SB_EEENS0_18inequality_wrapperIN6hipcub16HIPCUB_304000_NS8EqualityEEESF_JS6_EEE10hipError_tPvRmT3_T4_T5_T6_T7_T9_mT8_P12ihipStream_tbDpT10_ENKUlT_T0_E_clISt17integral_constantIbLb1EES15_IbLb0EEEEDaS11_S12_EUlS11_E_NS1_11comp_targetILNS1_3genE0ELNS1_11target_archE4294967295ELNS1_3gpuE0ELNS1_3repE0EEENS1_30default_config_static_selectorELNS0_4arch9wavefront6targetE0EEEvT1_: ; @_ZN7rocprim17ROCPRIM_400000_NS6detail17trampoline_kernelINS0_14default_configENS1_25partition_config_selectorILNS1_17partition_subalgoE8ElNS0_10empty_typeEbEEZZNS1_14partition_implILS5_8ELb0ES3_jPKlPS6_PKS6_NS0_5tupleIJPlS6_EEENSE_IJSB_SB_EEENS0_18inequality_wrapperIN6hipcub16HIPCUB_304000_NS8EqualityEEESF_JS6_EEE10hipError_tPvRmT3_T4_T5_T6_T7_T9_mT8_P12ihipStream_tbDpT10_ENKUlT_T0_E_clISt17integral_constantIbLb1EES15_IbLb0EEEEDaS11_S12_EUlS11_E_NS1_11comp_targetILNS1_3genE0ELNS1_11target_archE4294967295ELNS1_3gpuE0ELNS1_3repE0EEENS1_30default_config_static_selectorELNS0_4arch9wavefront6targetE0EEEvT1_
; %bb.0:
	s_endpgm
	.section	.rodata,"a",@progbits
	.p2align	6, 0x0
	.amdhsa_kernel _ZN7rocprim17ROCPRIM_400000_NS6detail17trampoline_kernelINS0_14default_configENS1_25partition_config_selectorILNS1_17partition_subalgoE8ElNS0_10empty_typeEbEEZZNS1_14partition_implILS5_8ELb0ES3_jPKlPS6_PKS6_NS0_5tupleIJPlS6_EEENSE_IJSB_SB_EEENS0_18inequality_wrapperIN6hipcub16HIPCUB_304000_NS8EqualityEEESF_JS6_EEE10hipError_tPvRmT3_T4_T5_T6_T7_T9_mT8_P12ihipStream_tbDpT10_ENKUlT_T0_E_clISt17integral_constantIbLb1EES15_IbLb0EEEEDaS11_S12_EUlS11_E_NS1_11comp_targetILNS1_3genE0ELNS1_11target_archE4294967295ELNS1_3gpuE0ELNS1_3repE0EEENS1_30default_config_static_selectorELNS0_4arch9wavefront6targetE0EEEvT1_
		.amdhsa_group_segment_fixed_size 0
		.amdhsa_private_segment_fixed_size 0
		.amdhsa_kernarg_size 112
		.amdhsa_user_sgpr_count 2
		.amdhsa_user_sgpr_dispatch_ptr 0
		.amdhsa_user_sgpr_queue_ptr 0
		.amdhsa_user_sgpr_kernarg_segment_ptr 1
		.amdhsa_user_sgpr_dispatch_id 0
		.amdhsa_user_sgpr_kernarg_preload_length 0
		.amdhsa_user_sgpr_kernarg_preload_offset 0
		.amdhsa_user_sgpr_private_segment_size 0
		.amdhsa_wavefront_size32 1
		.amdhsa_uses_dynamic_stack 0
		.amdhsa_enable_private_segment 0
		.amdhsa_system_sgpr_workgroup_id_x 1
		.amdhsa_system_sgpr_workgroup_id_y 0
		.amdhsa_system_sgpr_workgroup_id_z 0
		.amdhsa_system_sgpr_workgroup_info 0
		.amdhsa_system_vgpr_workitem_id 0
		.amdhsa_next_free_vgpr 1
		.amdhsa_next_free_sgpr 1
		.amdhsa_named_barrier_count 0
		.amdhsa_reserve_vcc 0
		.amdhsa_float_round_mode_32 0
		.amdhsa_float_round_mode_16_64 0
		.amdhsa_float_denorm_mode_32 3
		.amdhsa_float_denorm_mode_16_64 3
		.amdhsa_fp16_overflow 0
		.amdhsa_memory_ordered 1
		.amdhsa_forward_progress 1
		.amdhsa_inst_pref_size 1
		.amdhsa_round_robin_scheduling 0
		.amdhsa_exception_fp_ieee_invalid_op 0
		.amdhsa_exception_fp_denorm_src 0
		.amdhsa_exception_fp_ieee_div_zero 0
		.amdhsa_exception_fp_ieee_overflow 0
		.amdhsa_exception_fp_ieee_underflow 0
		.amdhsa_exception_fp_ieee_inexact 0
		.amdhsa_exception_int_div_zero 0
	.end_amdhsa_kernel
	.section	.text._ZN7rocprim17ROCPRIM_400000_NS6detail17trampoline_kernelINS0_14default_configENS1_25partition_config_selectorILNS1_17partition_subalgoE8ElNS0_10empty_typeEbEEZZNS1_14partition_implILS5_8ELb0ES3_jPKlPS6_PKS6_NS0_5tupleIJPlS6_EEENSE_IJSB_SB_EEENS0_18inequality_wrapperIN6hipcub16HIPCUB_304000_NS8EqualityEEESF_JS6_EEE10hipError_tPvRmT3_T4_T5_T6_T7_T9_mT8_P12ihipStream_tbDpT10_ENKUlT_T0_E_clISt17integral_constantIbLb1EES15_IbLb0EEEEDaS11_S12_EUlS11_E_NS1_11comp_targetILNS1_3genE0ELNS1_11target_archE4294967295ELNS1_3gpuE0ELNS1_3repE0EEENS1_30default_config_static_selectorELNS0_4arch9wavefront6targetE0EEEvT1_,"axG",@progbits,_ZN7rocprim17ROCPRIM_400000_NS6detail17trampoline_kernelINS0_14default_configENS1_25partition_config_selectorILNS1_17partition_subalgoE8ElNS0_10empty_typeEbEEZZNS1_14partition_implILS5_8ELb0ES3_jPKlPS6_PKS6_NS0_5tupleIJPlS6_EEENSE_IJSB_SB_EEENS0_18inequality_wrapperIN6hipcub16HIPCUB_304000_NS8EqualityEEESF_JS6_EEE10hipError_tPvRmT3_T4_T5_T6_T7_T9_mT8_P12ihipStream_tbDpT10_ENKUlT_T0_E_clISt17integral_constantIbLb1EES15_IbLb0EEEEDaS11_S12_EUlS11_E_NS1_11comp_targetILNS1_3genE0ELNS1_11target_archE4294967295ELNS1_3gpuE0ELNS1_3repE0EEENS1_30default_config_static_selectorELNS0_4arch9wavefront6targetE0EEEvT1_,comdat
.Lfunc_end495:
	.size	_ZN7rocprim17ROCPRIM_400000_NS6detail17trampoline_kernelINS0_14default_configENS1_25partition_config_selectorILNS1_17partition_subalgoE8ElNS0_10empty_typeEbEEZZNS1_14partition_implILS5_8ELb0ES3_jPKlPS6_PKS6_NS0_5tupleIJPlS6_EEENSE_IJSB_SB_EEENS0_18inequality_wrapperIN6hipcub16HIPCUB_304000_NS8EqualityEEESF_JS6_EEE10hipError_tPvRmT3_T4_T5_T6_T7_T9_mT8_P12ihipStream_tbDpT10_ENKUlT_T0_E_clISt17integral_constantIbLb1EES15_IbLb0EEEEDaS11_S12_EUlS11_E_NS1_11comp_targetILNS1_3genE0ELNS1_11target_archE4294967295ELNS1_3gpuE0ELNS1_3repE0EEENS1_30default_config_static_selectorELNS0_4arch9wavefront6targetE0EEEvT1_, .Lfunc_end495-_ZN7rocprim17ROCPRIM_400000_NS6detail17trampoline_kernelINS0_14default_configENS1_25partition_config_selectorILNS1_17partition_subalgoE8ElNS0_10empty_typeEbEEZZNS1_14partition_implILS5_8ELb0ES3_jPKlPS6_PKS6_NS0_5tupleIJPlS6_EEENSE_IJSB_SB_EEENS0_18inequality_wrapperIN6hipcub16HIPCUB_304000_NS8EqualityEEESF_JS6_EEE10hipError_tPvRmT3_T4_T5_T6_T7_T9_mT8_P12ihipStream_tbDpT10_ENKUlT_T0_E_clISt17integral_constantIbLb1EES15_IbLb0EEEEDaS11_S12_EUlS11_E_NS1_11comp_targetILNS1_3genE0ELNS1_11target_archE4294967295ELNS1_3gpuE0ELNS1_3repE0EEENS1_30default_config_static_selectorELNS0_4arch9wavefront6targetE0EEEvT1_
                                        ; -- End function
	.set _ZN7rocprim17ROCPRIM_400000_NS6detail17trampoline_kernelINS0_14default_configENS1_25partition_config_selectorILNS1_17partition_subalgoE8ElNS0_10empty_typeEbEEZZNS1_14partition_implILS5_8ELb0ES3_jPKlPS6_PKS6_NS0_5tupleIJPlS6_EEENSE_IJSB_SB_EEENS0_18inequality_wrapperIN6hipcub16HIPCUB_304000_NS8EqualityEEESF_JS6_EEE10hipError_tPvRmT3_T4_T5_T6_T7_T9_mT8_P12ihipStream_tbDpT10_ENKUlT_T0_E_clISt17integral_constantIbLb1EES15_IbLb0EEEEDaS11_S12_EUlS11_E_NS1_11comp_targetILNS1_3genE0ELNS1_11target_archE4294967295ELNS1_3gpuE0ELNS1_3repE0EEENS1_30default_config_static_selectorELNS0_4arch9wavefront6targetE0EEEvT1_.num_vgpr, 0
	.set _ZN7rocprim17ROCPRIM_400000_NS6detail17trampoline_kernelINS0_14default_configENS1_25partition_config_selectorILNS1_17partition_subalgoE8ElNS0_10empty_typeEbEEZZNS1_14partition_implILS5_8ELb0ES3_jPKlPS6_PKS6_NS0_5tupleIJPlS6_EEENSE_IJSB_SB_EEENS0_18inequality_wrapperIN6hipcub16HIPCUB_304000_NS8EqualityEEESF_JS6_EEE10hipError_tPvRmT3_T4_T5_T6_T7_T9_mT8_P12ihipStream_tbDpT10_ENKUlT_T0_E_clISt17integral_constantIbLb1EES15_IbLb0EEEEDaS11_S12_EUlS11_E_NS1_11comp_targetILNS1_3genE0ELNS1_11target_archE4294967295ELNS1_3gpuE0ELNS1_3repE0EEENS1_30default_config_static_selectorELNS0_4arch9wavefront6targetE0EEEvT1_.num_agpr, 0
	.set _ZN7rocprim17ROCPRIM_400000_NS6detail17trampoline_kernelINS0_14default_configENS1_25partition_config_selectorILNS1_17partition_subalgoE8ElNS0_10empty_typeEbEEZZNS1_14partition_implILS5_8ELb0ES3_jPKlPS6_PKS6_NS0_5tupleIJPlS6_EEENSE_IJSB_SB_EEENS0_18inequality_wrapperIN6hipcub16HIPCUB_304000_NS8EqualityEEESF_JS6_EEE10hipError_tPvRmT3_T4_T5_T6_T7_T9_mT8_P12ihipStream_tbDpT10_ENKUlT_T0_E_clISt17integral_constantIbLb1EES15_IbLb0EEEEDaS11_S12_EUlS11_E_NS1_11comp_targetILNS1_3genE0ELNS1_11target_archE4294967295ELNS1_3gpuE0ELNS1_3repE0EEENS1_30default_config_static_selectorELNS0_4arch9wavefront6targetE0EEEvT1_.numbered_sgpr, 0
	.set _ZN7rocprim17ROCPRIM_400000_NS6detail17trampoline_kernelINS0_14default_configENS1_25partition_config_selectorILNS1_17partition_subalgoE8ElNS0_10empty_typeEbEEZZNS1_14partition_implILS5_8ELb0ES3_jPKlPS6_PKS6_NS0_5tupleIJPlS6_EEENSE_IJSB_SB_EEENS0_18inequality_wrapperIN6hipcub16HIPCUB_304000_NS8EqualityEEESF_JS6_EEE10hipError_tPvRmT3_T4_T5_T6_T7_T9_mT8_P12ihipStream_tbDpT10_ENKUlT_T0_E_clISt17integral_constantIbLb1EES15_IbLb0EEEEDaS11_S12_EUlS11_E_NS1_11comp_targetILNS1_3genE0ELNS1_11target_archE4294967295ELNS1_3gpuE0ELNS1_3repE0EEENS1_30default_config_static_selectorELNS0_4arch9wavefront6targetE0EEEvT1_.num_named_barrier, 0
	.set _ZN7rocprim17ROCPRIM_400000_NS6detail17trampoline_kernelINS0_14default_configENS1_25partition_config_selectorILNS1_17partition_subalgoE8ElNS0_10empty_typeEbEEZZNS1_14partition_implILS5_8ELb0ES3_jPKlPS6_PKS6_NS0_5tupleIJPlS6_EEENSE_IJSB_SB_EEENS0_18inequality_wrapperIN6hipcub16HIPCUB_304000_NS8EqualityEEESF_JS6_EEE10hipError_tPvRmT3_T4_T5_T6_T7_T9_mT8_P12ihipStream_tbDpT10_ENKUlT_T0_E_clISt17integral_constantIbLb1EES15_IbLb0EEEEDaS11_S12_EUlS11_E_NS1_11comp_targetILNS1_3genE0ELNS1_11target_archE4294967295ELNS1_3gpuE0ELNS1_3repE0EEENS1_30default_config_static_selectorELNS0_4arch9wavefront6targetE0EEEvT1_.private_seg_size, 0
	.set _ZN7rocprim17ROCPRIM_400000_NS6detail17trampoline_kernelINS0_14default_configENS1_25partition_config_selectorILNS1_17partition_subalgoE8ElNS0_10empty_typeEbEEZZNS1_14partition_implILS5_8ELb0ES3_jPKlPS6_PKS6_NS0_5tupleIJPlS6_EEENSE_IJSB_SB_EEENS0_18inequality_wrapperIN6hipcub16HIPCUB_304000_NS8EqualityEEESF_JS6_EEE10hipError_tPvRmT3_T4_T5_T6_T7_T9_mT8_P12ihipStream_tbDpT10_ENKUlT_T0_E_clISt17integral_constantIbLb1EES15_IbLb0EEEEDaS11_S12_EUlS11_E_NS1_11comp_targetILNS1_3genE0ELNS1_11target_archE4294967295ELNS1_3gpuE0ELNS1_3repE0EEENS1_30default_config_static_selectorELNS0_4arch9wavefront6targetE0EEEvT1_.uses_vcc, 0
	.set _ZN7rocprim17ROCPRIM_400000_NS6detail17trampoline_kernelINS0_14default_configENS1_25partition_config_selectorILNS1_17partition_subalgoE8ElNS0_10empty_typeEbEEZZNS1_14partition_implILS5_8ELb0ES3_jPKlPS6_PKS6_NS0_5tupleIJPlS6_EEENSE_IJSB_SB_EEENS0_18inequality_wrapperIN6hipcub16HIPCUB_304000_NS8EqualityEEESF_JS6_EEE10hipError_tPvRmT3_T4_T5_T6_T7_T9_mT8_P12ihipStream_tbDpT10_ENKUlT_T0_E_clISt17integral_constantIbLb1EES15_IbLb0EEEEDaS11_S12_EUlS11_E_NS1_11comp_targetILNS1_3genE0ELNS1_11target_archE4294967295ELNS1_3gpuE0ELNS1_3repE0EEENS1_30default_config_static_selectorELNS0_4arch9wavefront6targetE0EEEvT1_.uses_flat_scratch, 0
	.set _ZN7rocprim17ROCPRIM_400000_NS6detail17trampoline_kernelINS0_14default_configENS1_25partition_config_selectorILNS1_17partition_subalgoE8ElNS0_10empty_typeEbEEZZNS1_14partition_implILS5_8ELb0ES3_jPKlPS6_PKS6_NS0_5tupleIJPlS6_EEENSE_IJSB_SB_EEENS0_18inequality_wrapperIN6hipcub16HIPCUB_304000_NS8EqualityEEESF_JS6_EEE10hipError_tPvRmT3_T4_T5_T6_T7_T9_mT8_P12ihipStream_tbDpT10_ENKUlT_T0_E_clISt17integral_constantIbLb1EES15_IbLb0EEEEDaS11_S12_EUlS11_E_NS1_11comp_targetILNS1_3genE0ELNS1_11target_archE4294967295ELNS1_3gpuE0ELNS1_3repE0EEENS1_30default_config_static_selectorELNS0_4arch9wavefront6targetE0EEEvT1_.has_dyn_sized_stack, 0
	.set _ZN7rocprim17ROCPRIM_400000_NS6detail17trampoline_kernelINS0_14default_configENS1_25partition_config_selectorILNS1_17partition_subalgoE8ElNS0_10empty_typeEbEEZZNS1_14partition_implILS5_8ELb0ES3_jPKlPS6_PKS6_NS0_5tupleIJPlS6_EEENSE_IJSB_SB_EEENS0_18inequality_wrapperIN6hipcub16HIPCUB_304000_NS8EqualityEEESF_JS6_EEE10hipError_tPvRmT3_T4_T5_T6_T7_T9_mT8_P12ihipStream_tbDpT10_ENKUlT_T0_E_clISt17integral_constantIbLb1EES15_IbLb0EEEEDaS11_S12_EUlS11_E_NS1_11comp_targetILNS1_3genE0ELNS1_11target_archE4294967295ELNS1_3gpuE0ELNS1_3repE0EEENS1_30default_config_static_selectorELNS0_4arch9wavefront6targetE0EEEvT1_.has_recursion, 0
	.set _ZN7rocprim17ROCPRIM_400000_NS6detail17trampoline_kernelINS0_14default_configENS1_25partition_config_selectorILNS1_17partition_subalgoE8ElNS0_10empty_typeEbEEZZNS1_14partition_implILS5_8ELb0ES3_jPKlPS6_PKS6_NS0_5tupleIJPlS6_EEENSE_IJSB_SB_EEENS0_18inequality_wrapperIN6hipcub16HIPCUB_304000_NS8EqualityEEESF_JS6_EEE10hipError_tPvRmT3_T4_T5_T6_T7_T9_mT8_P12ihipStream_tbDpT10_ENKUlT_T0_E_clISt17integral_constantIbLb1EES15_IbLb0EEEEDaS11_S12_EUlS11_E_NS1_11comp_targetILNS1_3genE0ELNS1_11target_archE4294967295ELNS1_3gpuE0ELNS1_3repE0EEENS1_30default_config_static_selectorELNS0_4arch9wavefront6targetE0EEEvT1_.has_indirect_call, 0
	.section	.AMDGPU.csdata,"",@progbits
; Kernel info:
; codeLenInByte = 4
; TotalNumSgprs: 0
; NumVgprs: 0
; ScratchSize: 0
; MemoryBound: 0
; FloatMode: 240
; IeeeMode: 1
; LDSByteSize: 0 bytes/workgroup (compile time only)
; SGPRBlocks: 0
; VGPRBlocks: 0
; NumSGPRsForWavesPerEU: 1
; NumVGPRsForWavesPerEU: 1
; NamedBarCnt: 0
; Occupancy: 16
; WaveLimiterHint : 0
; COMPUTE_PGM_RSRC2:SCRATCH_EN: 0
; COMPUTE_PGM_RSRC2:USER_SGPR: 2
; COMPUTE_PGM_RSRC2:TRAP_HANDLER: 0
; COMPUTE_PGM_RSRC2:TGID_X_EN: 1
; COMPUTE_PGM_RSRC2:TGID_Y_EN: 0
; COMPUTE_PGM_RSRC2:TGID_Z_EN: 0
; COMPUTE_PGM_RSRC2:TIDIG_COMP_CNT: 0
	.section	.text._ZN7rocprim17ROCPRIM_400000_NS6detail17trampoline_kernelINS0_14default_configENS1_25partition_config_selectorILNS1_17partition_subalgoE8ElNS0_10empty_typeEbEEZZNS1_14partition_implILS5_8ELb0ES3_jPKlPS6_PKS6_NS0_5tupleIJPlS6_EEENSE_IJSB_SB_EEENS0_18inequality_wrapperIN6hipcub16HIPCUB_304000_NS8EqualityEEESF_JS6_EEE10hipError_tPvRmT3_T4_T5_T6_T7_T9_mT8_P12ihipStream_tbDpT10_ENKUlT_T0_E_clISt17integral_constantIbLb1EES15_IbLb0EEEEDaS11_S12_EUlS11_E_NS1_11comp_targetILNS1_3genE5ELNS1_11target_archE942ELNS1_3gpuE9ELNS1_3repE0EEENS1_30default_config_static_selectorELNS0_4arch9wavefront6targetE0EEEvT1_,"axG",@progbits,_ZN7rocprim17ROCPRIM_400000_NS6detail17trampoline_kernelINS0_14default_configENS1_25partition_config_selectorILNS1_17partition_subalgoE8ElNS0_10empty_typeEbEEZZNS1_14partition_implILS5_8ELb0ES3_jPKlPS6_PKS6_NS0_5tupleIJPlS6_EEENSE_IJSB_SB_EEENS0_18inequality_wrapperIN6hipcub16HIPCUB_304000_NS8EqualityEEESF_JS6_EEE10hipError_tPvRmT3_T4_T5_T6_T7_T9_mT8_P12ihipStream_tbDpT10_ENKUlT_T0_E_clISt17integral_constantIbLb1EES15_IbLb0EEEEDaS11_S12_EUlS11_E_NS1_11comp_targetILNS1_3genE5ELNS1_11target_archE942ELNS1_3gpuE9ELNS1_3repE0EEENS1_30default_config_static_selectorELNS0_4arch9wavefront6targetE0EEEvT1_,comdat
	.protected	_ZN7rocprim17ROCPRIM_400000_NS6detail17trampoline_kernelINS0_14default_configENS1_25partition_config_selectorILNS1_17partition_subalgoE8ElNS0_10empty_typeEbEEZZNS1_14partition_implILS5_8ELb0ES3_jPKlPS6_PKS6_NS0_5tupleIJPlS6_EEENSE_IJSB_SB_EEENS0_18inequality_wrapperIN6hipcub16HIPCUB_304000_NS8EqualityEEESF_JS6_EEE10hipError_tPvRmT3_T4_T5_T6_T7_T9_mT8_P12ihipStream_tbDpT10_ENKUlT_T0_E_clISt17integral_constantIbLb1EES15_IbLb0EEEEDaS11_S12_EUlS11_E_NS1_11comp_targetILNS1_3genE5ELNS1_11target_archE942ELNS1_3gpuE9ELNS1_3repE0EEENS1_30default_config_static_selectorELNS0_4arch9wavefront6targetE0EEEvT1_ ; -- Begin function _ZN7rocprim17ROCPRIM_400000_NS6detail17trampoline_kernelINS0_14default_configENS1_25partition_config_selectorILNS1_17partition_subalgoE8ElNS0_10empty_typeEbEEZZNS1_14partition_implILS5_8ELb0ES3_jPKlPS6_PKS6_NS0_5tupleIJPlS6_EEENSE_IJSB_SB_EEENS0_18inequality_wrapperIN6hipcub16HIPCUB_304000_NS8EqualityEEESF_JS6_EEE10hipError_tPvRmT3_T4_T5_T6_T7_T9_mT8_P12ihipStream_tbDpT10_ENKUlT_T0_E_clISt17integral_constantIbLb1EES15_IbLb0EEEEDaS11_S12_EUlS11_E_NS1_11comp_targetILNS1_3genE5ELNS1_11target_archE942ELNS1_3gpuE9ELNS1_3repE0EEENS1_30default_config_static_selectorELNS0_4arch9wavefront6targetE0EEEvT1_
	.globl	_ZN7rocprim17ROCPRIM_400000_NS6detail17trampoline_kernelINS0_14default_configENS1_25partition_config_selectorILNS1_17partition_subalgoE8ElNS0_10empty_typeEbEEZZNS1_14partition_implILS5_8ELb0ES3_jPKlPS6_PKS6_NS0_5tupleIJPlS6_EEENSE_IJSB_SB_EEENS0_18inequality_wrapperIN6hipcub16HIPCUB_304000_NS8EqualityEEESF_JS6_EEE10hipError_tPvRmT3_T4_T5_T6_T7_T9_mT8_P12ihipStream_tbDpT10_ENKUlT_T0_E_clISt17integral_constantIbLb1EES15_IbLb0EEEEDaS11_S12_EUlS11_E_NS1_11comp_targetILNS1_3genE5ELNS1_11target_archE942ELNS1_3gpuE9ELNS1_3repE0EEENS1_30default_config_static_selectorELNS0_4arch9wavefront6targetE0EEEvT1_
	.p2align	8
	.type	_ZN7rocprim17ROCPRIM_400000_NS6detail17trampoline_kernelINS0_14default_configENS1_25partition_config_selectorILNS1_17partition_subalgoE8ElNS0_10empty_typeEbEEZZNS1_14partition_implILS5_8ELb0ES3_jPKlPS6_PKS6_NS0_5tupleIJPlS6_EEENSE_IJSB_SB_EEENS0_18inequality_wrapperIN6hipcub16HIPCUB_304000_NS8EqualityEEESF_JS6_EEE10hipError_tPvRmT3_T4_T5_T6_T7_T9_mT8_P12ihipStream_tbDpT10_ENKUlT_T0_E_clISt17integral_constantIbLb1EES15_IbLb0EEEEDaS11_S12_EUlS11_E_NS1_11comp_targetILNS1_3genE5ELNS1_11target_archE942ELNS1_3gpuE9ELNS1_3repE0EEENS1_30default_config_static_selectorELNS0_4arch9wavefront6targetE0EEEvT1_,@function
_ZN7rocprim17ROCPRIM_400000_NS6detail17trampoline_kernelINS0_14default_configENS1_25partition_config_selectorILNS1_17partition_subalgoE8ElNS0_10empty_typeEbEEZZNS1_14partition_implILS5_8ELb0ES3_jPKlPS6_PKS6_NS0_5tupleIJPlS6_EEENSE_IJSB_SB_EEENS0_18inequality_wrapperIN6hipcub16HIPCUB_304000_NS8EqualityEEESF_JS6_EEE10hipError_tPvRmT3_T4_T5_T6_T7_T9_mT8_P12ihipStream_tbDpT10_ENKUlT_T0_E_clISt17integral_constantIbLb1EES15_IbLb0EEEEDaS11_S12_EUlS11_E_NS1_11comp_targetILNS1_3genE5ELNS1_11target_archE942ELNS1_3gpuE9ELNS1_3repE0EEENS1_30default_config_static_selectorELNS0_4arch9wavefront6targetE0EEEvT1_: ; @_ZN7rocprim17ROCPRIM_400000_NS6detail17trampoline_kernelINS0_14default_configENS1_25partition_config_selectorILNS1_17partition_subalgoE8ElNS0_10empty_typeEbEEZZNS1_14partition_implILS5_8ELb0ES3_jPKlPS6_PKS6_NS0_5tupleIJPlS6_EEENSE_IJSB_SB_EEENS0_18inequality_wrapperIN6hipcub16HIPCUB_304000_NS8EqualityEEESF_JS6_EEE10hipError_tPvRmT3_T4_T5_T6_T7_T9_mT8_P12ihipStream_tbDpT10_ENKUlT_T0_E_clISt17integral_constantIbLb1EES15_IbLb0EEEEDaS11_S12_EUlS11_E_NS1_11comp_targetILNS1_3genE5ELNS1_11target_archE942ELNS1_3gpuE9ELNS1_3repE0EEENS1_30default_config_static_selectorELNS0_4arch9wavefront6targetE0EEEvT1_
; %bb.0:
	.section	.rodata,"a",@progbits
	.p2align	6, 0x0
	.amdhsa_kernel _ZN7rocprim17ROCPRIM_400000_NS6detail17trampoline_kernelINS0_14default_configENS1_25partition_config_selectorILNS1_17partition_subalgoE8ElNS0_10empty_typeEbEEZZNS1_14partition_implILS5_8ELb0ES3_jPKlPS6_PKS6_NS0_5tupleIJPlS6_EEENSE_IJSB_SB_EEENS0_18inequality_wrapperIN6hipcub16HIPCUB_304000_NS8EqualityEEESF_JS6_EEE10hipError_tPvRmT3_T4_T5_T6_T7_T9_mT8_P12ihipStream_tbDpT10_ENKUlT_T0_E_clISt17integral_constantIbLb1EES15_IbLb0EEEEDaS11_S12_EUlS11_E_NS1_11comp_targetILNS1_3genE5ELNS1_11target_archE942ELNS1_3gpuE9ELNS1_3repE0EEENS1_30default_config_static_selectorELNS0_4arch9wavefront6targetE0EEEvT1_
		.amdhsa_group_segment_fixed_size 0
		.amdhsa_private_segment_fixed_size 0
		.amdhsa_kernarg_size 112
		.amdhsa_user_sgpr_count 2
		.amdhsa_user_sgpr_dispatch_ptr 0
		.amdhsa_user_sgpr_queue_ptr 0
		.amdhsa_user_sgpr_kernarg_segment_ptr 1
		.amdhsa_user_sgpr_dispatch_id 0
		.amdhsa_user_sgpr_kernarg_preload_length 0
		.amdhsa_user_sgpr_kernarg_preload_offset 0
		.amdhsa_user_sgpr_private_segment_size 0
		.amdhsa_wavefront_size32 1
		.amdhsa_uses_dynamic_stack 0
		.amdhsa_enable_private_segment 0
		.amdhsa_system_sgpr_workgroup_id_x 1
		.amdhsa_system_sgpr_workgroup_id_y 0
		.amdhsa_system_sgpr_workgroup_id_z 0
		.amdhsa_system_sgpr_workgroup_info 0
		.amdhsa_system_vgpr_workitem_id 0
		.amdhsa_next_free_vgpr 1
		.amdhsa_next_free_sgpr 1
		.amdhsa_named_barrier_count 0
		.amdhsa_reserve_vcc 0
		.amdhsa_float_round_mode_32 0
		.amdhsa_float_round_mode_16_64 0
		.amdhsa_float_denorm_mode_32 3
		.amdhsa_float_denorm_mode_16_64 3
		.amdhsa_fp16_overflow 0
		.amdhsa_memory_ordered 1
		.amdhsa_forward_progress 1
		.amdhsa_inst_pref_size 0
		.amdhsa_round_robin_scheduling 0
		.amdhsa_exception_fp_ieee_invalid_op 0
		.amdhsa_exception_fp_denorm_src 0
		.amdhsa_exception_fp_ieee_div_zero 0
		.amdhsa_exception_fp_ieee_overflow 0
		.amdhsa_exception_fp_ieee_underflow 0
		.amdhsa_exception_fp_ieee_inexact 0
		.amdhsa_exception_int_div_zero 0
	.end_amdhsa_kernel
	.section	.text._ZN7rocprim17ROCPRIM_400000_NS6detail17trampoline_kernelINS0_14default_configENS1_25partition_config_selectorILNS1_17partition_subalgoE8ElNS0_10empty_typeEbEEZZNS1_14partition_implILS5_8ELb0ES3_jPKlPS6_PKS6_NS0_5tupleIJPlS6_EEENSE_IJSB_SB_EEENS0_18inequality_wrapperIN6hipcub16HIPCUB_304000_NS8EqualityEEESF_JS6_EEE10hipError_tPvRmT3_T4_T5_T6_T7_T9_mT8_P12ihipStream_tbDpT10_ENKUlT_T0_E_clISt17integral_constantIbLb1EES15_IbLb0EEEEDaS11_S12_EUlS11_E_NS1_11comp_targetILNS1_3genE5ELNS1_11target_archE942ELNS1_3gpuE9ELNS1_3repE0EEENS1_30default_config_static_selectorELNS0_4arch9wavefront6targetE0EEEvT1_,"axG",@progbits,_ZN7rocprim17ROCPRIM_400000_NS6detail17trampoline_kernelINS0_14default_configENS1_25partition_config_selectorILNS1_17partition_subalgoE8ElNS0_10empty_typeEbEEZZNS1_14partition_implILS5_8ELb0ES3_jPKlPS6_PKS6_NS0_5tupleIJPlS6_EEENSE_IJSB_SB_EEENS0_18inequality_wrapperIN6hipcub16HIPCUB_304000_NS8EqualityEEESF_JS6_EEE10hipError_tPvRmT3_T4_T5_T6_T7_T9_mT8_P12ihipStream_tbDpT10_ENKUlT_T0_E_clISt17integral_constantIbLb1EES15_IbLb0EEEEDaS11_S12_EUlS11_E_NS1_11comp_targetILNS1_3genE5ELNS1_11target_archE942ELNS1_3gpuE9ELNS1_3repE0EEENS1_30default_config_static_selectorELNS0_4arch9wavefront6targetE0EEEvT1_,comdat
.Lfunc_end496:
	.size	_ZN7rocprim17ROCPRIM_400000_NS6detail17trampoline_kernelINS0_14default_configENS1_25partition_config_selectorILNS1_17partition_subalgoE8ElNS0_10empty_typeEbEEZZNS1_14partition_implILS5_8ELb0ES3_jPKlPS6_PKS6_NS0_5tupleIJPlS6_EEENSE_IJSB_SB_EEENS0_18inequality_wrapperIN6hipcub16HIPCUB_304000_NS8EqualityEEESF_JS6_EEE10hipError_tPvRmT3_T4_T5_T6_T7_T9_mT8_P12ihipStream_tbDpT10_ENKUlT_T0_E_clISt17integral_constantIbLb1EES15_IbLb0EEEEDaS11_S12_EUlS11_E_NS1_11comp_targetILNS1_3genE5ELNS1_11target_archE942ELNS1_3gpuE9ELNS1_3repE0EEENS1_30default_config_static_selectorELNS0_4arch9wavefront6targetE0EEEvT1_, .Lfunc_end496-_ZN7rocprim17ROCPRIM_400000_NS6detail17trampoline_kernelINS0_14default_configENS1_25partition_config_selectorILNS1_17partition_subalgoE8ElNS0_10empty_typeEbEEZZNS1_14partition_implILS5_8ELb0ES3_jPKlPS6_PKS6_NS0_5tupleIJPlS6_EEENSE_IJSB_SB_EEENS0_18inequality_wrapperIN6hipcub16HIPCUB_304000_NS8EqualityEEESF_JS6_EEE10hipError_tPvRmT3_T4_T5_T6_T7_T9_mT8_P12ihipStream_tbDpT10_ENKUlT_T0_E_clISt17integral_constantIbLb1EES15_IbLb0EEEEDaS11_S12_EUlS11_E_NS1_11comp_targetILNS1_3genE5ELNS1_11target_archE942ELNS1_3gpuE9ELNS1_3repE0EEENS1_30default_config_static_selectorELNS0_4arch9wavefront6targetE0EEEvT1_
                                        ; -- End function
	.set _ZN7rocprim17ROCPRIM_400000_NS6detail17trampoline_kernelINS0_14default_configENS1_25partition_config_selectorILNS1_17partition_subalgoE8ElNS0_10empty_typeEbEEZZNS1_14partition_implILS5_8ELb0ES3_jPKlPS6_PKS6_NS0_5tupleIJPlS6_EEENSE_IJSB_SB_EEENS0_18inequality_wrapperIN6hipcub16HIPCUB_304000_NS8EqualityEEESF_JS6_EEE10hipError_tPvRmT3_T4_T5_T6_T7_T9_mT8_P12ihipStream_tbDpT10_ENKUlT_T0_E_clISt17integral_constantIbLb1EES15_IbLb0EEEEDaS11_S12_EUlS11_E_NS1_11comp_targetILNS1_3genE5ELNS1_11target_archE942ELNS1_3gpuE9ELNS1_3repE0EEENS1_30default_config_static_selectorELNS0_4arch9wavefront6targetE0EEEvT1_.num_vgpr, 0
	.set _ZN7rocprim17ROCPRIM_400000_NS6detail17trampoline_kernelINS0_14default_configENS1_25partition_config_selectorILNS1_17partition_subalgoE8ElNS0_10empty_typeEbEEZZNS1_14partition_implILS5_8ELb0ES3_jPKlPS6_PKS6_NS0_5tupleIJPlS6_EEENSE_IJSB_SB_EEENS0_18inequality_wrapperIN6hipcub16HIPCUB_304000_NS8EqualityEEESF_JS6_EEE10hipError_tPvRmT3_T4_T5_T6_T7_T9_mT8_P12ihipStream_tbDpT10_ENKUlT_T0_E_clISt17integral_constantIbLb1EES15_IbLb0EEEEDaS11_S12_EUlS11_E_NS1_11comp_targetILNS1_3genE5ELNS1_11target_archE942ELNS1_3gpuE9ELNS1_3repE0EEENS1_30default_config_static_selectorELNS0_4arch9wavefront6targetE0EEEvT1_.num_agpr, 0
	.set _ZN7rocprim17ROCPRIM_400000_NS6detail17trampoline_kernelINS0_14default_configENS1_25partition_config_selectorILNS1_17partition_subalgoE8ElNS0_10empty_typeEbEEZZNS1_14partition_implILS5_8ELb0ES3_jPKlPS6_PKS6_NS0_5tupleIJPlS6_EEENSE_IJSB_SB_EEENS0_18inequality_wrapperIN6hipcub16HIPCUB_304000_NS8EqualityEEESF_JS6_EEE10hipError_tPvRmT3_T4_T5_T6_T7_T9_mT8_P12ihipStream_tbDpT10_ENKUlT_T0_E_clISt17integral_constantIbLb1EES15_IbLb0EEEEDaS11_S12_EUlS11_E_NS1_11comp_targetILNS1_3genE5ELNS1_11target_archE942ELNS1_3gpuE9ELNS1_3repE0EEENS1_30default_config_static_selectorELNS0_4arch9wavefront6targetE0EEEvT1_.numbered_sgpr, 0
	.set _ZN7rocprim17ROCPRIM_400000_NS6detail17trampoline_kernelINS0_14default_configENS1_25partition_config_selectorILNS1_17partition_subalgoE8ElNS0_10empty_typeEbEEZZNS1_14partition_implILS5_8ELb0ES3_jPKlPS6_PKS6_NS0_5tupleIJPlS6_EEENSE_IJSB_SB_EEENS0_18inequality_wrapperIN6hipcub16HIPCUB_304000_NS8EqualityEEESF_JS6_EEE10hipError_tPvRmT3_T4_T5_T6_T7_T9_mT8_P12ihipStream_tbDpT10_ENKUlT_T0_E_clISt17integral_constantIbLb1EES15_IbLb0EEEEDaS11_S12_EUlS11_E_NS1_11comp_targetILNS1_3genE5ELNS1_11target_archE942ELNS1_3gpuE9ELNS1_3repE0EEENS1_30default_config_static_selectorELNS0_4arch9wavefront6targetE0EEEvT1_.num_named_barrier, 0
	.set _ZN7rocprim17ROCPRIM_400000_NS6detail17trampoline_kernelINS0_14default_configENS1_25partition_config_selectorILNS1_17partition_subalgoE8ElNS0_10empty_typeEbEEZZNS1_14partition_implILS5_8ELb0ES3_jPKlPS6_PKS6_NS0_5tupleIJPlS6_EEENSE_IJSB_SB_EEENS0_18inequality_wrapperIN6hipcub16HIPCUB_304000_NS8EqualityEEESF_JS6_EEE10hipError_tPvRmT3_T4_T5_T6_T7_T9_mT8_P12ihipStream_tbDpT10_ENKUlT_T0_E_clISt17integral_constantIbLb1EES15_IbLb0EEEEDaS11_S12_EUlS11_E_NS1_11comp_targetILNS1_3genE5ELNS1_11target_archE942ELNS1_3gpuE9ELNS1_3repE0EEENS1_30default_config_static_selectorELNS0_4arch9wavefront6targetE0EEEvT1_.private_seg_size, 0
	.set _ZN7rocprim17ROCPRIM_400000_NS6detail17trampoline_kernelINS0_14default_configENS1_25partition_config_selectorILNS1_17partition_subalgoE8ElNS0_10empty_typeEbEEZZNS1_14partition_implILS5_8ELb0ES3_jPKlPS6_PKS6_NS0_5tupleIJPlS6_EEENSE_IJSB_SB_EEENS0_18inequality_wrapperIN6hipcub16HIPCUB_304000_NS8EqualityEEESF_JS6_EEE10hipError_tPvRmT3_T4_T5_T6_T7_T9_mT8_P12ihipStream_tbDpT10_ENKUlT_T0_E_clISt17integral_constantIbLb1EES15_IbLb0EEEEDaS11_S12_EUlS11_E_NS1_11comp_targetILNS1_3genE5ELNS1_11target_archE942ELNS1_3gpuE9ELNS1_3repE0EEENS1_30default_config_static_selectorELNS0_4arch9wavefront6targetE0EEEvT1_.uses_vcc, 0
	.set _ZN7rocprim17ROCPRIM_400000_NS6detail17trampoline_kernelINS0_14default_configENS1_25partition_config_selectorILNS1_17partition_subalgoE8ElNS0_10empty_typeEbEEZZNS1_14partition_implILS5_8ELb0ES3_jPKlPS6_PKS6_NS0_5tupleIJPlS6_EEENSE_IJSB_SB_EEENS0_18inequality_wrapperIN6hipcub16HIPCUB_304000_NS8EqualityEEESF_JS6_EEE10hipError_tPvRmT3_T4_T5_T6_T7_T9_mT8_P12ihipStream_tbDpT10_ENKUlT_T0_E_clISt17integral_constantIbLb1EES15_IbLb0EEEEDaS11_S12_EUlS11_E_NS1_11comp_targetILNS1_3genE5ELNS1_11target_archE942ELNS1_3gpuE9ELNS1_3repE0EEENS1_30default_config_static_selectorELNS0_4arch9wavefront6targetE0EEEvT1_.uses_flat_scratch, 0
	.set _ZN7rocprim17ROCPRIM_400000_NS6detail17trampoline_kernelINS0_14default_configENS1_25partition_config_selectorILNS1_17partition_subalgoE8ElNS0_10empty_typeEbEEZZNS1_14partition_implILS5_8ELb0ES3_jPKlPS6_PKS6_NS0_5tupleIJPlS6_EEENSE_IJSB_SB_EEENS0_18inequality_wrapperIN6hipcub16HIPCUB_304000_NS8EqualityEEESF_JS6_EEE10hipError_tPvRmT3_T4_T5_T6_T7_T9_mT8_P12ihipStream_tbDpT10_ENKUlT_T0_E_clISt17integral_constantIbLb1EES15_IbLb0EEEEDaS11_S12_EUlS11_E_NS1_11comp_targetILNS1_3genE5ELNS1_11target_archE942ELNS1_3gpuE9ELNS1_3repE0EEENS1_30default_config_static_selectorELNS0_4arch9wavefront6targetE0EEEvT1_.has_dyn_sized_stack, 0
	.set _ZN7rocprim17ROCPRIM_400000_NS6detail17trampoline_kernelINS0_14default_configENS1_25partition_config_selectorILNS1_17partition_subalgoE8ElNS0_10empty_typeEbEEZZNS1_14partition_implILS5_8ELb0ES3_jPKlPS6_PKS6_NS0_5tupleIJPlS6_EEENSE_IJSB_SB_EEENS0_18inequality_wrapperIN6hipcub16HIPCUB_304000_NS8EqualityEEESF_JS6_EEE10hipError_tPvRmT3_T4_T5_T6_T7_T9_mT8_P12ihipStream_tbDpT10_ENKUlT_T0_E_clISt17integral_constantIbLb1EES15_IbLb0EEEEDaS11_S12_EUlS11_E_NS1_11comp_targetILNS1_3genE5ELNS1_11target_archE942ELNS1_3gpuE9ELNS1_3repE0EEENS1_30default_config_static_selectorELNS0_4arch9wavefront6targetE0EEEvT1_.has_recursion, 0
	.set _ZN7rocprim17ROCPRIM_400000_NS6detail17trampoline_kernelINS0_14default_configENS1_25partition_config_selectorILNS1_17partition_subalgoE8ElNS0_10empty_typeEbEEZZNS1_14partition_implILS5_8ELb0ES3_jPKlPS6_PKS6_NS0_5tupleIJPlS6_EEENSE_IJSB_SB_EEENS0_18inequality_wrapperIN6hipcub16HIPCUB_304000_NS8EqualityEEESF_JS6_EEE10hipError_tPvRmT3_T4_T5_T6_T7_T9_mT8_P12ihipStream_tbDpT10_ENKUlT_T0_E_clISt17integral_constantIbLb1EES15_IbLb0EEEEDaS11_S12_EUlS11_E_NS1_11comp_targetILNS1_3genE5ELNS1_11target_archE942ELNS1_3gpuE9ELNS1_3repE0EEENS1_30default_config_static_selectorELNS0_4arch9wavefront6targetE0EEEvT1_.has_indirect_call, 0
	.section	.AMDGPU.csdata,"",@progbits
; Kernel info:
; codeLenInByte = 0
; TotalNumSgprs: 0
; NumVgprs: 0
; ScratchSize: 0
; MemoryBound: 0
; FloatMode: 240
; IeeeMode: 1
; LDSByteSize: 0 bytes/workgroup (compile time only)
; SGPRBlocks: 0
; VGPRBlocks: 0
; NumSGPRsForWavesPerEU: 1
; NumVGPRsForWavesPerEU: 1
; NamedBarCnt: 0
; Occupancy: 16
; WaveLimiterHint : 0
; COMPUTE_PGM_RSRC2:SCRATCH_EN: 0
; COMPUTE_PGM_RSRC2:USER_SGPR: 2
; COMPUTE_PGM_RSRC2:TRAP_HANDLER: 0
; COMPUTE_PGM_RSRC2:TGID_X_EN: 1
; COMPUTE_PGM_RSRC2:TGID_Y_EN: 0
; COMPUTE_PGM_RSRC2:TGID_Z_EN: 0
; COMPUTE_PGM_RSRC2:TIDIG_COMP_CNT: 0
	.section	.text._ZN7rocprim17ROCPRIM_400000_NS6detail17trampoline_kernelINS0_14default_configENS1_25partition_config_selectorILNS1_17partition_subalgoE8ElNS0_10empty_typeEbEEZZNS1_14partition_implILS5_8ELb0ES3_jPKlPS6_PKS6_NS0_5tupleIJPlS6_EEENSE_IJSB_SB_EEENS0_18inequality_wrapperIN6hipcub16HIPCUB_304000_NS8EqualityEEESF_JS6_EEE10hipError_tPvRmT3_T4_T5_T6_T7_T9_mT8_P12ihipStream_tbDpT10_ENKUlT_T0_E_clISt17integral_constantIbLb1EES15_IbLb0EEEEDaS11_S12_EUlS11_E_NS1_11comp_targetILNS1_3genE4ELNS1_11target_archE910ELNS1_3gpuE8ELNS1_3repE0EEENS1_30default_config_static_selectorELNS0_4arch9wavefront6targetE0EEEvT1_,"axG",@progbits,_ZN7rocprim17ROCPRIM_400000_NS6detail17trampoline_kernelINS0_14default_configENS1_25partition_config_selectorILNS1_17partition_subalgoE8ElNS0_10empty_typeEbEEZZNS1_14partition_implILS5_8ELb0ES3_jPKlPS6_PKS6_NS0_5tupleIJPlS6_EEENSE_IJSB_SB_EEENS0_18inequality_wrapperIN6hipcub16HIPCUB_304000_NS8EqualityEEESF_JS6_EEE10hipError_tPvRmT3_T4_T5_T6_T7_T9_mT8_P12ihipStream_tbDpT10_ENKUlT_T0_E_clISt17integral_constantIbLb1EES15_IbLb0EEEEDaS11_S12_EUlS11_E_NS1_11comp_targetILNS1_3genE4ELNS1_11target_archE910ELNS1_3gpuE8ELNS1_3repE0EEENS1_30default_config_static_selectorELNS0_4arch9wavefront6targetE0EEEvT1_,comdat
	.protected	_ZN7rocprim17ROCPRIM_400000_NS6detail17trampoline_kernelINS0_14default_configENS1_25partition_config_selectorILNS1_17partition_subalgoE8ElNS0_10empty_typeEbEEZZNS1_14partition_implILS5_8ELb0ES3_jPKlPS6_PKS6_NS0_5tupleIJPlS6_EEENSE_IJSB_SB_EEENS0_18inequality_wrapperIN6hipcub16HIPCUB_304000_NS8EqualityEEESF_JS6_EEE10hipError_tPvRmT3_T4_T5_T6_T7_T9_mT8_P12ihipStream_tbDpT10_ENKUlT_T0_E_clISt17integral_constantIbLb1EES15_IbLb0EEEEDaS11_S12_EUlS11_E_NS1_11comp_targetILNS1_3genE4ELNS1_11target_archE910ELNS1_3gpuE8ELNS1_3repE0EEENS1_30default_config_static_selectorELNS0_4arch9wavefront6targetE0EEEvT1_ ; -- Begin function _ZN7rocprim17ROCPRIM_400000_NS6detail17trampoline_kernelINS0_14default_configENS1_25partition_config_selectorILNS1_17partition_subalgoE8ElNS0_10empty_typeEbEEZZNS1_14partition_implILS5_8ELb0ES3_jPKlPS6_PKS6_NS0_5tupleIJPlS6_EEENSE_IJSB_SB_EEENS0_18inequality_wrapperIN6hipcub16HIPCUB_304000_NS8EqualityEEESF_JS6_EEE10hipError_tPvRmT3_T4_T5_T6_T7_T9_mT8_P12ihipStream_tbDpT10_ENKUlT_T0_E_clISt17integral_constantIbLb1EES15_IbLb0EEEEDaS11_S12_EUlS11_E_NS1_11comp_targetILNS1_3genE4ELNS1_11target_archE910ELNS1_3gpuE8ELNS1_3repE0EEENS1_30default_config_static_selectorELNS0_4arch9wavefront6targetE0EEEvT1_
	.globl	_ZN7rocprim17ROCPRIM_400000_NS6detail17trampoline_kernelINS0_14default_configENS1_25partition_config_selectorILNS1_17partition_subalgoE8ElNS0_10empty_typeEbEEZZNS1_14partition_implILS5_8ELb0ES3_jPKlPS6_PKS6_NS0_5tupleIJPlS6_EEENSE_IJSB_SB_EEENS0_18inequality_wrapperIN6hipcub16HIPCUB_304000_NS8EqualityEEESF_JS6_EEE10hipError_tPvRmT3_T4_T5_T6_T7_T9_mT8_P12ihipStream_tbDpT10_ENKUlT_T0_E_clISt17integral_constantIbLb1EES15_IbLb0EEEEDaS11_S12_EUlS11_E_NS1_11comp_targetILNS1_3genE4ELNS1_11target_archE910ELNS1_3gpuE8ELNS1_3repE0EEENS1_30default_config_static_selectorELNS0_4arch9wavefront6targetE0EEEvT1_
	.p2align	8
	.type	_ZN7rocprim17ROCPRIM_400000_NS6detail17trampoline_kernelINS0_14default_configENS1_25partition_config_selectorILNS1_17partition_subalgoE8ElNS0_10empty_typeEbEEZZNS1_14partition_implILS5_8ELb0ES3_jPKlPS6_PKS6_NS0_5tupleIJPlS6_EEENSE_IJSB_SB_EEENS0_18inequality_wrapperIN6hipcub16HIPCUB_304000_NS8EqualityEEESF_JS6_EEE10hipError_tPvRmT3_T4_T5_T6_T7_T9_mT8_P12ihipStream_tbDpT10_ENKUlT_T0_E_clISt17integral_constantIbLb1EES15_IbLb0EEEEDaS11_S12_EUlS11_E_NS1_11comp_targetILNS1_3genE4ELNS1_11target_archE910ELNS1_3gpuE8ELNS1_3repE0EEENS1_30default_config_static_selectorELNS0_4arch9wavefront6targetE0EEEvT1_,@function
_ZN7rocprim17ROCPRIM_400000_NS6detail17trampoline_kernelINS0_14default_configENS1_25partition_config_selectorILNS1_17partition_subalgoE8ElNS0_10empty_typeEbEEZZNS1_14partition_implILS5_8ELb0ES3_jPKlPS6_PKS6_NS0_5tupleIJPlS6_EEENSE_IJSB_SB_EEENS0_18inequality_wrapperIN6hipcub16HIPCUB_304000_NS8EqualityEEESF_JS6_EEE10hipError_tPvRmT3_T4_T5_T6_T7_T9_mT8_P12ihipStream_tbDpT10_ENKUlT_T0_E_clISt17integral_constantIbLb1EES15_IbLb0EEEEDaS11_S12_EUlS11_E_NS1_11comp_targetILNS1_3genE4ELNS1_11target_archE910ELNS1_3gpuE8ELNS1_3repE0EEENS1_30default_config_static_selectorELNS0_4arch9wavefront6targetE0EEEvT1_: ; @_ZN7rocprim17ROCPRIM_400000_NS6detail17trampoline_kernelINS0_14default_configENS1_25partition_config_selectorILNS1_17partition_subalgoE8ElNS0_10empty_typeEbEEZZNS1_14partition_implILS5_8ELb0ES3_jPKlPS6_PKS6_NS0_5tupleIJPlS6_EEENSE_IJSB_SB_EEENS0_18inequality_wrapperIN6hipcub16HIPCUB_304000_NS8EqualityEEESF_JS6_EEE10hipError_tPvRmT3_T4_T5_T6_T7_T9_mT8_P12ihipStream_tbDpT10_ENKUlT_T0_E_clISt17integral_constantIbLb1EES15_IbLb0EEEEDaS11_S12_EUlS11_E_NS1_11comp_targetILNS1_3genE4ELNS1_11target_archE910ELNS1_3gpuE8ELNS1_3repE0EEENS1_30default_config_static_selectorELNS0_4arch9wavefront6targetE0EEEvT1_
; %bb.0:
	.section	.rodata,"a",@progbits
	.p2align	6, 0x0
	.amdhsa_kernel _ZN7rocprim17ROCPRIM_400000_NS6detail17trampoline_kernelINS0_14default_configENS1_25partition_config_selectorILNS1_17partition_subalgoE8ElNS0_10empty_typeEbEEZZNS1_14partition_implILS5_8ELb0ES3_jPKlPS6_PKS6_NS0_5tupleIJPlS6_EEENSE_IJSB_SB_EEENS0_18inequality_wrapperIN6hipcub16HIPCUB_304000_NS8EqualityEEESF_JS6_EEE10hipError_tPvRmT3_T4_T5_T6_T7_T9_mT8_P12ihipStream_tbDpT10_ENKUlT_T0_E_clISt17integral_constantIbLb1EES15_IbLb0EEEEDaS11_S12_EUlS11_E_NS1_11comp_targetILNS1_3genE4ELNS1_11target_archE910ELNS1_3gpuE8ELNS1_3repE0EEENS1_30default_config_static_selectorELNS0_4arch9wavefront6targetE0EEEvT1_
		.amdhsa_group_segment_fixed_size 0
		.amdhsa_private_segment_fixed_size 0
		.amdhsa_kernarg_size 112
		.amdhsa_user_sgpr_count 2
		.amdhsa_user_sgpr_dispatch_ptr 0
		.amdhsa_user_sgpr_queue_ptr 0
		.amdhsa_user_sgpr_kernarg_segment_ptr 1
		.amdhsa_user_sgpr_dispatch_id 0
		.amdhsa_user_sgpr_kernarg_preload_length 0
		.amdhsa_user_sgpr_kernarg_preload_offset 0
		.amdhsa_user_sgpr_private_segment_size 0
		.amdhsa_wavefront_size32 1
		.amdhsa_uses_dynamic_stack 0
		.amdhsa_enable_private_segment 0
		.amdhsa_system_sgpr_workgroup_id_x 1
		.amdhsa_system_sgpr_workgroup_id_y 0
		.amdhsa_system_sgpr_workgroup_id_z 0
		.amdhsa_system_sgpr_workgroup_info 0
		.amdhsa_system_vgpr_workitem_id 0
		.amdhsa_next_free_vgpr 1
		.amdhsa_next_free_sgpr 1
		.amdhsa_named_barrier_count 0
		.amdhsa_reserve_vcc 0
		.amdhsa_float_round_mode_32 0
		.amdhsa_float_round_mode_16_64 0
		.amdhsa_float_denorm_mode_32 3
		.amdhsa_float_denorm_mode_16_64 3
		.amdhsa_fp16_overflow 0
		.amdhsa_memory_ordered 1
		.amdhsa_forward_progress 1
		.amdhsa_inst_pref_size 0
		.amdhsa_round_robin_scheduling 0
		.amdhsa_exception_fp_ieee_invalid_op 0
		.amdhsa_exception_fp_denorm_src 0
		.amdhsa_exception_fp_ieee_div_zero 0
		.amdhsa_exception_fp_ieee_overflow 0
		.amdhsa_exception_fp_ieee_underflow 0
		.amdhsa_exception_fp_ieee_inexact 0
		.amdhsa_exception_int_div_zero 0
	.end_amdhsa_kernel
	.section	.text._ZN7rocprim17ROCPRIM_400000_NS6detail17trampoline_kernelINS0_14default_configENS1_25partition_config_selectorILNS1_17partition_subalgoE8ElNS0_10empty_typeEbEEZZNS1_14partition_implILS5_8ELb0ES3_jPKlPS6_PKS6_NS0_5tupleIJPlS6_EEENSE_IJSB_SB_EEENS0_18inequality_wrapperIN6hipcub16HIPCUB_304000_NS8EqualityEEESF_JS6_EEE10hipError_tPvRmT3_T4_T5_T6_T7_T9_mT8_P12ihipStream_tbDpT10_ENKUlT_T0_E_clISt17integral_constantIbLb1EES15_IbLb0EEEEDaS11_S12_EUlS11_E_NS1_11comp_targetILNS1_3genE4ELNS1_11target_archE910ELNS1_3gpuE8ELNS1_3repE0EEENS1_30default_config_static_selectorELNS0_4arch9wavefront6targetE0EEEvT1_,"axG",@progbits,_ZN7rocprim17ROCPRIM_400000_NS6detail17trampoline_kernelINS0_14default_configENS1_25partition_config_selectorILNS1_17partition_subalgoE8ElNS0_10empty_typeEbEEZZNS1_14partition_implILS5_8ELb0ES3_jPKlPS6_PKS6_NS0_5tupleIJPlS6_EEENSE_IJSB_SB_EEENS0_18inequality_wrapperIN6hipcub16HIPCUB_304000_NS8EqualityEEESF_JS6_EEE10hipError_tPvRmT3_T4_T5_T6_T7_T9_mT8_P12ihipStream_tbDpT10_ENKUlT_T0_E_clISt17integral_constantIbLb1EES15_IbLb0EEEEDaS11_S12_EUlS11_E_NS1_11comp_targetILNS1_3genE4ELNS1_11target_archE910ELNS1_3gpuE8ELNS1_3repE0EEENS1_30default_config_static_selectorELNS0_4arch9wavefront6targetE0EEEvT1_,comdat
.Lfunc_end497:
	.size	_ZN7rocprim17ROCPRIM_400000_NS6detail17trampoline_kernelINS0_14default_configENS1_25partition_config_selectorILNS1_17partition_subalgoE8ElNS0_10empty_typeEbEEZZNS1_14partition_implILS5_8ELb0ES3_jPKlPS6_PKS6_NS0_5tupleIJPlS6_EEENSE_IJSB_SB_EEENS0_18inequality_wrapperIN6hipcub16HIPCUB_304000_NS8EqualityEEESF_JS6_EEE10hipError_tPvRmT3_T4_T5_T6_T7_T9_mT8_P12ihipStream_tbDpT10_ENKUlT_T0_E_clISt17integral_constantIbLb1EES15_IbLb0EEEEDaS11_S12_EUlS11_E_NS1_11comp_targetILNS1_3genE4ELNS1_11target_archE910ELNS1_3gpuE8ELNS1_3repE0EEENS1_30default_config_static_selectorELNS0_4arch9wavefront6targetE0EEEvT1_, .Lfunc_end497-_ZN7rocprim17ROCPRIM_400000_NS6detail17trampoline_kernelINS0_14default_configENS1_25partition_config_selectorILNS1_17partition_subalgoE8ElNS0_10empty_typeEbEEZZNS1_14partition_implILS5_8ELb0ES3_jPKlPS6_PKS6_NS0_5tupleIJPlS6_EEENSE_IJSB_SB_EEENS0_18inequality_wrapperIN6hipcub16HIPCUB_304000_NS8EqualityEEESF_JS6_EEE10hipError_tPvRmT3_T4_T5_T6_T7_T9_mT8_P12ihipStream_tbDpT10_ENKUlT_T0_E_clISt17integral_constantIbLb1EES15_IbLb0EEEEDaS11_S12_EUlS11_E_NS1_11comp_targetILNS1_3genE4ELNS1_11target_archE910ELNS1_3gpuE8ELNS1_3repE0EEENS1_30default_config_static_selectorELNS0_4arch9wavefront6targetE0EEEvT1_
                                        ; -- End function
	.set _ZN7rocprim17ROCPRIM_400000_NS6detail17trampoline_kernelINS0_14default_configENS1_25partition_config_selectorILNS1_17partition_subalgoE8ElNS0_10empty_typeEbEEZZNS1_14partition_implILS5_8ELb0ES3_jPKlPS6_PKS6_NS0_5tupleIJPlS6_EEENSE_IJSB_SB_EEENS0_18inequality_wrapperIN6hipcub16HIPCUB_304000_NS8EqualityEEESF_JS6_EEE10hipError_tPvRmT3_T4_T5_T6_T7_T9_mT8_P12ihipStream_tbDpT10_ENKUlT_T0_E_clISt17integral_constantIbLb1EES15_IbLb0EEEEDaS11_S12_EUlS11_E_NS1_11comp_targetILNS1_3genE4ELNS1_11target_archE910ELNS1_3gpuE8ELNS1_3repE0EEENS1_30default_config_static_selectorELNS0_4arch9wavefront6targetE0EEEvT1_.num_vgpr, 0
	.set _ZN7rocprim17ROCPRIM_400000_NS6detail17trampoline_kernelINS0_14default_configENS1_25partition_config_selectorILNS1_17partition_subalgoE8ElNS0_10empty_typeEbEEZZNS1_14partition_implILS5_8ELb0ES3_jPKlPS6_PKS6_NS0_5tupleIJPlS6_EEENSE_IJSB_SB_EEENS0_18inequality_wrapperIN6hipcub16HIPCUB_304000_NS8EqualityEEESF_JS6_EEE10hipError_tPvRmT3_T4_T5_T6_T7_T9_mT8_P12ihipStream_tbDpT10_ENKUlT_T0_E_clISt17integral_constantIbLb1EES15_IbLb0EEEEDaS11_S12_EUlS11_E_NS1_11comp_targetILNS1_3genE4ELNS1_11target_archE910ELNS1_3gpuE8ELNS1_3repE0EEENS1_30default_config_static_selectorELNS0_4arch9wavefront6targetE0EEEvT1_.num_agpr, 0
	.set _ZN7rocprim17ROCPRIM_400000_NS6detail17trampoline_kernelINS0_14default_configENS1_25partition_config_selectorILNS1_17partition_subalgoE8ElNS0_10empty_typeEbEEZZNS1_14partition_implILS5_8ELb0ES3_jPKlPS6_PKS6_NS0_5tupleIJPlS6_EEENSE_IJSB_SB_EEENS0_18inequality_wrapperIN6hipcub16HIPCUB_304000_NS8EqualityEEESF_JS6_EEE10hipError_tPvRmT3_T4_T5_T6_T7_T9_mT8_P12ihipStream_tbDpT10_ENKUlT_T0_E_clISt17integral_constantIbLb1EES15_IbLb0EEEEDaS11_S12_EUlS11_E_NS1_11comp_targetILNS1_3genE4ELNS1_11target_archE910ELNS1_3gpuE8ELNS1_3repE0EEENS1_30default_config_static_selectorELNS0_4arch9wavefront6targetE0EEEvT1_.numbered_sgpr, 0
	.set _ZN7rocprim17ROCPRIM_400000_NS6detail17trampoline_kernelINS0_14default_configENS1_25partition_config_selectorILNS1_17partition_subalgoE8ElNS0_10empty_typeEbEEZZNS1_14partition_implILS5_8ELb0ES3_jPKlPS6_PKS6_NS0_5tupleIJPlS6_EEENSE_IJSB_SB_EEENS0_18inequality_wrapperIN6hipcub16HIPCUB_304000_NS8EqualityEEESF_JS6_EEE10hipError_tPvRmT3_T4_T5_T6_T7_T9_mT8_P12ihipStream_tbDpT10_ENKUlT_T0_E_clISt17integral_constantIbLb1EES15_IbLb0EEEEDaS11_S12_EUlS11_E_NS1_11comp_targetILNS1_3genE4ELNS1_11target_archE910ELNS1_3gpuE8ELNS1_3repE0EEENS1_30default_config_static_selectorELNS0_4arch9wavefront6targetE0EEEvT1_.num_named_barrier, 0
	.set _ZN7rocprim17ROCPRIM_400000_NS6detail17trampoline_kernelINS0_14default_configENS1_25partition_config_selectorILNS1_17partition_subalgoE8ElNS0_10empty_typeEbEEZZNS1_14partition_implILS5_8ELb0ES3_jPKlPS6_PKS6_NS0_5tupleIJPlS6_EEENSE_IJSB_SB_EEENS0_18inequality_wrapperIN6hipcub16HIPCUB_304000_NS8EqualityEEESF_JS6_EEE10hipError_tPvRmT3_T4_T5_T6_T7_T9_mT8_P12ihipStream_tbDpT10_ENKUlT_T0_E_clISt17integral_constantIbLb1EES15_IbLb0EEEEDaS11_S12_EUlS11_E_NS1_11comp_targetILNS1_3genE4ELNS1_11target_archE910ELNS1_3gpuE8ELNS1_3repE0EEENS1_30default_config_static_selectorELNS0_4arch9wavefront6targetE0EEEvT1_.private_seg_size, 0
	.set _ZN7rocprim17ROCPRIM_400000_NS6detail17trampoline_kernelINS0_14default_configENS1_25partition_config_selectorILNS1_17partition_subalgoE8ElNS0_10empty_typeEbEEZZNS1_14partition_implILS5_8ELb0ES3_jPKlPS6_PKS6_NS0_5tupleIJPlS6_EEENSE_IJSB_SB_EEENS0_18inequality_wrapperIN6hipcub16HIPCUB_304000_NS8EqualityEEESF_JS6_EEE10hipError_tPvRmT3_T4_T5_T6_T7_T9_mT8_P12ihipStream_tbDpT10_ENKUlT_T0_E_clISt17integral_constantIbLb1EES15_IbLb0EEEEDaS11_S12_EUlS11_E_NS1_11comp_targetILNS1_3genE4ELNS1_11target_archE910ELNS1_3gpuE8ELNS1_3repE0EEENS1_30default_config_static_selectorELNS0_4arch9wavefront6targetE0EEEvT1_.uses_vcc, 0
	.set _ZN7rocprim17ROCPRIM_400000_NS6detail17trampoline_kernelINS0_14default_configENS1_25partition_config_selectorILNS1_17partition_subalgoE8ElNS0_10empty_typeEbEEZZNS1_14partition_implILS5_8ELb0ES3_jPKlPS6_PKS6_NS0_5tupleIJPlS6_EEENSE_IJSB_SB_EEENS0_18inequality_wrapperIN6hipcub16HIPCUB_304000_NS8EqualityEEESF_JS6_EEE10hipError_tPvRmT3_T4_T5_T6_T7_T9_mT8_P12ihipStream_tbDpT10_ENKUlT_T0_E_clISt17integral_constantIbLb1EES15_IbLb0EEEEDaS11_S12_EUlS11_E_NS1_11comp_targetILNS1_3genE4ELNS1_11target_archE910ELNS1_3gpuE8ELNS1_3repE0EEENS1_30default_config_static_selectorELNS0_4arch9wavefront6targetE0EEEvT1_.uses_flat_scratch, 0
	.set _ZN7rocprim17ROCPRIM_400000_NS6detail17trampoline_kernelINS0_14default_configENS1_25partition_config_selectorILNS1_17partition_subalgoE8ElNS0_10empty_typeEbEEZZNS1_14partition_implILS5_8ELb0ES3_jPKlPS6_PKS6_NS0_5tupleIJPlS6_EEENSE_IJSB_SB_EEENS0_18inequality_wrapperIN6hipcub16HIPCUB_304000_NS8EqualityEEESF_JS6_EEE10hipError_tPvRmT3_T4_T5_T6_T7_T9_mT8_P12ihipStream_tbDpT10_ENKUlT_T0_E_clISt17integral_constantIbLb1EES15_IbLb0EEEEDaS11_S12_EUlS11_E_NS1_11comp_targetILNS1_3genE4ELNS1_11target_archE910ELNS1_3gpuE8ELNS1_3repE0EEENS1_30default_config_static_selectorELNS0_4arch9wavefront6targetE0EEEvT1_.has_dyn_sized_stack, 0
	.set _ZN7rocprim17ROCPRIM_400000_NS6detail17trampoline_kernelINS0_14default_configENS1_25partition_config_selectorILNS1_17partition_subalgoE8ElNS0_10empty_typeEbEEZZNS1_14partition_implILS5_8ELb0ES3_jPKlPS6_PKS6_NS0_5tupleIJPlS6_EEENSE_IJSB_SB_EEENS0_18inequality_wrapperIN6hipcub16HIPCUB_304000_NS8EqualityEEESF_JS6_EEE10hipError_tPvRmT3_T4_T5_T6_T7_T9_mT8_P12ihipStream_tbDpT10_ENKUlT_T0_E_clISt17integral_constantIbLb1EES15_IbLb0EEEEDaS11_S12_EUlS11_E_NS1_11comp_targetILNS1_3genE4ELNS1_11target_archE910ELNS1_3gpuE8ELNS1_3repE0EEENS1_30default_config_static_selectorELNS0_4arch9wavefront6targetE0EEEvT1_.has_recursion, 0
	.set _ZN7rocprim17ROCPRIM_400000_NS6detail17trampoline_kernelINS0_14default_configENS1_25partition_config_selectorILNS1_17partition_subalgoE8ElNS0_10empty_typeEbEEZZNS1_14partition_implILS5_8ELb0ES3_jPKlPS6_PKS6_NS0_5tupleIJPlS6_EEENSE_IJSB_SB_EEENS0_18inequality_wrapperIN6hipcub16HIPCUB_304000_NS8EqualityEEESF_JS6_EEE10hipError_tPvRmT3_T4_T5_T6_T7_T9_mT8_P12ihipStream_tbDpT10_ENKUlT_T0_E_clISt17integral_constantIbLb1EES15_IbLb0EEEEDaS11_S12_EUlS11_E_NS1_11comp_targetILNS1_3genE4ELNS1_11target_archE910ELNS1_3gpuE8ELNS1_3repE0EEENS1_30default_config_static_selectorELNS0_4arch9wavefront6targetE0EEEvT1_.has_indirect_call, 0
	.section	.AMDGPU.csdata,"",@progbits
; Kernel info:
; codeLenInByte = 0
; TotalNumSgprs: 0
; NumVgprs: 0
; ScratchSize: 0
; MemoryBound: 0
; FloatMode: 240
; IeeeMode: 1
; LDSByteSize: 0 bytes/workgroup (compile time only)
; SGPRBlocks: 0
; VGPRBlocks: 0
; NumSGPRsForWavesPerEU: 1
; NumVGPRsForWavesPerEU: 1
; NamedBarCnt: 0
; Occupancy: 16
; WaveLimiterHint : 0
; COMPUTE_PGM_RSRC2:SCRATCH_EN: 0
; COMPUTE_PGM_RSRC2:USER_SGPR: 2
; COMPUTE_PGM_RSRC2:TRAP_HANDLER: 0
; COMPUTE_PGM_RSRC2:TGID_X_EN: 1
; COMPUTE_PGM_RSRC2:TGID_Y_EN: 0
; COMPUTE_PGM_RSRC2:TGID_Z_EN: 0
; COMPUTE_PGM_RSRC2:TIDIG_COMP_CNT: 0
	.section	.text._ZN7rocprim17ROCPRIM_400000_NS6detail17trampoline_kernelINS0_14default_configENS1_25partition_config_selectorILNS1_17partition_subalgoE8ElNS0_10empty_typeEbEEZZNS1_14partition_implILS5_8ELb0ES3_jPKlPS6_PKS6_NS0_5tupleIJPlS6_EEENSE_IJSB_SB_EEENS0_18inequality_wrapperIN6hipcub16HIPCUB_304000_NS8EqualityEEESF_JS6_EEE10hipError_tPvRmT3_T4_T5_T6_T7_T9_mT8_P12ihipStream_tbDpT10_ENKUlT_T0_E_clISt17integral_constantIbLb1EES15_IbLb0EEEEDaS11_S12_EUlS11_E_NS1_11comp_targetILNS1_3genE3ELNS1_11target_archE908ELNS1_3gpuE7ELNS1_3repE0EEENS1_30default_config_static_selectorELNS0_4arch9wavefront6targetE0EEEvT1_,"axG",@progbits,_ZN7rocprim17ROCPRIM_400000_NS6detail17trampoline_kernelINS0_14default_configENS1_25partition_config_selectorILNS1_17partition_subalgoE8ElNS0_10empty_typeEbEEZZNS1_14partition_implILS5_8ELb0ES3_jPKlPS6_PKS6_NS0_5tupleIJPlS6_EEENSE_IJSB_SB_EEENS0_18inequality_wrapperIN6hipcub16HIPCUB_304000_NS8EqualityEEESF_JS6_EEE10hipError_tPvRmT3_T4_T5_T6_T7_T9_mT8_P12ihipStream_tbDpT10_ENKUlT_T0_E_clISt17integral_constantIbLb1EES15_IbLb0EEEEDaS11_S12_EUlS11_E_NS1_11comp_targetILNS1_3genE3ELNS1_11target_archE908ELNS1_3gpuE7ELNS1_3repE0EEENS1_30default_config_static_selectorELNS0_4arch9wavefront6targetE0EEEvT1_,comdat
	.protected	_ZN7rocprim17ROCPRIM_400000_NS6detail17trampoline_kernelINS0_14default_configENS1_25partition_config_selectorILNS1_17partition_subalgoE8ElNS0_10empty_typeEbEEZZNS1_14partition_implILS5_8ELb0ES3_jPKlPS6_PKS6_NS0_5tupleIJPlS6_EEENSE_IJSB_SB_EEENS0_18inequality_wrapperIN6hipcub16HIPCUB_304000_NS8EqualityEEESF_JS6_EEE10hipError_tPvRmT3_T4_T5_T6_T7_T9_mT8_P12ihipStream_tbDpT10_ENKUlT_T0_E_clISt17integral_constantIbLb1EES15_IbLb0EEEEDaS11_S12_EUlS11_E_NS1_11comp_targetILNS1_3genE3ELNS1_11target_archE908ELNS1_3gpuE7ELNS1_3repE0EEENS1_30default_config_static_selectorELNS0_4arch9wavefront6targetE0EEEvT1_ ; -- Begin function _ZN7rocprim17ROCPRIM_400000_NS6detail17trampoline_kernelINS0_14default_configENS1_25partition_config_selectorILNS1_17partition_subalgoE8ElNS0_10empty_typeEbEEZZNS1_14partition_implILS5_8ELb0ES3_jPKlPS6_PKS6_NS0_5tupleIJPlS6_EEENSE_IJSB_SB_EEENS0_18inequality_wrapperIN6hipcub16HIPCUB_304000_NS8EqualityEEESF_JS6_EEE10hipError_tPvRmT3_T4_T5_T6_T7_T9_mT8_P12ihipStream_tbDpT10_ENKUlT_T0_E_clISt17integral_constantIbLb1EES15_IbLb0EEEEDaS11_S12_EUlS11_E_NS1_11comp_targetILNS1_3genE3ELNS1_11target_archE908ELNS1_3gpuE7ELNS1_3repE0EEENS1_30default_config_static_selectorELNS0_4arch9wavefront6targetE0EEEvT1_
	.globl	_ZN7rocprim17ROCPRIM_400000_NS6detail17trampoline_kernelINS0_14default_configENS1_25partition_config_selectorILNS1_17partition_subalgoE8ElNS0_10empty_typeEbEEZZNS1_14partition_implILS5_8ELb0ES3_jPKlPS6_PKS6_NS0_5tupleIJPlS6_EEENSE_IJSB_SB_EEENS0_18inequality_wrapperIN6hipcub16HIPCUB_304000_NS8EqualityEEESF_JS6_EEE10hipError_tPvRmT3_T4_T5_T6_T7_T9_mT8_P12ihipStream_tbDpT10_ENKUlT_T0_E_clISt17integral_constantIbLb1EES15_IbLb0EEEEDaS11_S12_EUlS11_E_NS1_11comp_targetILNS1_3genE3ELNS1_11target_archE908ELNS1_3gpuE7ELNS1_3repE0EEENS1_30default_config_static_selectorELNS0_4arch9wavefront6targetE0EEEvT1_
	.p2align	8
	.type	_ZN7rocprim17ROCPRIM_400000_NS6detail17trampoline_kernelINS0_14default_configENS1_25partition_config_selectorILNS1_17partition_subalgoE8ElNS0_10empty_typeEbEEZZNS1_14partition_implILS5_8ELb0ES3_jPKlPS6_PKS6_NS0_5tupleIJPlS6_EEENSE_IJSB_SB_EEENS0_18inequality_wrapperIN6hipcub16HIPCUB_304000_NS8EqualityEEESF_JS6_EEE10hipError_tPvRmT3_T4_T5_T6_T7_T9_mT8_P12ihipStream_tbDpT10_ENKUlT_T0_E_clISt17integral_constantIbLb1EES15_IbLb0EEEEDaS11_S12_EUlS11_E_NS1_11comp_targetILNS1_3genE3ELNS1_11target_archE908ELNS1_3gpuE7ELNS1_3repE0EEENS1_30default_config_static_selectorELNS0_4arch9wavefront6targetE0EEEvT1_,@function
_ZN7rocprim17ROCPRIM_400000_NS6detail17trampoline_kernelINS0_14default_configENS1_25partition_config_selectorILNS1_17partition_subalgoE8ElNS0_10empty_typeEbEEZZNS1_14partition_implILS5_8ELb0ES3_jPKlPS6_PKS6_NS0_5tupleIJPlS6_EEENSE_IJSB_SB_EEENS0_18inequality_wrapperIN6hipcub16HIPCUB_304000_NS8EqualityEEESF_JS6_EEE10hipError_tPvRmT3_T4_T5_T6_T7_T9_mT8_P12ihipStream_tbDpT10_ENKUlT_T0_E_clISt17integral_constantIbLb1EES15_IbLb0EEEEDaS11_S12_EUlS11_E_NS1_11comp_targetILNS1_3genE3ELNS1_11target_archE908ELNS1_3gpuE7ELNS1_3repE0EEENS1_30default_config_static_selectorELNS0_4arch9wavefront6targetE0EEEvT1_: ; @_ZN7rocprim17ROCPRIM_400000_NS6detail17trampoline_kernelINS0_14default_configENS1_25partition_config_selectorILNS1_17partition_subalgoE8ElNS0_10empty_typeEbEEZZNS1_14partition_implILS5_8ELb0ES3_jPKlPS6_PKS6_NS0_5tupleIJPlS6_EEENSE_IJSB_SB_EEENS0_18inequality_wrapperIN6hipcub16HIPCUB_304000_NS8EqualityEEESF_JS6_EEE10hipError_tPvRmT3_T4_T5_T6_T7_T9_mT8_P12ihipStream_tbDpT10_ENKUlT_T0_E_clISt17integral_constantIbLb1EES15_IbLb0EEEEDaS11_S12_EUlS11_E_NS1_11comp_targetILNS1_3genE3ELNS1_11target_archE908ELNS1_3gpuE7ELNS1_3repE0EEENS1_30default_config_static_selectorELNS0_4arch9wavefront6targetE0EEEvT1_
; %bb.0:
	.section	.rodata,"a",@progbits
	.p2align	6, 0x0
	.amdhsa_kernel _ZN7rocprim17ROCPRIM_400000_NS6detail17trampoline_kernelINS0_14default_configENS1_25partition_config_selectorILNS1_17partition_subalgoE8ElNS0_10empty_typeEbEEZZNS1_14partition_implILS5_8ELb0ES3_jPKlPS6_PKS6_NS0_5tupleIJPlS6_EEENSE_IJSB_SB_EEENS0_18inequality_wrapperIN6hipcub16HIPCUB_304000_NS8EqualityEEESF_JS6_EEE10hipError_tPvRmT3_T4_T5_T6_T7_T9_mT8_P12ihipStream_tbDpT10_ENKUlT_T0_E_clISt17integral_constantIbLb1EES15_IbLb0EEEEDaS11_S12_EUlS11_E_NS1_11comp_targetILNS1_3genE3ELNS1_11target_archE908ELNS1_3gpuE7ELNS1_3repE0EEENS1_30default_config_static_selectorELNS0_4arch9wavefront6targetE0EEEvT1_
		.amdhsa_group_segment_fixed_size 0
		.amdhsa_private_segment_fixed_size 0
		.amdhsa_kernarg_size 112
		.amdhsa_user_sgpr_count 2
		.amdhsa_user_sgpr_dispatch_ptr 0
		.amdhsa_user_sgpr_queue_ptr 0
		.amdhsa_user_sgpr_kernarg_segment_ptr 1
		.amdhsa_user_sgpr_dispatch_id 0
		.amdhsa_user_sgpr_kernarg_preload_length 0
		.amdhsa_user_sgpr_kernarg_preload_offset 0
		.amdhsa_user_sgpr_private_segment_size 0
		.amdhsa_wavefront_size32 1
		.amdhsa_uses_dynamic_stack 0
		.amdhsa_enable_private_segment 0
		.amdhsa_system_sgpr_workgroup_id_x 1
		.amdhsa_system_sgpr_workgroup_id_y 0
		.amdhsa_system_sgpr_workgroup_id_z 0
		.amdhsa_system_sgpr_workgroup_info 0
		.amdhsa_system_vgpr_workitem_id 0
		.amdhsa_next_free_vgpr 1
		.amdhsa_next_free_sgpr 1
		.amdhsa_named_barrier_count 0
		.amdhsa_reserve_vcc 0
		.amdhsa_float_round_mode_32 0
		.amdhsa_float_round_mode_16_64 0
		.amdhsa_float_denorm_mode_32 3
		.amdhsa_float_denorm_mode_16_64 3
		.amdhsa_fp16_overflow 0
		.amdhsa_memory_ordered 1
		.amdhsa_forward_progress 1
		.amdhsa_inst_pref_size 0
		.amdhsa_round_robin_scheduling 0
		.amdhsa_exception_fp_ieee_invalid_op 0
		.amdhsa_exception_fp_denorm_src 0
		.amdhsa_exception_fp_ieee_div_zero 0
		.amdhsa_exception_fp_ieee_overflow 0
		.amdhsa_exception_fp_ieee_underflow 0
		.amdhsa_exception_fp_ieee_inexact 0
		.amdhsa_exception_int_div_zero 0
	.end_amdhsa_kernel
	.section	.text._ZN7rocprim17ROCPRIM_400000_NS6detail17trampoline_kernelINS0_14default_configENS1_25partition_config_selectorILNS1_17partition_subalgoE8ElNS0_10empty_typeEbEEZZNS1_14partition_implILS5_8ELb0ES3_jPKlPS6_PKS6_NS0_5tupleIJPlS6_EEENSE_IJSB_SB_EEENS0_18inequality_wrapperIN6hipcub16HIPCUB_304000_NS8EqualityEEESF_JS6_EEE10hipError_tPvRmT3_T4_T5_T6_T7_T9_mT8_P12ihipStream_tbDpT10_ENKUlT_T0_E_clISt17integral_constantIbLb1EES15_IbLb0EEEEDaS11_S12_EUlS11_E_NS1_11comp_targetILNS1_3genE3ELNS1_11target_archE908ELNS1_3gpuE7ELNS1_3repE0EEENS1_30default_config_static_selectorELNS0_4arch9wavefront6targetE0EEEvT1_,"axG",@progbits,_ZN7rocprim17ROCPRIM_400000_NS6detail17trampoline_kernelINS0_14default_configENS1_25partition_config_selectorILNS1_17partition_subalgoE8ElNS0_10empty_typeEbEEZZNS1_14partition_implILS5_8ELb0ES3_jPKlPS6_PKS6_NS0_5tupleIJPlS6_EEENSE_IJSB_SB_EEENS0_18inequality_wrapperIN6hipcub16HIPCUB_304000_NS8EqualityEEESF_JS6_EEE10hipError_tPvRmT3_T4_T5_T6_T7_T9_mT8_P12ihipStream_tbDpT10_ENKUlT_T0_E_clISt17integral_constantIbLb1EES15_IbLb0EEEEDaS11_S12_EUlS11_E_NS1_11comp_targetILNS1_3genE3ELNS1_11target_archE908ELNS1_3gpuE7ELNS1_3repE0EEENS1_30default_config_static_selectorELNS0_4arch9wavefront6targetE0EEEvT1_,comdat
.Lfunc_end498:
	.size	_ZN7rocprim17ROCPRIM_400000_NS6detail17trampoline_kernelINS0_14default_configENS1_25partition_config_selectorILNS1_17partition_subalgoE8ElNS0_10empty_typeEbEEZZNS1_14partition_implILS5_8ELb0ES3_jPKlPS6_PKS6_NS0_5tupleIJPlS6_EEENSE_IJSB_SB_EEENS0_18inequality_wrapperIN6hipcub16HIPCUB_304000_NS8EqualityEEESF_JS6_EEE10hipError_tPvRmT3_T4_T5_T6_T7_T9_mT8_P12ihipStream_tbDpT10_ENKUlT_T0_E_clISt17integral_constantIbLb1EES15_IbLb0EEEEDaS11_S12_EUlS11_E_NS1_11comp_targetILNS1_3genE3ELNS1_11target_archE908ELNS1_3gpuE7ELNS1_3repE0EEENS1_30default_config_static_selectorELNS0_4arch9wavefront6targetE0EEEvT1_, .Lfunc_end498-_ZN7rocprim17ROCPRIM_400000_NS6detail17trampoline_kernelINS0_14default_configENS1_25partition_config_selectorILNS1_17partition_subalgoE8ElNS0_10empty_typeEbEEZZNS1_14partition_implILS5_8ELb0ES3_jPKlPS6_PKS6_NS0_5tupleIJPlS6_EEENSE_IJSB_SB_EEENS0_18inequality_wrapperIN6hipcub16HIPCUB_304000_NS8EqualityEEESF_JS6_EEE10hipError_tPvRmT3_T4_T5_T6_T7_T9_mT8_P12ihipStream_tbDpT10_ENKUlT_T0_E_clISt17integral_constantIbLb1EES15_IbLb0EEEEDaS11_S12_EUlS11_E_NS1_11comp_targetILNS1_3genE3ELNS1_11target_archE908ELNS1_3gpuE7ELNS1_3repE0EEENS1_30default_config_static_selectorELNS0_4arch9wavefront6targetE0EEEvT1_
                                        ; -- End function
	.set _ZN7rocprim17ROCPRIM_400000_NS6detail17trampoline_kernelINS0_14default_configENS1_25partition_config_selectorILNS1_17partition_subalgoE8ElNS0_10empty_typeEbEEZZNS1_14partition_implILS5_8ELb0ES3_jPKlPS6_PKS6_NS0_5tupleIJPlS6_EEENSE_IJSB_SB_EEENS0_18inequality_wrapperIN6hipcub16HIPCUB_304000_NS8EqualityEEESF_JS6_EEE10hipError_tPvRmT3_T4_T5_T6_T7_T9_mT8_P12ihipStream_tbDpT10_ENKUlT_T0_E_clISt17integral_constantIbLb1EES15_IbLb0EEEEDaS11_S12_EUlS11_E_NS1_11comp_targetILNS1_3genE3ELNS1_11target_archE908ELNS1_3gpuE7ELNS1_3repE0EEENS1_30default_config_static_selectorELNS0_4arch9wavefront6targetE0EEEvT1_.num_vgpr, 0
	.set _ZN7rocprim17ROCPRIM_400000_NS6detail17trampoline_kernelINS0_14default_configENS1_25partition_config_selectorILNS1_17partition_subalgoE8ElNS0_10empty_typeEbEEZZNS1_14partition_implILS5_8ELb0ES3_jPKlPS6_PKS6_NS0_5tupleIJPlS6_EEENSE_IJSB_SB_EEENS0_18inequality_wrapperIN6hipcub16HIPCUB_304000_NS8EqualityEEESF_JS6_EEE10hipError_tPvRmT3_T4_T5_T6_T7_T9_mT8_P12ihipStream_tbDpT10_ENKUlT_T0_E_clISt17integral_constantIbLb1EES15_IbLb0EEEEDaS11_S12_EUlS11_E_NS1_11comp_targetILNS1_3genE3ELNS1_11target_archE908ELNS1_3gpuE7ELNS1_3repE0EEENS1_30default_config_static_selectorELNS0_4arch9wavefront6targetE0EEEvT1_.num_agpr, 0
	.set _ZN7rocprim17ROCPRIM_400000_NS6detail17trampoline_kernelINS0_14default_configENS1_25partition_config_selectorILNS1_17partition_subalgoE8ElNS0_10empty_typeEbEEZZNS1_14partition_implILS5_8ELb0ES3_jPKlPS6_PKS6_NS0_5tupleIJPlS6_EEENSE_IJSB_SB_EEENS0_18inequality_wrapperIN6hipcub16HIPCUB_304000_NS8EqualityEEESF_JS6_EEE10hipError_tPvRmT3_T4_T5_T6_T7_T9_mT8_P12ihipStream_tbDpT10_ENKUlT_T0_E_clISt17integral_constantIbLb1EES15_IbLb0EEEEDaS11_S12_EUlS11_E_NS1_11comp_targetILNS1_3genE3ELNS1_11target_archE908ELNS1_3gpuE7ELNS1_3repE0EEENS1_30default_config_static_selectorELNS0_4arch9wavefront6targetE0EEEvT1_.numbered_sgpr, 0
	.set _ZN7rocprim17ROCPRIM_400000_NS6detail17trampoline_kernelINS0_14default_configENS1_25partition_config_selectorILNS1_17partition_subalgoE8ElNS0_10empty_typeEbEEZZNS1_14partition_implILS5_8ELb0ES3_jPKlPS6_PKS6_NS0_5tupleIJPlS6_EEENSE_IJSB_SB_EEENS0_18inequality_wrapperIN6hipcub16HIPCUB_304000_NS8EqualityEEESF_JS6_EEE10hipError_tPvRmT3_T4_T5_T6_T7_T9_mT8_P12ihipStream_tbDpT10_ENKUlT_T0_E_clISt17integral_constantIbLb1EES15_IbLb0EEEEDaS11_S12_EUlS11_E_NS1_11comp_targetILNS1_3genE3ELNS1_11target_archE908ELNS1_3gpuE7ELNS1_3repE0EEENS1_30default_config_static_selectorELNS0_4arch9wavefront6targetE0EEEvT1_.num_named_barrier, 0
	.set _ZN7rocprim17ROCPRIM_400000_NS6detail17trampoline_kernelINS0_14default_configENS1_25partition_config_selectorILNS1_17partition_subalgoE8ElNS0_10empty_typeEbEEZZNS1_14partition_implILS5_8ELb0ES3_jPKlPS6_PKS6_NS0_5tupleIJPlS6_EEENSE_IJSB_SB_EEENS0_18inequality_wrapperIN6hipcub16HIPCUB_304000_NS8EqualityEEESF_JS6_EEE10hipError_tPvRmT3_T4_T5_T6_T7_T9_mT8_P12ihipStream_tbDpT10_ENKUlT_T0_E_clISt17integral_constantIbLb1EES15_IbLb0EEEEDaS11_S12_EUlS11_E_NS1_11comp_targetILNS1_3genE3ELNS1_11target_archE908ELNS1_3gpuE7ELNS1_3repE0EEENS1_30default_config_static_selectorELNS0_4arch9wavefront6targetE0EEEvT1_.private_seg_size, 0
	.set _ZN7rocprim17ROCPRIM_400000_NS6detail17trampoline_kernelINS0_14default_configENS1_25partition_config_selectorILNS1_17partition_subalgoE8ElNS0_10empty_typeEbEEZZNS1_14partition_implILS5_8ELb0ES3_jPKlPS6_PKS6_NS0_5tupleIJPlS6_EEENSE_IJSB_SB_EEENS0_18inequality_wrapperIN6hipcub16HIPCUB_304000_NS8EqualityEEESF_JS6_EEE10hipError_tPvRmT3_T4_T5_T6_T7_T9_mT8_P12ihipStream_tbDpT10_ENKUlT_T0_E_clISt17integral_constantIbLb1EES15_IbLb0EEEEDaS11_S12_EUlS11_E_NS1_11comp_targetILNS1_3genE3ELNS1_11target_archE908ELNS1_3gpuE7ELNS1_3repE0EEENS1_30default_config_static_selectorELNS0_4arch9wavefront6targetE0EEEvT1_.uses_vcc, 0
	.set _ZN7rocprim17ROCPRIM_400000_NS6detail17trampoline_kernelINS0_14default_configENS1_25partition_config_selectorILNS1_17partition_subalgoE8ElNS0_10empty_typeEbEEZZNS1_14partition_implILS5_8ELb0ES3_jPKlPS6_PKS6_NS0_5tupleIJPlS6_EEENSE_IJSB_SB_EEENS0_18inequality_wrapperIN6hipcub16HIPCUB_304000_NS8EqualityEEESF_JS6_EEE10hipError_tPvRmT3_T4_T5_T6_T7_T9_mT8_P12ihipStream_tbDpT10_ENKUlT_T0_E_clISt17integral_constantIbLb1EES15_IbLb0EEEEDaS11_S12_EUlS11_E_NS1_11comp_targetILNS1_3genE3ELNS1_11target_archE908ELNS1_3gpuE7ELNS1_3repE0EEENS1_30default_config_static_selectorELNS0_4arch9wavefront6targetE0EEEvT1_.uses_flat_scratch, 0
	.set _ZN7rocprim17ROCPRIM_400000_NS6detail17trampoline_kernelINS0_14default_configENS1_25partition_config_selectorILNS1_17partition_subalgoE8ElNS0_10empty_typeEbEEZZNS1_14partition_implILS5_8ELb0ES3_jPKlPS6_PKS6_NS0_5tupleIJPlS6_EEENSE_IJSB_SB_EEENS0_18inequality_wrapperIN6hipcub16HIPCUB_304000_NS8EqualityEEESF_JS6_EEE10hipError_tPvRmT3_T4_T5_T6_T7_T9_mT8_P12ihipStream_tbDpT10_ENKUlT_T0_E_clISt17integral_constantIbLb1EES15_IbLb0EEEEDaS11_S12_EUlS11_E_NS1_11comp_targetILNS1_3genE3ELNS1_11target_archE908ELNS1_3gpuE7ELNS1_3repE0EEENS1_30default_config_static_selectorELNS0_4arch9wavefront6targetE0EEEvT1_.has_dyn_sized_stack, 0
	.set _ZN7rocprim17ROCPRIM_400000_NS6detail17trampoline_kernelINS0_14default_configENS1_25partition_config_selectorILNS1_17partition_subalgoE8ElNS0_10empty_typeEbEEZZNS1_14partition_implILS5_8ELb0ES3_jPKlPS6_PKS6_NS0_5tupleIJPlS6_EEENSE_IJSB_SB_EEENS0_18inequality_wrapperIN6hipcub16HIPCUB_304000_NS8EqualityEEESF_JS6_EEE10hipError_tPvRmT3_T4_T5_T6_T7_T9_mT8_P12ihipStream_tbDpT10_ENKUlT_T0_E_clISt17integral_constantIbLb1EES15_IbLb0EEEEDaS11_S12_EUlS11_E_NS1_11comp_targetILNS1_3genE3ELNS1_11target_archE908ELNS1_3gpuE7ELNS1_3repE0EEENS1_30default_config_static_selectorELNS0_4arch9wavefront6targetE0EEEvT1_.has_recursion, 0
	.set _ZN7rocprim17ROCPRIM_400000_NS6detail17trampoline_kernelINS0_14default_configENS1_25partition_config_selectorILNS1_17partition_subalgoE8ElNS0_10empty_typeEbEEZZNS1_14partition_implILS5_8ELb0ES3_jPKlPS6_PKS6_NS0_5tupleIJPlS6_EEENSE_IJSB_SB_EEENS0_18inequality_wrapperIN6hipcub16HIPCUB_304000_NS8EqualityEEESF_JS6_EEE10hipError_tPvRmT3_T4_T5_T6_T7_T9_mT8_P12ihipStream_tbDpT10_ENKUlT_T0_E_clISt17integral_constantIbLb1EES15_IbLb0EEEEDaS11_S12_EUlS11_E_NS1_11comp_targetILNS1_3genE3ELNS1_11target_archE908ELNS1_3gpuE7ELNS1_3repE0EEENS1_30default_config_static_selectorELNS0_4arch9wavefront6targetE0EEEvT1_.has_indirect_call, 0
	.section	.AMDGPU.csdata,"",@progbits
; Kernel info:
; codeLenInByte = 0
; TotalNumSgprs: 0
; NumVgprs: 0
; ScratchSize: 0
; MemoryBound: 0
; FloatMode: 240
; IeeeMode: 1
; LDSByteSize: 0 bytes/workgroup (compile time only)
; SGPRBlocks: 0
; VGPRBlocks: 0
; NumSGPRsForWavesPerEU: 1
; NumVGPRsForWavesPerEU: 1
; NamedBarCnt: 0
; Occupancy: 16
; WaveLimiterHint : 0
; COMPUTE_PGM_RSRC2:SCRATCH_EN: 0
; COMPUTE_PGM_RSRC2:USER_SGPR: 2
; COMPUTE_PGM_RSRC2:TRAP_HANDLER: 0
; COMPUTE_PGM_RSRC2:TGID_X_EN: 1
; COMPUTE_PGM_RSRC2:TGID_Y_EN: 0
; COMPUTE_PGM_RSRC2:TGID_Z_EN: 0
; COMPUTE_PGM_RSRC2:TIDIG_COMP_CNT: 0
	.section	.text._ZN7rocprim17ROCPRIM_400000_NS6detail17trampoline_kernelINS0_14default_configENS1_25partition_config_selectorILNS1_17partition_subalgoE8ElNS0_10empty_typeEbEEZZNS1_14partition_implILS5_8ELb0ES3_jPKlPS6_PKS6_NS0_5tupleIJPlS6_EEENSE_IJSB_SB_EEENS0_18inequality_wrapperIN6hipcub16HIPCUB_304000_NS8EqualityEEESF_JS6_EEE10hipError_tPvRmT3_T4_T5_T6_T7_T9_mT8_P12ihipStream_tbDpT10_ENKUlT_T0_E_clISt17integral_constantIbLb1EES15_IbLb0EEEEDaS11_S12_EUlS11_E_NS1_11comp_targetILNS1_3genE2ELNS1_11target_archE906ELNS1_3gpuE6ELNS1_3repE0EEENS1_30default_config_static_selectorELNS0_4arch9wavefront6targetE0EEEvT1_,"axG",@progbits,_ZN7rocprim17ROCPRIM_400000_NS6detail17trampoline_kernelINS0_14default_configENS1_25partition_config_selectorILNS1_17partition_subalgoE8ElNS0_10empty_typeEbEEZZNS1_14partition_implILS5_8ELb0ES3_jPKlPS6_PKS6_NS0_5tupleIJPlS6_EEENSE_IJSB_SB_EEENS0_18inequality_wrapperIN6hipcub16HIPCUB_304000_NS8EqualityEEESF_JS6_EEE10hipError_tPvRmT3_T4_T5_T6_T7_T9_mT8_P12ihipStream_tbDpT10_ENKUlT_T0_E_clISt17integral_constantIbLb1EES15_IbLb0EEEEDaS11_S12_EUlS11_E_NS1_11comp_targetILNS1_3genE2ELNS1_11target_archE906ELNS1_3gpuE6ELNS1_3repE0EEENS1_30default_config_static_selectorELNS0_4arch9wavefront6targetE0EEEvT1_,comdat
	.protected	_ZN7rocprim17ROCPRIM_400000_NS6detail17trampoline_kernelINS0_14default_configENS1_25partition_config_selectorILNS1_17partition_subalgoE8ElNS0_10empty_typeEbEEZZNS1_14partition_implILS5_8ELb0ES3_jPKlPS6_PKS6_NS0_5tupleIJPlS6_EEENSE_IJSB_SB_EEENS0_18inequality_wrapperIN6hipcub16HIPCUB_304000_NS8EqualityEEESF_JS6_EEE10hipError_tPvRmT3_T4_T5_T6_T7_T9_mT8_P12ihipStream_tbDpT10_ENKUlT_T0_E_clISt17integral_constantIbLb1EES15_IbLb0EEEEDaS11_S12_EUlS11_E_NS1_11comp_targetILNS1_3genE2ELNS1_11target_archE906ELNS1_3gpuE6ELNS1_3repE0EEENS1_30default_config_static_selectorELNS0_4arch9wavefront6targetE0EEEvT1_ ; -- Begin function _ZN7rocprim17ROCPRIM_400000_NS6detail17trampoline_kernelINS0_14default_configENS1_25partition_config_selectorILNS1_17partition_subalgoE8ElNS0_10empty_typeEbEEZZNS1_14partition_implILS5_8ELb0ES3_jPKlPS6_PKS6_NS0_5tupleIJPlS6_EEENSE_IJSB_SB_EEENS0_18inequality_wrapperIN6hipcub16HIPCUB_304000_NS8EqualityEEESF_JS6_EEE10hipError_tPvRmT3_T4_T5_T6_T7_T9_mT8_P12ihipStream_tbDpT10_ENKUlT_T0_E_clISt17integral_constantIbLb1EES15_IbLb0EEEEDaS11_S12_EUlS11_E_NS1_11comp_targetILNS1_3genE2ELNS1_11target_archE906ELNS1_3gpuE6ELNS1_3repE0EEENS1_30default_config_static_selectorELNS0_4arch9wavefront6targetE0EEEvT1_
	.globl	_ZN7rocprim17ROCPRIM_400000_NS6detail17trampoline_kernelINS0_14default_configENS1_25partition_config_selectorILNS1_17partition_subalgoE8ElNS0_10empty_typeEbEEZZNS1_14partition_implILS5_8ELb0ES3_jPKlPS6_PKS6_NS0_5tupleIJPlS6_EEENSE_IJSB_SB_EEENS0_18inequality_wrapperIN6hipcub16HIPCUB_304000_NS8EqualityEEESF_JS6_EEE10hipError_tPvRmT3_T4_T5_T6_T7_T9_mT8_P12ihipStream_tbDpT10_ENKUlT_T0_E_clISt17integral_constantIbLb1EES15_IbLb0EEEEDaS11_S12_EUlS11_E_NS1_11comp_targetILNS1_3genE2ELNS1_11target_archE906ELNS1_3gpuE6ELNS1_3repE0EEENS1_30default_config_static_selectorELNS0_4arch9wavefront6targetE0EEEvT1_
	.p2align	8
	.type	_ZN7rocprim17ROCPRIM_400000_NS6detail17trampoline_kernelINS0_14default_configENS1_25partition_config_selectorILNS1_17partition_subalgoE8ElNS0_10empty_typeEbEEZZNS1_14partition_implILS5_8ELb0ES3_jPKlPS6_PKS6_NS0_5tupleIJPlS6_EEENSE_IJSB_SB_EEENS0_18inequality_wrapperIN6hipcub16HIPCUB_304000_NS8EqualityEEESF_JS6_EEE10hipError_tPvRmT3_T4_T5_T6_T7_T9_mT8_P12ihipStream_tbDpT10_ENKUlT_T0_E_clISt17integral_constantIbLb1EES15_IbLb0EEEEDaS11_S12_EUlS11_E_NS1_11comp_targetILNS1_3genE2ELNS1_11target_archE906ELNS1_3gpuE6ELNS1_3repE0EEENS1_30default_config_static_selectorELNS0_4arch9wavefront6targetE0EEEvT1_,@function
_ZN7rocprim17ROCPRIM_400000_NS6detail17trampoline_kernelINS0_14default_configENS1_25partition_config_selectorILNS1_17partition_subalgoE8ElNS0_10empty_typeEbEEZZNS1_14partition_implILS5_8ELb0ES3_jPKlPS6_PKS6_NS0_5tupleIJPlS6_EEENSE_IJSB_SB_EEENS0_18inequality_wrapperIN6hipcub16HIPCUB_304000_NS8EqualityEEESF_JS6_EEE10hipError_tPvRmT3_T4_T5_T6_T7_T9_mT8_P12ihipStream_tbDpT10_ENKUlT_T0_E_clISt17integral_constantIbLb1EES15_IbLb0EEEEDaS11_S12_EUlS11_E_NS1_11comp_targetILNS1_3genE2ELNS1_11target_archE906ELNS1_3gpuE6ELNS1_3repE0EEENS1_30default_config_static_selectorELNS0_4arch9wavefront6targetE0EEEvT1_: ; @_ZN7rocprim17ROCPRIM_400000_NS6detail17trampoline_kernelINS0_14default_configENS1_25partition_config_selectorILNS1_17partition_subalgoE8ElNS0_10empty_typeEbEEZZNS1_14partition_implILS5_8ELb0ES3_jPKlPS6_PKS6_NS0_5tupleIJPlS6_EEENSE_IJSB_SB_EEENS0_18inequality_wrapperIN6hipcub16HIPCUB_304000_NS8EqualityEEESF_JS6_EEE10hipError_tPvRmT3_T4_T5_T6_T7_T9_mT8_P12ihipStream_tbDpT10_ENKUlT_T0_E_clISt17integral_constantIbLb1EES15_IbLb0EEEEDaS11_S12_EUlS11_E_NS1_11comp_targetILNS1_3genE2ELNS1_11target_archE906ELNS1_3gpuE6ELNS1_3repE0EEENS1_30default_config_static_selectorELNS0_4arch9wavefront6targetE0EEEvT1_
; %bb.0:
	.section	.rodata,"a",@progbits
	.p2align	6, 0x0
	.amdhsa_kernel _ZN7rocprim17ROCPRIM_400000_NS6detail17trampoline_kernelINS0_14default_configENS1_25partition_config_selectorILNS1_17partition_subalgoE8ElNS0_10empty_typeEbEEZZNS1_14partition_implILS5_8ELb0ES3_jPKlPS6_PKS6_NS0_5tupleIJPlS6_EEENSE_IJSB_SB_EEENS0_18inequality_wrapperIN6hipcub16HIPCUB_304000_NS8EqualityEEESF_JS6_EEE10hipError_tPvRmT3_T4_T5_T6_T7_T9_mT8_P12ihipStream_tbDpT10_ENKUlT_T0_E_clISt17integral_constantIbLb1EES15_IbLb0EEEEDaS11_S12_EUlS11_E_NS1_11comp_targetILNS1_3genE2ELNS1_11target_archE906ELNS1_3gpuE6ELNS1_3repE0EEENS1_30default_config_static_selectorELNS0_4arch9wavefront6targetE0EEEvT1_
		.amdhsa_group_segment_fixed_size 0
		.amdhsa_private_segment_fixed_size 0
		.amdhsa_kernarg_size 112
		.amdhsa_user_sgpr_count 2
		.amdhsa_user_sgpr_dispatch_ptr 0
		.amdhsa_user_sgpr_queue_ptr 0
		.amdhsa_user_sgpr_kernarg_segment_ptr 1
		.amdhsa_user_sgpr_dispatch_id 0
		.amdhsa_user_sgpr_kernarg_preload_length 0
		.amdhsa_user_sgpr_kernarg_preload_offset 0
		.amdhsa_user_sgpr_private_segment_size 0
		.amdhsa_wavefront_size32 1
		.amdhsa_uses_dynamic_stack 0
		.amdhsa_enable_private_segment 0
		.amdhsa_system_sgpr_workgroup_id_x 1
		.amdhsa_system_sgpr_workgroup_id_y 0
		.amdhsa_system_sgpr_workgroup_id_z 0
		.amdhsa_system_sgpr_workgroup_info 0
		.amdhsa_system_vgpr_workitem_id 0
		.amdhsa_next_free_vgpr 1
		.amdhsa_next_free_sgpr 1
		.amdhsa_named_barrier_count 0
		.amdhsa_reserve_vcc 0
		.amdhsa_float_round_mode_32 0
		.amdhsa_float_round_mode_16_64 0
		.amdhsa_float_denorm_mode_32 3
		.amdhsa_float_denorm_mode_16_64 3
		.amdhsa_fp16_overflow 0
		.amdhsa_memory_ordered 1
		.amdhsa_forward_progress 1
		.amdhsa_inst_pref_size 0
		.amdhsa_round_robin_scheduling 0
		.amdhsa_exception_fp_ieee_invalid_op 0
		.amdhsa_exception_fp_denorm_src 0
		.amdhsa_exception_fp_ieee_div_zero 0
		.amdhsa_exception_fp_ieee_overflow 0
		.amdhsa_exception_fp_ieee_underflow 0
		.amdhsa_exception_fp_ieee_inexact 0
		.amdhsa_exception_int_div_zero 0
	.end_amdhsa_kernel
	.section	.text._ZN7rocprim17ROCPRIM_400000_NS6detail17trampoline_kernelINS0_14default_configENS1_25partition_config_selectorILNS1_17partition_subalgoE8ElNS0_10empty_typeEbEEZZNS1_14partition_implILS5_8ELb0ES3_jPKlPS6_PKS6_NS0_5tupleIJPlS6_EEENSE_IJSB_SB_EEENS0_18inequality_wrapperIN6hipcub16HIPCUB_304000_NS8EqualityEEESF_JS6_EEE10hipError_tPvRmT3_T4_T5_T6_T7_T9_mT8_P12ihipStream_tbDpT10_ENKUlT_T0_E_clISt17integral_constantIbLb1EES15_IbLb0EEEEDaS11_S12_EUlS11_E_NS1_11comp_targetILNS1_3genE2ELNS1_11target_archE906ELNS1_3gpuE6ELNS1_3repE0EEENS1_30default_config_static_selectorELNS0_4arch9wavefront6targetE0EEEvT1_,"axG",@progbits,_ZN7rocprim17ROCPRIM_400000_NS6detail17trampoline_kernelINS0_14default_configENS1_25partition_config_selectorILNS1_17partition_subalgoE8ElNS0_10empty_typeEbEEZZNS1_14partition_implILS5_8ELb0ES3_jPKlPS6_PKS6_NS0_5tupleIJPlS6_EEENSE_IJSB_SB_EEENS0_18inequality_wrapperIN6hipcub16HIPCUB_304000_NS8EqualityEEESF_JS6_EEE10hipError_tPvRmT3_T4_T5_T6_T7_T9_mT8_P12ihipStream_tbDpT10_ENKUlT_T0_E_clISt17integral_constantIbLb1EES15_IbLb0EEEEDaS11_S12_EUlS11_E_NS1_11comp_targetILNS1_3genE2ELNS1_11target_archE906ELNS1_3gpuE6ELNS1_3repE0EEENS1_30default_config_static_selectorELNS0_4arch9wavefront6targetE0EEEvT1_,comdat
.Lfunc_end499:
	.size	_ZN7rocprim17ROCPRIM_400000_NS6detail17trampoline_kernelINS0_14default_configENS1_25partition_config_selectorILNS1_17partition_subalgoE8ElNS0_10empty_typeEbEEZZNS1_14partition_implILS5_8ELb0ES3_jPKlPS6_PKS6_NS0_5tupleIJPlS6_EEENSE_IJSB_SB_EEENS0_18inequality_wrapperIN6hipcub16HIPCUB_304000_NS8EqualityEEESF_JS6_EEE10hipError_tPvRmT3_T4_T5_T6_T7_T9_mT8_P12ihipStream_tbDpT10_ENKUlT_T0_E_clISt17integral_constantIbLb1EES15_IbLb0EEEEDaS11_S12_EUlS11_E_NS1_11comp_targetILNS1_3genE2ELNS1_11target_archE906ELNS1_3gpuE6ELNS1_3repE0EEENS1_30default_config_static_selectorELNS0_4arch9wavefront6targetE0EEEvT1_, .Lfunc_end499-_ZN7rocprim17ROCPRIM_400000_NS6detail17trampoline_kernelINS0_14default_configENS1_25partition_config_selectorILNS1_17partition_subalgoE8ElNS0_10empty_typeEbEEZZNS1_14partition_implILS5_8ELb0ES3_jPKlPS6_PKS6_NS0_5tupleIJPlS6_EEENSE_IJSB_SB_EEENS0_18inequality_wrapperIN6hipcub16HIPCUB_304000_NS8EqualityEEESF_JS6_EEE10hipError_tPvRmT3_T4_T5_T6_T7_T9_mT8_P12ihipStream_tbDpT10_ENKUlT_T0_E_clISt17integral_constantIbLb1EES15_IbLb0EEEEDaS11_S12_EUlS11_E_NS1_11comp_targetILNS1_3genE2ELNS1_11target_archE906ELNS1_3gpuE6ELNS1_3repE0EEENS1_30default_config_static_selectorELNS0_4arch9wavefront6targetE0EEEvT1_
                                        ; -- End function
	.set _ZN7rocprim17ROCPRIM_400000_NS6detail17trampoline_kernelINS0_14default_configENS1_25partition_config_selectorILNS1_17partition_subalgoE8ElNS0_10empty_typeEbEEZZNS1_14partition_implILS5_8ELb0ES3_jPKlPS6_PKS6_NS0_5tupleIJPlS6_EEENSE_IJSB_SB_EEENS0_18inequality_wrapperIN6hipcub16HIPCUB_304000_NS8EqualityEEESF_JS6_EEE10hipError_tPvRmT3_T4_T5_T6_T7_T9_mT8_P12ihipStream_tbDpT10_ENKUlT_T0_E_clISt17integral_constantIbLb1EES15_IbLb0EEEEDaS11_S12_EUlS11_E_NS1_11comp_targetILNS1_3genE2ELNS1_11target_archE906ELNS1_3gpuE6ELNS1_3repE0EEENS1_30default_config_static_selectorELNS0_4arch9wavefront6targetE0EEEvT1_.num_vgpr, 0
	.set _ZN7rocprim17ROCPRIM_400000_NS6detail17trampoline_kernelINS0_14default_configENS1_25partition_config_selectorILNS1_17partition_subalgoE8ElNS0_10empty_typeEbEEZZNS1_14partition_implILS5_8ELb0ES3_jPKlPS6_PKS6_NS0_5tupleIJPlS6_EEENSE_IJSB_SB_EEENS0_18inequality_wrapperIN6hipcub16HIPCUB_304000_NS8EqualityEEESF_JS6_EEE10hipError_tPvRmT3_T4_T5_T6_T7_T9_mT8_P12ihipStream_tbDpT10_ENKUlT_T0_E_clISt17integral_constantIbLb1EES15_IbLb0EEEEDaS11_S12_EUlS11_E_NS1_11comp_targetILNS1_3genE2ELNS1_11target_archE906ELNS1_3gpuE6ELNS1_3repE0EEENS1_30default_config_static_selectorELNS0_4arch9wavefront6targetE0EEEvT1_.num_agpr, 0
	.set _ZN7rocprim17ROCPRIM_400000_NS6detail17trampoline_kernelINS0_14default_configENS1_25partition_config_selectorILNS1_17partition_subalgoE8ElNS0_10empty_typeEbEEZZNS1_14partition_implILS5_8ELb0ES3_jPKlPS6_PKS6_NS0_5tupleIJPlS6_EEENSE_IJSB_SB_EEENS0_18inequality_wrapperIN6hipcub16HIPCUB_304000_NS8EqualityEEESF_JS6_EEE10hipError_tPvRmT3_T4_T5_T6_T7_T9_mT8_P12ihipStream_tbDpT10_ENKUlT_T0_E_clISt17integral_constantIbLb1EES15_IbLb0EEEEDaS11_S12_EUlS11_E_NS1_11comp_targetILNS1_3genE2ELNS1_11target_archE906ELNS1_3gpuE6ELNS1_3repE0EEENS1_30default_config_static_selectorELNS0_4arch9wavefront6targetE0EEEvT1_.numbered_sgpr, 0
	.set _ZN7rocprim17ROCPRIM_400000_NS6detail17trampoline_kernelINS0_14default_configENS1_25partition_config_selectorILNS1_17partition_subalgoE8ElNS0_10empty_typeEbEEZZNS1_14partition_implILS5_8ELb0ES3_jPKlPS6_PKS6_NS0_5tupleIJPlS6_EEENSE_IJSB_SB_EEENS0_18inequality_wrapperIN6hipcub16HIPCUB_304000_NS8EqualityEEESF_JS6_EEE10hipError_tPvRmT3_T4_T5_T6_T7_T9_mT8_P12ihipStream_tbDpT10_ENKUlT_T0_E_clISt17integral_constantIbLb1EES15_IbLb0EEEEDaS11_S12_EUlS11_E_NS1_11comp_targetILNS1_3genE2ELNS1_11target_archE906ELNS1_3gpuE6ELNS1_3repE0EEENS1_30default_config_static_selectorELNS0_4arch9wavefront6targetE0EEEvT1_.num_named_barrier, 0
	.set _ZN7rocprim17ROCPRIM_400000_NS6detail17trampoline_kernelINS0_14default_configENS1_25partition_config_selectorILNS1_17partition_subalgoE8ElNS0_10empty_typeEbEEZZNS1_14partition_implILS5_8ELb0ES3_jPKlPS6_PKS6_NS0_5tupleIJPlS6_EEENSE_IJSB_SB_EEENS0_18inequality_wrapperIN6hipcub16HIPCUB_304000_NS8EqualityEEESF_JS6_EEE10hipError_tPvRmT3_T4_T5_T6_T7_T9_mT8_P12ihipStream_tbDpT10_ENKUlT_T0_E_clISt17integral_constantIbLb1EES15_IbLb0EEEEDaS11_S12_EUlS11_E_NS1_11comp_targetILNS1_3genE2ELNS1_11target_archE906ELNS1_3gpuE6ELNS1_3repE0EEENS1_30default_config_static_selectorELNS0_4arch9wavefront6targetE0EEEvT1_.private_seg_size, 0
	.set _ZN7rocprim17ROCPRIM_400000_NS6detail17trampoline_kernelINS0_14default_configENS1_25partition_config_selectorILNS1_17partition_subalgoE8ElNS0_10empty_typeEbEEZZNS1_14partition_implILS5_8ELb0ES3_jPKlPS6_PKS6_NS0_5tupleIJPlS6_EEENSE_IJSB_SB_EEENS0_18inequality_wrapperIN6hipcub16HIPCUB_304000_NS8EqualityEEESF_JS6_EEE10hipError_tPvRmT3_T4_T5_T6_T7_T9_mT8_P12ihipStream_tbDpT10_ENKUlT_T0_E_clISt17integral_constantIbLb1EES15_IbLb0EEEEDaS11_S12_EUlS11_E_NS1_11comp_targetILNS1_3genE2ELNS1_11target_archE906ELNS1_3gpuE6ELNS1_3repE0EEENS1_30default_config_static_selectorELNS0_4arch9wavefront6targetE0EEEvT1_.uses_vcc, 0
	.set _ZN7rocprim17ROCPRIM_400000_NS6detail17trampoline_kernelINS0_14default_configENS1_25partition_config_selectorILNS1_17partition_subalgoE8ElNS0_10empty_typeEbEEZZNS1_14partition_implILS5_8ELb0ES3_jPKlPS6_PKS6_NS0_5tupleIJPlS6_EEENSE_IJSB_SB_EEENS0_18inequality_wrapperIN6hipcub16HIPCUB_304000_NS8EqualityEEESF_JS6_EEE10hipError_tPvRmT3_T4_T5_T6_T7_T9_mT8_P12ihipStream_tbDpT10_ENKUlT_T0_E_clISt17integral_constantIbLb1EES15_IbLb0EEEEDaS11_S12_EUlS11_E_NS1_11comp_targetILNS1_3genE2ELNS1_11target_archE906ELNS1_3gpuE6ELNS1_3repE0EEENS1_30default_config_static_selectorELNS0_4arch9wavefront6targetE0EEEvT1_.uses_flat_scratch, 0
	.set _ZN7rocprim17ROCPRIM_400000_NS6detail17trampoline_kernelINS0_14default_configENS1_25partition_config_selectorILNS1_17partition_subalgoE8ElNS0_10empty_typeEbEEZZNS1_14partition_implILS5_8ELb0ES3_jPKlPS6_PKS6_NS0_5tupleIJPlS6_EEENSE_IJSB_SB_EEENS0_18inequality_wrapperIN6hipcub16HIPCUB_304000_NS8EqualityEEESF_JS6_EEE10hipError_tPvRmT3_T4_T5_T6_T7_T9_mT8_P12ihipStream_tbDpT10_ENKUlT_T0_E_clISt17integral_constantIbLb1EES15_IbLb0EEEEDaS11_S12_EUlS11_E_NS1_11comp_targetILNS1_3genE2ELNS1_11target_archE906ELNS1_3gpuE6ELNS1_3repE0EEENS1_30default_config_static_selectorELNS0_4arch9wavefront6targetE0EEEvT1_.has_dyn_sized_stack, 0
	.set _ZN7rocprim17ROCPRIM_400000_NS6detail17trampoline_kernelINS0_14default_configENS1_25partition_config_selectorILNS1_17partition_subalgoE8ElNS0_10empty_typeEbEEZZNS1_14partition_implILS5_8ELb0ES3_jPKlPS6_PKS6_NS0_5tupleIJPlS6_EEENSE_IJSB_SB_EEENS0_18inequality_wrapperIN6hipcub16HIPCUB_304000_NS8EqualityEEESF_JS6_EEE10hipError_tPvRmT3_T4_T5_T6_T7_T9_mT8_P12ihipStream_tbDpT10_ENKUlT_T0_E_clISt17integral_constantIbLb1EES15_IbLb0EEEEDaS11_S12_EUlS11_E_NS1_11comp_targetILNS1_3genE2ELNS1_11target_archE906ELNS1_3gpuE6ELNS1_3repE0EEENS1_30default_config_static_selectorELNS0_4arch9wavefront6targetE0EEEvT1_.has_recursion, 0
	.set _ZN7rocprim17ROCPRIM_400000_NS6detail17trampoline_kernelINS0_14default_configENS1_25partition_config_selectorILNS1_17partition_subalgoE8ElNS0_10empty_typeEbEEZZNS1_14partition_implILS5_8ELb0ES3_jPKlPS6_PKS6_NS0_5tupleIJPlS6_EEENSE_IJSB_SB_EEENS0_18inequality_wrapperIN6hipcub16HIPCUB_304000_NS8EqualityEEESF_JS6_EEE10hipError_tPvRmT3_T4_T5_T6_T7_T9_mT8_P12ihipStream_tbDpT10_ENKUlT_T0_E_clISt17integral_constantIbLb1EES15_IbLb0EEEEDaS11_S12_EUlS11_E_NS1_11comp_targetILNS1_3genE2ELNS1_11target_archE906ELNS1_3gpuE6ELNS1_3repE0EEENS1_30default_config_static_selectorELNS0_4arch9wavefront6targetE0EEEvT1_.has_indirect_call, 0
	.section	.AMDGPU.csdata,"",@progbits
; Kernel info:
; codeLenInByte = 0
; TotalNumSgprs: 0
; NumVgprs: 0
; ScratchSize: 0
; MemoryBound: 0
; FloatMode: 240
; IeeeMode: 1
; LDSByteSize: 0 bytes/workgroup (compile time only)
; SGPRBlocks: 0
; VGPRBlocks: 0
; NumSGPRsForWavesPerEU: 1
; NumVGPRsForWavesPerEU: 1
; NamedBarCnt: 0
; Occupancy: 16
; WaveLimiterHint : 0
; COMPUTE_PGM_RSRC2:SCRATCH_EN: 0
; COMPUTE_PGM_RSRC2:USER_SGPR: 2
; COMPUTE_PGM_RSRC2:TRAP_HANDLER: 0
; COMPUTE_PGM_RSRC2:TGID_X_EN: 1
; COMPUTE_PGM_RSRC2:TGID_Y_EN: 0
; COMPUTE_PGM_RSRC2:TGID_Z_EN: 0
; COMPUTE_PGM_RSRC2:TIDIG_COMP_CNT: 0
	.section	.text._ZN7rocprim17ROCPRIM_400000_NS6detail17trampoline_kernelINS0_14default_configENS1_25partition_config_selectorILNS1_17partition_subalgoE8ElNS0_10empty_typeEbEEZZNS1_14partition_implILS5_8ELb0ES3_jPKlPS6_PKS6_NS0_5tupleIJPlS6_EEENSE_IJSB_SB_EEENS0_18inequality_wrapperIN6hipcub16HIPCUB_304000_NS8EqualityEEESF_JS6_EEE10hipError_tPvRmT3_T4_T5_T6_T7_T9_mT8_P12ihipStream_tbDpT10_ENKUlT_T0_E_clISt17integral_constantIbLb1EES15_IbLb0EEEEDaS11_S12_EUlS11_E_NS1_11comp_targetILNS1_3genE10ELNS1_11target_archE1200ELNS1_3gpuE4ELNS1_3repE0EEENS1_30default_config_static_selectorELNS0_4arch9wavefront6targetE0EEEvT1_,"axG",@progbits,_ZN7rocprim17ROCPRIM_400000_NS6detail17trampoline_kernelINS0_14default_configENS1_25partition_config_selectorILNS1_17partition_subalgoE8ElNS0_10empty_typeEbEEZZNS1_14partition_implILS5_8ELb0ES3_jPKlPS6_PKS6_NS0_5tupleIJPlS6_EEENSE_IJSB_SB_EEENS0_18inequality_wrapperIN6hipcub16HIPCUB_304000_NS8EqualityEEESF_JS6_EEE10hipError_tPvRmT3_T4_T5_T6_T7_T9_mT8_P12ihipStream_tbDpT10_ENKUlT_T0_E_clISt17integral_constantIbLb1EES15_IbLb0EEEEDaS11_S12_EUlS11_E_NS1_11comp_targetILNS1_3genE10ELNS1_11target_archE1200ELNS1_3gpuE4ELNS1_3repE0EEENS1_30default_config_static_selectorELNS0_4arch9wavefront6targetE0EEEvT1_,comdat
	.protected	_ZN7rocprim17ROCPRIM_400000_NS6detail17trampoline_kernelINS0_14default_configENS1_25partition_config_selectorILNS1_17partition_subalgoE8ElNS0_10empty_typeEbEEZZNS1_14partition_implILS5_8ELb0ES3_jPKlPS6_PKS6_NS0_5tupleIJPlS6_EEENSE_IJSB_SB_EEENS0_18inequality_wrapperIN6hipcub16HIPCUB_304000_NS8EqualityEEESF_JS6_EEE10hipError_tPvRmT3_T4_T5_T6_T7_T9_mT8_P12ihipStream_tbDpT10_ENKUlT_T0_E_clISt17integral_constantIbLb1EES15_IbLb0EEEEDaS11_S12_EUlS11_E_NS1_11comp_targetILNS1_3genE10ELNS1_11target_archE1200ELNS1_3gpuE4ELNS1_3repE0EEENS1_30default_config_static_selectorELNS0_4arch9wavefront6targetE0EEEvT1_ ; -- Begin function _ZN7rocprim17ROCPRIM_400000_NS6detail17trampoline_kernelINS0_14default_configENS1_25partition_config_selectorILNS1_17partition_subalgoE8ElNS0_10empty_typeEbEEZZNS1_14partition_implILS5_8ELb0ES3_jPKlPS6_PKS6_NS0_5tupleIJPlS6_EEENSE_IJSB_SB_EEENS0_18inequality_wrapperIN6hipcub16HIPCUB_304000_NS8EqualityEEESF_JS6_EEE10hipError_tPvRmT3_T4_T5_T6_T7_T9_mT8_P12ihipStream_tbDpT10_ENKUlT_T0_E_clISt17integral_constantIbLb1EES15_IbLb0EEEEDaS11_S12_EUlS11_E_NS1_11comp_targetILNS1_3genE10ELNS1_11target_archE1200ELNS1_3gpuE4ELNS1_3repE0EEENS1_30default_config_static_selectorELNS0_4arch9wavefront6targetE0EEEvT1_
	.globl	_ZN7rocprim17ROCPRIM_400000_NS6detail17trampoline_kernelINS0_14default_configENS1_25partition_config_selectorILNS1_17partition_subalgoE8ElNS0_10empty_typeEbEEZZNS1_14partition_implILS5_8ELb0ES3_jPKlPS6_PKS6_NS0_5tupleIJPlS6_EEENSE_IJSB_SB_EEENS0_18inequality_wrapperIN6hipcub16HIPCUB_304000_NS8EqualityEEESF_JS6_EEE10hipError_tPvRmT3_T4_T5_T6_T7_T9_mT8_P12ihipStream_tbDpT10_ENKUlT_T0_E_clISt17integral_constantIbLb1EES15_IbLb0EEEEDaS11_S12_EUlS11_E_NS1_11comp_targetILNS1_3genE10ELNS1_11target_archE1200ELNS1_3gpuE4ELNS1_3repE0EEENS1_30default_config_static_selectorELNS0_4arch9wavefront6targetE0EEEvT1_
	.p2align	8
	.type	_ZN7rocprim17ROCPRIM_400000_NS6detail17trampoline_kernelINS0_14default_configENS1_25partition_config_selectorILNS1_17partition_subalgoE8ElNS0_10empty_typeEbEEZZNS1_14partition_implILS5_8ELb0ES3_jPKlPS6_PKS6_NS0_5tupleIJPlS6_EEENSE_IJSB_SB_EEENS0_18inequality_wrapperIN6hipcub16HIPCUB_304000_NS8EqualityEEESF_JS6_EEE10hipError_tPvRmT3_T4_T5_T6_T7_T9_mT8_P12ihipStream_tbDpT10_ENKUlT_T0_E_clISt17integral_constantIbLb1EES15_IbLb0EEEEDaS11_S12_EUlS11_E_NS1_11comp_targetILNS1_3genE10ELNS1_11target_archE1200ELNS1_3gpuE4ELNS1_3repE0EEENS1_30default_config_static_selectorELNS0_4arch9wavefront6targetE0EEEvT1_,@function
_ZN7rocprim17ROCPRIM_400000_NS6detail17trampoline_kernelINS0_14default_configENS1_25partition_config_selectorILNS1_17partition_subalgoE8ElNS0_10empty_typeEbEEZZNS1_14partition_implILS5_8ELb0ES3_jPKlPS6_PKS6_NS0_5tupleIJPlS6_EEENSE_IJSB_SB_EEENS0_18inequality_wrapperIN6hipcub16HIPCUB_304000_NS8EqualityEEESF_JS6_EEE10hipError_tPvRmT3_T4_T5_T6_T7_T9_mT8_P12ihipStream_tbDpT10_ENKUlT_T0_E_clISt17integral_constantIbLb1EES15_IbLb0EEEEDaS11_S12_EUlS11_E_NS1_11comp_targetILNS1_3genE10ELNS1_11target_archE1200ELNS1_3gpuE4ELNS1_3repE0EEENS1_30default_config_static_selectorELNS0_4arch9wavefront6targetE0EEEvT1_: ; @_ZN7rocprim17ROCPRIM_400000_NS6detail17trampoline_kernelINS0_14default_configENS1_25partition_config_selectorILNS1_17partition_subalgoE8ElNS0_10empty_typeEbEEZZNS1_14partition_implILS5_8ELb0ES3_jPKlPS6_PKS6_NS0_5tupleIJPlS6_EEENSE_IJSB_SB_EEENS0_18inequality_wrapperIN6hipcub16HIPCUB_304000_NS8EqualityEEESF_JS6_EEE10hipError_tPvRmT3_T4_T5_T6_T7_T9_mT8_P12ihipStream_tbDpT10_ENKUlT_T0_E_clISt17integral_constantIbLb1EES15_IbLb0EEEEDaS11_S12_EUlS11_E_NS1_11comp_targetILNS1_3genE10ELNS1_11target_archE1200ELNS1_3gpuE4ELNS1_3repE0EEENS1_30default_config_static_selectorELNS0_4arch9wavefront6targetE0EEEvT1_
; %bb.0:
	.section	.rodata,"a",@progbits
	.p2align	6, 0x0
	.amdhsa_kernel _ZN7rocprim17ROCPRIM_400000_NS6detail17trampoline_kernelINS0_14default_configENS1_25partition_config_selectorILNS1_17partition_subalgoE8ElNS0_10empty_typeEbEEZZNS1_14partition_implILS5_8ELb0ES3_jPKlPS6_PKS6_NS0_5tupleIJPlS6_EEENSE_IJSB_SB_EEENS0_18inequality_wrapperIN6hipcub16HIPCUB_304000_NS8EqualityEEESF_JS6_EEE10hipError_tPvRmT3_T4_T5_T6_T7_T9_mT8_P12ihipStream_tbDpT10_ENKUlT_T0_E_clISt17integral_constantIbLb1EES15_IbLb0EEEEDaS11_S12_EUlS11_E_NS1_11comp_targetILNS1_3genE10ELNS1_11target_archE1200ELNS1_3gpuE4ELNS1_3repE0EEENS1_30default_config_static_selectorELNS0_4arch9wavefront6targetE0EEEvT1_
		.amdhsa_group_segment_fixed_size 0
		.amdhsa_private_segment_fixed_size 0
		.amdhsa_kernarg_size 112
		.amdhsa_user_sgpr_count 2
		.amdhsa_user_sgpr_dispatch_ptr 0
		.amdhsa_user_sgpr_queue_ptr 0
		.amdhsa_user_sgpr_kernarg_segment_ptr 1
		.amdhsa_user_sgpr_dispatch_id 0
		.amdhsa_user_sgpr_kernarg_preload_length 0
		.amdhsa_user_sgpr_kernarg_preload_offset 0
		.amdhsa_user_sgpr_private_segment_size 0
		.amdhsa_wavefront_size32 1
		.amdhsa_uses_dynamic_stack 0
		.amdhsa_enable_private_segment 0
		.amdhsa_system_sgpr_workgroup_id_x 1
		.amdhsa_system_sgpr_workgroup_id_y 0
		.amdhsa_system_sgpr_workgroup_id_z 0
		.amdhsa_system_sgpr_workgroup_info 0
		.amdhsa_system_vgpr_workitem_id 0
		.amdhsa_next_free_vgpr 1
		.amdhsa_next_free_sgpr 1
		.amdhsa_named_barrier_count 0
		.amdhsa_reserve_vcc 0
		.amdhsa_float_round_mode_32 0
		.amdhsa_float_round_mode_16_64 0
		.amdhsa_float_denorm_mode_32 3
		.amdhsa_float_denorm_mode_16_64 3
		.amdhsa_fp16_overflow 0
		.amdhsa_memory_ordered 1
		.amdhsa_forward_progress 1
		.amdhsa_inst_pref_size 0
		.amdhsa_round_robin_scheduling 0
		.amdhsa_exception_fp_ieee_invalid_op 0
		.amdhsa_exception_fp_denorm_src 0
		.amdhsa_exception_fp_ieee_div_zero 0
		.amdhsa_exception_fp_ieee_overflow 0
		.amdhsa_exception_fp_ieee_underflow 0
		.amdhsa_exception_fp_ieee_inexact 0
		.amdhsa_exception_int_div_zero 0
	.end_amdhsa_kernel
	.section	.text._ZN7rocprim17ROCPRIM_400000_NS6detail17trampoline_kernelINS0_14default_configENS1_25partition_config_selectorILNS1_17partition_subalgoE8ElNS0_10empty_typeEbEEZZNS1_14partition_implILS5_8ELb0ES3_jPKlPS6_PKS6_NS0_5tupleIJPlS6_EEENSE_IJSB_SB_EEENS0_18inequality_wrapperIN6hipcub16HIPCUB_304000_NS8EqualityEEESF_JS6_EEE10hipError_tPvRmT3_T4_T5_T6_T7_T9_mT8_P12ihipStream_tbDpT10_ENKUlT_T0_E_clISt17integral_constantIbLb1EES15_IbLb0EEEEDaS11_S12_EUlS11_E_NS1_11comp_targetILNS1_3genE10ELNS1_11target_archE1200ELNS1_3gpuE4ELNS1_3repE0EEENS1_30default_config_static_selectorELNS0_4arch9wavefront6targetE0EEEvT1_,"axG",@progbits,_ZN7rocprim17ROCPRIM_400000_NS6detail17trampoline_kernelINS0_14default_configENS1_25partition_config_selectorILNS1_17partition_subalgoE8ElNS0_10empty_typeEbEEZZNS1_14partition_implILS5_8ELb0ES3_jPKlPS6_PKS6_NS0_5tupleIJPlS6_EEENSE_IJSB_SB_EEENS0_18inequality_wrapperIN6hipcub16HIPCUB_304000_NS8EqualityEEESF_JS6_EEE10hipError_tPvRmT3_T4_T5_T6_T7_T9_mT8_P12ihipStream_tbDpT10_ENKUlT_T0_E_clISt17integral_constantIbLb1EES15_IbLb0EEEEDaS11_S12_EUlS11_E_NS1_11comp_targetILNS1_3genE10ELNS1_11target_archE1200ELNS1_3gpuE4ELNS1_3repE0EEENS1_30default_config_static_selectorELNS0_4arch9wavefront6targetE0EEEvT1_,comdat
.Lfunc_end500:
	.size	_ZN7rocprim17ROCPRIM_400000_NS6detail17trampoline_kernelINS0_14default_configENS1_25partition_config_selectorILNS1_17partition_subalgoE8ElNS0_10empty_typeEbEEZZNS1_14partition_implILS5_8ELb0ES3_jPKlPS6_PKS6_NS0_5tupleIJPlS6_EEENSE_IJSB_SB_EEENS0_18inequality_wrapperIN6hipcub16HIPCUB_304000_NS8EqualityEEESF_JS6_EEE10hipError_tPvRmT3_T4_T5_T6_T7_T9_mT8_P12ihipStream_tbDpT10_ENKUlT_T0_E_clISt17integral_constantIbLb1EES15_IbLb0EEEEDaS11_S12_EUlS11_E_NS1_11comp_targetILNS1_3genE10ELNS1_11target_archE1200ELNS1_3gpuE4ELNS1_3repE0EEENS1_30default_config_static_selectorELNS0_4arch9wavefront6targetE0EEEvT1_, .Lfunc_end500-_ZN7rocprim17ROCPRIM_400000_NS6detail17trampoline_kernelINS0_14default_configENS1_25partition_config_selectorILNS1_17partition_subalgoE8ElNS0_10empty_typeEbEEZZNS1_14partition_implILS5_8ELb0ES3_jPKlPS6_PKS6_NS0_5tupleIJPlS6_EEENSE_IJSB_SB_EEENS0_18inequality_wrapperIN6hipcub16HIPCUB_304000_NS8EqualityEEESF_JS6_EEE10hipError_tPvRmT3_T4_T5_T6_T7_T9_mT8_P12ihipStream_tbDpT10_ENKUlT_T0_E_clISt17integral_constantIbLb1EES15_IbLb0EEEEDaS11_S12_EUlS11_E_NS1_11comp_targetILNS1_3genE10ELNS1_11target_archE1200ELNS1_3gpuE4ELNS1_3repE0EEENS1_30default_config_static_selectorELNS0_4arch9wavefront6targetE0EEEvT1_
                                        ; -- End function
	.set _ZN7rocprim17ROCPRIM_400000_NS6detail17trampoline_kernelINS0_14default_configENS1_25partition_config_selectorILNS1_17partition_subalgoE8ElNS0_10empty_typeEbEEZZNS1_14partition_implILS5_8ELb0ES3_jPKlPS6_PKS6_NS0_5tupleIJPlS6_EEENSE_IJSB_SB_EEENS0_18inequality_wrapperIN6hipcub16HIPCUB_304000_NS8EqualityEEESF_JS6_EEE10hipError_tPvRmT3_T4_T5_T6_T7_T9_mT8_P12ihipStream_tbDpT10_ENKUlT_T0_E_clISt17integral_constantIbLb1EES15_IbLb0EEEEDaS11_S12_EUlS11_E_NS1_11comp_targetILNS1_3genE10ELNS1_11target_archE1200ELNS1_3gpuE4ELNS1_3repE0EEENS1_30default_config_static_selectorELNS0_4arch9wavefront6targetE0EEEvT1_.num_vgpr, 0
	.set _ZN7rocprim17ROCPRIM_400000_NS6detail17trampoline_kernelINS0_14default_configENS1_25partition_config_selectorILNS1_17partition_subalgoE8ElNS0_10empty_typeEbEEZZNS1_14partition_implILS5_8ELb0ES3_jPKlPS6_PKS6_NS0_5tupleIJPlS6_EEENSE_IJSB_SB_EEENS0_18inequality_wrapperIN6hipcub16HIPCUB_304000_NS8EqualityEEESF_JS6_EEE10hipError_tPvRmT3_T4_T5_T6_T7_T9_mT8_P12ihipStream_tbDpT10_ENKUlT_T0_E_clISt17integral_constantIbLb1EES15_IbLb0EEEEDaS11_S12_EUlS11_E_NS1_11comp_targetILNS1_3genE10ELNS1_11target_archE1200ELNS1_3gpuE4ELNS1_3repE0EEENS1_30default_config_static_selectorELNS0_4arch9wavefront6targetE0EEEvT1_.num_agpr, 0
	.set _ZN7rocprim17ROCPRIM_400000_NS6detail17trampoline_kernelINS0_14default_configENS1_25partition_config_selectorILNS1_17partition_subalgoE8ElNS0_10empty_typeEbEEZZNS1_14partition_implILS5_8ELb0ES3_jPKlPS6_PKS6_NS0_5tupleIJPlS6_EEENSE_IJSB_SB_EEENS0_18inequality_wrapperIN6hipcub16HIPCUB_304000_NS8EqualityEEESF_JS6_EEE10hipError_tPvRmT3_T4_T5_T6_T7_T9_mT8_P12ihipStream_tbDpT10_ENKUlT_T0_E_clISt17integral_constantIbLb1EES15_IbLb0EEEEDaS11_S12_EUlS11_E_NS1_11comp_targetILNS1_3genE10ELNS1_11target_archE1200ELNS1_3gpuE4ELNS1_3repE0EEENS1_30default_config_static_selectorELNS0_4arch9wavefront6targetE0EEEvT1_.numbered_sgpr, 0
	.set _ZN7rocprim17ROCPRIM_400000_NS6detail17trampoline_kernelINS0_14default_configENS1_25partition_config_selectorILNS1_17partition_subalgoE8ElNS0_10empty_typeEbEEZZNS1_14partition_implILS5_8ELb0ES3_jPKlPS6_PKS6_NS0_5tupleIJPlS6_EEENSE_IJSB_SB_EEENS0_18inequality_wrapperIN6hipcub16HIPCUB_304000_NS8EqualityEEESF_JS6_EEE10hipError_tPvRmT3_T4_T5_T6_T7_T9_mT8_P12ihipStream_tbDpT10_ENKUlT_T0_E_clISt17integral_constantIbLb1EES15_IbLb0EEEEDaS11_S12_EUlS11_E_NS1_11comp_targetILNS1_3genE10ELNS1_11target_archE1200ELNS1_3gpuE4ELNS1_3repE0EEENS1_30default_config_static_selectorELNS0_4arch9wavefront6targetE0EEEvT1_.num_named_barrier, 0
	.set _ZN7rocprim17ROCPRIM_400000_NS6detail17trampoline_kernelINS0_14default_configENS1_25partition_config_selectorILNS1_17partition_subalgoE8ElNS0_10empty_typeEbEEZZNS1_14partition_implILS5_8ELb0ES3_jPKlPS6_PKS6_NS0_5tupleIJPlS6_EEENSE_IJSB_SB_EEENS0_18inequality_wrapperIN6hipcub16HIPCUB_304000_NS8EqualityEEESF_JS6_EEE10hipError_tPvRmT3_T4_T5_T6_T7_T9_mT8_P12ihipStream_tbDpT10_ENKUlT_T0_E_clISt17integral_constantIbLb1EES15_IbLb0EEEEDaS11_S12_EUlS11_E_NS1_11comp_targetILNS1_3genE10ELNS1_11target_archE1200ELNS1_3gpuE4ELNS1_3repE0EEENS1_30default_config_static_selectorELNS0_4arch9wavefront6targetE0EEEvT1_.private_seg_size, 0
	.set _ZN7rocprim17ROCPRIM_400000_NS6detail17trampoline_kernelINS0_14default_configENS1_25partition_config_selectorILNS1_17partition_subalgoE8ElNS0_10empty_typeEbEEZZNS1_14partition_implILS5_8ELb0ES3_jPKlPS6_PKS6_NS0_5tupleIJPlS6_EEENSE_IJSB_SB_EEENS0_18inequality_wrapperIN6hipcub16HIPCUB_304000_NS8EqualityEEESF_JS6_EEE10hipError_tPvRmT3_T4_T5_T6_T7_T9_mT8_P12ihipStream_tbDpT10_ENKUlT_T0_E_clISt17integral_constantIbLb1EES15_IbLb0EEEEDaS11_S12_EUlS11_E_NS1_11comp_targetILNS1_3genE10ELNS1_11target_archE1200ELNS1_3gpuE4ELNS1_3repE0EEENS1_30default_config_static_selectorELNS0_4arch9wavefront6targetE0EEEvT1_.uses_vcc, 0
	.set _ZN7rocprim17ROCPRIM_400000_NS6detail17trampoline_kernelINS0_14default_configENS1_25partition_config_selectorILNS1_17partition_subalgoE8ElNS0_10empty_typeEbEEZZNS1_14partition_implILS5_8ELb0ES3_jPKlPS6_PKS6_NS0_5tupleIJPlS6_EEENSE_IJSB_SB_EEENS0_18inequality_wrapperIN6hipcub16HIPCUB_304000_NS8EqualityEEESF_JS6_EEE10hipError_tPvRmT3_T4_T5_T6_T7_T9_mT8_P12ihipStream_tbDpT10_ENKUlT_T0_E_clISt17integral_constantIbLb1EES15_IbLb0EEEEDaS11_S12_EUlS11_E_NS1_11comp_targetILNS1_3genE10ELNS1_11target_archE1200ELNS1_3gpuE4ELNS1_3repE0EEENS1_30default_config_static_selectorELNS0_4arch9wavefront6targetE0EEEvT1_.uses_flat_scratch, 0
	.set _ZN7rocprim17ROCPRIM_400000_NS6detail17trampoline_kernelINS0_14default_configENS1_25partition_config_selectorILNS1_17partition_subalgoE8ElNS0_10empty_typeEbEEZZNS1_14partition_implILS5_8ELb0ES3_jPKlPS6_PKS6_NS0_5tupleIJPlS6_EEENSE_IJSB_SB_EEENS0_18inequality_wrapperIN6hipcub16HIPCUB_304000_NS8EqualityEEESF_JS6_EEE10hipError_tPvRmT3_T4_T5_T6_T7_T9_mT8_P12ihipStream_tbDpT10_ENKUlT_T0_E_clISt17integral_constantIbLb1EES15_IbLb0EEEEDaS11_S12_EUlS11_E_NS1_11comp_targetILNS1_3genE10ELNS1_11target_archE1200ELNS1_3gpuE4ELNS1_3repE0EEENS1_30default_config_static_selectorELNS0_4arch9wavefront6targetE0EEEvT1_.has_dyn_sized_stack, 0
	.set _ZN7rocprim17ROCPRIM_400000_NS6detail17trampoline_kernelINS0_14default_configENS1_25partition_config_selectorILNS1_17partition_subalgoE8ElNS0_10empty_typeEbEEZZNS1_14partition_implILS5_8ELb0ES3_jPKlPS6_PKS6_NS0_5tupleIJPlS6_EEENSE_IJSB_SB_EEENS0_18inequality_wrapperIN6hipcub16HIPCUB_304000_NS8EqualityEEESF_JS6_EEE10hipError_tPvRmT3_T4_T5_T6_T7_T9_mT8_P12ihipStream_tbDpT10_ENKUlT_T0_E_clISt17integral_constantIbLb1EES15_IbLb0EEEEDaS11_S12_EUlS11_E_NS1_11comp_targetILNS1_3genE10ELNS1_11target_archE1200ELNS1_3gpuE4ELNS1_3repE0EEENS1_30default_config_static_selectorELNS0_4arch9wavefront6targetE0EEEvT1_.has_recursion, 0
	.set _ZN7rocprim17ROCPRIM_400000_NS6detail17trampoline_kernelINS0_14default_configENS1_25partition_config_selectorILNS1_17partition_subalgoE8ElNS0_10empty_typeEbEEZZNS1_14partition_implILS5_8ELb0ES3_jPKlPS6_PKS6_NS0_5tupleIJPlS6_EEENSE_IJSB_SB_EEENS0_18inequality_wrapperIN6hipcub16HIPCUB_304000_NS8EqualityEEESF_JS6_EEE10hipError_tPvRmT3_T4_T5_T6_T7_T9_mT8_P12ihipStream_tbDpT10_ENKUlT_T0_E_clISt17integral_constantIbLb1EES15_IbLb0EEEEDaS11_S12_EUlS11_E_NS1_11comp_targetILNS1_3genE10ELNS1_11target_archE1200ELNS1_3gpuE4ELNS1_3repE0EEENS1_30default_config_static_selectorELNS0_4arch9wavefront6targetE0EEEvT1_.has_indirect_call, 0
	.section	.AMDGPU.csdata,"",@progbits
; Kernel info:
; codeLenInByte = 0
; TotalNumSgprs: 0
; NumVgprs: 0
; ScratchSize: 0
; MemoryBound: 0
; FloatMode: 240
; IeeeMode: 1
; LDSByteSize: 0 bytes/workgroup (compile time only)
; SGPRBlocks: 0
; VGPRBlocks: 0
; NumSGPRsForWavesPerEU: 1
; NumVGPRsForWavesPerEU: 1
; NamedBarCnt: 0
; Occupancy: 16
; WaveLimiterHint : 0
; COMPUTE_PGM_RSRC2:SCRATCH_EN: 0
; COMPUTE_PGM_RSRC2:USER_SGPR: 2
; COMPUTE_PGM_RSRC2:TRAP_HANDLER: 0
; COMPUTE_PGM_RSRC2:TGID_X_EN: 1
; COMPUTE_PGM_RSRC2:TGID_Y_EN: 0
; COMPUTE_PGM_RSRC2:TGID_Z_EN: 0
; COMPUTE_PGM_RSRC2:TIDIG_COMP_CNT: 0
	.section	.text._ZN7rocprim17ROCPRIM_400000_NS6detail17trampoline_kernelINS0_14default_configENS1_25partition_config_selectorILNS1_17partition_subalgoE8ElNS0_10empty_typeEbEEZZNS1_14partition_implILS5_8ELb0ES3_jPKlPS6_PKS6_NS0_5tupleIJPlS6_EEENSE_IJSB_SB_EEENS0_18inequality_wrapperIN6hipcub16HIPCUB_304000_NS8EqualityEEESF_JS6_EEE10hipError_tPvRmT3_T4_T5_T6_T7_T9_mT8_P12ihipStream_tbDpT10_ENKUlT_T0_E_clISt17integral_constantIbLb1EES15_IbLb0EEEEDaS11_S12_EUlS11_E_NS1_11comp_targetILNS1_3genE9ELNS1_11target_archE1100ELNS1_3gpuE3ELNS1_3repE0EEENS1_30default_config_static_selectorELNS0_4arch9wavefront6targetE0EEEvT1_,"axG",@progbits,_ZN7rocprim17ROCPRIM_400000_NS6detail17trampoline_kernelINS0_14default_configENS1_25partition_config_selectorILNS1_17partition_subalgoE8ElNS0_10empty_typeEbEEZZNS1_14partition_implILS5_8ELb0ES3_jPKlPS6_PKS6_NS0_5tupleIJPlS6_EEENSE_IJSB_SB_EEENS0_18inequality_wrapperIN6hipcub16HIPCUB_304000_NS8EqualityEEESF_JS6_EEE10hipError_tPvRmT3_T4_T5_T6_T7_T9_mT8_P12ihipStream_tbDpT10_ENKUlT_T0_E_clISt17integral_constantIbLb1EES15_IbLb0EEEEDaS11_S12_EUlS11_E_NS1_11comp_targetILNS1_3genE9ELNS1_11target_archE1100ELNS1_3gpuE3ELNS1_3repE0EEENS1_30default_config_static_selectorELNS0_4arch9wavefront6targetE0EEEvT1_,comdat
	.protected	_ZN7rocprim17ROCPRIM_400000_NS6detail17trampoline_kernelINS0_14default_configENS1_25partition_config_selectorILNS1_17partition_subalgoE8ElNS0_10empty_typeEbEEZZNS1_14partition_implILS5_8ELb0ES3_jPKlPS6_PKS6_NS0_5tupleIJPlS6_EEENSE_IJSB_SB_EEENS0_18inequality_wrapperIN6hipcub16HIPCUB_304000_NS8EqualityEEESF_JS6_EEE10hipError_tPvRmT3_T4_T5_T6_T7_T9_mT8_P12ihipStream_tbDpT10_ENKUlT_T0_E_clISt17integral_constantIbLb1EES15_IbLb0EEEEDaS11_S12_EUlS11_E_NS1_11comp_targetILNS1_3genE9ELNS1_11target_archE1100ELNS1_3gpuE3ELNS1_3repE0EEENS1_30default_config_static_selectorELNS0_4arch9wavefront6targetE0EEEvT1_ ; -- Begin function _ZN7rocprim17ROCPRIM_400000_NS6detail17trampoline_kernelINS0_14default_configENS1_25partition_config_selectorILNS1_17partition_subalgoE8ElNS0_10empty_typeEbEEZZNS1_14partition_implILS5_8ELb0ES3_jPKlPS6_PKS6_NS0_5tupleIJPlS6_EEENSE_IJSB_SB_EEENS0_18inequality_wrapperIN6hipcub16HIPCUB_304000_NS8EqualityEEESF_JS6_EEE10hipError_tPvRmT3_T4_T5_T6_T7_T9_mT8_P12ihipStream_tbDpT10_ENKUlT_T0_E_clISt17integral_constantIbLb1EES15_IbLb0EEEEDaS11_S12_EUlS11_E_NS1_11comp_targetILNS1_3genE9ELNS1_11target_archE1100ELNS1_3gpuE3ELNS1_3repE0EEENS1_30default_config_static_selectorELNS0_4arch9wavefront6targetE0EEEvT1_
	.globl	_ZN7rocprim17ROCPRIM_400000_NS6detail17trampoline_kernelINS0_14default_configENS1_25partition_config_selectorILNS1_17partition_subalgoE8ElNS0_10empty_typeEbEEZZNS1_14partition_implILS5_8ELb0ES3_jPKlPS6_PKS6_NS0_5tupleIJPlS6_EEENSE_IJSB_SB_EEENS0_18inequality_wrapperIN6hipcub16HIPCUB_304000_NS8EqualityEEESF_JS6_EEE10hipError_tPvRmT3_T4_T5_T6_T7_T9_mT8_P12ihipStream_tbDpT10_ENKUlT_T0_E_clISt17integral_constantIbLb1EES15_IbLb0EEEEDaS11_S12_EUlS11_E_NS1_11comp_targetILNS1_3genE9ELNS1_11target_archE1100ELNS1_3gpuE3ELNS1_3repE0EEENS1_30default_config_static_selectorELNS0_4arch9wavefront6targetE0EEEvT1_
	.p2align	8
	.type	_ZN7rocprim17ROCPRIM_400000_NS6detail17trampoline_kernelINS0_14default_configENS1_25partition_config_selectorILNS1_17partition_subalgoE8ElNS0_10empty_typeEbEEZZNS1_14partition_implILS5_8ELb0ES3_jPKlPS6_PKS6_NS0_5tupleIJPlS6_EEENSE_IJSB_SB_EEENS0_18inequality_wrapperIN6hipcub16HIPCUB_304000_NS8EqualityEEESF_JS6_EEE10hipError_tPvRmT3_T4_T5_T6_T7_T9_mT8_P12ihipStream_tbDpT10_ENKUlT_T0_E_clISt17integral_constantIbLb1EES15_IbLb0EEEEDaS11_S12_EUlS11_E_NS1_11comp_targetILNS1_3genE9ELNS1_11target_archE1100ELNS1_3gpuE3ELNS1_3repE0EEENS1_30default_config_static_selectorELNS0_4arch9wavefront6targetE0EEEvT1_,@function
_ZN7rocprim17ROCPRIM_400000_NS6detail17trampoline_kernelINS0_14default_configENS1_25partition_config_selectorILNS1_17partition_subalgoE8ElNS0_10empty_typeEbEEZZNS1_14partition_implILS5_8ELb0ES3_jPKlPS6_PKS6_NS0_5tupleIJPlS6_EEENSE_IJSB_SB_EEENS0_18inequality_wrapperIN6hipcub16HIPCUB_304000_NS8EqualityEEESF_JS6_EEE10hipError_tPvRmT3_T4_T5_T6_T7_T9_mT8_P12ihipStream_tbDpT10_ENKUlT_T0_E_clISt17integral_constantIbLb1EES15_IbLb0EEEEDaS11_S12_EUlS11_E_NS1_11comp_targetILNS1_3genE9ELNS1_11target_archE1100ELNS1_3gpuE3ELNS1_3repE0EEENS1_30default_config_static_selectorELNS0_4arch9wavefront6targetE0EEEvT1_: ; @_ZN7rocprim17ROCPRIM_400000_NS6detail17trampoline_kernelINS0_14default_configENS1_25partition_config_selectorILNS1_17partition_subalgoE8ElNS0_10empty_typeEbEEZZNS1_14partition_implILS5_8ELb0ES3_jPKlPS6_PKS6_NS0_5tupleIJPlS6_EEENSE_IJSB_SB_EEENS0_18inequality_wrapperIN6hipcub16HIPCUB_304000_NS8EqualityEEESF_JS6_EEE10hipError_tPvRmT3_T4_T5_T6_T7_T9_mT8_P12ihipStream_tbDpT10_ENKUlT_T0_E_clISt17integral_constantIbLb1EES15_IbLb0EEEEDaS11_S12_EUlS11_E_NS1_11comp_targetILNS1_3genE9ELNS1_11target_archE1100ELNS1_3gpuE3ELNS1_3repE0EEENS1_30default_config_static_selectorELNS0_4arch9wavefront6targetE0EEEvT1_
; %bb.0:
	.section	.rodata,"a",@progbits
	.p2align	6, 0x0
	.amdhsa_kernel _ZN7rocprim17ROCPRIM_400000_NS6detail17trampoline_kernelINS0_14default_configENS1_25partition_config_selectorILNS1_17partition_subalgoE8ElNS0_10empty_typeEbEEZZNS1_14partition_implILS5_8ELb0ES3_jPKlPS6_PKS6_NS0_5tupleIJPlS6_EEENSE_IJSB_SB_EEENS0_18inequality_wrapperIN6hipcub16HIPCUB_304000_NS8EqualityEEESF_JS6_EEE10hipError_tPvRmT3_T4_T5_T6_T7_T9_mT8_P12ihipStream_tbDpT10_ENKUlT_T0_E_clISt17integral_constantIbLb1EES15_IbLb0EEEEDaS11_S12_EUlS11_E_NS1_11comp_targetILNS1_3genE9ELNS1_11target_archE1100ELNS1_3gpuE3ELNS1_3repE0EEENS1_30default_config_static_selectorELNS0_4arch9wavefront6targetE0EEEvT1_
		.amdhsa_group_segment_fixed_size 0
		.amdhsa_private_segment_fixed_size 0
		.amdhsa_kernarg_size 112
		.amdhsa_user_sgpr_count 2
		.amdhsa_user_sgpr_dispatch_ptr 0
		.amdhsa_user_sgpr_queue_ptr 0
		.amdhsa_user_sgpr_kernarg_segment_ptr 1
		.amdhsa_user_sgpr_dispatch_id 0
		.amdhsa_user_sgpr_kernarg_preload_length 0
		.amdhsa_user_sgpr_kernarg_preload_offset 0
		.amdhsa_user_sgpr_private_segment_size 0
		.amdhsa_wavefront_size32 1
		.amdhsa_uses_dynamic_stack 0
		.amdhsa_enable_private_segment 0
		.amdhsa_system_sgpr_workgroup_id_x 1
		.amdhsa_system_sgpr_workgroup_id_y 0
		.amdhsa_system_sgpr_workgroup_id_z 0
		.amdhsa_system_sgpr_workgroup_info 0
		.amdhsa_system_vgpr_workitem_id 0
		.amdhsa_next_free_vgpr 1
		.amdhsa_next_free_sgpr 1
		.amdhsa_named_barrier_count 0
		.amdhsa_reserve_vcc 0
		.amdhsa_float_round_mode_32 0
		.amdhsa_float_round_mode_16_64 0
		.amdhsa_float_denorm_mode_32 3
		.amdhsa_float_denorm_mode_16_64 3
		.amdhsa_fp16_overflow 0
		.amdhsa_memory_ordered 1
		.amdhsa_forward_progress 1
		.amdhsa_inst_pref_size 0
		.amdhsa_round_robin_scheduling 0
		.amdhsa_exception_fp_ieee_invalid_op 0
		.amdhsa_exception_fp_denorm_src 0
		.amdhsa_exception_fp_ieee_div_zero 0
		.amdhsa_exception_fp_ieee_overflow 0
		.amdhsa_exception_fp_ieee_underflow 0
		.amdhsa_exception_fp_ieee_inexact 0
		.amdhsa_exception_int_div_zero 0
	.end_amdhsa_kernel
	.section	.text._ZN7rocprim17ROCPRIM_400000_NS6detail17trampoline_kernelINS0_14default_configENS1_25partition_config_selectorILNS1_17partition_subalgoE8ElNS0_10empty_typeEbEEZZNS1_14partition_implILS5_8ELb0ES3_jPKlPS6_PKS6_NS0_5tupleIJPlS6_EEENSE_IJSB_SB_EEENS0_18inequality_wrapperIN6hipcub16HIPCUB_304000_NS8EqualityEEESF_JS6_EEE10hipError_tPvRmT3_T4_T5_T6_T7_T9_mT8_P12ihipStream_tbDpT10_ENKUlT_T0_E_clISt17integral_constantIbLb1EES15_IbLb0EEEEDaS11_S12_EUlS11_E_NS1_11comp_targetILNS1_3genE9ELNS1_11target_archE1100ELNS1_3gpuE3ELNS1_3repE0EEENS1_30default_config_static_selectorELNS0_4arch9wavefront6targetE0EEEvT1_,"axG",@progbits,_ZN7rocprim17ROCPRIM_400000_NS6detail17trampoline_kernelINS0_14default_configENS1_25partition_config_selectorILNS1_17partition_subalgoE8ElNS0_10empty_typeEbEEZZNS1_14partition_implILS5_8ELb0ES3_jPKlPS6_PKS6_NS0_5tupleIJPlS6_EEENSE_IJSB_SB_EEENS0_18inequality_wrapperIN6hipcub16HIPCUB_304000_NS8EqualityEEESF_JS6_EEE10hipError_tPvRmT3_T4_T5_T6_T7_T9_mT8_P12ihipStream_tbDpT10_ENKUlT_T0_E_clISt17integral_constantIbLb1EES15_IbLb0EEEEDaS11_S12_EUlS11_E_NS1_11comp_targetILNS1_3genE9ELNS1_11target_archE1100ELNS1_3gpuE3ELNS1_3repE0EEENS1_30default_config_static_selectorELNS0_4arch9wavefront6targetE0EEEvT1_,comdat
.Lfunc_end501:
	.size	_ZN7rocprim17ROCPRIM_400000_NS6detail17trampoline_kernelINS0_14default_configENS1_25partition_config_selectorILNS1_17partition_subalgoE8ElNS0_10empty_typeEbEEZZNS1_14partition_implILS5_8ELb0ES3_jPKlPS6_PKS6_NS0_5tupleIJPlS6_EEENSE_IJSB_SB_EEENS0_18inequality_wrapperIN6hipcub16HIPCUB_304000_NS8EqualityEEESF_JS6_EEE10hipError_tPvRmT3_T4_T5_T6_T7_T9_mT8_P12ihipStream_tbDpT10_ENKUlT_T0_E_clISt17integral_constantIbLb1EES15_IbLb0EEEEDaS11_S12_EUlS11_E_NS1_11comp_targetILNS1_3genE9ELNS1_11target_archE1100ELNS1_3gpuE3ELNS1_3repE0EEENS1_30default_config_static_selectorELNS0_4arch9wavefront6targetE0EEEvT1_, .Lfunc_end501-_ZN7rocprim17ROCPRIM_400000_NS6detail17trampoline_kernelINS0_14default_configENS1_25partition_config_selectorILNS1_17partition_subalgoE8ElNS0_10empty_typeEbEEZZNS1_14partition_implILS5_8ELb0ES3_jPKlPS6_PKS6_NS0_5tupleIJPlS6_EEENSE_IJSB_SB_EEENS0_18inequality_wrapperIN6hipcub16HIPCUB_304000_NS8EqualityEEESF_JS6_EEE10hipError_tPvRmT3_T4_T5_T6_T7_T9_mT8_P12ihipStream_tbDpT10_ENKUlT_T0_E_clISt17integral_constantIbLb1EES15_IbLb0EEEEDaS11_S12_EUlS11_E_NS1_11comp_targetILNS1_3genE9ELNS1_11target_archE1100ELNS1_3gpuE3ELNS1_3repE0EEENS1_30default_config_static_selectorELNS0_4arch9wavefront6targetE0EEEvT1_
                                        ; -- End function
	.set _ZN7rocprim17ROCPRIM_400000_NS6detail17trampoline_kernelINS0_14default_configENS1_25partition_config_selectorILNS1_17partition_subalgoE8ElNS0_10empty_typeEbEEZZNS1_14partition_implILS5_8ELb0ES3_jPKlPS6_PKS6_NS0_5tupleIJPlS6_EEENSE_IJSB_SB_EEENS0_18inequality_wrapperIN6hipcub16HIPCUB_304000_NS8EqualityEEESF_JS6_EEE10hipError_tPvRmT3_T4_T5_T6_T7_T9_mT8_P12ihipStream_tbDpT10_ENKUlT_T0_E_clISt17integral_constantIbLb1EES15_IbLb0EEEEDaS11_S12_EUlS11_E_NS1_11comp_targetILNS1_3genE9ELNS1_11target_archE1100ELNS1_3gpuE3ELNS1_3repE0EEENS1_30default_config_static_selectorELNS0_4arch9wavefront6targetE0EEEvT1_.num_vgpr, 0
	.set _ZN7rocprim17ROCPRIM_400000_NS6detail17trampoline_kernelINS0_14default_configENS1_25partition_config_selectorILNS1_17partition_subalgoE8ElNS0_10empty_typeEbEEZZNS1_14partition_implILS5_8ELb0ES3_jPKlPS6_PKS6_NS0_5tupleIJPlS6_EEENSE_IJSB_SB_EEENS0_18inequality_wrapperIN6hipcub16HIPCUB_304000_NS8EqualityEEESF_JS6_EEE10hipError_tPvRmT3_T4_T5_T6_T7_T9_mT8_P12ihipStream_tbDpT10_ENKUlT_T0_E_clISt17integral_constantIbLb1EES15_IbLb0EEEEDaS11_S12_EUlS11_E_NS1_11comp_targetILNS1_3genE9ELNS1_11target_archE1100ELNS1_3gpuE3ELNS1_3repE0EEENS1_30default_config_static_selectorELNS0_4arch9wavefront6targetE0EEEvT1_.num_agpr, 0
	.set _ZN7rocprim17ROCPRIM_400000_NS6detail17trampoline_kernelINS0_14default_configENS1_25partition_config_selectorILNS1_17partition_subalgoE8ElNS0_10empty_typeEbEEZZNS1_14partition_implILS5_8ELb0ES3_jPKlPS6_PKS6_NS0_5tupleIJPlS6_EEENSE_IJSB_SB_EEENS0_18inequality_wrapperIN6hipcub16HIPCUB_304000_NS8EqualityEEESF_JS6_EEE10hipError_tPvRmT3_T4_T5_T6_T7_T9_mT8_P12ihipStream_tbDpT10_ENKUlT_T0_E_clISt17integral_constantIbLb1EES15_IbLb0EEEEDaS11_S12_EUlS11_E_NS1_11comp_targetILNS1_3genE9ELNS1_11target_archE1100ELNS1_3gpuE3ELNS1_3repE0EEENS1_30default_config_static_selectorELNS0_4arch9wavefront6targetE0EEEvT1_.numbered_sgpr, 0
	.set _ZN7rocprim17ROCPRIM_400000_NS6detail17trampoline_kernelINS0_14default_configENS1_25partition_config_selectorILNS1_17partition_subalgoE8ElNS0_10empty_typeEbEEZZNS1_14partition_implILS5_8ELb0ES3_jPKlPS6_PKS6_NS0_5tupleIJPlS6_EEENSE_IJSB_SB_EEENS0_18inequality_wrapperIN6hipcub16HIPCUB_304000_NS8EqualityEEESF_JS6_EEE10hipError_tPvRmT3_T4_T5_T6_T7_T9_mT8_P12ihipStream_tbDpT10_ENKUlT_T0_E_clISt17integral_constantIbLb1EES15_IbLb0EEEEDaS11_S12_EUlS11_E_NS1_11comp_targetILNS1_3genE9ELNS1_11target_archE1100ELNS1_3gpuE3ELNS1_3repE0EEENS1_30default_config_static_selectorELNS0_4arch9wavefront6targetE0EEEvT1_.num_named_barrier, 0
	.set _ZN7rocprim17ROCPRIM_400000_NS6detail17trampoline_kernelINS0_14default_configENS1_25partition_config_selectorILNS1_17partition_subalgoE8ElNS0_10empty_typeEbEEZZNS1_14partition_implILS5_8ELb0ES3_jPKlPS6_PKS6_NS0_5tupleIJPlS6_EEENSE_IJSB_SB_EEENS0_18inequality_wrapperIN6hipcub16HIPCUB_304000_NS8EqualityEEESF_JS6_EEE10hipError_tPvRmT3_T4_T5_T6_T7_T9_mT8_P12ihipStream_tbDpT10_ENKUlT_T0_E_clISt17integral_constantIbLb1EES15_IbLb0EEEEDaS11_S12_EUlS11_E_NS1_11comp_targetILNS1_3genE9ELNS1_11target_archE1100ELNS1_3gpuE3ELNS1_3repE0EEENS1_30default_config_static_selectorELNS0_4arch9wavefront6targetE0EEEvT1_.private_seg_size, 0
	.set _ZN7rocprim17ROCPRIM_400000_NS6detail17trampoline_kernelINS0_14default_configENS1_25partition_config_selectorILNS1_17partition_subalgoE8ElNS0_10empty_typeEbEEZZNS1_14partition_implILS5_8ELb0ES3_jPKlPS6_PKS6_NS0_5tupleIJPlS6_EEENSE_IJSB_SB_EEENS0_18inequality_wrapperIN6hipcub16HIPCUB_304000_NS8EqualityEEESF_JS6_EEE10hipError_tPvRmT3_T4_T5_T6_T7_T9_mT8_P12ihipStream_tbDpT10_ENKUlT_T0_E_clISt17integral_constantIbLb1EES15_IbLb0EEEEDaS11_S12_EUlS11_E_NS1_11comp_targetILNS1_3genE9ELNS1_11target_archE1100ELNS1_3gpuE3ELNS1_3repE0EEENS1_30default_config_static_selectorELNS0_4arch9wavefront6targetE0EEEvT1_.uses_vcc, 0
	.set _ZN7rocprim17ROCPRIM_400000_NS6detail17trampoline_kernelINS0_14default_configENS1_25partition_config_selectorILNS1_17partition_subalgoE8ElNS0_10empty_typeEbEEZZNS1_14partition_implILS5_8ELb0ES3_jPKlPS6_PKS6_NS0_5tupleIJPlS6_EEENSE_IJSB_SB_EEENS0_18inequality_wrapperIN6hipcub16HIPCUB_304000_NS8EqualityEEESF_JS6_EEE10hipError_tPvRmT3_T4_T5_T6_T7_T9_mT8_P12ihipStream_tbDpT10_ENKUlT_T0_E_clISt17integral_constantIbLb1EES15_IbLb0EEEEDaS11_S12_EUlS11_E_NS1_11comp_targetILNS1_3genE9ELNS1_11target_archE1100ELNS1_3gpuE3ELNS1_3repE0EEENS1_30default_config_static_selectorELNS0_4arch9wavefront6targetE0EEEvT1_.uses_flat_scratch, 0
	.set _ZN7rocprim17ROCPRIM_400000_NS6detail17trampoline_kernelINS0_14default_configENS1_25partition_config_selectorILNS1_17partition_subalgoE8ElNS0_10empty_typeEbEEZZNS1_14partition_implILS5_8ELb0ES3_jPKlPS6_PKS6_NS0_5tupleIJPlS6_EEENSE_IJSB_SB_EEENS0_18inequality_wrapperIN6hipcub16HIPCUB_304000_NS8EqualityEEESF_JS6_EEE10hipError_tPvRmT3_T4_T5_T6_T7_T9_mT8_P12ihipStream_tbDpT10_ENKUlT_T0_E_clISt17integral_constantIbLb1EES15_IbLb0EEEEDaS11_S12_EUlS11_E_NS1_11comp_targetILNS1_3genE9ELNS1_11target_archE1100ELNS1_3gpuE3ELNS1_3repE0EEENS1_30default_config_static_selectorELNS0_4arch9wavefront6targetE0EEEvT1_.has_dyn_sized_stack, 0
	.set _ZN7rocprim17ROCPRIM_400000_NS6detail17trampoline_kernelINS0_14default_configENS1_25partition_config_selectorILNS1_17partition_subalgoE8ElNS0_10empty_typeEbEEZZNS1_14partition_implILS5_8ELb0ES3_jPKlPS6_PKS6_NS0_5tupleIJPlS6_EEENSE_IJSB_SB_EEENS0_18inequality_wrapperIN6hipcub16HIPCUB_304000_NS8EqualityEEESF_JS6_EEE10hipError_tPvRmT3_T4_T5_T6_T7_T9_mT8_P12ihipStream_tbDpT10_ENKUlT_T0_E_clISt17integral_constantIbLb1EES15_IbLb0EEEEDaS11_S12_EUlS11_E_NS1_11comp_targetILNS1_3genE9ELNS1_11target_archE1100ELNS1_3gpuE3ELNS1_3repE0EEENS1_30default_config_static_selectorELNS0_4arch9wavefront6targetE0EEEvT1_.has_recursion, 0
	.set _ZN7rocprim17ROCPRIM_400000_NS6detail17trampoline_kernelINS0_14default_configENS1_25partition_config_selectorILNS1_17partition_subalgoE8ElNS0_10empty_typeEbEEZZNS1_14partition_implILS5_8ELb0ES3_jPKlPS6_PKS6_NS0_5tupleIJPlS6_EEENSE_IJSB_SB_EEENS0_18inequality_wrapperIN6hipcub16HIPCUB_304000_NS8EqualityEEESF_JS6_EEE10hipError_tPvRmT3_T4_T5_T6_T7_T9_mT8_P12ihipStream_tbDpT10_ENKUlT_T0_E_clISt17integral_constantIbLb1EES15_IbLb0EEEEDaS11_S12_EUlS11_E_NS1_11comp_targetILNS1_3genE9ELNS1_11target_archE1100ELNS1_3gpuE3ELNS1_3repE0EEENS1_30default_config_static_selectorELNS0_4arch9wavefront6targetE0EEEvT1_.has_indirect_call, 0
	.section	.AMDGPU.csdata,"",@progbits
; Kernel info:
; codeLenInByte = 0
; TotalNumSgprs: 0
; NumVgprs: 0
; ScratchSize: 0
; MemoryBound: 0
; FloatMode: 240
; IeeeMode: 1
; LDSByteSize: 0 bytes/workgroup (compile time only)
; SGPRBlocks: 0
; VGPRBlocks: 0
; NumSGPRsForWavesPerEU: 1
; NumVGPRsForWavesPerEU: 1
; NamedBarCnt: 0
; Occupancy: 16
; WaveLimiterHint : 0
; COMPUTE_PGM_RSRC2:SCRATCH_EN: 0
; COMPUTE_PGM_RSRC2:USER_SGPR: 2
; COMPUTE_PGM_RSRC2:TRAP_HANDLER: 0
; COMPUTE_PGM_RSRC2:TGID_X_EN: 1
; COMPUTE_PGM_RSRC2:TGID_Y_EN: 0
; COMPUTE_PGM_RSRC2:TGID_Z_EN: 0
; COMPUTE_PGM_RSRC2:TIDIG_COMP_CNT: 0
	.section	.text._ZN7rocprim17ROCPRIM_400000_NS6detail17trampoline_kernelINS0_14default_configENS1_25partition_config_selectorILNS1_17partition_subalgoE8ElNS0_10empty_typeEbEEZZNS1_14partition_implILS5_8ELb0ES3_jPKlPS6_PKS6_NS0_5tupleIJPlS6_EEENSE_IJSB_SB_EEENS0_18inequality_wrapperIN6hipcub16HIPCUB_304000_NS8EqualityEEESF_JS6_EEE10hipError_tPvRmT3_T4_T5_T6_T7_T9_mT8_P12ihipStream_tbDpT10_ENKUlT_T0_E_clISt17integral_constantIbLb1EES15_IbLb0EEEEDaS11_S12_EUlS11_E_NS1_11comp_targetILNS1_3genE8ELNS1_11target_archE1030ELNS1_3gpuE2ELNS1_3repE0EEENS1_30default_config_static_selectorELNS0_4arch9wavefront6targetE0EEEvT1_,"axG",@progbits,_ZN7rocprim17ROCPRIM_400000_NS6detail17trampoline_kernelINS0_14default_configENS1_25partition_config_selectorILNS1_17partition_subalgoE8ElNS0_10empty_typeEbEEZZNS1_14partition_implILS5_8ELb0ES3_jPKlPS6_PKS6_NS0_5tupleIJPlS6_EEENSE_IJSB_SB_EEENS0_18inequality_wrapperIN6hipcub16HIPCUB_304000_NS8EqualityEEESF_JS6_EEE10hipError_tPvRmT3_T4_T5_T6_T7_T9_mT8_P12ihipStream_tbDpT10_ENKUlT_T0_E_clISt17integral_constantIbLb1EES15_IbLb0EEEEDaS11_S12_EUlS11_E_NS1_11comp_targetILNS1_3genE8ELNS1_11target_archE1030ELNS1_3gpuE2ELNS1_3repE0EEENS1_30default_config_static_selectorELNS0_4arch9wavefront6targetE0EEEvT1_,comdat
	.protected	_ZN7rocprim17ROCPRIM_400000_NS6detail17trampoline_kernelINS0_14default_configENS1_25partition_config_selectorILNS1_17partition_subalgoE8ElNS0_10empty_typeEbEEZZNS1_14partition_implILS5_8ELb0ES3_jPKlPS6_PKS6_NS0_5tupleIJPlS6_EEENSE_IJSB_SB_EEENS0_18inequality_wrapperIN6hipcub16HIPCUB_304000_NS8EqualityEEESF_JS6_EEE10hipError_tPvRmT3_T4_T5_T6_T7_T9_mT8_P12ihipStream_tbDpT10_ENKUlT_T0_E_clISt17integral_constantIbLb1EES15_IbLb0EEEEDaS11_S12_EUlS11_E_NS1_11comp_targetILNS1_3genE8ELNS1_11target_archE1030ELNS1_3gpuE2ELNS1_3repE0EEENS1_30default_config_static_selectorELNS0_4arch9wavefront6targetE0EEEvT1_ ; -- Begin function _ZN7rocprim17ROCPRIM_400000_NS6detail17trampoline_kernelINS0_14default_configENS1_25partition_config_selectorILNS1_17partition_subalgoE8ElNS0_10empty_typeEbEEZZNS1_14partition_implILS5_8ELb0ES3_jPKlPS6_PKS6_NS0_5tupleIJPlS6_EEENSE_IJSB_SB_EEENS0_18inequality_wrapperIN6hipcub16HIPCUB_304000_NS8EqualityEEESF_JS6_EEE10hipError_tPvRmT3_T4_T5_T6_T7_T9_mT8_P12ihipStream_tbDpT10_ENKUlT_T0_E_clISt17integral_constantIbLb1EES15_IbLb0EEEEDaS11_S12_EUlS11_E_NS1_11comp_targetILNS1_3genE8ELNS1_11target_archE1030ELNS1_3gpuE2ELNS1_3repE0EEENS1_30default_config_static_selectorELNS0_4arch9wavefront6targetE0EEEvT1_
	.globl	_ZN7rocprim17ROCPRIM_400000_NS6detail17trampoline_kernelINS0_14default_configENS1_25partition_config_selectorILNS1_17partition_subalgoE8ElNS0_10empty_typeEbEEZZNS1_14partition_implILS5_8ELb0ES3_jPKlPS6_PKS6_NS0_5tupleIJPlS6_EEENSE_IJSB_SB_EEENS0_18inequality_wrapperIN6hipcub16HIPCUB_304000_NS8EqualityEEESF_JS6_EEE10hipError_tPvRmT3_T4_T5_T6_T7_T9_mT8_P12ihipStream_tbDpT10_ENKUlT_T0_E_clISt17integral_constantIbLb1EES15_IbLb0EEEEDaS11_S12_EUlS11_E_NS1_11comp_targetILNS1_3genE8ELNS1_11target_archE1030ELNS1_3gpuE2ELNS1_3repE0EEENS1_30default_config_static_selectorELNS0_4arch9wavefront6targetE0EEEvT1_
	.p2align	8
	.type	_ZN7rocprim17ROCPRIM_400000_NS6detail17trampoline_kernelINS0_14default_configENS1_25partition_config_selectorILNS1_17partition_subalgoE8ElNS0_10empty_typeEbEEZZNS1_14partition_implILS5_8ELb0ES3_jPKlPS6_PKS6_NS0_5tupleIJPlS6_EEENSE_IJSB_SB_EEENS0_18inequality_wrapperIN6hipcub16HIPCUB_304000_NS8EqualityEEESF_JS6_EEE10hipError_tPvRmT3_T4_T5_T6_T7_T9_mT8_P12ihipStream_tbDpT10_ENKUlT_T0_E_clISt17integral_constantIbLb1EES15_IbLb0EEEEDaS11_S12_EUlS11_E_NS1_11comp_targetILNS1_3genE8ELNS1_11target_archE1030ELNS1_3gpuE2ELNS1_3repE0EEENS1_30default_config_static_selectorELNS0_4arch9wavefront6targetE0EEEvT1_,@function
_ZN7rocprim17ROCPRIM_400000_NS6detail17trampoline_kernelINS0_14default_configENS1_25partition_config_selectorILNS1_17partition_subalgoE8ElNS0_10empty_typeEbEEZZNS1_14partition_implILS5_8ELb0ES3_jPKlPS6_PKS6_NS0_5tupleIJPlS6_EEENSE_IJSB_SB_EEENS0_18inequality_wrapperIN6hipcub16HIPCUB_304000_NS8EqualityEEESF_JS6_EEE10hipError_tPvRmT3_T4_T5_T6_T7_T9_mT8_P12ihipStream_tbDpT10_ENKUlT_T0_E_clISt17integral_constantIbLb1EES15_IbLb0EEEEDaS11_S12_EUlS11_E_NS1_11comp_targetILNS1_3genE8ELNS1_11target_archE1030ELNS1_3gpuE2ELNS1_3repE0EEENS1_30default_config_static_selectorELNS0_4arch9wavefront6targetE0EEEvT1_: ; @_ZN7rocprim17ROCPRIM_400000_NS6detail17trampoline_kernelINS0_14default_configENS1_25partition_config_selectorILNS1_17partition_subalgoE8ElNS0_10empty_typeEbEEZZNS1_14partition_implILS5_8ELb0ES3_jPKlPS6_PKS6_NS0_5tupleIJPlS6_EEENSE_IJSB_SB_EEENS0_18inequality_wrapperIN6hipcub16HIPCUB_304000_NS8EqualityEEESF_JS6_EEE10hipError_tPvRmT3_T4_T5_T6_T7_T9_mT8_P12ihipStream_tbDpT10_ENKUlT_T0_E_clISt17integral_constantIbLb1EES15_IbLb0EEEEDaS11_S12_EUlS11_E_NS1_11comp_targetILNS1_3genE8ELNS1_11target_archE1030ELNS1_3gpuE2ELNS1_3repE0EEENS1_30default_config_static_selectorELNS0_4arch9wavefront6targetE0EEEvT1_
; %bb.0:
	.section	.rodata,"a",@progbits
	.p2align	6, 0x0
	.amdhsa_kernel _ZN7rocprim17ROCPRIM_400000_NS6detail17trampoline_kernelINS0_14default_configENS1_25partition_config_selectorILNS1_17partition_subalgoE8ElNS0_10empty_typeEbEEZZNS1_14partition_implILS5_8ELb0ES3_jPKlPS6_PKS6_NS0_5tupleIJPlS6_EEENSE_IJSB_SB_EEENS0_18inequality_wrapperIN6hipcub16HIPCUB_304000_NS8EqualityEEESF_JS6_EEE10hipError_tPvRmT3_T4_T5_T6_T7_T9_mT8_P12ihipStream_tbDpT10_ENKUlT_T0_E_clISt17integral_constantIbLb1EES15_IbLb0EEEEDaS11_S12_EUlS11_E_NS1_11comp_targetILNS1_3genE8ELNS1_11target_archE1030ELNS1_3gpuE2ELNS1_3repE0EEENS1_30default_config_static_selectorELNS0_4arch9wavefront6targetE0EEEvT1_
		.amdhsa_group_segment_fixed_size 0
		.amdhsa_private_segment_fixed_size 0
		.amdhsa_kernarg_size 112
		.amdhsa_user_sgpr_count 2
		.amdhsa_user_sgpr_dispatch_ptr 0
		.amdhsa_user_sgpr_queue_ptr 0
		.amdhsa_user_sgpr_kernarg_segment_ptr 1
		.amdhsa_user_sgpr_dispatch_id 0
		.amdhsa_user_sgpr_kernarg_preload_length 0
		.amdhsa_user_sgpr_kernarg_preload_offset 0
		.amdhsa_user_sgpr_private_segment_size 0
		.amdhsa_wavefront_size32 1
		.amdhsa_uses_dynamic_stack 0
		.amdhsa_enable_private_segment 0
		.amdhsa_system_sgpr_workgroup_id_x 1
		.amdhsa_system_sgpr_workgroup_id_y 0
		.amdhsa_system_sgpr_workgroup_id_z 0
		.amdhsa_system_sgpr_workgroup_info 0
		.amdhsa_system_vgpr_workitem_id 0
		.amdhsa_next_free_vgpr 1
		.amdhsa_next_free_sgpr 1
		.amdhsa_named_barrier_count 0
		.amdhsa_reserve_vcc 0
		.amdhsa_float_round_mode_32 0
		.amdhsa_float_round_mode_16_64 0
		.amdhsa_float_denorm_mode_32 3
		.amdhsa_float_denorm_mode_16_64 3
		.amdhsa_fp16_overflow 0
		.amdhsa_memory_ordered 1
		.amdhsa_forward_progress 1
		.amdhsa_inst_pref_size 0
		.amdhsa_round_robin_scheduling 0
		.amdhsa_exception_fp_ieee_invalid_op 0
		.amdhsa_exception_fp_denorm_src 0
		.amdhsa_exception_fp_ieee_div_zero 0
		.amdhsa_exception_fp_ieee_overflow 0
		.amdhsa_exception_fp_ieee_underflow 0
		.amdhsa_exception_fp_ieee_inexact 0
		.amdhsa_exception_int_div_zero 0
	.end_amdhsa_kernel
	.section	.text._ZN7rocprim17ROCPRIM_400000_NS6detail17trampoline_kernelINS0_14default_configENS1_25partition_config_selectorILNS1_17partition_subalgoE8ElNS0_10empty_typeEbEEZZNS1_14partition_implILS5_8ELb0ES3_jPKlPS6_PKS6_NS0_5tupleIJPlS6_EEENSE_IJSB_SB_EEENS0_18inequality_wrapperIN6hipcub16HIPCUB_304000_NS8EqualityEEESF_JS6_EEE10hipError_tPvRmT3_T4_T5_T6_T7_T9_mT8_P12ihipStream_tbDpT10_ENKUlT_T0_E_clISt17integral_constantIbLb1EES15_IbLb0EEEEDaS11_S12_EUlS11_E_NS1_11comp_targetILNS1_3genE8ELNS1_11target_archE1030ELNS1_3gpuE2ELNS1_3repE0EEENS1_30default_config_static_selectorELNS0_4arch9wavefront6targetE0EEEvT1_,"axG",@progbits,_ZN7rocprim17ROCPRIM_400000_NS6detail17trampoline_kernelINS0_14default_configENS1_25partition_config_selectorILNS1_17partition_subalgoE8ElNS0_10empty_typeEbEEZZNS1_14partition_implILS5_8ELb0ES3_jPKlPS6_PKS6_NS0_5tupleIJPlS6_EEENSE_IJSB_SB_EEENS0_18inequality_wrapperIN6hipcub16HIPCUB_304000_NS8EqualityEEESF_JS6_EEE10hipError_tPvRmT3_T4_T5_T6_T7_T9_mT8_P12ihipStream_tbDpT10_ENKUlT_T0_E_clISt17integral_constantIbLb1EES15_IbLb0EEEEDaS11_S12_EUlS11_E_NS1_11comp_targetILNS1_3genE8ELNS1_11target_archE1030ELNS1_3gpuE2ELNS1_3repE0EEENS1_30default_config_static_selectorELNS0_4arch9wavefront6targetE0EEEvT1_,comdat
.Lfunc_end502:
	.size	_ZN7rocprim17ROCPRIM_400000_NS6detail17trampoline_kernelINS0_14default_configENS1_25partition_config_selectorILNS1_17partition_subalgoE8ElNS0_10empty_typeEbEEZZNS1_14partition_implILS5_8ELb0ES3_jPKlPS6_PKS6_NS0_5tupleIJPlS6_EEENSE_IJSB_SB_EEENS0_18inequality_wrapperIN6hipcub16HIPCUB_304000_NS8EqualityEEESF_JS6_EEE10hipError_tPvRmT3_T4_T5_T6_T7_T9_mT8_P12ihipStream_tbDpT10_ENKUlT_T0_E_clISt17integral_constantIbLb1EES15_IbLb0EEEEDaS11_S12_EUlS11_E_NS1_11comp_targetILNS1_3genE8ELNS1_11target_archE1030ELNS1_3gpuE2ELNS1_3repE0EEENS1_30default_config_static_selectorELNS0_4arch9wavefront6targetE0EEEvT1_, .Lfunc_end502-_ZN7rocprim17ROCPRIM_400000_NS6detail17trampoline_kernelINS0_14default_configENS1_25partition_config_selectorILNS1_17partition_subalgoE8ElNS0_10empty_typeEbEEZZNS1_14partition_implILS5_8ELb0ES3_jPKlPS6_PKS6_NS0_5tupleIJPlS6_EEENSE_IJSB_SB_EEENS0_18inequality_wrapperIN6hipcub16HIPCUB_304000_NS8EqualityEEESF_JS6_EEE10hipError_tPvRmT3_T4_T5_T6_T7_T9_mT8_P12ihipStream_tbDpT10_ENKUlT_T0_E_clISt17integral_constantIbLb1EES15_IbLb0EEEEDaS11_S12_EUlS11_E_NS1_11comp_targetILNS1_3genE8ELNS1_11target_archE1030ELNS1_3gpuE2ELNS1_3repE0EEENS1_30default_config_static_selectorELNS0_4arch9wavefront6targetE0EEEvT1_
                                        ; -- End function
	.set _ZN7rocprim17ROCPRIM_400000_NS6detail17trampoline_kernelINS0_14default_configENS1_25partition_config_selectorILNS1_17partition_subalgoE8ElNS0_10empty_typeEbEEZZNS1_14partition_implILS5_8ELb0ES3_jPKlPS6_PKS6_NS0_5tupleIJPlS6_EEENSE_IJSB_SB_EEENS0_18inequality_wrapperIN6hipcub16HIPCUB_304000_NS8EqualityEEESF_JS6_EEE10hipError_tPvRmT3_T4_T5_T6_T7_T9_mT8_P12ihipStream_tbDpT10_ENKUlT_T0_E_clISt17integral_constantIbLb1EES15_IbLb0EEEEDaS11_S12_EUlS11_E_NS1_11comp_targetILNS1_3genE8ELNS1_11target_archE1030ELNS1_3gpuE2ELNS1_3repE0EEENS1_30default_config_static_selectorELNS0_4arch9wavefront6targetE0EEEvT1_.num_vgpr, 0
	.set _ZN7rocprim17ROCPRIM_400000_NS6detail17trampoline_kernelINS0_14default_configENS1_25partition_config_selectorILNS1_17partition_subalgoE8ElNS0_10empty_typeEbEEZZNS1_14partition_implILS5_8ELb0ES3_jPKlPS6_PKS6_NS0_5tupleIJPlS6_EEENSE_IJSB_SB_EEENS0_18inequality_wrapperIN6hipcub16HIPCUB_304000_NS8EqualityEEESF_JS6_EEE10hipError_tPvRmT3_T4_T5_T6_T7_T9_mT8_P12ihipStream_tbDpT10_ENKUlT_T0_E_clISt17integral_constantIbLb1EES15_IbLb0EEEEDaS11_S12_EUlS11_E_NS1_11comp_targetILNS1_3genE8ELNS1_11target_archE1030ELNS1_3gpuE2ELNS1_3repE0EEENS1_30default_config_static_selectorELNS0_4arch9wavefront6targetE0EEEvT1_.num_agpr, 0
	.set _ZN7rocprim17ROCPRIM_400000_NS6detail17trampoline_kernelINS0_14default_configENS1_25partition_config_selectorILNS1_17partition_subalgoE8ElNS0_10empty_typeEbEEZZNS1_14partition_implILS5_8ELb0ES3_jPKlPS6_PKS6_NS0_5tupleIJPlS6_EEENSE_IJSB_SB_EEENS0_18inequality_wrapperIN6hipcub16HIPCUB_304000_NS8EqualityEEESF_JS6_EEE10hipError_tPvRmT3_T4_T5_T6_T7_T9_mT8_P12ihipStream_tbDpT10_ENKUlT_T0_E_clISt17integral_constantIbLb1EES15_IbLb0EEEEDaS11_S12_EUlS11_E_NS1_11comp_targetILNS1_3genE8ELNS1_11target_archE1030ELNS1_3gpuE2ELNS1_3repE0EEENS1_30default_config_static_selectorELNS0_4arch9wavefront6targetE0EEEvT1_.numbered_sgpr, 0
	.set _ZN7rocprim17ROCPRIM_400000_NS6detail17trampoline_kernelINS0_14default_configENS1_25partition_config_selectorILNS1_17partition_subalgoE8ElNS0_10empty_typeEbEEZZNS1_14partition_implILS5_8ELb0ES3_jPKlPS6_PKS6_NS0_5tupleIJPlS6_EEENSE_IJSB_SB_EEENS0_18inequality_wrapperIN6hipcub16HIPCUB_304000_NS8EqualityEEESF_JS6_EEE10hipError_tPvRmT3_T4_T5_T6_T7_T9_mT8_P12ihipStream_tbDpT10_ENKUlT_T0_E_clISt17integral_constantIbLb1EES15_IbLb0EEEEDaS11_S12_EUlS11_E_NS1_11comp_targetILNS1_3genE8ELNS1_11target_archE1030ELNS1_3gpuE2ELNS1_3repE0EEENS1_30default_config_static_selectorELNS0_4arch9wavefront6targetE0EEEvT1_.num_named_barrier, 0
	.set _ZN7rocprim17ROCPRIM_400000_NS6detail17trampoline_kernelINS0_14default_configENS1_25partition_config_selectorILNS1_17partition_subalgoE8ElNS0_10empty_typeEbEEZZNS1_14partition_implILS5_8ELb0ES3_jPKlPS6_PKS6_NS0_5tupleIJPlS6_EEENSE_IJSB_SB_EEENS0_18inequality_wrapperIN6hipcub16HIPCUB_304000_NS8EqualityEEESF_JS6_EEE10hipError_tPvRmT3_T4_T5_T6_T7_T9_mT8_P12ihipStream_tbDpT10_ENKUlT_T0_E_clISt17integral_constantIbLb1EES15_IbLb0EEEEDaS11_S12_EUlS11_E_NS1_11comp_targetILNS1_3genE8ELNS1_11target_archE1030ELNS1_3gpuE2ELNS1_3repE0EEENS1_30default_config_static_selectorELNS0_4arch9wavefront6targetE0EEEvT1_.private_seg_size, 0
	.set _ZN7rocprim17ROCPRIM_400000_NS6detail17trampoline_kernelINS0_14default_configENS1_25partition_config_selectorILNS1_17partition_subalgoE8ElNS0_10empty_typeEbEEZZNS1_14partition_implILS5_8ELb0ES3_jPKlPS6_PKS6_NS0_5tupleIJPlS6_EEENSE_IJSB_SB_EEENS0_18inequality_wrapperIN6hipcub16HIPCUB_304000_NS8EqualityEEESF_JS6_EEE10hipError_tPvRmT3_T4_T5_T6_T7_T9_mT8_P12ihipStream_tbDpT10_ENKUlT_T0_E_clISt17integral_constantIbLb1EES15_IbLb0EEEEDaS11_S12_EUlS11_E_NS1_11comp_targetILNS1_3genE8ELNS1_11target_archE1030ELNS1_3gpuE2ELNS1_3repE0EEENS1_30default_config_static_selectorELNS0_4arch9wavefront6targetE0EEEvT1_.uses_vcc, 0
	.set _ZN7rocprim17ROCPRIM_400000_NS6detail17trampoline_kernelINS0_14default_configENS1_25partition_config_selectorILNS1_17partition_subalgoE8ElNS0_10empty_typeEbEEZZNS1_14partition_implILS5_8ELb0ES3_jPKlPS6_PKS6_NS0_5tupleIJPlS6_EEENSE_IJSB_SB_EEENS0_18inequality_wrapperIN6hipcub16HIPCUB_304000_NS8EqualityEEESF_JS6_EEE10hipError_tPvRmT3_T4_T5_T6_T7_T9_mT8_P12ihipStream_tbDpT10_ENKUlT_T0_E_clISt17integral_constantIbLb1EES15_IbLb0EEEEDaS11_S12_EUlS11_E_NS1_11comp_targetILNS1_3genE8ELNS1_11target_archE1030ELNS1_3gpuE2ELNS1_3repE0EEENS1_30default_config_static_selectorELNS0_4arch9wavefront6targetE0EEEvT1_.uses_flat_scratch, 0
	.set _ZN7rocprim17ROCPRIM_400000_NS6detail17trampoline_kernelINS0_14default_configENS1_25partition_config_selectorILNS1_17partition_subalgoE8ElNS0_10empty_typeEbEEZZNS1_14partition_implILS5_8ELb0ES3_jPKlPS6_PKS6_NS0_5tupleIJPlS6_EEENSE_IJSB_SB_EEENS0_18inequality_wrapperIN6hipcub16HIPCUB_304000_NS8EqualityEEESF_JS6_EEE10hipError_tPvRmT3_T4_T5_T6_T7_T9_mT8_P12ihipStream_tbDpT10_ENKUlT_T0_E_clISt17integral_constantIbLb1EES15_IbLb0EEEEDaS11_S12_EUlS11_E_NS1_11comp_targetILNS1_3genE8ELNS1_11target_archE1030ELNS1_3gpuE2ELNS1_3repE0EEENS1_30default_config_static_selectorELNS0_4arch9wavefront6targetE0EEEvT1_.has_dyn_sized_stack, 0
	.set _ZN7rocprim17ROCPRIM_400000_NS6detail17trampoline_kernelINS0_14default_configENS1_25partition_config_selectorILNS1_17partition_subalgoE8ElNS0_10empty_typeEbEEZZNS1_14partition_implILS5_8ELb0ES3_jPKlPS6_PKS6_NS0_5tupleIJPlS6_EEENSE_IJSB_SB_EEENS0_18inequality_wrapperIN6hipcub16HIPCUB_304000_NS8EqualityEEESF_JS6_EEE10hipError_tPvRmT3_T4_T5_T6_T7_T9_mT8_P12ihipStream_tbDpT10_ENKUlT_T0_E_clISt17integral_constantIbLb1EES15_IbLb0EEEEDaS11_S12_EUlS11_E_NS1_11comp_targetILNS1_3genE8ELNS1_11target_archE1030ELNS1_3gpuE2ELNS1_3repE0EEENS1_30default_config_static_selectorELNS0_4arch9wavefront6targetE0EEEvT1_.has_recursion, 0
	.set _ZN7rocprim17ROCPRIM_400000_NS6detail17trampoline_kernelINS0_14default_configENS1_25partition_config_selectorILNS1_17partition_subalgoE8ElNS0_10empty_typeEbEEZZNS1_14partition_implILS5_8ELb0ES3_jPKlPS6_PKS6_NS0_5tupleIJPlS6_EEENSE_IJSB_SB_EEENS0_18inequality_wrapperIN6hipcub16HIPCUB_304000_NS8EqualityEEESF_JS6_EEE10hipError_tPvRmT3_T4_T5_T6_T7_T9_mT8_P12ihipStream_tbDpT10_ENKUlT_T0_E_clISt17integral_constantIbLb1EES15_IbLb0EEEEDaS11_S12_EUlS11_E_NS1_11comp_targetILNS1_3genE8ELNS1_11target_archE1030ELNS1_3gpuE2ELNS1_3repE0EEENS1_30default_config_static_selectorELNS0_4arch9wavefront6targetE0EEEvT1_.has_indirect_call, 0
	.section	.AMDGPU.csdata,"",@progbits
; Kernel info:
; codeLenInByte = 0
; TotalNumSgprs: 0
; NumVgprs: 0
; ScratchSize: 0
; MemoryBound: 0
; FloatMode: 240
; IeeeMode: 1
; LDSByteSize: 0 bytes/workgroup (compile time only)
; SGPRBlocks: 0
; VGPRBlocks: 0
; NumSGPRsForWavesPerEU: 1
; NumVGPRsForWavesPerEU: 1
; NamedBarCnt: 0
; Occupancy: 16
; WaveLimiterHint : 0
; COMPUTE_PGM_RSRC2:SCRATCH_EN: 0
; COMPUTE_PGM_RSRC2:USER_SGPR: 2
; COMPUTE_PGM_RSRC2:TRAP_HANDLER: 0
; COMPUTE_PGM_RSRC2:TGID_X_EN: 1
; COMPUTE_PGM_RSRC2:TGID_Y_EN: 0
; COMPUTE_PGM_RSRC2:TGID_Z_EN: 0
; COMPUTE_PGM_RSRC2:TIDIG_COMP_CNT: 0
	.section	.text._ZN7rocprim17ROCPRIM_400000_NS6detail17trampoline_kernelINS0_14default_configENS1_25partition_config_selectorILNS1_17partition_subalgoE8ElNS0_10empty_typeEbEEZZNS1_14partition_implILS5_8ELb0ES3_jPKlPS6_PKS6_NS0_5tupleIJPlS6_EEENSE_IJSB_SB_EEENS0_18inequality_wrapperIN6hipcub16HIPCUB_304000_NS8EqualityEEESF_JS6_EEE10hipError_tPvRmT3_T4_T5_T6_T7_T9_mT8_P12ihipStream_tbDpT10_ENKUlT_T0_E_clISt17integral_constantIbLb0EES15_IbLb1EEEEDaS11_S12_EUlS11_E_NS1_11comp_targetILNS1_3genE0ELNS1_11target_archE4294967295ELNS1_3gpuE0ELNS1_3repE0EEENS1_30default_config_static_selectorELNS0_4arch9wavefront6targetE0EEEvT1_,"axG",@progbits,_ZN7rocprim17ROCPRIM_400000_NS6detail17trampoline_kernelINS0_14default_configENS1_25partition_config_selectorILNS1_17partition_subalgoE8ElNS0_10empty_typeEbEEZZNS1_14partition_implILS5_8ELb0ES3_jPKlPS6_PKS6_NS0_5tupleIJPlS6_EEENSE_IJSB_SB_EEENS0_18inequality_wrapperIN6hipcub16HIPCUB_304000_NS8EqualityEEESF_JS6_EEE10hipError_tPvRmT3_T4_T5_T6_T7_T9_mT8_P12ihipStream_tbDpT10_ENKUlT_T0_E_clISt17integral_constantIbLb0EES15_IbLb1EEEEDaS11_S12_EUlS11_E_NS1_11comp_targetILNS1_3genE0ELNS1_11target_archE4294967295ELNS1_3gpuE0ELNS1_3repE0EEENS1_30default_config_static_selectorELNS0_4arch9wavefront6targetE0EEEvT1_,comdat
	.protected	_ZN7rocprim17ROCPRIM_400000_NS6detail17trampoline_kernelINS0_14default_configENS1_25partition_config_selectorILNS1_17partition_subalgoE8ElNS0_10empty_typeEbEEZZNS1_14partition_implILS5_8ELb0ES3_jPKlPS6_PKS6_NS0_5tupleIJPlS6_EEENSE_IJSB_SB_EEENS0_18inequality_wrapperIN6hipcub16HIPCUB_304000_NS8EqualityEEESF_JS6_EEE10hipError_tPvRmT3_T4_T5_T6_T7_T9_mT8_P12ihipStream_tbDpT10_ENKUlT_T0_E_clISt17integral_constantIbLb0EES15_IbLb1EEEEDaS11_S12_EUlS11_E_NS1_11comp_targetILNS1_3genE0ELNS1_11target_archE4294967295ELNS1_3gpuE0ELNS1_3repE0EEENS1_30default_config_static_selectorELNS0_4arch9wavefront6targetE0EEEvT1_ ; -- Begin function _ZN7rocprim17ROCPRIM_400000_NS6detail17trampoline_kernelINS0_14default_configENS1_25partition_config_selectorILNS1_17partition_subalgoE8ElNS0_10empty_typeEbEEZZNS1_14partition_implILS5_8ELb0ES3_jPKlPS6_PKS6_NS0_5tupleIJPlS6_EEENSE_IJSB_SB_EEENS0_18inequality_wrapperIN6hipcub16HIPCUB_304000_NS8EqualityEEESF_JS6_EEE10hipError_tPvRmT3_T4_T5_T6_T7_T9_mT8_P12ihipStream_tbDpT10_ENKUlT_T0_E_clISt17integral_constantIbLb0EES15_IbLb1EEEEDaS11_S12_EUlS11_E_NS1_11comp_targetILNS1_3genE0ELNS1_11target_archE4294967295ELNS1_3gpuE0ELNS1_3repE0EEENS1_30default_config_static_selectorELNS0_4arch9wavefront6targetE0EEEvT1_
	.globl	_ZN7rocprim17ROCPRIM_400000_NS6detail17trampoline_kernelINS0_14default_configENS1_25partition_config_selectorILNS1_17partition_subalgoE8ElNS0_10empty_typeEbEEZZNS1_14partition_implILS5_8ELb0ES3_jPKlPS6_PKS6_NS0_5tupleIJPlS6_EEENSE_IJSB_SB_EEENS0_18inequality_wrapperIN6hipcub16HIPCUB_304000_NS8EqualityEEESF_JS6_EEE10hipError_tPvRmT3_T4_T5_T6_T7_T9_mT8_P12ihipStream_tbDpT10_ENKUlT_T0_E_clISt17integral_constantIbLb0EES15_IbLb1EEEEDaS11_S12_EUlS11_E_NS1_11comp_targetILNS1_3genE0ELNS1_11target_archE4294967295ELNS1_3gpuE0ELNS1_3repE0EEENS1_30default_config_static_selectorELNS0_4arch9wavefront6targetE0EEEvT1_
	.p2align	8
	.type	_ZN7rocprim17ROCPRIM_400000_NS6detail17trampoline_kernelINS0_14default_configENS1_25partition_config_selectorILNS1_17partition_subalgoE8ElNS0_10empty_typeEbEEZZNS1_14partition_implILS5_8ELb0ES3_jPKlPS6_PKS6_NS0_5tupleIJPlS6_EEENSE_IJSB_SB_EEENS0_18inequality_wrapperIN6hipcub16HIPCUB_304000_NS8EqualityEEESF_JS6_EEE10hipError_tPvRmT3_T4_T5_T6_T7_T9_mT8_P12ihipStream_tbDpT10_ENKUlT_T0_E_clISt17integral_constantIbLb0EES15_IbLb1EEEEDaS11_S12_EUlS11_E_NS1_11comp_targetILNS1_3genE0ELNS1_11target_archE4294967295ELNS1_3gpuE0ELNS1_3repE0EEENS1_30default_config_static_selectorELNS0_4arch9wavefront6targetE0EEEvT1_,@function
_ZN7rocprim17ROCPRIM_400000_NS6detail17trampoline_kernelINS0_14default_configENS1_25partition_config_selectorILNS1_17partition_subalgoE8ElNS0_10empty_typeEbEEZZNS1_14partition_implILS5_8ELb0ES3_jPKlPS6_PKS6_NS0_5tupleIJPlS6_EEENSE_IJSB_SB_EEENS0_18inequality_wrapperIN6hipcub16HIPCUB_304000_NS8EqualityEEESF_JS6_EEE10hipError_tPvRmT3_T4_T5_T6_T7_T9_mT8_P12ihipStream_tbDpT10_ENKUlT_T0_E_clISt17integral_constantIbLb0EES15_IbLb1EEEEDaS11_S12_EUlS11_E_NS1_11comp_targetILNS1_3genE0ELNS1_11target_archE4294967295ELNS1_3gpuE0ELNS1_3repE0EEENS1_30default_config_static_selectorELNS0_4arch9wavefront6targetE0EEEvT1_: ; @_ZN7rocprim17ROCPRIM_400000_NS6detail17trampoline_kernelINS0_14default_configENS1_25partition_config_selectorILNS1_17partition_subalgoE8ElNS0_10empty_typeEbEEZZNS1_14partition_implILS5_8ELb0ES3_jPKlPS6_PKS6_NS0_5tupleIJPlS6_EEENSE_IJSB_SB_EEENS0_18inequality_wrapperIN6hipcub16HIPCUB_304000_NS8EqualityEEESF_JS6_EEE10hipError_tPvRmT3_T4_T5_T6_T7_T9_mT8_P12ihipStream_tbDpT10_ENKUlT_T0_E_clISt17integral_constantIbLb0EES15_IbLb1EEEEDaS11_S12_EUlS11_E_NS1_11comp_targetILNS1_3genE0ELNS1_11target_archE4294967295ELNS1_3gpuE0ELNS1_3repE0EEENS1_30default_config_static_selectorELNS0_4arch9wavefront6targetE0EEEvT1_
; %bb.0:
	s_clause 0x2
	s_load_b128 s[12:15], s[0:1], 0x40
	s_load_b64 s[8:9], s[0:1], 0x50
	s_load_b64 s[16:17], s[0:1], 0x60
	v_cmp_ne_u32_e64 s3, 0, v0
	v_cmp_eq_u32_e64 s2, 0, v0
	s_and_saveexec_b32 s4, s2
	s_cbranch_execz .LBB503_4
; %bb.1:
	s_mov_b32 s6, exec_lo
	s_mov_b32 s5, exec_lo
	v_mbcnt_lo_u32_b32 v1, s6, 0
                                        ; implicit-def: $vgpr2
	s_delay_alu instid0(VALU_DEP_1)
	v_cmpx_eq_u32_e32 0, v1
	s_cbranch_execz .LBB503_3
; %bb.2:
	s_load_b64 s[10:11], s[0:1], 0x70
	s_bcnt1_i32_b32 s6, s6
	s_delay_alu instid0(SALU_CYCLE_1)
	v_dual_mov_b32 v2, 0 :: v_dual_mov_b32 v3, s6
	s_wait_xcnt 0x0
	s_wait_kmcnt 0x0
	global_atomic_add_u32 v2, v2, v3, s[10:11] th:TH_ATOMIC_RETURN scope:SCOPE_DEV
.LBB503_3:
	s_wait_xcnt 0x0
	s_or_b32 exec_lo, exec_lo, s5
	s_wait_loadcnt 0x0
	v_readfirstlane_b32 s5, v2
	s_delay_alu instid0(VALU_DEP_1)
	v_dual_mov_b32 v2, 0 :: v_dual_add_nc_u32 v1, s5, v1
	ds_store_b32 v2, v1
.LBB503_4:
	s_or_b32 exec_lo, exec_lo, s4
	v_dual_mov_b32 v3, 0 :: v_dual_lshlrev_b32 v24, 3, v0
	s_clause 0x2
	s_load_b128 s[4:7], s[0:1], 0x8
	s_load_b64 s[10:11], s[0:1], 0x28
	s_load_b32 s18, s[0:1], 0x68
	s_wait_dscnt 0x0
	s_barrier_signal -1
	s_barrier_wait -1
	ds_load_b32 v1, v3
	s_wait_dscnt 0x0
	s_barrier_signal -1
	s_barrier_wait -1
	s_wait_kmcnt 0x0
	global_load_b64 v[22:23], v3, s[14:15]
	s_mov_b32 s21, 0
	s_lshl_b64 s[0:1], s[6:7], 3
	s_mul_i32 s20, s18, 0xe00
	s_wait_xcnt 0x0
	s_add_co_i32 s14, s18, -1
	s_add_nc_u64 s[18:19], s[6:7], s[20:21]
	s_add_co_i32 s20, s20, s6
	v_cmp_le_u64_e64 s18, s[8:9], s[18:19]
	v_mul_lo_u32 v2, 0xe00, v1
	v_readfirstlane_b32 s15, v1
	s_sub_co_i32 s8, s8, s20
	s_add_nc_u64 s[0:1], s[4:5], s[0:1]
	s_cmp_eq_u32 s15, s14
	s_cselect_b32 s9, -1, 0
	s_delay_alu instid0(SALU_CYCLE_1) | instskip(SKIP_2) | instid1(SALU_CYCLE_1)
	s_and_b32 s18, s18, s9
	v_lshlrev_b64_e32 v[2:3], 3, v[2:3]
	s_xor_b32 s14, s18, -1
	s_and_b32 vcc_lo, exec_lo, s14
	s_delay_alu instid0(VALU_DEP_1)
	v_add_nc_u64_e32 v[26:27], s[0:1], v[2:3]
	s_mov_b32 s0, -1
	s_cbranch_vccz .LBB503_6
; %bb.5:
	s_delay_alu instid0(VALU_DEP_1) | instskip(NEXT) | instid1(VALU_DEP_2)
	v_readfirstlane_b32 s0, v26
	v_readfirstlane_b32 s1, v27
	v_lshlrev_b32_e32 v1, 3, v0
	s_clause 0x6
	global_load_b64 v[2:3], v0, s[0:1] scale_offset
	global_load_b64 v[4:5], v0, s[0:1] offset:4096 scale_offset
	global_load_b64 v[6:7], v0, s[0:1] offset:8192 scale_offset
	;; [unrolled: 1-line block ×6, first 2 shown]
	s_wait_xcnt 0x0
	s_mov_b32 s0, 0
	s_wait_loadcnt 0x5
	ds_store_2addr_stride64_b64 v1, v[2:3], v[4:5] offset1:8
	s_wait_loadcnt 0x3
	ds_store_2addr_stride64_b64 v1, v[6:7], v[8:9] offset0:16 offset1:24
	s_wait_loadcnt 0x1
	ds_store_2addr_stride64_b64 v1, v[10:11], v[12:13] offset0:32 offset1:40
	s_wait_loadcnt 0x0
	ds_store_b64 v1, v[14:15] offset:24576
	s_wait_dscnt 0x0
	s_barrier_signal -1
	s_barrier_wait -1
.LBB503_6:
	s_and_not1_b32 vcc_lo, exec_lo, s0
	s_addk_co_i32 s8, 0xe00
	s_cbranch_vccnz .LBB503_22
; %bb.7:
	v_mov_b32_e32 v2, 0
	s_mov_b32 s0, exec_lo
	s_delay_alu instid0(VALU_DEP_1)
	v_dual_mov_b32 v3, v2 :: v_dual_mov_b32 v4, v2
	v_dual_mov_b32 v5, v2 :: v_dual_mov_b32 v6, v2
	;; [unrolled: 1-line block ×6, first 2 shown]
	v_mov_b32_e32 v15, v2
	v_cmpx_gt_u32_e64 s8, v0
	s_cbranch_execz .LBB503_9
; %bb.8:
	v_readfirstlane_b32 s4, v26
	v_readfirstlane_b32 s5, v27
	v_dual_mov_b32 v6, v2 :: v_dual_mov_b32 v7, v2
	v_dual_mov_b32 v8, v2 :: v_dual_mov_b32 v9, v2
	global_load_b64 v[4:5], v0, s[4:5] scale_offset
	v_dual_mov_b32 v10, v2 :: v_dual_mov_b32 v11, v2
	v_dual_mov_b32 v12, v2 :: v_dual_mov_b32 v13, v2
	;; [unrolled: 1-line block ×4, first 2 shown]
	s_wait_loadcnt 0x0
	v_mov_b64_e32 v[2:3], v[4:5]
	v_mov_b64_e32 v[4:5], v[6:7]
	;; [unrolled: 1-line block ×8, first 2 shown]
.LBB503_9:
	s_or_b32 exec_lo, exec_lo, s0
	v_or_b32_e32 v1, 0x200, v0
	s_mov_b32 s0, exec_lo
	s_delay_alu instid0(VALU_DEP_1)
	v_cmpx_gt_u32_e64 s8, v1
	s_cbranch_execz .LBB503_11
; %bb.10:
	v_readfirstlane_b32 s4, v26
	v_readfirstlane_b32 s5, v27
	global_load_b64 v[4:5], v0, s[4:5] offset:4096 scale_offset
.LBB503_11:
	s_wait_xcnt 0x0
	s_or_b32 exec_lo, exec_lo, s0
	v_or_b32_e32 v1, 0x400, v0
	s_mov_b32 s0, exec_lo
	s_delay_alu instid0(VALU_DEP_1)
	v_cmpx_gt_u32_e64 s8, v1
	s_cbranch_execz .LBB503_13
; %bb.12:
	v_readfirstlane_b32 s4, v26
	v_readfirstlane_b32 s5, v27
	global_load_b64 v[6:7], v0, s[4:5] offset:8192 scale_offset
.LBB503_13:
	s_wait_xcnt 0x0
	;; [unrolled: 12-line block ×6, first 2 shown]
	s_or_b32 exec_lo, exec_lo, s0
	v_lshlrev_b32_e32 v1, 3, v0
	s_wait_loadcnt 0x0
	ds_store_2addr_stride64_b64 v1, v[2:3], v[4:5] offset1:8
	ds_store_2addr_stride64_b64 v1, v[6:7], v[8:9] offset0:16 offset1:24
	ds_store_2addr_stride64_b64 v1, v[10:11], v[12:13] offset0:32 offset1:40
	ds_store_b64 v1, v[14:15] offset:24576
	s_wait_dscnt 0x0
	s_barrier_signal -1
	s_barrier_wait -1
.LBB503_22:
	v_mul_u32_u24_e32 v30, 7, v0
	s_wait_loadcnt 0x0
	s_cmp_lg_u32 s15, 0
	s_mov_b32 s20, 0
	s_cselect_b32 s19, -1, 0
	v_lshlrev_b32_e32 v32, 3, v30
	s_cmp_lg_u64 s[6:7], 0
	ds_load_2addr_b64 v[10:13], v32 offset0:2 offset1:3
	ds_load_2addr_b64 v[6:9], v32 offset0:3 offset1:4
	ds_load_2addr_b64 v[14:17], v32 offset1:1
	ds_load_2addr_b64 v[18:21], v32 offset0:1 offset1:2
	ds_load_2addr_b64 v[2:5], v32 offset0:5 offset1:6
	s_cselect_b32 s0, -1, 0
	s_wait_dscnt 0x0
	s_or_b32 s0, s0, s19
	s_barrier_signal -1
	s_and_b32 vcc_lo, exec_lo, s0
	s_barrier_wait -1
	s_cbranch_vccz .LBB503_27
; %bb.23:
	global_load_b64 v[26:27], v[26:27], off offset:-8
	v_lshlrev_b32_e32 v33, 3, v0
	s_and_b32 vcc_lo, exec_lo, s14
	ds_store_b64 v33, v[4:5]
	s_cbranch_vccz .LBB503_29
; %bb.24:
	s_wait_loadcnt 0x0
	v_mov_b64_e32 v[28:29], v[26:27]
	s_wait_dscnt 0x0
	s_barrier_signal -1
	s_barrier_wait -1
	s_and_saveexec_b32 s0, s3
; %bb.25:
	v_add_nc_u32_e32 v1, -8, v33
	ds_load_b64 v[28:29], v1
; %bb.26:
	s_or_b32 exec_lo, exec_lo, s0
	v_cmp_ne_u64_e32 vcc_lo, v[10:11], v[12:13]
	s_wait_dscnt 0x0
	v_cmp_ne_u64_e64 s0, v[28:29], v[14:15]
	v_cndmask_b32_e64 v1, 0, 1, vcc_lo
	v_cmp_ne_u64_e32 vcc_lo, v[16:17], v[10:11]
	s_delay_alu instid0(VALU_DEP_2) | instskip(SKIP_2) | instid1(VALU_DEP_2)
	v_lshlrev_b16 v1, 8, v1
	v_cndmask_b32_e64 v25, 0, 1, vcc_lo
	v_cmp_ne_u64_e32 vcc_lo, v[14:15], v[16:17]
	v_or_b32_e32 v25, v25, v1
	v_cndmask_b32_e64 v31, 0, 1, vcc_lo
	v_cmp_ne_u64_e32 vcc_lo, v[2:3], v[4:5]
	s_delay_alu instid0(VALU_DEP_3) | instskip(NEXT) | instid1(VALU_DEP_3)
	v_lshlrev_b32_e32 v35, 16, v25
	v_lshlrev_b16 v31, 8, v31
	v_cndmask_b32_e64 v1, 0, 1, vcc_lo
	v_cmp_ne_u64_e32 vcc_lo, v[8:9], v[2:3]
	s_delay_alu instid0(VALU_DEP_3) | instskip(NEXT) | instid1(VALU_DEP_1)
	v_and_b32_e32 v34, 0xffff, v31
	v_or_b32_e32 v29, v34, v35
	v_cndmask_b32_e64 v25, 0, 1, vcc_lo
	v_cmp_ne_u64_e32 vcc_lo, v[12:13], v[8:9]
	v_cndmask_b32_e64 v31, 0, 1, vcc_lo
	s_branch .LBB503_33
.LBB503_27:
                                        ; implicit-def: $sgpr0
                                        ; implicit-def: $vgpr1
                                        ; implicit-def: $vgpr25
                                        ; implicit-def: $vgpr31
                                        ; implicit-def: $vgpr29
	s_branch .LBB503_34
.LBB503_28:
                                        ; implicit-def: $vgpr26
                                        ; implicit-def: $vgpr34
                                        ; implicit-def: $vgpr33
                                        ; implicit-def: $vgpr28
	s_branch .LBB503_42
.LBB503_29:
                                        ; implicit-def: $sgpr0
                                        ; implicit-def: $vgpr1
                                        ; implicit-def: $vgpr25
                                        ; implicit-def: $vgpr31
                                        ; implicit-def: $vgpr29
	s_cbranch_execz .LBB503_33
; %bb.30:
	s_wait_loadcnt_dscnt 0x0
	s_barrier_signal -1
	s_barrier_wait -1
	s_and_saveexec_b32 s0, s3
; %bb.31:
	v_add_nc_u32_e32 v1, -8, v33
	ds_load_b64 v[26:27], v1
; %bb.32:
	s_or_b32 exec_lo, exec_lo, s0
	v_dual_add_nc_u32 v1, 6, v30 :: v_dual_add_nc_u32 v25, 5, v30
	v_dual_add_nc_u32 v28, 3, v30 :: v_dual_add_nc_u32 v29, 2, v30
	v_cmp_ne_u64_e32 vcc_lo, v[2:3], v[4:5]
	s_delay_alu instid0(VALU_DEP_3) | instskip(SKIP_1) | instid1(VALU_DEP_4)
	v_cmp_gt_u32_e64 s0, s8, v1
	v_cmp_ne_u64_e64 s1, v[10:11], v[12:13]
	v_cmp_gt_u32_e64 s5, s8, v28
	v_dual_add_nc_u32 v28, 1, v30 :: v_dual_add_nc_u32 v33, 4, v30
	v_cmp_ne_u64_e64 s4, v[16:17], v[10:11]
	s_and_b32 s0, s0, vcc_lo
	v_cmp_gt_u32_e32 vcc_lo, s8, v29
	v_cndmask_b32_e64 v1, 0, 1, s0
	v_cmp_ne_u64_e64 s0, v[14:15], v[16:17]
	s_and_b32 s1, s5, s1
	v_cmp_ne_u64_e64 s5, v[8:9], v[2:3]
	v_cndmask_b32_e64 v29, 0, 1, s1
	v_cmp_gt_u32_e64 s1, s8, v28
	s_and_b32 s4, vcc_lo, s4
	v_cmp_gt_u32_e32 vcc_lo, s8, v25
	v_cndmask_b32_e64 v28, 0, 1, s4
	v_lshlrev_b16 v29, 8, v29
	s_and_b32 s0, s1, s0
	v_cmp_gt_u32_e64 s4, s8, v30
	v_cndmask_b32_e64 v31, 0, 1, s0
	v_cmp_ne_u64_e64 s0, v[12:13], v[8:9]
	v_or_b32_e32 v28, v28, v29
	s_and_b32 s1, vcc_lo, s5
	v_cmp_gt_u32_e32 vcc_lo, s8, v33
	v_lshlrev_b16 v29, 8, v31
	v_cndmask_b32_e64 v25, 0, 1, s1
	v_lshlrev_b32_e32 v28, 16, v28
	s_wait_dscnt 0x0
	v_cmp_ne_u64_e64 s1, v[26:27], v[14:15]
	s_and_b32 s0, vcc_lo, s0
	v_and_b32_e32 v29, 0xffff, v29
	v_cndmask_b32_e64 v31, 0, 1, s0
	s_delay_alu instid0(VALU_DEP_2)
	v_or_b32_e32 v29, v29, v28
	s_and_b32 s0, s4, s1
.LBB503_33:
	s_mov_b32 s20, -1
	s_cbranch_execnz .LBB503_28
.LBB503_34:
	v_cmp_ne_u64_e64 s0, v[2:3], v[4:5]
	v_mad_i32_i24 v35, 0xffffffd0, v0, v32
	s_and_b32 vcc_lo, exec_lo, s14
	ds_store_b64 v35, v[4:5]
	s_cbranch_vccz .LBB503_38
; %bb.35:
	v_cmp_ne_u64_e32 vcc_lo, v[8:9], v[2:3]
	v_cndmask_b32_e64 v1, 0, 1, s0
	s_wait_loadcnt 0x0
	v_mov_b32_e32 v26, 1
	s_wait_dscnt 0x0
	s_barrier_signal -1
	s_barrier_wait -1
	v_cndmask_b32_e64 v25, 0, 1, vcc_lo
	v_cmp_ne_u64_e32 vcc_lo, v[12:13], v[8:9]
                                        ; implicit-def: $sgpr0
                                        ; implicit-def: $vgpr29
	v_cndmask_b32_e64 v27, 0, 1, vcc_lo
	v_cmp_ne_u64_e32 vcc_lo, v[14:15], v[16:17]
	v_cndmask_b32_e64 v34, 0, 1, vcc_lo
	v_cmp_ne_u64_e32 vcc_lo, v[16:17], v[10:11]
	;; [unrolled: 2-line block ×3, first 2 shown]
	v_cndmask_b32_e64 v28, 0, 1, vcc_lo
	s_and_saveexec_b32 s1, s3
	s_delay_alu instid0(SALU_CYCLE_1)
	s_xor_b32 s1, exec_lo, s1
	s_cbranch_execz .LBB503_37
; %bb.36:
	v_add_nc_u32_e32 v29, -8, v35
	v_lshlrev_b16 v31, 8, v34
	s_or_b32 s20, s20, exec_lo
	ds_load_b64 v[36:37], v29
	v_lshlrev_b16 v29, 8, v28
	s_delay_alu instid0(VALU_DEP_1) | instskip(NEXT) | instid1(VALU_DEP_1)
	v_or_b32_e32 v29, v33, v29
	v_dual_lshlrev_b32 v29, 16, v29 :: v_dual_bitop2_b32 v31, 1, v31 bitop3:0x54
	s_delay_alu instid0(VALU_DEP_1) | instskip(NEXT) | instid1(VALU_DEP_1)
	v_and_b32_e32 v31, 0xffff, v31
	v_or_b32_e32 v29, v31, v29
	s_wait_dscnt 0x0
	v_cmp_ne_u64_e64 s0, v[36:37], v[14:15]
	s_delay_alu instid0(VALU_DEP_2)
	v_perm_b32 v29, v29, v29, 0x3020104
.LBB503_37:
	s_or_b32 exec_lo, exec_lo, s1
	v_mov_b32_e32 v31, v27
	s_branch .LBB503_42
.LBB503_38:
                                        ; implicit-def: $sgpr0
                                        ; implicit-def: $vgpr1
                                        ; implicit-def: $vgpr25
                                        ; implicit-def: $vgpr31
                                        ; implicit-def: $vgpr29
                                        ; implicit-def: $vgpr26
                                        ; implicit-def: $vgpr34
                                        ; implicit-def: $vgpr33
                                        ; implicit-def: $vgpr28
	s_cbranch_execz .LBB503_42
; %bb.39:
	v_dual_add_nc_u32 v1, 4, v30 :: v_dual_add_nc_u32 v25, 6, v30
	v_cmp_ne_u64_e32 vcc_lo, v[12:13], v[8:9]
	s_wait_loadcnt 0x0
	v_dual_add_nc_u32 v26, 5, v30 :: v_dual_add_nc_u32 v27, 3, v30
	s_delay_alu instid0(VALU_DEP_3)
	v_cmp_gt_u32_e64 s0, s8, v1
	v_add_nc_u32_e32 v1, 2, v30
	v_cmp_ne_u64_e64 s1, v[16:17], v[20:21]
	v_cmp_ne_u64_e64 s4, v[10:11], v[6:7]
	v_add_nc_u32_e32 v7, 1, v30
	s_and_b32 s0, s0, vcc_lo
	v_cmp_gt_u32_e32 vcc_lo, s8, v27
	v_cmp_gt_u32_e64 s6, s8, v1
	v_cndmask_b32_e64 v20, 0, 1, s0
	v_cmp_ne_u64_e64 s0, v[2:3], v[4:5]
	v_cmp_gt_u32_e64 s5, s8, v25
	s_and_b32 s4, vcc_lo, s4
	s_and_b32 s1, s6, s1
	v_lshlrev_b16 v1, 8, v20
	v_cndmask_b32_e64 v27, 0, 1, s4
	v_cndmask_b32_e64 v21, 0, 1, s1
	v_cmp_ne_u64_e32 vcc_lo, v[8:9], v[2:3]
	v_cmp_ne_u64_e64 s1, v[14:15], v[18:19]
	s_and_b32 s0, s5, s0
	v_or_b32_e32 v28, v27, v1
	v_lshlrev_b16 v6, 8, v21
	v_cmp_gt_u32_e64 s7, s8, v26
	v_cndmask_b32_e64 v1, 0, 1, s0
	v_cmp_gt_u32_e64 s0, s8, v7
	v_dual_mov_b32 v26, 1 :: v_dual_lshlrev_b32 v7, 16, v28
	v_and_b32_e32 v18, 0xffff, v6
	s_and_b32 s4, s7, vcc_lo
	s_and_b32 s0, s0, s1
	v_cndmask_b32_e64 v25, 0, 1, s4
	v_cndmask_b32_e64 v19, 0, 1, s0
	v_or_b32_e32 v18, v18, v7
	s_wait_dscnt 0x0
	s_barrier_signal -1
	s_barrier_wait -1
                                        ; implicit-def: $sgpr0
                                        ; implicit-def: $vgpr31
                                        ; implicit-def: $vgpr29
	s_and_saveexec_b32 s1, s3
	s_cbranch_execz .LBB503_41
; %bb.40:
	v_lshlrev_b16 v29, 8, v19
	v_add_nc_u32_e32 v31, -8, v35
	v_lshlrev_b16 v27, 8, v27
	v_cmp_gt_u32_e64 s0, s8, v30
	s_or_b32 s20, s20, exec_lo
	v_lshrrev_b32_e32 v29, 8, v29
	ds_load_b64 v[34:35], v31
	v_lshrrev_b32_e32 v27, 8, v27
	v_lshlrev_b16 v31, 8, v25
	v_lshlrev_b16 v29, 8, v29
	s_delay_alu instid0(VALU_DEP_3) | instskip(NEXT) | instid1(VALU_DEP_3)
	v_lshlrev_b16 v27, 8, v27
	v_or_b32_e32 v20, v20, v31
	s_delay_alu instid0(VALU_DEP_2) | instskip(NEXT) | instid1(VALU_DEP_4)
	v_or_b32_e32 v21, v21, v27
	v_or_b32_e32 v27, 1, v29
	s_delay_alu instid0(VALU_DEP_3) | instskip(NEXT) | instid1(VALU_DEP_3)
	v_and_b32_e32 v20, 0xffff, v20
	v_lshlrev_b32_e32 v21, 16, v21
	s_delay_alu instid0(VALU_DEP_3) | instskip(NEXT) | instid1(VALU_DEP_3)
	v_and_b32_e32 v27, 0xffff, v27
	v_lshl_or_b32 v31, v1, 16, v20
	s_wait_dscnt 0x0
	v_cmp_ne_u64_e32 vcc_lo, v[34:35], v[14:15]
	s_delay_alu instid0(VALU_DEP_3) | instskip(NEXT) | instid1(VALU_DEP_1)
	v_or_b32_e32 v21, v27, v21
	v_perm_b32 v29, v21, v21, 0x3020104
	s_and_b32 s0, s0, vcc_lo
.LBB503_41:
	s_or_b32 exec_lo, exec_lo, s1
	v_dual_lshrrev_b32 v27, 24, v7 :: v_dual_bitop2_b32 v34, v19, v6 bitop3:0x54
	v_lshrrev_b32_e32 v33, 8, v18
.LBB503_42:
	s_wait_xcnt 0x0
	s_and_saveexec_b32 s1, s20
	s_cbranch_execz .LBB503_44
; %bb.43:
	v_dual_lshrrev_b32 v28, 24, v29 :: v_dual_lshrrev_b32 v33, 16, v29
	s_wait_loadcnt 0x0
	v_dual_mov_b32 v27, v31 :: v_dual_lshrrev_b32 v34, 8, v29
	v_cndmask_b32_e64 v26, 0, 1, s0
.LBB503_44:
	s_or_b32 exec_lo, exec_lo, s1
	s_delay_alu instid0(SALU_CYCLE_1)
	s_and_not1_b32 vcc_lo, exec_lo, s18
	s_cbranch_vccnz .LBB503_48
; %bb.45:
	s_wait_loadcnt 0x0
	v_perm_b32 v6, v26, v34, 0xc0c0004
	v_perm_b32 v7, v33, v28, 0xc0c0004
	v_cmp_gt_u32_e32 vcc_lo, s8, v30
	v_dual_add_nc_u32 v18, 1, v30 :: v_dual_add_nc_u32 v20, 4, v30
	v_and_b32_e32 v1, 0xff, v1
	s_delay_alu instid0(VALU_DEP_4) | instskip(SKIP_1) | instid1(VALU_DEP_2)
	v_lshl_or_b32 v6, v7, 16, v6
	v_perm_b32 v19, v27, v25, 0xc0c0004
	v_dual_lshlrev_b32 v1, 16, v1 :: v_dual_cndmask_b32 v7, 0, v6, vcc_lo
	v_cmp_gt_u32_e32 vcc_lo, s8, v18
	s_delay_alu instid0(VALU_DEP_2) | instskip(NEXT) | instid1(VALU_DEP_3)
	v_dual_add_nc_u32 v18, 2, v30 :: v_dual_bitop2_b32 v21, v19, v1 bitop3:0x54
	v_and_b32_e32 v7, 0xff, v7
	v_bitop3_b32 v1, v19, 0xffff00, v1 bitop3:0xc8
	v_add_nc_u32_e32 v19, 3, v30
	s_delay_alu instid0(VALU_DEP_3) | instskip(SKIP_2) | instid1(VALU_DEP_4)
	v_cndmask_b32_e32 v7, v7, v6, vcc_lo
	v_cmp_gt_u32_e32 vcc_lo, s8, v18
	v_add_nc_u32_e32 v18, 5, v30
	v_cmp_gt_u32_e64 s1, s8, v19
	s_delay_alu instid0(VALU_DEP_4) | instskip(NEXT) | instid1(VALU_DEP_3)
	v_and_b32_e32 v7, 0xffff, v7
	v_cmp_gt_u32_e64 s0, s8, v18
	s_delay_alu instid0(VALU_DEP_2) | instskip(SKIP_3) | instid1(VALU_DEP_1)
	v_cndmask_b32_e32 v7, v7, v6, vcc_lo
	v_cmp_gt_u32_e32 vcc_lo, s8, v20
	v_cndmask_b32_e32 v1, v1, v21, vcc_lo
	s_or_b32 vcc_lo, s0, vcc_lo
	v_and_b32_e32 v1, 0xffff00ff, v1
	s_delay_alu instid0(VALU_DEP_1) | instskip(SKIP_2) | instid1(VALU_DEP_1)
	v_cndmask_b32_e64 v27, v1, v21, s0
	v_and_b32_e32 v7, 0xffffff, v7
	s_mov_b32 s0, exec_lo
	v_dual_lshrrev_b32 v1, 16, v27 :: v_dual_cndmask_b32 v7, v7, v6, s1
	s_delay_alu instid0(VALU_DEP_1) | instskip(SKIP_1) | instid1(VALU_DEP_2)
	v_dual_cndmask_b32 v26, v7, v6 :: v_dual_lshrrev_b32 v25, 8, v27
	v_add_nc_u32_e32 v6, 6, v30
	v_lshrrev_b64 v[28:29], 24, v[26:27]
	v_dual_lshrrev_b32 v33, 16, v26 :: v_dual_lshrrev_b32 v34, 8, v26
	s_delay_alu instid0(VALU_DEP_3)
	v_cmpx_le_u32_e64 s8, v6
; %bb.46:
	v_mov_b32_e32 v1, 0
; %bb.47:
	s_or_b32 exec_lo, exec_lo, s0
.LBB503_48:
	s_wait_loadcnt 0x0
	v_and_b32_e32 v29, 0xff, v26
	v_and_b32_e32 v35, 0xff, v34
	;; [unrolled: 1-line block ×5, first 2 shown]
	v_mbcnt_lo_u32_b32 v40, -1, 0
	v_and_b32_e32 v39, 0xff, v25
	v_add3_u32 v6, v35, v29, v36
	v_and_b32_e32 v7, 0xff, v1
	s_and_b32 vcc_lo, exec_lo, s19
	v_and_b32_e32 v18, 15, v40
	s_mov_b32 s7, -1
	v_add3_u32 v6, v6, v37, v38
	s_wait_dscnt 0x0
	s_barrier_signal -1
	v_cmp_eq_u32_e64 s0, 0, v18
	v_cmp_lt_u32_e64 s3, 1, v18
	v_add3_u32 v42, v6, v39, v7
	v_and_b32_e32 v6, 16, v40
	v_dual_lshrrev_b32 v41, 5, v0 :: v_dual_bitop2_b32 v7, 31, v0 bitop3:0x54
	v_cmp_lt_u32_e64 s4, 3, v18
	v_cmp_lt_u32_e64 s1, 7, v18
	s_delay_alu instid0(VALU_DEP_4) | instskip(NEXT) | instid1(VALU_DEP_4)
	v_cmp_eq_u32_e64 s6, 0, v6
	v_cmp_eq_u32_e64 s5, v0, v7
	s_barrier_wait -1
	s_cbranch_vccz .LBB503_70
; %bb.49:
	v_mov_b32_dpp v6, v42 row_shr:1 row_mask:0xf bank_mask:0xf
	s_delay_alu instid0(VALU_DEP_1) | instskip(NEXT) | instid1(VALU_DEP_1)
	v_cndmask_b32_e64 v6, v6, 0, s0
	v_add_nc_u32_e32 v6, v6, v42
	s_delay_alu instid0(VALU_DEP_1) | instskip(NEXT) | instid1(VALU_DEP_1)
	v_mov_b32_dpp v7, v6 row_shr:2 row_mask:0xf bank_mask:0xf
	v_cndmask_b32_e64 v7, 0, v7, s3
	s_delay_alu instid0(VALU_DEP_1) | instskip(NEXT) | instid1(VALU_DEP_1)
	v_add_nc_u32_e32 v6, v6, v7
	v_mov_b32_dpp v7, v6 row_shr:4 row_mask:0xf bank_mask:0xf
	s_delay_alu instid0(VALU_DEP_1) | instskip(NEXT) | instid1(VALU_DEP_1)
	v_cndmask_b32_e64 v7, 0, v7, s4
	v_add_nc_u32_e32 v6, v6, v7
	s_delay_alu instid0(VALU_DEP_1) | instskip(NEXT) | instid1(VALU_DEP_1)
	v_mov_b32_dpp v7, v6 row_shr:8 row_mask:0xf bank_mask:0xf
	v_cndmask_b32_e64 v7, 0, v7, s1
	s_delay_alu instid0(VALU_DEP_1) | instskip(SKIP_3) | instid1(VALU_DEP_1)
	v_add_nc_u32_e32 v6, v6, v7
	ds_swizzle_b32 v7, v6 offset:swizzle(BROADCAST,32,15)
	s_wait_dscnt 0x0
	v_cndmask_b32_e64 v7, v7, 0, s6
	v_add_nc_u32_e32 v6, v6, v7
	s_and_saveexec_b32 s7, s5
; %bb.50:
	v_lshlrev_b32_e32 v7, 2, v41
	ds_store_b32 v7, v6
; %bb.51:
	s_or_b32 exec_lo, exec_lo, s7
	s_delay_alu instid0(SALU_CYCLE_1)
	s_mov_b32 s7, exec_lo
	s_wait_dscnt 0x0
	s_barrier_signal -1
	s_barrier_wait -1
	v_cmpx_gt_u32_e32 16, v0
	s_cbranch_execz .LBB503_53
; %bb.52:
	v_lshlrev_b32_e32 v7, 2, v0
	ds_load_b32 v18, v7
	s_wait_dscnt 0x0
	v_mov_b32_dpp v19, v18 row_shr:1 row_mask:0xf bank_mask:0xf
	s_delay_alu instid0(VALU_DEP_1) | instskip(NEXT) | instid1(VALU_DEP_1)
	v_cndmask_b32_e64 v19, v19, 0, s0
	v_add_nc_u32_e32 v18, v19, v18
	s_delay_alu instid0(VALU_DEP_1) | instskip(NEXT) | instid1(VALU_DEP_1)
	v_mov_b32_dpp v19, v18 row_shr:2 row_mask:0xf bank_mask:0xf
	v_cndmask_b32_e64 v19, 0, v19, s3
	s_delay_alu instid0(VALU_DEP_1) | instskip(NEXT) | instid1(VALU_DEP_1)
	v_add_nc_u32_e32 v18, v18, v19
	v_mov_b32_dpp v19, v18 row_shr:4 row_mask:0xf bank_mask:0xf
	s_delay_alu instid0(VALU_DEP_1) | instskip(NEXT) | instid1(VALU_DEP_1)
	v_cndmask_b32_e64 v19, 0, v19, s4
	v_add_nc_u32_e32 v18, v18, v19
	s_delay_alu instid0(VALU_DEP_1) | instskip(NEXT) | instid1(VALU_DEP_1)
	v_mov_b32_dpp v19, v18 row_shr:8 row_mask:0xf bank_mask:0xf
	v_cndmask_b32_e64 v19, 0, v19, s1
	s_delay_alu instid0(VALU_DEP_1)
	v_add_nc_u32_e32 v18, v18, v19
	ds_store_b32 v7, v18
.LBB503_53:
	s_or_b32 exec_lo, exec_lo, s7
	s_delay_alu instid0(SALU_CYCLE_1)
	s_mov_b32 s8, exec_lo
	v_cmp_gt_u32_e32 vcc_lo, 32, v0
	s_wait_dscnt 0x0
	s_barrier_signal -1
	s_barrier_wait -1
                                        ; implicit-def: $vgpr43
	v_cmpx_lt_u32_e32 31, v0
	s_cbranch_execz .LBB503_55
; %bb.54:
	v_lshl_add_u32 v7, v41, 2, -4
	ds_load_b32 v43, v7
	s_wait_dscnt 0x0
	v_add_nc_u32_e32 v6, v43, v6
.LBB503_55:
	s_or_b32 exec_lo, exec_lo, s8
	v_sub_co_u32 v7, s7, v40, 1
	s_delay_alu instid0(VALU_DEP_1) | instskip(NEXT) | instid1(VALU_DEP_1)
	v_cmp_gt_i32_e64 s8, 0, v7
	v_cndmask_b32_e64 v7, v7, v40, s8
	s_delay_alu instid0(VALU_DEP_1)
	v_lshlrev_b32_e32 v7, 2, v7
	ds_bpermute_b32 v44, v7, v6
	s_and_saveexec_b32 s8, vcc_lo
	s_cbranch_execz .LBB503_75
; %bb.56:
	v_mov_b32_e32 v31, 0
	ds_load_b32 v6, v31 offset:60
	s_and_saveexec_b32 s18, s7
	s_cbranch_execz .LBB503_58
; %bb.57:
	s_add_co_i32 s19, s15, 32
	s_delay_alu instid0(SALU_CYCLE_1)
	v_dual_mov_b32 v7, 1 :: v_dual_mov_b32 v18, s19
	s_wait_dscnt 0x0
	global_store_b64 v18, v[6:7], s[16:17] scale_offset scope:SCOPE_DEV
.LBB503_58:
	s_wait_xcnt 0x0
	s_or_b32 exec_lo, exec_lo, s18
	v_xad_u32 v18, v40, -1, s15
	s_mov_b32 s19, 0
	s_mov_b32 s18, exec_lo
	s_delay_alu instid0(VALU_DEP_1) | instskip(SKIP_4) | instid1(VALU_DEP_1)
	v_add_nc_u32_e32 v30, 32, v18
	global_load_b64 v[20:21], v30, s[16:17] scale_offset scope:SCOPE_DEV
	s_wait_loadcnt 0x0
	v_and_b32_e32 v7, 0xff, v21
	s_wait_xcnt 0x0
	v_cmpx_eq_u16_e32 0, v7
	s_cbranch_execz .LBB503_62
; %bb.59:
	v_lshl_add_u64 v[30:31], v[30:31], 3, s[16:17]
.LBB503_60:                             ; =>This Inner Loop Header: Depth=1
	global_load_b64 v[20:21], v[30:31], off scope:SCOPE_DEV
	s_wait_loadcnt 0x0
	v_and_b32_e32 v7, 0xff, v21
	s_delay_alu instid0(VALU_DEP_1)
	v_cmp_ne_u16_e32 vcc_lo, 0, v7
	s_or_b32 s19, vcc_lo, s19
	s_wait_xcnt 0x0
	s_and_not1_b32 exec_lo, exec_lo, s19
	s_cbranch_execnz .LBB503_60
; %bb.61:
	s_or_b32 exec_lo, exec_lo, s19
.LBB503_62:
	s_delay_alu instid0(SALU_CYCLE_1)
	s_or_b32 exec_lo, exec_lo, s18
	v_cmp_ne_u32_e32 vcc_lo, 31, v40
	v_lshlrev_b32_e64 v46, v40, -1
	v_dual_add_nc_u32 v50, 4, v40 :: v_dual_add_nc_u32 v52, 8, v40
	v_add_nc_u32_e32 v54, 16, v40
	v_add_co_ci_u32_e64 v7, null, 0, v40, vcc_lo
	v_lshl_or_b32 v53, v40, 2, 64
	s_delay_alu instid0(VALU_DEP_2)
	v_dual_add_nc_u32 v48, 2, v40 :: v_dual_lshlrev_b32 v45, 2, v7
	v_and_b32_e32 v7, 0xff, v21
	ds_bpermute_b32 v19, v45, v20
	v_cmp_eq_u16_e32 vcc_lo, 2, v7
	v_and_or_b32 v7, vcc_lo, v46, 0x80000000
	v_cmp_gt_u32_e32 vcc_lo, 30, v40
	s_delay_alu instid0(VALU_DEP_2) | instskip(SKIP_1) | instid1(VALU_DEP_2)
	v_ctz_i32_b32_e32 v7, v7
	v_cndmask_b32_e64 v30, 0, 2, vcc_lo
	v_cmp_lt_u32_e32 vcc_lo, v40, v7
	s_delay_alu instid0(VALU_DEP_2) | instskip(SKIP_3) | instid1(VALU_DEP_2)
	v_add_lshl_u32 v47, v30, v40, 2
	s_wait_dscnt 0x0
	v_cndmask_b32_e32 v19, 0, v19, vcc_lo
	v_cmp_gt_u32_e32 vcc_lo, 28, v40
	v_add_nc_u32_e32 v19, v19, v20
	v_cndmask_b32_e64 v30, 0, 4, vcc_lo
	v_cmp_le_u32_e32 vcc_lo, v48, v7
	ds_bpermute_b32 v20, v47, v19
	v_add_lshl_u32 v49, v30, v40, 2
	s_wait_dscnt 0x0
	v_cndmask_b32_e32 v20, 0, v20, vcc_lo
	v_cmp_gt_u32_e32 vcc_lo, 24, v40
	v_cndmask_b32_e64 v30, 0, 8, vcc_lo
	v_cmp_le_u32_e32 vcc_lo, v50, v7
	s_delay_alu instid0(VALU_DEP_4) | instskip(NEXT) | instid1(VALU_DEP_3)
	v_add_nc_u32_e32 v19, v19, v20
	v_add_lshl_u32 v51, v30, v40, 2
	ds_bpermute_b32 v20, v49, v19
	s_wait_dscnt 0x0
	v_cndmask_b32_e32 v20, 0, v20, vcc_lo
	v_cmp_le_u32_e32 vcc_lo, v52, v7
	s_delay_alu instid0(VALU_DEP_2) | instskip(SKIP_4) | instid1(VALU_DEP_2)
	v_add_nc_u32_e32 v19, v19, v20
	ds_bpermute_b32 v20, v51, v19
	s_wait_dscnt 0x0
	v_cndmask_b32_e32 v20, 0, v20, vcc_lo
	v_cmp_le_u32_e32 vcc_lo, v54, v7
	v_add_nc_u32_e32 v19, v19, v20
	ds_bpermute_b32 v20, v53, v19
	s_wait_dscnt 0x0
	v_cndmask_b32_e32 v7, 0, v20, vcc_lo
	s_delay_alu instid0(VALU_DEP_1)
	v_dual_mov_b32 v19, 0 :: v_dual_add_nc_u32 v20, v19, v7
	s_branch .LBB503_65
.LBB503_63:                             ;   in Loop: Header=BB503_65 Depth=1
	s_or_b32 exec_lo, exec_lo, s18
	v_and_b32_e32 v30, 0xff, v21
	ds_bpermute_b32 v31, v45, v20
	v_subrev_nc_u32_e32 v18, 32, v18
	s_mov_b32 s18, 0
	v_cmp_eq_u16_e32 vcc_lo, 2, v30
	v_and_or_b32 v30, vcc_lo, v46, 0x80000000
	s_delay_alu instid0(VALU_DEP_1) | instskip(NEXT) | instid1(VALU_DEP_1)
	v_ctz_i32_b32_e32 v30, v30
	v_cmp_lt_u32_e32 vcc_lo, v40, v30
	s_wait_dscnt 0x0
	v_cndmask_b32_e32 v31, 0, v31, vcc_lo
	v_cmp_le_u32_e32 vcc_lo, v48, v30
	s_delay_alu instid0(VALU_DEP_2) | instskip(SKIP_4) | instid1(VALU_DEP_2)
	v_add_nc_u32_e32 v20, v31, v20
	ds_bpermute_b32 v31, v47, v20
	s_wait_dscnt 0x0
	v_cndmask_b32_e32 v31, 0, v31, vcc_lo
	v_cmp_le_u32_e32 vcc_lo, v50, v30
	v_add_nc_u32_e32 v20, v20, v31
	ds_bpermute_b32 v31, v49, v20
	s_wait_dscnt 0x0
	v_cndmask_b32_e32 v31, 0, v31, vcc_lo
	v_cmp_le_u32_e32 vcc_lo, v52, v30
	s_delay_alu instid0(VALU_DEP_2) | instskip(SKIP_4) | instid1(VALU_DEP_2)
	v_add_nc_u32_e32 v20, v20, v31
	ds_bpermute_b32 v31, v51, v20
	s_wait_dscnt 0x0
	v_cndmask_b32_e32 v31, 0, v31, vcc_lo
	v_cmp_le_u32_e32 vcc_lo, v54, v30
	v_add_nc_u32_e32 v20, v20, v31
	ds_bpermute_b32 v31, v53, v20
	s_wait_dscnt 0x0
	v_cndmask_b32_e32 v30, 0, v31, vcc_lo
	s_delay_alu instid0(VALU_DEP_1)
	v_add3_u32 v20, v30, v7, v20
.LBB503_64:                             ;   in Loop: Header=BB503_65 Depth=1
	s_and_b32 vcc_lo, exec_lo, s18
	s_cbranch_vccnz .LBB503_71
.LBB503_65:                             ; =>This Loop Header: Depth=1
                                        ;     Child Loop BB503_68 Depth 2
	v_and_b32_e32 v7, 0xff, v21
	s_mov_b32 s18, -1
                                        ; implicit-def: $vgpr21
	s_delay_alu instid0(VALU_DEP_1)
	v_cmp_ne_u16_e32 vcc_lo, 2, v7
	v_mov_b32_e32 v7, v20
                                        ; implicit-def: $vgpr20
	s_cmp_lg_u32 vcc_lo, exec_lo
	s_cbranch_scc1 .LBB503_64
; %bb.66:                               ;   in Loop: Header=BB503_65 Depth=1
	global_load_b64 v[20:21], v18, s[16:17] scale_offset scope:SCOPE_DEV
	s_mov_b32 s18, exec_lo
	s_wait_loadcnt 0x0
	v_and_b32_e32 v30, 0xff, v21
	s_wait_xcnt 0x0
	s_delay_alu instid0(VALU_DEP_1)
	v_cmpx_eq_u16_e32 0, v30
	s_cbranch_execz .LBB503_63
; %bb.67:                               ;   in Loop: Header=BB503_65 Depth=1
	v_lshl_add_u64 v[30:31], v[18:19], 3, s[16:17]
	s_mov_b32 s19, 0
.LBB503_68:                             ;   Parent Loop BB503_65 Depth=1
                                        ; =>  This Inner Loop Header: Depth=2
	global_load_b64 v[20:21], v[30:31], off scope:SCOPE_DEV
	s_wait_loadcnt 0x0
	v_and_b32_e32 v55, 0xff, v21
	s_delay_alu instid0(VALU_DEP_1)
	v_cmp_ne_u16_e32 vcc_lo, 0, v55
	s_or_b32 s19, vcc_lo, s19
	s_wait_xcnt 0x0
	s_and_not1_b32 exec_lo, exec_lo, s19
	s_cbranch_execnz .LBB503_68
; %bb.69:                               ;   in Loop: Header=BB503_65 Depth=1
	s_or_b32 exec_lo, exec_lo, s19
	s_branch .LBB503_63
.LBB503_70:
                                        ; implicit-def: $vgpr18
                                        ; implicit-def: $vgpr6
                                        ; implicit-def: $vgpr19
                                        ; implicit-def: $vgpr43
                                        ; implicit-def: $vgpr44
                                        ; implicit-def: $vgpr45
                                        ; implicit-def: $vgpr46
                                        ; implicit-def: $vgpr47
                                        ; implicit-def: $vgpr48
	s_and_b32 vcc_lo, exec_lo, s7
	s_cbranch_vccnz .LBB503_76
	s_branch .LBB503_85
.LBB503_71:
	s_and_saveexec_b32 s18, s7
	s_cbranch_execz .LBB503_73
; %bb.72:
	s_add_co_i32 s15, s15, 32
	v_dual_mov_b32 v19, 2 :: v_dual_add_nc_u32 v18, v7, v6
	v_dual_mov_b32 v20, s15 :: v_dual_mov_b32 v21, 0
	global_store_b64 v20, v[18:19], s[16:17] scale_offset scope:SCOPE_DEV
	ds_store_b64 v21, v[6:7] offset:28672
.LBB503_73:
	s_wait_xcnt 0x0
	s_or_b32 exec_lo, exec_lo, s18
	s_delay_alu instid0(SALU_CYCLE_1)
	s_and_b32 exec_lo, exec_lo, s2
; %bb.74:
	v_mov_b32_e32 v6, 0
	ds_store_b32 v6, v7 offset:60
.LBB503_75:
	s_or_b32 exec_lo, exec_lo, s8
	s_wait_dscnt 0x0
	v_dual_mov_b32 v6, 0 :: v_dual_cndmask_b32 v18, v44, v43, s7
	s_wait_storecnt 0x0
	s_barrier_signal -1
	s_barrier_wait -1
	ds_load_b32 v7, v6 offset:60
	v_cndmask_b32_e64 v18, v18, 0, s2
	s_wait_dscnt 0x0
	s_barrier_signal -1
	s_barrier_wait -1
	s_delay_alu instid0(VALU_DEP_1) | instskip(SKIP_2) | instid1(VALU_DEP_1)
	v_add_nc_u32_e32 v48, v7, v18
	ds_load_b64 v[6:7], v6 offset:28672
	v_add_nc_u32_e32 v47, v48, v29
	v_add_nc_u32_e32 v46, v47, v35
	s_delay_alu instid0(VALU_DEP_1) | instskip(SKIP_1) | instid1(VALU_DEP_1)
	v_add_nc_u32_e32 v45, v46, v36
	s_wait_dscnt 0x0
	v_dual_add_nc_u32 v44, v45, v37 :: v_dual_mov_b32 v18, v7
	s_delay_alu instid0(VALU_DEP_1) | instskip(NEXT) | instid1(VALU_DEP_1)
	v_add_nc_u32_e32 v43, v44, v38
	v_add_nc_u32_e32 v19, v43, v39
	s_branch .LBB503_85
.LBB503_76:
	v_mov_b32_dpp v6, v42 row_shr:1 row_mask:0xf bank_mask:0xf
	s_delay_alu instid0(VALU_DEP_1) | instskip(NEXT) | instid1(VALU_DEP_1)
	v_cndmask_b32_e64 v6, v6, 0, s0
	v_add_nc_u32_e32 v6, v6, v42
	s_delay_alu instid0(VALU_DEP_1) | instskip(NEXT) | instid1(VALU_DEP_1)
	v_mov_b32_dpp v7, v6 row_shr:2 row_mask:0xf bank_mask:0xf
	v_cndmask_b32_e64 v7, 0, v7, s3
	s_delay_alu instid0(VALU_DEP_1) | instskip(NEXT) | instid1(VALU_DEP_1)
	v_add_nc_u32_e32 v6, v6, v7
	v_mov_b32_dpp v7, v6 row_shr:4 row_mask:0xf bank_mask:0xf
	s_delay_alu instid0(VALU_DEP_1) | instskip(NEXT) | instid1(VALU_DEP_1)
	v_cndmask_b32_e64 v7, 0, v7, s4
	v_add_nc_u32_e32 v6, v6, v7
	s_delay_alu instid0(VALU_DEP_1) | instskip(NEXT) | instid1(VALU_DEP_1)
	v_mov_b32_dpp v7, v6 row_shr:8 row_mask:0xf bank_mask:0xf
	v_cndmask_b32_e64 v7, 0, v7, s1
	s_delay_alu instid0(VALU_DEP_1) | instskip(SKIP_3) | instid1(VALU_DEP_1)
	v_add_nc_u32_e32 v6, v6, v7
	ds_swizzle_b32 v7, v6 offset:swizzle(BROADCAST,32,15)
	s_wait_dscnt 0x0
	v_cndmask_b32_e64 v7, v7, 0, s6
	v_add_nc_u32_e32 v6, v6, v7
	s_and_saveexec_b32 s6, s5
; %bb.77:
	v_lshlrev_b32_e32 v7, 2, v41
	ds_store_b32 v7, v6
; %bb.78:
	s_or_b32 exec_lo, exec_lo, s6
	s_delay_alu instid0(SALU_CYCLE_1)
	s_mov_b32 s5, exec_lo
	s_wait_dscnt 0x0
	s_barrier_signal -1
	s_barrier_wait -1
	v_cmpx_gt_u32_e32 16, v0
	s_cbranch_execz .LBB503_80
; %bb.79:
	v_mad_i32_i24 v7, 0xffffffcc, v0, v32
	ds_load_b32 v18, v7
	s_wait_dscnt 0x0
	v_mov_b32_dpp v19, v18 row_shr:1 row_mask:0xf bank_mask:0xf
	s_delay_alu instid0(VALU_DEP_1) | instskip(NEXT) | instid1(VALU_DEP_1)
	v_cndmask_b32_e64 v19, v19, 0, s0
	v_add_nc_u32_e32 v18, v19, v18
	s_delay_alu instid0(VALU_DEP_1) | instskip(NEXT) | instid1(VALU_DEP_1)
	v_mov_b32_dpp v19, v18 row_shr:2 row_mask:0xf bank_mask:0xf
	v_cndmask_b32_e64 v19, 0, v19, s3
	s_delay_alu instid0(VALU_DEP_1) | instskip(NEXT) | instid1(VALU_DEP_1)
	v_add_nc_u32_e32 v18, v18, v19
	v_mov_b32_dpp v19, v18 row_shr:4 row_mask:0xf bank_mask:0xf
	s_delay_alu instid0(VALU_DEP_1) | instskip(NEXT) | instid1(VALU_DEP_1)
	v_cndmask_b32_e64 v19, 0, v19, s4
	v_add_nc_u32_e32 v18, v18, v19
	s_delay_alu instid0(VALU_DEP_1) | instskip(NEXT) | instid1(VALU_DEP_1)
	v_mov_b32_dpp v19, v18 row_shr:8 row_mask:0xf bank_mask:0xf
	v_cndmask_b32_e64 v19, 0, v19, s1
	s_delay_alu instid0(VALU_DEP_1)
	v_add_nc_u32_e32 v18, v18, v19
	ds_store_b32 v7, v18
.LBB503_80:
	s_or_b32 exec_lo, exec_lo, s5
	v_dual_mov_b32 v7, 0 :: v_dual_mov_b32 v18, 0
	s_mov_b32 s0, exec_lo
	s_wait_dscnt 0x0
	s_barrier_signal -1
	s_barrier_wait -1
	v_cmpx_lt_u32_e32 31, v0
; %bb.81:
	v_lshl_add_u32 v18, v41, 2, -4
	ds_load_b32 v18, v18
; %bb.82:
	s_or_b32 exec_lo, exec_lo, s0
	v_sub_co_u32 v19, vcc_lo, v40, 1
	s_wait_dscnt 0x0
	v_add_nc_u32_e32 v6, v18, v6
	s_delay_alu instid0(VALU_DEP_2) | instskip(NEXT) | instid1(VALU_DEP_1)
	v_cmp_gt_i32_e64 s0, 0, v19
	v_cndmask_b32_e64 v19, v19, v40, s0
	s_delay_alu instid0(VALU_DEP_1)
	v_lshlrev_b32_e32 v19, 2, v19
	ds_bpermute_b32 v19, v19, v6
	ds_load_b32 v6, v7 offset:60
	s_and_saveexec_b32 s0, s2
	s_cbranch_execz .LBB503_84
; %bb.83:
	v_dual_mov_b32 v20, 0 :: v_dual_mov_b32 v7, 2
	s_wait_dscnt 0x0
	global_store_b64 v20, v[6:7], s[16:17] offset:256 scope:SCOPE_DEV
.LBB503_84:
	s_wait_xcnt 0x0
	s_or_b32 exec_lo, exec_lo, s0
	s_wait_dscnt 0x1
	v_cndmask_b32_e32 v7, v19, v18, vcc_lo
	s_wait_storecnt_dscnt 0x0
	s_barrier_signal -1
	s_barrier_wait -1
	s_delay_alu instid0(VALU_DEP_1) | instskip(NEXT) | instid1(VALU_DEP_1)
	v_cndmask_b32_e64 v48, v7, 0, s2
	v_dual_mov_b32 v18, 0 :: v_dual_add_nc_u32 v47, v48, v29
	s_delay_alu instid0(VALU_DEP_1) | instskip(NEXT) | instid1(VALU_DEP_1)
	v_add_nc_u32_e32 v46, v47, v35
	v_add_nc_u32_e32 v45, v46, v36
	s_delay_alu instid0(VALU_DEP_1) | instskip(NEXT) | instid1(VALU_DEP_1)
	v_add_nc_u32_e32 v44, v45, v37
	v_add_nc_u32_e32 v43, v44, v38
	s_delay_alu instid0(VALU_DEP_1)
	v_add_nc_u32_e32 v19, v43, v39
.LBB503_85:
	v_and_b32_e32 v7, 1, v26
	v_cmp_gt_u32_e32 vcc_lo, 0x201, v6
	v_lshlrev_b64_e32 v[20:21], 3, v[22:23]
	s_mov_b32 s1, -1
	s_delay_alu instid0(VALU_DEP_3)
	v_cmp_eq_u32_e64 s0, 1, v7
	s_cbranch_vccnz .LBB503_89
; %bb.86:
	s_and_b32 vcc_lo, exec_lo, s1
	s_cbranch_vccnz .LBB503_104
.LBB503_87:
	s_and_b32 s0, s2, s9
	s_delay_alu instid0(SALU_CYCLE_1)
	s_and_saveexec_b32 s1, s0
	s_cbranch_execnz .LBB503_121
.LBB503_88:
	s_endpgm
.LBB503_89:
	v_add_nc_u32_e32 v26, v18, v6
	v_add_nc_u64_e32 v[30:31], s[10:11], v[20:21]
	s_delay_alu instid0(VALU_DEP_2) | instskip(SKIP_1) | instid1(SALU_CYCLE_1)
	v_cmp_lt_u32_e32 vcc_lo, v48, v26
	s_or_b32 s1, s14, vcc_lo
	s_and_b32 s1, s1, s0
	s_delay_alu instid0(SALU_CYCLE_1)
	s_and_saveexec_b32 s0, s1
	s_cbranch_execz .LBB503_91
; %bb.90:
	s_delay_alu instid0(VALU_DEP_2)
	v_readfirstlane_b32 s4, v30
	v_readfirstlane_b32 s5, v31
	global_store_b64 v48, v[14:15], s[4:5] scale_offset
.LBB503_91:
	s_wait_xcnt 0x0
	s_or_b32 exec_lo, exec_lo, s0
	v_and_b32_e32 v29, 1, v34
	v_cmp_lt_u32_e32 vcc_lo, v47, v26
	s_delay_alu instid0(VALU_DEP_2) | instskip(SKIP_1) | instid1(SALU_CYCLE_1)
	v_cmp_eq_u32_e64 s0, 1, v29
	s_or_b32 s1, s14, vcc_lo
	s_and_b32 s1, s1, s0
	s_delay_alu instid0(SALU_CYCLE_1)
	s_and_saveexec_b32 s0, s1
	s_cbranch_execz .LBB503_93
; %bb.92:
	v_readfirstlane_b32 s4, v30
	v_readfirstlane_b32 s5, v31
	global_store_b64 v47, v[16:17], s[4:5] scale_offset
.LBB503_93:
	s_wait_xcnt 0x0
	s_or_b32 exec_lo, exec_lo, s0
	v_and_b32_e32 v29, 1, v33
	v_cmp_lt_u32_e32 vcc_lo, v46, v26
	s_delay_alu instid0(VALU_DEP_2) | instskip(SKIP_1) | instid1(SALU_CYCLE_1)
	v_cmp_eq_u32_e64 s0, 1, v29
	s_or_b32 s1, s14, vcc_lo
	s_and_b32 s1, s1, s0
	s_delay_alu instid0(SALU_CYCLE_1)
	s_and_saveexec_b32 s0, s1
	s_cbranch_execz .LBB503_95
; %bb.94:
	v_readfirstlane_b32 s4, v30
	v_readfirstlane_b32 s5, v31
	global_store_b64 v46, v[10:11], s[4:5] scale_offset
.LBB503_95:
	;; [unrolled: 16-line block ×6, first 2 shown]
	s_wait_xcnt 0x0
	s_or_b32 exec_lo, exec_lo, s0
	s_branch .LBB503_87
.LBB503_104:
	s_mov_b32 s0, exec_lo
	v_cmpx_eq_u32_e32 1, v7
; %bb.105:
	v_sub_nc_u32_e32 v7, v48, v18
	s_delay_alu instid0(VALU_DEP_1)
	v_lshlrev_b32_e32 v7, 3, v7
	ds_store_b64 v7, v[14:15]
; %bb.106:
	s_or_b32 exec_lo, exec_lo, s0
	v_and_b32_e32 v7, 1, v34
	s_mov_b32 s0, exec_lo
	s_delay_alu instid0(VALU_DEP_1)
	v_cmpx_eq_u32_e32 1, v7
; %bb.107:
	v_sub_nc_u32_e32 v7, v47, v18
	s_delay_alu instid0(VALU_DEP_1)
	v_lshlrev_b32_e32 v7, 3, v7
	ds_store_b64 v7, v[16:17]
; %bb.108:
	s_or_b32 exec_lo, exec_lo, s0
	v_and_b32_e32 v7, 1, v33
	s_mov_b32 s0, exec_lo
	s_delay_alu instid0(VALU_DEP_1)
	;; [unrolled: 11-line block ×6, first 2 shown]
	v_cmpx_eq_u32_e32 1, v1
; %bb.117:
	v_sub_nc_u32_e32 v1, v19, v18
	s_delay_alu instid0(VALU_DEP_1)
	v_lshlrev_b32_e32 v1, 3, v1
	ds_store_b64 v1, v[4:5]
; %bb.118:
	s_or_b32 exec_lo, exec_lo, s0
	v_mov_b32_e32 v19, 0
	s_mov_b32 s0, 0
	s_wait_storecnt_dscnt 0x0
	s_barrier_signal -1
	s_barrier_wait -1
	v_lshlrev_b64_e32 v[2:3], 3, v[18:19]
	v_mov_b32_e32 v25, v19
	s_delay_alu instid0(VALU_DEP_2) | instskip(NEXT) | instid1(VALU_DEP_1)
	v_add_nc_u64_e32 v[2:3], v[20:21], v[2:3]
	v_add_nc_u64_e32 v[2:3], s[10:11], v[2:3]
	s_delay_alu instid0(VALU_DEP_1)
	v_add_nc_u64_e32 v[2:3], v[2:3], v[24:25]
.LBB503_119:                            ; =>This Inner Loop Header: Depth=1
	ds_load_b64 v[4:5], v24
	v_add_nc_u32_e32 v0, 0x200, v0
	v_add_nc_u32_e32 v24, 0x1000, v24
	s_delay_alu instid0(VALU_DEP_2)
	v_cmp_ge_u32_e32 vcc_lo, v0, v6
	s_or_b32 s0, vcc_lo, s0
	s_wait_dscnt 0x0
	global_store_b64 v[2:3], v[4:5], off
	s_wait_xcnt 0x0
	v_add_nc_u64_e32 v[2:3], 0x1000, v[2:3]
	s_and_not1_b32 exec_lo, exec_lo, s0
	s_cbranch_execnz .LBB503_119
; %bb.120:
	s_or_b32 exec_lo, exec_lo, s0
	s_and_b32 s0, s2, s9
	s_delay_alu instid0(SALU_CYCLE_1)
	s_and_saveexec_b32 s1, s0
	s_cbranch_execz .LBB503_88
.LBB503_121:
	v_mov_b32_e32 v7, 0
	s_delay_alu instid0(VALU_DEP_1) | instskip(SKIP_1) | instid1(VALU_DEP_1)
	v_add_nc_u64_e32 v[0:1], v[22:23], v[6:7]
	v_mov_b32_e32 v19, v7
	v_add_nc_u64_e32 v[0:1], v[0:1], v[18:19]
	global_store_b64 v7, v[0:1], s[12:13]
	s_endpgm
	.section	.rodata,"a",@progbits
	.p2align	6, 0x0
	.amdhsa_kernel _ZN7rocprim17ROCPRIM_400000_NS6detail17trampoline_kernelINS0_14default_configENS1_25partition_config_selectorILNS1_17partition_subalgoE8ElNS0_10empty_typeEbEEZZNS1_14partition_implILS5_8ELb0ES3_jPKlPS6_PKS6_NS0_5tupleIJPlS6_EEENSE_IJSB_SB_EEENS0_18inequality_wrapperIN6hipcub16HIPCUB_304000_NS8EqualityEEESF_JS6_EEE10hipError_tPvRmT3_T4_T5_T6_T7_T9_mT8_P12ihipStream_tbDpT10_ENKUlT_T0_E_clISt17integral_constantIbLb0EES15_IbLb1EEEEDaS11_S12_EUlS11_E_NS1_11comp_targetILNS1_3genE0ELNS1_11target_archE4294967295ELNS1_3gpuE0ELNS1_3repE0EEENS1_30default_config_static_selectorELNS0_4arch9wavefront6targetE0EEEvT1_
		.amdhsa_group_segment_fixed_size 28680
		.amdhsa_private_segment_fixed_size 0
		.amdhsa_kernarg_size 128
		.amdhsa_user_sgpr_count 2
		.amdhsa_user_sgpr_dispatch_ptr 0
		.amdhsa_user_sgpr_queue_ptr 0
		.amdhsa_user_sgpr_kernarg_segment_ptr 1
		.amdhsa_user_sgpr_dispatch_id 0
		.amdhsa_user_sgpr_kernarg_preload_length 0
		.amdhsa_user_sgpr_kernarg_preload_offset 0
		.amdhsa_user_sgpr_private_segment_size 0
		.amdhsa_wavefront_size32 1
		.amdhsa_uses_dynamic_stack 0
		.amdhsa_enable_private_segment 0
		.amdhsa_system_sgpr_workgroup_id_x 1
		.amdhsa_system_sgpr_workgroup_id_y 0
		.amdhsa_system_sgpr_workgroup_id_z 0
		.amdhsa_system_sgpr_workgroup_info 0
		.amdhsa_system_vgpr_workitem_id 0
		.amdhsa_next_free_vgpr 56
		.amdhsa_next_free_sgpr 22
		.amdhsa_named_barrier_count 0
		.amdhsa_reserve_vcc 1
		.amdhsa_float_round_mode_32 0
		.amdhsa_float_round_mode_16_64 0
		.amdhsa_float_denorm_mode_32 3
		.amdhsa_float_denorm_mode_16_64 3
		.amdhsa_fp16_overflow 0
		.amdhsa_memory_ordered 1
		.amdhsa_forward_progress 1
		.amdhsa_inst_pref_size 47
		.amdhsa_round_robin_scheduling 0
		.amdhsa_exception_fp_ieee_invalid_op 0
		.amdhsa_exception_fp_denorm_src 0
		.amdhsa_exception_fp_ieee_div_zero 0
		.amdhsa_exception_fp_ieee_overflow 0
		.amdhsa_exception_fp_ieee_underflow 0
		.amdhsa_exception_fp_ieee_inexact 0
		.amdhsa_exception_int_div_zero 0
	.end_amdhsa_kernel
	.section	.text._ZN7rocprim17ROCPRIM_400000_NS6detail17trampoline_kernelINS0_14default_configENS1_25partition_config_selectorILNS1_17partition_subalgoE8ElNS0_10empty_typeEbEEZZNS1_14partition_implILS5_8ELb0ES3_jPKlPS6_PKS6_NS0_5tupleIJPlS6_EEENSE_IJSB_SB_EEENS0_18inequality_wrapperIN6hipcub16HIPCUB_304000_NS8EqualityEEESF_JS6_EEE10hipError_tPvRmT3_T4_T5_T6_T7_T9_mT8_P12ihipStream_tbDpT10_ENKUlT_T0_E_clISt17integral_constantIbLb0EES15_IbLb1EEEEDaS11_S12_EUlS11_E_NS1_11comp_targetILNS1_3genE0ELNS1_11target_archE4294967295ELNS1_3gpuE0ELNS1_3repE0EEENS1_30default_config_static_selectorELNS0_4arch9wavefront6targetE0EEEvT1_,"axG",@progbits,_ZN7rocprim17ROCPRIM_400000_NS6detail17trampoline_kernelINS0_14default_configENS1_25partition_config_selectorILNS1_17partition_subalgoE8ElNS0_10empty_typeEbEEZZNS1_14partition_implILS5_8ELb0ES3_jPKlPS6_PKS6_NS0_5tupleIJPlS6_EEENSE_IJSB_SB_EEENS0_18inequality_wrapperIN6hipcub16HIPCUB_304000_NS8EqualityEEESF_JS6_EEE10hipError_tPvRmT3_T4_T5_T6_T7_T9_mT8_P12ihipStream_tbDpT10_ENKUlT_T0_E_clISt17integral_constantIbLb0EES15_IbLb1EEEEDaS11_S12_EUlS11_E_NS1_11comp_targetILNS1_3genE0ELNS1_11target_archE4294967295ELNS1_3gpuE0ELNS1_3repE0EEENS1_30default_config_static_selectorELNS0_4arch9wavefront6targetE0EEEvT1_,comdat
.Lfunc_end503:
	.size	_ZN7rocprim17ROCPRIM_400000_NS6detail17trampoline_kernelINS0_14default_configENS1_25partition_config_selectorILNS1_17partition_subalgoE8ElNS0_10empty_typeEbEEZZNS1_14partition_implILS5_8ELb0ES3_jPKlPS6_PKS6_NS0_5tupleIJPlS6_EEENSE_IJSB_SB_EEENS0_18inequality_wrapperIN6hipcub16HIPCUB_304000_NS8EqualityEEESF_JS6_EEE10hipError_tPvRmT3_T4_T5_T6_T7_T9_mT8_P12ihipStream_tbDpT10_ENKUlT_T0_E_clISt17integral_constantIbLb0EES15_IbLb1EEEEDaS11_S12_EUlS11_E_NS1_11comp_targetILNS1_3genE0ELNS1_11target_archE4294967295ELNS1_3gpuE0ELNS1_3repE0EEENS1_30default_config_static_selectorELNS0_4arch9wavefront6targetE0EEEvT1_, .Lfunc_end503-_ZN7rocprim17ROCPRIM_400000_NS6detail17trampoline_kernelINS0_14default_configENS1_25partition_config_selectorILNS1_17partition_subalgoE8ElNS0_10empty_typeEbEEZZNS1_14partition_implILS5_8ELb0ES3_jPKlPS6_PKS6_NS0_5tupleIJPlS6_EEENSE_IJSB_SB_EEENS0_18inequality_wrapperIN6hipcub16HIPCUB_304000_NS8EqualityEEESF_JS6_EEE10hipError_tPvRmT3_T4_T5_T6_T7_T9_mT8_P12ihipStream_tbDpT10_ENKUlT_T0_E_clISt17integral_constantIbLb0EES15_IbLb1EEEEDaS11_S12_EUlS11_E_NS1_11comp_targetILNS1_3genE0ELNS1_11target_archE4294967295ELNS1_3gpuE0ELNS1_3repE0EEENS1_30default_config_static_selectorELNS0_4arch9wavefront6targetE0EEEvT1_
                                        ; -- End function
	.set _ZN7rocprim17ROCPRIM_400000_NS6detail17trampoline_kernelINS0_14default_configENS1_25partition_config_selectorILNS1_17partition_subalgoE8ElNS0_10empty_typeEbEEZZNS1_14partition_implILS5_8ELb0ES3_jPKlPS6_PKS6_NS0_5tupleIJPlS6_EEENSE_IJSB_SB_EEENS0_18inequality_wrapperIN6hipcub16HIPCUB_304000_NS8EqualityEEESF_JS6_EEE10hipError_tPvRmT3_T4_T5_T6_T7_T9_mT8_P12ihipStream_tbDpT10_ENKUlT_T0_E_clISt17integral_constantIbLb0EES15_IbLb1EEEEDaS11_S12_EUlS11_E_NS1_11comp_targetILNS1_3genE0ELNS1_11target_archE4294967295ELNS1_3gpuE0ELNS1_3repE0EEENS1_30default_config_static_selectorELNS0_4arch9wavefront6targetE0EEEvT1_.num_vgpr, 56
	.set _ZN7rocprim17ROCPRIM_400000_NS6detail17trampoline_kernelINS0_14default_configENS1_25partition_config_selectorILNS1_17partition_subalgoE8ElNS0_10empty_typeEbEEZZNS1_14partition_implILS5_8ELb0ES3_jPKlPS6_PKS6_NS0_5tupleIJPlS6_EEENSE_IJSB_SB_EEENS0_18inequality_wrapperIN6hipcub16HIPCUB_304000_NS8EqualityEEESF_JS6_EEE10hipError_tPvRmT3_T4_T5_T6_T7_T9_mT8_P12ihipStream_tbDpT10_ENKUlT_T0_E_clISt17integral_constantIbLb0EES15_IbLb1EEEEDaS11_S12_EUlS11_E_NS1_11comp_targetILNS1_3genE0ELNS1_11target_archE4294967295ELNS1_3gpuE0ELNS1_3repE0EEENS1_30default_config_static_selectorELNS0_4arch9wavefront6targetE0EEEvT1_.num_agpr, 0
	.set _ZN7rocprim17ROCPRIM_400000_NS6detail17trampoline_kernelINS0_14default_configENS1_25partition_config_selectorILNS1_17partition_subalgoE8ElNS0_10empty_typeEbEEZZNS1_14partition_implILS5_8ELb0ES3_jPKlPS6_PKS6_NS0_5tupleIJPlS6_EEENSE_IJSB_SB_EEENS0_18inequality_wrapperIN6hipcub16HIPCUB_304000_NS8EqualityEEESF_JS6_EEE10hipError_tPvRmT3_T4_T5_T6_T7_T9_mT8_P12ihipStream_tbDpT10_ENKUlT_T0_E_clISt17integral_constantIbLb0EES15_IbLb1EEEEDaS11_S12_EUlS11_E_NS1_11comp_targetILNS1_3genE0ELNS1_11target_archE4294967295ELNS1_3gpuE0ELNS1_3repE0EEENS1_30default_config_static_selectorELNS0_4arch9wavefront6targetE0EEEvT1_.numbered_sgpr, 22
	.set _ZN7rocprim17ROCPRIM_400000_NS6detail17trampoline_kernelINS0_14default_configENS1_25partition_config_selectorILNS1_17partition_subalgoE8ElNS0_10empty_typeEbEEZZNS1_14partition_implILS5_8ELb0ES3_jPKlPS6_PKS6_NS0_5tupleIJPlS6_EEENSE_IJSB_SB_EEENS0_18inequality_wrapperIN6hipcub16HIPCUB_304000_NS8EqualityEEESF_JS6_EEE10hipError_tPvRmT3_T4_T5_T6_T7_T9_mT8_P12ihipStream_tbDpT10_ENKUlT_T0_E_clISt17integral_constantIbLb0EES15_IbLb1EEEEDaS11_S12_EUlS11_E_NS1_11comp_targetILNS1_3genE0ELNS1_11target_archE4294967295ELNS1_3gpuE0ELNS1_3repE0EEENS1_30default_config_static_selectorELNS0_4arch9wavefront6targetE0EEEvT1_.num_named_barrier, 0
	.set _ZN7rocprim17ROCPRIM_400000_NS6detail17trampoline_kernelINS0_14default_configENS1_25partition_config_selectorILNS1_17partition_subalgoE8ElNS0_10empty_typeEbEEZZNS1_14partition_implILS5_8ELb0ES3_jPKlPS6_PKS6_NS0_5tupleIJPlS6_EEENSE_IJSB_SB_EEENS0_18inequality_wrapperIN6hipcub16HIPCUB_304000_NS8EqualityEEESF_JS6_EEE10hipError_tPvRmT3_T4_T5_T6_T7_T9_mT8_P12ihipStream_tbDpT10_ENKUlT_T0_E_clISt17integral_constantIbLb0EES15_IbLb1EEEEDaS11_S12_EUlS11_E_NS1_11comp_targetILNS1_3genE0ELNS1_11target_archE4294967295ELNS1_3gpuE0ELNS1_3repE0EEENS1_30default_config_static_selectorELNS0_4arch9wavefront6targetE0EEEvT1_.private_seg_size, 0
	.set _ZN7rocprim17ROCPRIM_400000_NS6detail17trampoline_kernelINS0_14default_configENS1_25partition_config_selectorILNS1_17partition_subalgoE8ElNS0_10empty_typeEbEEZZNS1_14partition_implILS5_8ELb0ES3_jPKlPS6_PKS6_NS0_5tupleIJPlS6_EEENSE_IJSB_SB_EEENS0_18inequality_wrapperIN6hipcub16HIPCUB_304000_NS8EqualityEEESF_JS6_EEE10hipError_tPvRmT3_T4_T5_T6_T7_T9_mT8_P12ihipStream_tbDpT10_ENKUlT_T0_E_clISt17integral_constantIbLb0EES15_IbLb1EEEEDaS11_S12_EUlS11_E_NS1_11comp_targetILNS1_3genE0ELNS1_11target_archE4294967295ELNS1_3gpuE0ELNS1_3repE0EEENS1_30default_config_static_selectorELNS0_4arch9wavefront6targetE0EEEvT1_.uses_vcc, 1
	.set _ZN7rocprim17ROCPRIM_400000_NS6detail17trampoline_kernelINS0_14default_configENS1_25partition_config_selectorILNS1_17partition_subalgoE8ElNS0_10empty_typeEbEEZZNS1_14partition_implILS5_8ELb0ES3_jPKlPS6_PKS6_NS0_5tupleIJPlS6_EEENSE_IJSB_SB_EEENS0_18inequality_wrapperIN6hipcub16HIPCUB_304000_NS8EqualityEEESF_JS6_EEE10hipError_tPvRmT3_T4_T5_T6_T7_T9_mT8_P12ihipStream_tbDpT10_ENKUlT_T0_E_clISt17integral_constantIbLb0EES15_IbLb1EEEEDaS11_S12_EUlS11_E_NS1_11comp_targetILNS1_3genE0ELNS1_11target_archE4294967295ELNS1_3gpuE0ELNS1_3repE0EEENS1_30default_config_static_selectorELNS0_4arch9wavefront6targetE0EEEvT1_.uses_flat_scratch, 0
	.set _ZN7rocprim17ROCPRIM_400000_NS6detail17trampoline_kernelINS0_14default_configENS1_25partition_config_selectorILNS1_17partition_subalgoE8ElNS0_10empty_typeEbEEZZNS1_14partition_implILS5_8ELb0ES3_jPKlPS6_PKS6_NS0_5tupleIJPlS6_EEENSE_IJSB_SB_EEENS0_18inequality_wrapperIN6hipcub16HIPCUB_304000_NS8EqualityEEESF_JS6_EEE10hipError_tPvRmT3_T4_T5_T6_T7_T9_mT8_P12ihipStream_tbDpT10_ENKUlT_T0_E_clISt17integral_constantIbLb0EES15_IbLb1EEEEDaS11_S12_EUlS11_E_NS1_11comp_targetILNS1_3genE0ELNS1_11target_archE4294967295ELNS1_3gpuE0ELNS1_3repE0EEENS1_30default_config_static_selectorELNS0_4arch9wavefront6targetE0EEEvT1_.has_dyn_sized_stack, 0
	.set _ZN7rocprim17ROCPRIM_400000_NS6detail17trampoline_kernelINS0_14default_configENS1_25partition_config_selectorILNS1_17partition_subalgoE8ElNS0_10empty_typeEbEEZZNS1_14partition_implILS5_8ELb0ES3_jPKlPS6_PKS6_NS0_5tupleIJPlS6_EEENSE_IJSB_SB_EEENS0_18inequality_wrapperIN6hipcub16HIPCUB_304000_NS8EqualityEEESF_JS6_EEE10hipError_tPvRmT3_T4_T5_T6_T7_T9_mT8_P12ihipStream_tbDpT10_ENKUlT_T0_E_clISt17integral_constantIbLb0EES15_IbLb1EEEEDaS11_S12_EUlS11_E_NS1_11comp_targetILNS1_3genE0ELNS1_11target_archE4294967295ELNS1_3gpuE0ELNS1_3repE0EEENS1_30default_config_static_selectorELNS0_4arch9wavefront6targetE0EEEvT1_.has_recursion, 0
	.set _ZN7rocprim17ROCPRIM_400000_NS6detail17trampoline_kernelINS0_14default_configENS1_25partition_config_selectorILNS1_17partition_subalgoE8ElNS0_10empty_typeEbEEZZNS1_14partition_implILS5_8ELb0ES3_jPKlPS6_PKS6_NS0_5tupleIJPlS6_EEENSE_IJSB_SB_EEENS0_18inequality_wrapperIN6hipcub16HIPCUB_304000_NS8EqualityEEESF_JS6_EEE10hipError_tPvRmT3_T4_T5_T6_T7_T9_mT8_P12ihipStream_tbDpT10_ENKUlT_T0_E_clISt17integral_constantIbLb0EES15_IbLb1EEEEDaS11_S12_EUlS11_E_NS1_11comp_targetILNS1_3genE0ELNS1_11target_archE4294967295ELNS1_3gpuE0ELNS1_3repE0EEENS1_30default_config_static_selectorELNS0_4arch9wavefront6targetE0EEEvT1_.has_indirect_call, 0
	.section	.AMDGPU.csdata,"",@progbits
; Kernel info:
; codeLenInByte = 5932
; TotalNumSgprs: 24
; NumVgprs: 56
; ScratchSize: 0
; MemoryBound: 0
; FloatMode: 240
; IeeeMode: 1
; LDSByteSize: 28680 bytes/workgroup (compile time only)
; SGPRBlocks: 0
; VGPRBlocks: 3
; NumSGPRsForWavesPerEU: 24
; NumVGPRsForWavesPerEU: 56
; NamedBarCnt: 0
; Occupancy: 16
; WaveLimiterHint : 1
; COMPUTE_PGM_RSRC2:SCRATCH_EN: 0
; COMPUTE_PGM_RSRC2:USER_SGPR: 2
; COMPUTE_PGM_RSRC2:TRAP_HANDLER: 0
; COMPUTE_PGM_RSRC2:TGID_X_EN: 1
; COMPUTE_PGM_RSRC2:TGID_Y_EN: 0
; COMPUTE_PGM_RSRC2:TGID_Z_EN: 0
; COMPUTE_PGM_RSRC2:TIDIG_COMP_CNT: 0
	.section	.text._ZN7rocprim17ROCPRIM_400000_NS6detail17trampoline_kernelINS0_14default_configENS1_25partition_config_selectorILNS1_17partition_subalgoE8ElNS0_10empty_typeEbEEZZNS1_14partition_implILS5_8ELb0ES3_jPKlPS6_PKS6_NS0_5tupleIJPlS6_EEENSE_IJSB_SB_EEENS0_18inequality_wrapperIN6hipcub16HIPCUB_304000_NS8EqualityEEESF_JS6_EEE10hipError_tPvRmT3_T4_T5_T6_T7_T9_mT8_P12ihipStream_tbDpT10_ENKUlT_T0_E_clISt17integral_constantIbLb0EES15_IbLb1EEEEDaS11_S12_EUlS11_E_NS1_11comp_targetILNS1_3genE5ELNS1_11target_archE942ELNS1_3gpuE9ELNS1_3repE0EEENS1_30default_config_static_selectorELNS0_4arch9wavefront6targetE0EEEvT1_,"axG",@progbits,_ZN7rocprim17ROCPRIM_400000_NS6detail17trampoline_kernelINS0_14default_configENS1_25partition_config_selectorILNS1_17partition_subalgoE8ElNS0_10empty_typeEbEEZZNS1_14partition_implILS5_8ELb0ES3_jPKlPS6_PKS6_NS0_5tupleIJPlS6_EEENSE_IJSB_SB_EEENS0_18inequality_wrapperIN6hipcub16HIPCUB_304000_NS8EqualityEEESF_JS6_EEE10hipError_tPvRmT3_T4_T5_T6_T7_T9_mT8_P12ihipStream_tbDpT10_ENKUlT_T0_E_clISt17integral_constantIbLb0EES15_IbLb1EEEEDaS11_S12_EUlS11_E_NS1_11comp_targetILNS1_3genE5ELNS1_11target_archE942ELNS1_3gpuE9ELNS1_3repE0EEENS1_30default_config_static_selectorELNS0_4arch9wavefront6targetE0EEEvT1_,comdat
	.protected	_ZN7rocprim17ROCPRIM_400000_NS6detail17trampoline_kernelINS0_14default_configENS1_25partition_config_selectorILNS1_17partition_subalgoE8ElNS0_10empty_typeEbEEZZNS1_14partition_implILS5_8ELb0ES3_jPKlPS6_PKS6_NS0_5tupleIJPlS6_EEENSE_IJSB_SB_EEENS0_18inequality_wrapperIN6hipcub16HIPCUB_304000_NS8EqualityEEESF_JS6_EEE10hipError_tPvRmT3_T4_T5_T6_T7_T9_mT8_P12ihipStream_tbDpT10_ENKUlT_T0_E_clISt17integral_constantIbLb0EES15_IbLb1EEEEDaS11_S12_EUlS11_E_NS1_11comp_targetILNS1_3genE5ELNS1_11target_archE942ELNS1_3gpuE9ELNS1_3repE0EEENS1_30default_config_static_selectorELNS0_4arch9wavefront6targetE0EEEvT1_ ; -- Begin function _ZN7rocprim17ROCPRIM_400000_NS6detail17trampoline_kernelINS0_14default_configENS1_25partition_config_selectorILNS1_17partition_subalgoE8ElNS0_10empty_typeEbEEZZNS1_14partition_implILS5_8ELb0ES3_jPKlPS6_PKS6_NS0_5tupleIJPlS6_EEENSE_IJSB_SB_EEENS0_18inequality_wrapperIN6hipcub16HIPCUB_304000_NS8EqualityEEESF_JS6_EEE10hipError_tPvRmT3_T4_T5_T6_T7_T9_mT8_P12ihipStream_tbDpT10_ENKUlT_T0_E_clISt17integral_constantIbLb0EES15_IbLb1EEEEDaS11_S12_EUlS11_E_NS1_11comp_targetILNS1_3genE5ELNS1_11target_archE942ELNS1_3gpuE9ELNS1_3repE0EEENS1_30default_config_static_selectorELNS0_4arch9wavefront6targetE0EEEvT1_
	.globl	_ZN7rocprim17ROCPRIM_400000_NS6detail17trampoline_kernelINS0_14default_configENS1_25partition_config_selectorILNS1_17partition_subalgoE8ElNS0_10empty_typeEbEEZZNS1_14partition_implILS5_8ELb0ES3_jPKlPS6_PKS6_NS0_5tupleIJPlS6_EEENSE_IJSB_SB_EEENS0_18inequality_wrapperIN6hipcub16HIPCUB_304000_NS8EqualityEEESF_JS6_EEE10hipError_tPvRmT3_T4_T5_T6_T7_T9_mT8_P12ihipStream_tbDpT10_ENKUlT_T0_E_clISt17integral_constantIbLb0EES15_IbLb1EEEEDaS11_S12_EUlS11_E_NS1_11comp_targetILNS1_3genE5ELNS1_11target_archE942ELNS1_3gpuE9ELNS1_3repE0EEENS1_30default_config_static_selectorELNS0_4arch9wavefront6targetE0EEEvT1_
	.p2align	8
	.type	_ZN7rocprim17ROCPRIM_400000_NS6detail17trampoline_kernelINS0_14default_configENS1_25partition_config_selectorILNS1_17partition_subalgoE8ElNS0_10empty_typeEbEEZZNS1_14partition_implILS5_8ELb0ES3_jPKlPS6_PKS6_NS0_5tupleIJPlS6_EEENSE_IJSB_SB_EEENS0_18inequality_wrapperIN6hipcub16HIPCUB_304000_NS8EqualityEEESF_JS6_EEE10hipError_tPvRmT3_T4_T5_T6_T7_T9_mT8_P12ihipStream_tbDpT10_ENKUlT_T0_E_clISt17integral_constantIbLb0EES15_IbLb1EEEEDaS11_S12_EUlS11_E_NS1_11comp_targetILNS1_3genE5ELNS1_11target_archE942ELNS1_3gpuE9ELNS1_3repE0EEENS1_30default_config_static_selectorELNS0_4arch9wavefront6targetE0EEEvT1_,@function
_ZN7rocprim17ROCPRIM_400000_NS6detail17trampoline_kernelINS0_14default_configENS1_25partition_config_selectorILNS1_17partition_subalgoE8ElNS0_10empty_typeEbEEZZNS1_14partition_implILS5_8ELb0ES3_jPKlPS6_PKS6_NS0_5tupleIJPlS6_EEENSE_IJSB_SB_EEENS0_18inequality_wrapperIN6hipcub16HIPCUB_304000_NS8EqualityEEESF_JS6_EEE10hipError_tPvRmT3_T4_T5_T6_T7_T9_mT8_P12ihipStream_tbDpT10_ENKUlT_T0_E_clISt17integral_constantIbLb0EES15_IbLb1EEEEDaS11_S12_EUlS11_E_NS1_11comp_targetILNS1_3genE5ELNS1_11target_archE942ELNS1_3gpuE9ELNS1_3repE0EEENS1_30default_config_static_selectorELNS0_4arch9wavefront6targetE0EEEvT1_: ; @_ZN7rocprim17ROCPRIM_400000_NS6detail17trampoline_kernelINS0_14default_configENS1_25partition_config_selectorILNS1_17partition_subalgoE8ElNS0_10empty_typeEbEEZZNS1_14partition_implILS5_8ELb0ES3_jPKlPS6_PKS6_NS0_5tupleIJPlS6_EEENSE_IJSB_SB_EEENS0_18inequality_wrapperIN6hipcub16HIPCUB_304000_NS8EqualityEEESF_JS6_EEE10hipError_tPvRmT3_T4_T5_T6_T7_T9_mT8_P12ihipStream_tbDpT10_ENKUlT_T0_E_clISt17integral_constantIbLb0EES15_IbLb1EEEEDaS11_S12_EUlS11_E_NS1_11comp_targetILNS1_3genE5ELNS1_11target_archE942ELNS1_3gpuE9ELNS1_3repE0EEENS1_30default_config_static_selectorELNS0_4arch9wavefront6targetE0EEEvT1_
; %bb.0:
	.section	.rodata,"a",@progbits
	.p2align	6, 0x0
	.amdhsa_kernel _ZN7rocprim17ROCPRIM_400000_NS6detail17trampoline_kernelINS0_14default_configENS1_25partition_config_selectorILNS1_17partition_subalgoE8ElNS0_10empty_typeEbEEZZNS1_14partition_implILS5_8ELb0ES3_jPKlPS6_PKS6_NS0_5tupleIJPlS6_EEENSE_IJSB_SB_EEENS0_18inequality_wrapperIN6hipcub16HIPCUB_304000_NS8EqualityEEESF_JS6_EEE10hipError_tPvRmT3_T4_T5_T6_T7_T9_mT8_P12ihipStream_tbDpT10_ENKUlT_T0_E_clISt17integral_constantIbLb0EES15_IbLb1EEEEDaS11_S12_EUlS11_E_NS1_11comp_targetILNS1_3genE5ELNS1_11target_archE942ELNS1_3gpuE9ELNS1_3repE0EEENS1_30default_config_static_selectorELNS0_4arch9wavefront6targetE0EEEvT1_
		.amdhsa_group_segment_fixed_size 0
		.amdhsa_private_segment_fixed_size 0
		.amdhsa_kernarg_size 128
		.amdhsa_user_sgpr_count 2
		.amdhsa_user_sgpr_dispatch_ptr 0
		.amdhsa_user_sgpr_queue_ptr 0
		.amdhsa_user_sgpr_kernarg_segment_ptr 1
		.amdhsa_user_sgpr_dispatch_id 0
		.amdhsa_user_sgpr_kernarg_preload_length 0
		.amdhsa_user_sgpr_kernarg_preload_offset 0
		.amdhsa_user_sgpr_private_segment_size 0
		.amdhsa_wavefront_size32 1
		.amdhsa_uses_dynamic_stack 0
		.amdhsa_enable_private_segment 0
		.amdhsa_system_sgpr_workgroup_id_x 1
		.amdhsa_system_sgpr_workgroup_id_y 0
		.amdhsa_system_sgpr_workgroup_id_z 0
		.amdhsa_system_sgpr_workgroup_info 0
		.amdhsa_system_vgpr_workitem_id 0
		.amdhsa_next_free_vgpr 1
		.amdhsa_next_free_sgpr 1
		.amdhsa_named_barrier_count 0
		.amdhsa_reserve_vcc 0
		.amdhsa_float_round_mode_32 0
		.amdhsa_float_round_mode_16_64 0
		.amdhsa_float_denorm_mode_32 3
		.amdhsa_float_denorm_mode_16_64 3
		.amdhsa_fp16_overflow 0
		.amdhsa_memory_ordered 1
		.amdhsa_forward_progress 1
		.amdhsa_inst_pref_size 0
		.amdhsa_round_robin_scheduling 0
		.amdhsa_exception_fp_ieee_invalid_op 0
		.amdhsa_exception_fp_denorm_src 0
		.amdhsa_exception_fp_ieee_div_zero 0
		.amdhsa_exception_fp_ieee_overflow 0
		.amdhsa_exception_fp_ieee_underflow 0
		.amdhsa_exception_fp_ieee_inexact 0
		.amdhsa_exception_int_div_zero 0
	.end_amdhsa_kernel
	.section	.text._ZN7rocprim17ROCPRIM_400000_NS6detail17trampoline_kernelINS0_14default_configENS1_25partition_config_selectorILNS1_17partition_subalgoE8ElNS0_10empty_typeEbEEZZNS1_14partition_implILS5_8ELb0ES3_jPKlPS6_PKS6_NS0_5tupleIJPlS6_EEENSE_IJSB_SB_EEENS0_18inequality_wrapperIN6hipcub16HIPCUB_304000_NS8EqualityEEESF_JS6_EEE10hipError_tPvRmT3_T4_T5_T6_T7_T9_mT8_P12ihipStream_tbDpT10_ENKUlT_T0_E_clISt17integral_constantIbLb0EES15_IbLb1EEEEDaS11_S12_EUlS11_E_NS1_11comp_targetILNS1_3genE5ELNS1_11target_archE942ELNS1_3gpuE9ELNS1_3repE0EEENS1_30default_config_static_selectorELNS0_4arch9wavefront6targetE0EEEvT1_,"axG",@progbits,_ZN7rocprim17ROCPRIM_400000_NS6detail17trampoline_kernelINS0_14default_configENS1_25partition_config_selectorILNS1_17partition_subalgoE8ElNS0_10empty_typeEbEEZZNS1_14partition_implILS5_8ELb0ES3_jPKlPS6_PKS6_NS0_5tupleIJPlS6_EEENSE_IJSB_SB_EEENS0_18inequality_wrapperIN6hipcub16HIPCUB_304000_NS8EqualityEEESF_JS6_EEE10hipError_tPvRmT3_T4_T5_T6_T7_T9_mT8_P12ihipStream_tbDpT10_ENKUlT_T0_E_clISt17integral_constantIbLb0EES15_IbLb1EEEEDaS11_S12_EUlS11_E_NS1_11comp_targetILNS1_3genE5ELNS1_11target_archE942ELNS1_3gpuE9ELNS1_3repE0EEENS1_30default_config_static_selectorELNS0_4arch9wavefront6targetE0EEEvT1_,comdat
.Lfunc_end504:
	.size	_ZN7rocprim17ROCPRIM_400000_NS6detail17trampoline_kernelINS0_14default_configENS1_25partition_config_selectorILNS1_17partition_subalgoE8ElNS0_10empty_typeEbEEZZNS1_14partition_implILS5_8ELb0ES3_jPKlPS6_PKS6_NS0_5tupleIJPlS6_EEENSE_IJSB_SB_EEENS0_18inequality_wrapperIN6hipcub16HIPCUB_304000_NS8EqualityEEESF_JS6_EEE10hipError_tPvRmT3_T4_T5_T6_T7_T9_mT8_P12ihipStream_tbDpT10_ENKUlT_T0_E_clISt17integral_constantIbLb0EES15_IbLb1EEEEDaS11_S12_EUlS11_E_NS1_11comp_targetILNS1_3genE5ELNS1_11target_archE942ELNS1_3gpuE9ELNS1_3repE0EEENS1_30default_config_static_selectorELNS0_4arch9wavefront6targetE0EEEvT1_, .Lfunc_end504-_ZN7rocprim17ROCPRIM_400000_NS6detail17trampoline_kernelINS0_14default_configENS1_25partition_config_selectorILNS1_17partition_subalgoE8ElNS0_10empty_typeEbEEZZNS1_14partition_implILS5_8ELb0ES3_jPKlPS6_PKS6_NS0_5tupleIJPlS6_EEENSE_IJSB_SB_EEENS0_18inequality_wrapperIN6hipcub16HIPCUB_304000_NS8EqualityEEESF_JS6_EEE10hipError_tPvRmT3_T4_T5_T6_T7_T9_mT8_P12ihipStream_tbDpT10_ENKUlT_T0_E_clISt17integral_constantIbLb0EES15_IbLb1EEEEDaS11_S12_EUlS11_E_NS1_11comp_targetILNS1_3genE5ELNS1_11target_archE942ELNS1_3gpuE9ELNS1_3repE0EEENS1_30default_config_static_selectorELNS0_4arch9wavefront6targetE0EEEvT1_
                                        ; -- End function
	.set _ZN7rocprim17ROCPRIM_400000_NS6detail17trampoline_kernelINS0_14default_configENS1_25partition_config_selectorILNS1_17partition_subalgoE8ElNS0_10empty_typeEbEEZZNS1_14partition_implILS5_8ELb0ES3_jPKlPS6_PKS6_NS0_5tupleIJPlS6_EEENSE_IJSB_SB_EEENS0_18inequality_wrapperIN6hipcub16HIPCUB_304000_NS8EqualityEEESF_JS6_EEE10hipError_tPvRmT3_T4_T5_T6_T7_T9_mT8_P12ihipStream_tbDpT10_ENKUlT_T0_E_clISt17integral_constantIbLb0EES15_IbLb1EEEEDaS11_S12_EUlS11_E_NS1_11comp_targetILNS1_3genE5ELNS1_11target_archE942ELNS1_3gpuE9ELNS1_3repE0EEENS1_30default_config_static_selectorELNS0_4arch9wavefront6targetE0EEEvT1_.num_vgpr, 0
	.set _ZN7rocprim17ROCPRIM_400000_NS6detail17trampoline_kernelINS0_14default_configENS1_25partition_config_selectorILNS1_17partition_subalgoE8ElNS0_10empty_typeEbEEZZNS1_14partition_implILS5_8ELb0ES3_jPKlPS6_PKS6_NS0_5tupleIJPlS6_EEENSE_IJSB_SB_EEENS0_18inequality_wrapperIN6hipcub16HIPCUB_304000_NS8EqualityEEESF_JS6_EEE10hipError_tPvRmT3_T4_T5_T6_T7_T9_mT8_P12ihipStream_tbDpT10_ENKUlT_T0_E_clISt17integral_constantIbLb0EES15_IbLb1EEEEDaS11_S12_EUlS11_E_NS1_11comp_targetILNS1_3genE5ELNS1_11target_archE942ELNS1_3gpuE9ELNS1_3repE0EEENS1_30default_config_static_selectorELNS0_4arch9wavefront6targetE0EEEvT1_.num_agpr, 0
	.set _ZN7rocprim17ROCPRIM_400000_NS6detail17trampoline_kernelINS0_14default_configENS1_25partition_config_selectorILNS1_17partition_subalgoE8ElNS0_10empty_typeEbEEZZNS1_14partition_implILS5_8ELb0ES3_jPKlPS6_PKS6_NS0_5tupleIJPlS6_EEENSE_IJSB_SB_EEENS0_18inequality_wrapperIN6hipcub16HIPCUB_304000_NS8EqualityEEESF_JS6_EEE10hipError_tPvRmT3_T4_T5_T6_T7_T9_mT8_P12ihipStream_tbDpT10_ENKUlT_T0_E_clISt17integral_constantIbLb0EES15_IbLb1EEEEDaS11_S12_EUlS11_E_NS1_11comp_targetILNS1_3genE5ELNS1_11target_archE942ELNS1_3gpuE9ELNS1_3repE0EEENS1_30default_config_static_selectorELNS0_4arch9wavefront6targetE0EEEvT1_.numbered_sgpr, 0
	.set _ZN7rocprim17ROCPRIM_400000_NS6detail17trampoline_kernelINS0_14default_configENS1_25partition_config_selectorILNS1_17partition_subalgoE8ElNS0_10empty_typeEbEEZZNS1_14partition_implILS5_8ELb0ES3_jPKlPS6_PKS6_NS0_5tupleIJPlS6_EEENSE_IJSB_SB_EEENS0_18inequality_wrapperIN6hipcub16HIPCUB_304000_NS8EqualityEEESF_JS6_EEE10hipError_tPvRmT3_T4_T5_T6_T7_T9_mT8_P12ihipStream_tbDpT10_ENKUlT_T0_E_clISt17integral_constantIbLb0EES15_IbLb1EEEEDaS11_S12_EUlS11_E_NS1_11comp_targetILNS1_3genE5ELNS1_11target_archE942ELNS1_3gpuE9ELNS1_3repE0EEENS1_30default_config_static_selectorELNS0_4arch9wavefront6targetE0EEEvT1_.num_named_barrier, 0
	.set _ZN7rocprim17ROCPRIM_400000_NS6detail17trampoline_kernelINS0_14default_configENS1_25partition_config_selectorILNS1_17partition_subalgoE8ElNS0_10empty_typeEbEEZZNS1_14partition_implILS5_8ELb0ES3_jPKlPS6_PKS6_NS0_5tupleIJPlS6_EEENSE_IJSB_SB_EEENS0_18inequality_wrapperIN6hipcub16HIPCUB_304000_NS8EqualityEEESF_JS6_EEE10hipError_tPvRmT3_T4_T5_T6_T7_T9_mT8_P12ihipStream_tbDpT10_ENKUlT_T0_E_clISt17integral_constantIbLb0EES15_IbLb1EEEEDaS11_S12_EUlS11_E_NS1_11comp_targetILNS1_3genE5ELNS1_11target_archE942ELNS1_3gpuE9ELNS1_3repE0EEENS1_30default_config_static_selectorELNS0_4arch9wavefront6targetE0EEEvT1_.private_seg_size, 0
	.set _ZN7rocprim17ROCPRIM_400000_NS6detail17trampoline_kernelINS0_14default_configENS1_25partition_config_selectorILNS1_17partition_subalgoE8ElNS0_10empty_typeEbEEZZNS1_14partition_implILS5_8ELb0ES3_jPKlPS6_PKS6_NS0_5tupleIJPlS6_EEENSE_IJSB_SB_EEENS0_18inequality_wrapperIN6hipcub16HIPCUB_304000_NS8EqualityEEESF_JS6_EEE10hipError_tPvRmT3_T4_T5_T6_T7_T9_mT8_P12ihipStream_tbDpT10_ENKUlT_T0_E_clISt17integral_constantIbLb0EES15_IbLb1EEEEDaS11_S12_EUlS11_E_NS1_11comp_targetILNS1_3genE5ELNS1_11target_archE942ELNS1_3gpuE9ELNS1_3repE0EEENS1_30default_config_static_selectorELNS0_4arch9wavefront6targetE0EEEvT1_.uses_vcc, 0
	.set _ZN7rocprim17ROCPRIM_400000_NS6detail17trampoline_kernelINS0_14default_configENS1_25partition_config_selectorILNS1_17partition_subalgoE8ElNS0_10empty_typeEbEEZZNS1_14partition_implILS5_8ELb0ES3_jPKlPS6_PKS6_NS0_5tupleIJPlS6_EEENSE_IJSB_SB_EEENS0_18inequality_wrapperIN6hipcub16HIPCUB_304000_NS8EqualityEEESF_JS6_EEE10hipError_tPvRmT3_T4_T5_T6_T7_T9_mT8_P12ihipStream_tbDpT10_ENKUlT_T0_E_clISt17integral_constantIbLb0EES15_IbLb1EEEEDaS11_S12_EUlS11_E_NS1_11comp_targetILNS1_3genE5ELNS1_11target_archE942ELNS1_3gpuE9ELNS1_3repE0EEENS1_30default_config_static_selectorELNS0_4arch9wavefront6targetE0EEEvT1_.uses_flat_scratch, 0
	.set _ZN7rocprim17ROCPRIM_400000_NS6detail17trampoline_kernelINS0_14default_configENS1_25partition_config_selectorILNS1_17partition_subalgoE8ElNS0_10empty_typeEbEEZZNS1_14partition_implILS5_8ELb0ES3_jPKlPS6_PKS6_NS0_5tupleIJPlS6_EEENSE_IJSB_SB_EEENS0_18inequality_wrapperIN6hipcub16HIPCUB_304000_NS8EqualityEEESF_JS6_EEE10hipError_tPvRmT3_T4_T5_T6_T7_T9_mT8_P12ihipStream_tbDpT10_ENKUlT_T0_E_clISt17integral_constantIbLb0EES15_IbLb1EEEEDaS11_S12_EUlS11_E_NS1_11comp_targetILNS1_3genE5ELNS1_11target_archE942ELNS1_3gpuE9ELNS1_3repE0EEENS1_30default_config_static_selectorELNS0_4arch9wavefront6targetE0EEEvT1_.has_dyn_sized_stack, 0
	.set _ZN7rocprim17ROCPRIM_400000_NS6detail17trampoline_kernelINS0_14default_configENS1_25partition_config_selectorILNS1_17partition_subalgoE8ElNS0_10empty_typeEbEEZZNS1_14partition_implILS5_8ELb0ES3_jPKlPS6_PKS6_NS0_5tupleIJPlS6_EEENSE_IJSB_SB_EEENS0_18inequality_wrapperIN6hipcub16HIPCUB_304000_NS8EqualityEEESF_JS6_EEE10hipError_tPvRmT3_T4_T5_T6_T7_T9_mT8_P12ihipStream_tbDpT10_ENKUlT_T0_E_clISt17integral_constantIbLb0EES15_IbLb1EEEEDaS11_S12_EUlS11_E_NS1_11comp_targetILNS1_3genE5ELNS1_11target_archE942ELNS1_3gpuE9ELNS1_3repE0EEENS1_30default_config_static_selectorELNS0_4arch9wavefront6targetE0EEEvT1_.has_recursion, 0
	.set _ZN7rocprim17ROCPRIM_400000_NS6detail17trampoline_kernelINS0_14default_configENS1_25partition_config_selectorILNS1_17partition_subalgoE8ElNS0_10empty_typeEbEEZZNS1_14partition_implILS5_8ELb0ES3_jPKlPS6_PKS6_NS0_5tupleIJPlS6_EEENSE_IJSB_SB_EEENS0_18inequality_wrapperIN6hipcub16HIPCUB_304000_NS8EqualityEEESF_JS6_EEE10hipError_tPvRmT3_T4_T5_T6_T7_T9_mT8_P12ihipStream_tbDpT10_ENKUlT_T0_E_clISt17integral_constantIbLb0EES15_IbLb1EEEEDaS11_S12_EUlS11_E_NS1_11comp_targetILNS1_3genE5ELNS1_11target_archE942ELNS1_3gpuE9ELNS1_3repE0EEENS1_30default_config_static_selectorELNS0_4arch9wavefront6targetE0EEEvT1_.has_indirect_call, 0
	.section	.AMDGPU.csdata,"",@progbits
; Kernel info:
; codeLenInByte = 0
; TotalNumSgprs: 0
; NumVgprs: 0
; ScratchSize: 0
; MemoryBound: 0
; FloatMode: 240
; IeeeMode: 1
; LDSByteSize: 0 bytes/workgroup (compile time only)
; SGPRBlocks: 0
; VGPRBlocks: 0
; NumSGPRsForWavesPerEU: 1
; NumVGPRsForWavesPerEU: 1
; NamedBarCnt: 0
; Occupancy: 16
; WaveLimiterHint : 0
; COMPUTE_PGM_RSRC2:SCRATCH_EN: 0
; COMPUTE_PGM_RSRC2:USER_SGPR: 2
; COMPUTE_PGM_RSRC2:TRAP_HANDLER: 0
; COMPUTE_PGM_RSRC2:TGID_X_EN: 1
; COMPUTE_PGM_RSRC2:TGID_Y_EN: 0
; COMPUTE_PGM_RSRC2:TGID_Z_EN: 0
; COMPUTE_PGM_RSRC2:TIDIG_COMP_CNT: 0
	.section	.text._ZN7rocprim17ROCPRIM_400000_NS6detail17trampoline_kernelINS0_14default_configENS1_25partition_config_selectorILNS1_17partition_subalgoE8ElNS0_10empty_typeEbEEZZNS1_14partition_implILS5_8ELb0ES3_jPKlPS6_PKS6_NS0_5tupleIJPlS6_EEENSE_IJSB_SB_EEENS0_18inequality_wrapperIN6hipcub16HIPCUB_304000_NS8EqualityEEESF_JS6_EEE10hipError_tPvRmT3_T4_T5_T6_T7_T9_mT8_P12ihipStream_tbDpT10_ENKUlT_T0_E_clISt17integral_constantIbLb0EES15_IbLb1EEEEDaS11_S12_EUlS11_E_NS1_11comp_targetILNS1_3genE4ELNS1_11target_archE910ELNS1_3gpuE8ELNS1_3repE0EEENS1_30default_config_static_selectorELNS0_4arch9wavefront6targetE0EEEvT1_,"axG",@progbits,_ZN7rocprim17ROCPRIM_400000_NS6detail17trampoline_kernelINS0_14default_configENS1_25partition_config_selectorILNS1_17partition_subalgoE8ElNS0_10empty_typeEbEEZZNS1_14partition_implILS5_8ELb0ES3_jPKlPS6_PKS6_NS0_5tupleIJPlS6_EEENSE_IJSB_SB_EEENS0_18inequality_wrapperIN6hipcub16HIPCUB_304000_NS8EqualityEEESF_JS6_EEE10hipError_tPvRmT3_T4_T5_T6_T7_T9_mT8_P12ihipStream_tbDpT10_ENKUlT_T0_E_clISt17integral_constantIbLb0EES15_IbLb1EEEEDaS11_S12_EUlS11_E_NS1_11comp_targetILNS1_3genE4ELNS1_11target_archE910ELNS1_3gpuE8ELNS1_3repE0EEENS1_30default_config_static_selectorELNS0_4arch9wavefront6targetE0EEEvT1_,comdat
	.protected	_ZN7rocprim17ROCPRIM_400000_NS6detail17trampoline_kernelINS0_14default_configENS1_25partition_config_selectorILNS1_17partition_subalgoE8ElNS0_10empty_typeEbEEZZNS1_14partition_implILS5_8ELb0ES3_jPKlPS6_PKS6_NS0_5tupleIJPlS6_EEENSE_IJSB_SB_EEENS0_18inequality_wrapperIN6hipcub16HIPCUB_304000_NS8EqualityEEESF_JS6_EEE10hipError_tPvRmT3_T4_T5_T6_T7_T9_mT8_P12ihipStream_tbDpT10_ENKUlT_T0_E_clISt17integral_constantIbLb0EES15_IbLb1EEEEDaS11_S12_EUlS11_E_NS1_11comp_targetILNS1_3genE4ELNS1_11target_archE910ELNS1_3gpuE8ELNS1_3repE0EEENS1_30default_config_static_selectorELNS0_4arch9wavefront6targetE0EEEvT1_ ; -- Begin function _ZN7rocprim17ROCPRIM_400000_NS6detail17trampoline_kernelINS0_14default_configENS1_25partition_config_selectorILNS1_17partition_subalgoE8ElNS0_10empty_typeEbEEZZNS1_14partition_implILS5_8ELb0ES3_jPKlPS6_PKS6_NS0_5tupleIJPlS6_EEENSE_IJSB_SB_EEENS0_18inequality_wrapperIN6hipcub16HIPCUB_304000_NS8EqualityEEESF_JS6_EEE10hipError_tPvRmT3_T4_T5_T6_T7_T9_mT8_P12ihipStream_tbDpT10_ENKUlT_T0_E_clISt17integral_constantIbLb0EES15_IbLb1EEEEDaS11_S12_EUlS11_E_NS1_11comp_targetILNS1_3genE4ELNS1_11target_archE910ELNS1_3gpuE8ELNS1_3repE0EEENS1_30default_config_static_selectorELNS0_4arch9wavefront6targetE0EEEvT1_
	.globl	_ZN7rocprim17ROCPRIM_400000_NS6detail17trampoline_kernelINS0_14default_configENS1_25partition_config_selectorILNS1_17partition_subalgoE8ElNS0_10empty_typeEbEEZZNS1_14partition_implILS5_8ELb0ES3_jPKlPS6_PKS6_NS0_5tupleIJPlS6_EEENSE_IJSB_SB_EEENS0_18inequality_wrapperIN6hipcub16HIPCUB_304000_NS8EqualityEEESF_JS6_EEE10hipError_tPvRmT3_T4_T5_T6_T7_T9_mT8_P12ihipStream_tbDpT10_ENKUlT_T0_E_clISt17integral_constantIbLb0EES15_IbLb1EEEEDaS11_S12_EUlS11_E_NS1_11comp_targetILNS1_3genE4ELNS1_11target_archE910ELNS1_3gpuE8ELNS1_3repE0EEENS1_30default_config_static_selectorELNS0_4arch9wavefront6targetE0EEEvT1_
	.p2align	8
	.type	_ZN7rocprim17ROCPRIM_400000_NS6detail17trampoline_kernelINS0_14default_configENS1_25partition_config_selectorILNS1_17partition_subalgoE8ElNS0_10empty_typeEbEEZZNS1_14partition_implILS5_8ELb0ES3_jPKlPS6_PKS6_NS0_5tupleIJPlS6_EEENSE_IJSB_SB_EEENS0_18inequality_wrapperIN6hipcub16HIPCUB_304000_NS8EqualityEEESF_JS6_EEE10hipError_tPvRmT3_T4_T5_T6_T7_T9_mT8_P12ihipStream_tbDpT10_ENKUlT_T0_E_clISt17integral_constantIbLb0EES15_IbLb1EEEEDaS11_S12_EUlS11_E_NS1_11comp_targetILNS1_3genE4ELNS1_11target_archE910ELNS1_3gpuE8ELNS1_3repE0EEENS1_30default_config_static_selectorELNS0_4arch9wavefront6targetE0EEEvT1_,@function
_ZN7rocprim17ROCPRIM_400000_NS6detail17trampoline_kernelINS0_14default_configENS1_25partition_config_selectorILNS1_17partition_subalgoE8ElNS0_10empty_typeEbEEZZNS1_14partition_implILS5_8ELb0ES3_jPKlPS6_PKS6_NS0_5tupleIJPlS6_EEENSE_IJSB_SB_EEENS0_18inequality_wrapperIN6hipcub16HIPCUB_304000_NS8EqualityEEESF_JS6_EEE10hipError_tPvRmT3_T4_T5_T6_T7_T9_mT8_P12ihipStream_tbDpT10_ENKUlT_T0_E_clISt17integral_constantIbLb0EES15_IbLb1EEEEDaS11_S12_EUlS11_E_NS1_11comp_targetILNS1_3genE4ELNS1_11target_archE910ELNS1_3gpuE8ELNS1_3repE0EEENS1_30default_config_static_selectorELNS0_4arch9wavefront6targetE0EEEvT1_: ; @_ZN7rocprim17ROCPRIM_400000_NS6detail17trampoline_kernelINS0_14default_configENS1_25partition_config_selectorILNS1_17partition_subalgoE8ElNS0_10empty_typeEbEEZZNS1_14partition_implILS5_8ELb0ES3_jPKlPS6_PKS6_NS0_5tupleIJPlS6_EEENSE_IJSB_SB_EEENS0_18inequality_wrapperIN6hipcub16HIPCUB_304000_NS8EqualityEEESF_JS6_EEE10hipError_tPvRmT3_T4_T5_T6_T7_T9_mT8_P12ihipStream_tbDpT10_ENKUlT_T0_E_clISt17integral_constantIbLb0EES15_IbLb1EEEEDaS11_S12_EUlS11_E_NS1_11comp_targetILNS1_3genE4ELNS1_11target_archE910ELNS1_3gpuE8ELNS1_3repE0EEENS1_30default_config_static_selectorELNS0_4arch9wavefront6targetE0EEEvT1_
; %bb.0:
	.section	.rodata,"a",@progbits
	.p2align	6, 0x0
	.amdhsa_kernel _ZN7rocprim17ROCPRIM_400000_NS6detail17trampoline_kernelINS0_14default_configENS1_25partition_config_selectorILNS1_17partition_subalgoE8ElNS0_10empty_typeEbEEZZNS1_14partition_implILS5_8ELb0ES3_jPKlPS6_PKS6_NS0_5tupleIJPlS6_EEENSE_IJSB_SB_EEENS0_18inequality_wrapperIN6hipcub16HIPCUB_304000_NS8EqualityEEESF_JS6_EEE10hipError_tPvRmT3_T4_T5_T6_T7_T9_mT8_P12ihipStream_tbDpT10_ENKUlT_T0_E_clISt17integral_constantIbLb0EES15_IbLb1EEEEDaS11_S12_EUlS11_E_NS1_11comp_targetILNS1_3genE4ELNS1_11target_archE910ELNS1_3gpuE8ELNS1_3repE0EEENS1_30default_config_static_selectorELNS0_4arch9wavefront6targetE0EEEvT1_
		.amdhsa_group_segment_fixed_size 0
		.amdhsa_private_segment_fixed_size 0
		.amdhsa_kernarg_size 128
		.amdhsa_user_sgpr_count 2
		.amdhsa_user_sgpr_dispatch_ptr 0
		.amdhsa_user_sgpr_queue_ptr 0
		.amdhsa_user_sgpr_kernarg_segment_ptr 1
		.amdhsa_user_sgpr_dispatch_id 0
		.amdhsa_user_sgpr_kernarg_preload_length 0
		.amdhsa_user_sgpr_kernarg_preload_offset 0
		.amdhsa_user_sgpr_private_segment_size 0
		.amdhsa_wavefront_size32 1
		.amdhsa_uses_dynamic_stack 0
		.amdhsa_enable_private_segment 0
		.amdhsa_system_sgpr_workgroup_id_x 1
		.amdhsa_system_sgpr_workgroup_id_y 0
		.amdhsa_system_sgpr_workgroup_id_z 0
		.amdhsa_system_sgpr_workgroup_info 0
		.amdhsa_system_vgpr_workitem_id 0
		.amdhsa_next_free_vgpr 1
		.amdhsa_next_free_sgpr 1
		.amdhsa_named_barrier_count 0
		.amdhsa_reserve_vcc 0
		.amdhsa_float_round_mode_32 0
		.amdhsa_float_round_mode_16_64 0
		.amdhsa_float_denorm_mode_32 3
		.amdhsa_float_denorm_mode_16_64 3
		.amdhsa_fp16_overflow 0
		.amdhsa_memory_ordered 1
		.amdhsa_forward_progress 1
		.amdhsa_inst_pref_size 0
		.amdhsa_round_robin_scheduling 0
		.amdhsa_exception_fp_ieee_invalid_op 0
		.amdhsa_exception_fp_denorm_src 0
		.amdhsa_exception_fp_ieee_div_zero 0
		.amdhsa_exception_fp_ieee_overflow 0
		.amdhsa_exception_fp_ieee_underflow 0
		.amdhsa_exception_fp_ieee_inexact 0
		.amdhsa_exception_int_div_zero 0
	.end_amdhsa_kernel
	.section	.text._ZN7rocprim17ROCPRIM_400000_NS6detail17trampoline_kernelINS0_14default_configENS1_25partition_config_selectorILNS1_17partition_subalgoE8ElNS0_10empty_typeEbEEZZNS1_14partition_implILS5_8ELb0ES3_jPKlPS6_PKS6_NS0_5tupleIJPlS6_EEENSE_IJSB_SB_EEENS0_18inequality_wrapperIN6hipcub16HIPCUB_304000_NS8EqualityEEESF_JS6_EEE10hipError_tPvRmT3_T4_T5_T6_T7_T9_mT8_P12ihipStream_tbDpT10_ENKUlT_T0_E_clISt17integral_constantIbLb0EES15_IbLb1EEEEDaS11_S12_EUlS11_E_NS1_11comp_targetILNS1_3genE4ELNS1_11target_archE910ELNS1_3gpuE8ELNS1_3repE0EEENS1_30default_config_static_selectorELNS0_4arch9wavefront6targetE0EEEvT1_,"axG",@progbits,_ZN7rocprim17ROCPRIM_400000_NS6detail17trampoline_kernelINS0_14default_configENS1_25partition_config_selectorILNS1_17partition_subalgoE8ElNS0_10empty_typeEbEEZZNS1_14partition_implILS5_8ELb0ES3_jPKlPS6_PKS6_NS0_5tupleIJPlS6_EEENSE_IJSB_SB_EEENS0_18inequality_wrapperIN6hipcub16HIPCUB_304000_NS8EqualityEEESF_JS6_EEE10hipError_tPvRmT3_T4_T5_T6_T7_T9_mT8_P12ihipStream_tbDpT10_ENKUlT_T0_E_clISt17integral_constantIbLb0EES15_IbLb1EEEEDaS11_S12_EUlS11_E_NS1_11comp_targetILNS1_3genE4ELNS1_11target_archE910ELNS1_3gpuE8ELNS1_3repE0EEENS1_30default_config_static_selectorELNS0_4arch9wavefront6targetE0EEEvT1_,comdat
.Lfunc_end505:
	.size	_ZN7rocprim17ROCPRIM_400000_NS6detail17trampoline_kernelINS0_14default_configENS1_25partition_config_selectorILNS1_17partition_subalgoE8ElNS0_10empty_typeEbEEZZNS1_14partition_implILS5_8ELb0ES3_jPKlPS6_PKS6_NS0_5tupleIJPlS6_EEENSE_IJSB_SB_EEENS0_18inequality_wrapperIN6hipcub16HIPCUB_304000_NS8EqualityEEESF_JS6_EEE10hipError_tPvRmT3_T4_T5_T6_T7_T9_mT8_P12ihipStream_tbDpT10_ENKUlT_T0_E_clISt17integral_constantIbLb0EES15_IbLb1EEEEDaS11_S12_EUlS11_E_NS1_11comp_targetILNS1_3genE4ELNS1_11target_archE910ELNS1_3gpuE8ELNS1_3repE0EEENS1_30default_config_static_selectorELNS0_4arch9wavefront6targetE0EEEvT1_, .Lfunc_end505-_ZN7rocprim17ROCPRIM_400000_NS6detail17trampoline_kernelINS0_14default_configENS1_25partition_config_selectorILNS1_17partition_subalgoE8ElNS0_10empty_typeEbEEZZNS1_14partition_implILS5_8ELb0ES3_jPKlPS6_PKS6_NS0_5tupleIJPlS6_EEENSE_IJSB_SB_EEENS0_18inequality_wrapperIN6hipcub16HIPCUB_304000_NS8EqualityEEESF_JS6_EEE10hipError_tPvRmT3_T4_T5_T6_T7_T9_mT8_P12ihipStream_tbDpT10_ENKUlT_T0_E_clISt17integral_constantIbLb0EES15_IbLb1EEEEDaS11_S12_EUlS11_E_NS1_11comp_targetILNS1_3genE4ELNS1_11target_archE910ELNS1_3gpuE8ELNS1_3repE0EEENS1_30default_config_static_selectorELNS0_4arch9wavefront6targetE0EEEvT1_
                                        ; -- End function
	.set _ZN7rocprim17ROCPRIM_400000_NS6detail17trampoline_kernelINS0_14default_configENS1_25partition_config_selectorILNS1_17partition_subalgoE8ElNS0_10empty_typeEbEEZZNS1_14partition_implILS5_8ELb0ES3_jPKlPS6_PKS6_NS0_5tupleIJPlS6_EEENSE_IJSB_SB_EEENS0_18inequality_wrapperIN6hipcub16HIPCUB_304000_NS8EqualityEEESF_JS6_EEE10hipError_tPvRmT3_T4_T5_T6_T7_T9_mT8_P12ihipStream_tbDpT10_ENKUlT_T0_E_clISt17integral_constantIbLb0EES15_IbLb1EEEEDaS11_S12_EUlS11_E_NS1_11comp_targetILNS1_3genE4ELNS1_11target_archE910ELNS1_3gpuE8ELNS1_3repE0EEENS1_30default_config_static_selectorELNS0_4arch9wavefront6targetE0EEEvT1_.num_vgpr, 0
	.set _ZN7rocprim17ROCPRIM_400000_NS6detail17trampoline_kernelINS0_14default_configENS1_25partition_config_selectorILNS1_17partition_subalgoE8ElNS0_10empty_typeEbEEZZNS1_14partition_implILS5_8ELb0ES3_jPKlPS6_PKS6_NS0_5tupleIJPlS6_EEENSE_IJSB_SB_EEENS0_18inequality_wrapperIN6hipcub16HIPCUB_304000_NS8EqualityEEESF_JS6_EEE10hipError_tPvRmT3_T4_T5_T6_T7_T9_mT8_P12ihipStream_tbDpT10_ENKUlT_T0_E_clISt17integral_constantIbLb0EES15_IbLb1EEEEDaS11_S12_EUlS11_E_NS1_11comp_targetILNS1_3genE4ELNS1_11target_archE910ELNS1_3gpuE8ELNS1_3repE0EEENS1_30default_config_static_selectorELNS0_4arch9wavefront6targetE0EEEvT1_.num_agpr, 0
	.set _ZN7rocprim17ROCPRIM_400000_NS6detail17trampoline_kernelINS0_14default_configENS1_25partition_config_selectorILNS1_17partition_subalgoE8ElNS0_10empty_typeEbEEZZNS1_14partition_implILS5_8ELb0ES3_jPKlPS6_PKS6_NS0_5tupleIJPlS6_EEENSE_IJSB_SB_EEENS0_18inequality_wrapperIN6hipcub16HIPCUB_304000_NS8EqualityEEESF_JS6_EEE10hipError_tPvRmT3_T4_T5_T6_T7_T9_mT8_P12ihipStream_tbDpT10_ENKUlT_T0_E_clISt17integral_constantIbLb0EES15_IbLb1EEEEDaS11_S12_EUlS11_E_NS1_11comp_targetILNS1_3genE4ELNS1_11target_archE910ELNS1_3gpuE8ELNS1_3repE0EEENS1_30default_config_static_selectorELNS0_4arch9wavefront6targetE0EEEvT1_.numbered_sgpr, 0
	.set _ZN7rocprim17ROCPRIM_400000_NS6detail17trampoline_kernelINS0_14default_configENS1_25partition_config_selectorILNS1_17partition_subalgoE8ElNS0_10empty_typeEbEEZZNS1_14partition_implILS5_8ELb0ES3_jPKlPS6_PKS6_NS0_5tupleIJPlS6_EEENSE_IJSB_SB_EEENS0_18inequality_wrapperIN6hipcub16HIPCUB_304000_NS8EqualityEEESF_JS6_EEE10hipError_tPvRmT3_T4_T5_T6_T7_T9_mT8_P12ihipStream_tbDpT10_ENKUlT_T0_E_clISt17integral_constantIbLb0EES15_IbLb1EEEEDaS11_S12_EUlS11_E_NS1_11comp_targetILNS1_3genE4ELNS1_11target_archE910ELNS1_3gpuE8ELNS1_3repE0EEENS1_30default_config_static_selectorELNS0_4arch9wavefront6targetE0EEEvT1_.num_named_barrier, 0
	.set _ZN7rocprim17ROCPRIM_400000_NS6detail17trampoline_kernelINS0_14default_configENS1_25partition_config_selectorILNS1_17partition_subalgoE8ElNS0_10empty_typeEbEEZZNS1_14partition_implILS5_8ELb0ES3_jPKlPS6_PKS6_NS0_5tupleIJPlS6_EEENSE_IJSB_SB_EEENS0_18inequality_wrapperIN6hipcub16HIPCUB_304000_NS8EqualityEEESF_JS6_EEE10hipError_tPvRmT3_T4_T5_T6_T7_T9_mT8_P12ihipStream_tbDpT10_ENKUlT_T0_E_clISt17integral_constantIbLb0EES15_IbLb1EEEEDaS11_S12_EUlS11_E_NS1_11comp_targetILNS1_3genE4ELNS1_11target_archE910ELNS1_3gpuE8ELNS1_3repE0EEENS1_30default_config_static_selectorELNS0_4arch9wavefront6targetE0EEEvT1_.private_seg_size, 0
	.set _ZN7rocprim17ROCPRIM_400000_NS6detail17trampoline_kernelINS0_14default_configENS1_25partition_config_selectorILNS1_17partition_subalgoE8ElNS0_10empty_typeEbEEZZNS1_14partition_implILS5_8ELb0ES3_jPKlPS6_PKS6_NS0_5tupleIJPlS6_EEENSE_IJSB_SB_EEENS0_18inequality_wrapperIN6hipcub16HIPCUB_304000_NS8EqualityEEESF_JS6_EEE10hipError_tPvRmT3_T4_T5_T6_T7_T9_mT8_P12ihipStream_tbDpT10_ENKUlT_T0_E_clISt17integral_constantIbLb0EES15_IbLb1EEEEDaS11_S12_EUlS11_E_NS1_11comp_targetILNS1_3genE4ELNS1_11target_archE910ELNS1_3gpuE8ELNS1_3repE0EEENS1_30default_config_static_selectorELNS0_4arch9wavefront6targetE0EEEvT1_.uses_vcc, 0
	.set _ZN7rocprim17ROCPRIM_400000_NS6detail17trampoline_kernelINS0_14default_configENS1_25partition_config_selectorILNS1_17partition_subalgoE8ElNS0_10empty_typeEbEEZZNS1_14partition_implILS5_8ELb0ES3_jPKlPS6_PKS6_NS0_5tupleIJPlS6_EEENSE_IJSB_SB_EEENS0_18inequality_wrapperIN6hipcub16HIPCUB_304000_NS8EqualityEEESF_JS6_EEE10hipError_tPvRmT3_T4_T5_T6_T7_T9_mT8_P12ihipStream_tbDpT10_ENKUlT_T0_E_clISt17integral_constantIbLb0EES15_IbLb1EEEEDaS11_S12_EUlS11_E_NS1_11comp_targetILNS1_3genE4ELNS1_11target_archE910ELNS1_3gpuE8ELNS1_3repE0EEENS1_30default_config_static_selectorELNS0_4arch9wavefront6targetE0EEEvT1_.uses_flat_scratch, 0
	.set _ZN7rocprim17ROCPRIM_400000_NS6detail17trampoline_kernelINS0_14default_configENS1_25partition_config_selectorILNS1_17partition_subalgoE8ElNS0_10empty_typeEbEEZZNS1_14partition_implILS5_8ELb0ES3_jPKlPS6_PKS6_NS0_5tupleIJPlS6_EEENSE_IJSB_SB_EEENS0_18inequality_wrapperIN6hipcub16HIPCUB_304000_NS8EqualityEEESF_JS6_EEE10hipError_tPvRmT3_T4_T5_T6_T7_T9_mT8_P12ihipStream_tbDpT10_ENKUlT_T0_E_clISt17integral_constantIbLb0EES15_IbLb1EEEEDaS11_S12_EUlS11_E_NS1_11comp_targetILNS1_3genE4ELNS1_11target_archE910ELNS1_3gpuE8ELNS1_3repE0EEENS1_30default_config_static_selectorELNS0_4arch9wavefront6targetE0EEEvT1_.has_dyn_sized_stack, 0
	.set _ZN7rocprim17ROCPRIM_400000_NS6detail17trampoline_kernelINS0_14default_configENS1_25partition_config_selectorILNS1_17partition_subalgoE8ElNS0_10empty_typeEbEEZZNS1_14partition_implILS5_8ELb0ES3_jPKlPS6_PKS6_NS0_5tupleIJPlS6_EEENSE_IJSB_SB_EEENS0_18inequality_wrapperIN6hipcub16HIPCUB_304000_NS8EqualityEEESF_JS6_EEE10hipError_tPvRmT3_T4_T5_T6_T7_T9_mT8_P12ihipStream_tbDpT10_ENKUlT_T0_E_clISt17integral_constantIbLb0EES15_IbLb1EEEEDaS11_S12_EUlS11_E_NS1_11comp_targetILNS1_3genE4ELNS1_11target_archE910ELNS1_3gpuE8ELNS1_3repE0EEENS1_30default_config_static_selectorELNS0_4arch9wavefront6targetE0EEEvT1_.has_recursion, 0
	.set _ZN7rocprim17ROCPRIM_400000_NS6detail17trampoline_kernelINS0_14default_configENS1_25partition_config_selectorILNS1_17partition_subalgoE8ElNS0_10empty_typeEbEEZZNS1_14partition_implILS5_8ELb0ES3_jPKlPS6_PKS6_NS0_5tupleIJPlS6_EEENSE_IJSB_SB_EEENS0_18inequality_wrapperIN6hipcub16HIPCUB_304000_NS8EqualityEEESF_JS6_EEE10hipError_tPvRmT3_T4_T5_T6_T7_T9_mT8_P12ihipStream_tbDpT10_ENKUlT_T0_E_clISt17integral_constantIbLb0EES15_IbLb1EEEEDaS11_S12_EUlS11_E_NS1_11comp_targetILNS1_3genE4ELNS1_11target_archE910ELNS1_3gpuE8ELNS1_3repE0EEENS1_30default_config_static_selectorELNS0_4arch9wavefront6targetE0EEEvT1_.has_indirect_call, 0
	.section	.AMDGPU.csdata,"",@progbits
; Kernel info:
; codeLenInByte = 0
; TotalNumSgprs: 0
; NumVgprs: 0
; ScratchSize: 0
; MemoryBound: 0
; FloatMode: 240
; IeeeMode: 1
; LDSByteSize: 0 bytes/workgroup (compile time only)
; SGPRBlocks: 0
; VGPRBlocks: 0
; NumSGPRsForWavesPerEU: 1
; NumVGPRsForWavesPerEU: 1
; NamedBarCnt: 0
; Occupancy: 16
; WaveLimiterHint : 0
; COMPUTE_PGM_RSRC2:SCRATCH_EN: 0
; COMPUTE_PGM_RSRC2:USER_SGPR: 2
; COMPUTE_PGM_RSRC2:TRAP_HANDLER: 0
; COMPUTE_PGM_RSRC2:TGID_X_EN: 1
; COMPUTE_PGM_RSRC2:TGID_Y_EN: 0
; COMPUTE_PGM_RSRC2:TGID_Z_EN: 0
; COMPUTE_PGM_RSRC2:TIDIG_COMP_CNT: 0
	.section	.text._ZN7rocprim17ROCPRIM_400000_NS6detail17trampoline_kernelINS0_14default_configENS1_25partition_config_selectorILNS1_17partition_subalgoE8ElNS0_10empty_typeEbEEZZNS1_14partition_implILS5_8ELb0ES3_jPKlPS6_PKS6_NS0_5tupleIJPlS6_EEENSE_IJSB_SB_EEENS0_18inequality_wrapperIN6hipcub16HIPCUB_304000_NS8EqualityEEESF_JS6_EEE10hipError_tPvRmT3_T4_T5_T6_T7_T9_mT8_P12ihipStream_tbDpT10_ENKUlT_T0_E_clISt17integral_constantIbLb0EES15_IbLb1EEEEDaS11_S12_EUlS11_E_NS1_11comp_targetILNS1_3genE3ELNS1_11target_archE908ELNS1_3gpuE7ELNS1_3repE0EEENS1_30default_config_static_selectorELNS0_4arch9wavefront6targetE0EEEvT1_,"axG",@progbits,_ZN7rocprim17ROCPRIM_400000_NS6detail17trampoline_kernelINS0_14default_configENS1_25partition_config_selectorILNS1_17partition_subalgoE8ElNS0_10empty_typeEbEEZZNS1_14partition_implILS5_8ELb0ES3_jPKlPS6_PKS6_NS0_5tupleIJPlS6_EEENSE_IJSB_SB_EEENS0_18inequality_wrapperIN6hipcub16HIPCUB_304000_NS8EqualityEEESF_JS6_EEE10hipError_tPvRmT3_T4_T5_T6_T7_T9_mT8_P12ihipStream_tbDpT10_ENKUlT_T0_E_clISt17integral_constantIbLb0EES15_IbLb1EEEEDaS11_S12_EUlS11_E_NS1_11comp_targetILNS1_3genE3ELNS1_11target_archE908ELNS1_3gpuE7ELNS1_3repE0EEENS1_30default_config_static_selectorELNS0_4arch9wavefront6targetE0EEEvT1_,comdat
	.protected	_ZN7rocprim17ROCPRIM_400000_NS6detail17trampoline_kernelINS0_14default_configENS1_25partition_config_selectorILNS1_17partition_subalgoE8ElNS0_10empty_typeEbEEZZNS1_14partition_implILS5_8ELb0ES3_jPKlPS6_PKS6_NS0_5tupleIJPlS6_EEENSE_IJSB_SB_EEENS0_18inequality_wrapperIN6hipcub16HIPCUB_304000_NS8EqualityEEESF_JS6_EEE10hipError_tPvRmT3_T4_T5_T6_T7_T9_mT8_P12ihipStream_tbDpT10_ENKUlT_T0_E_clISt17integral_constantIbLb0EES15_IbLb1EEEEDaS11_S12_EUlS11_E_NS1_11comp_targetILNS1_3genE3ELNS1_11target_archE908ELNS1_3gpuE7ELNS1_3repE0EEENS1_30default_config_static_selectorELNS0_4arch9wavefront6targetE0EEEvT1_ ; -- Begin function _ZN7rocprim17ROCPRIM_400000_NS6detail17trampoline_kernelINS0_14default_configENS1_25partition_config_selectorILNS1_17partition_subalgoE8ElNS0_10empty_typeEbEEZZNS1_14partition_implILS5_8ELb0ES3_jPKlPS6_PKS6_NS0_5tupleIJPlS6_EEENSE_IJSB_SB_EEENS0_18inequality_wrapperIN6hipcub16HIPCUB_304000_NS8EqualityEEESF_JS6_EEE10hipError_tPvRmT3_T4_T5_T6_T7_T9_mT8_P12ihipStream_tbDpT10_ENKUlT_T0_E_clISt17integral_constantIbLb0EES15_IbLb1EEEEDaS11_S12_EUlS11_E_NS1_11comp_targetILNS1_3genE3ELNS1_11target_archE908ELNS1_3gpuE7ELNS1_3repE0EEENS1_30default_config_static_selectorELNS0_4arch9wavefront6targetE0EEEvT1_
	.globl	_ZN7rocprim17ROCPRIM_400000_NS6detail17trampoline_kernelINS0_14default_configENS1_25partition_config_selectorILNS1_17partition_subalgoE8ElNS0_10empty_typeEbEEZZNS1_14partition_implILS5_8ELb0ES3_jPKlPS6_PKS6_NS0_5tupleIJPlS6_EEENSE_IJSB_SB_EEENS0_18inequality_wrapperIN6hipcub16HIPCUB_304000_NS8EqualityEEESF_JS6_EEE10hipError_tPvRmT3_T4_T5_T6_T7_T9_mT8_P12ihipStream_tbDpT10_ENKUlT_T0_E_clISt17integral_constantIbLb0EES15_IbLb1EEEEDaS11_S12_EUlS11_E_NS1_11comp_targetILNS1_3genE3ELNS1_11target_archE908ELNS1_3gpuE7ELNS1_3repE0EEENS1_30default_config_static_selectorELNS0_4arch9wavefront6targetE0EEEvT1_
	.p2align	8
	.type	_ZN7rocprim17ROCPRIM_400000_NS6detail17trampoline_kernelINS0_14default_configENS1_25partition_config_selectorILNS1_17partition_subalgoE8ElNS0_10empty_typeEbEEZZNS1_14partition_implILS5_8ELb0ES3_jPKlPS6_PKS6_NS0_5tupleIJPlS6_EEENSE_IJSB_SB_EEENS0_18inequality_wrapperIN6hipcub16HIPCUB_304000_NS8EqualityEEESF_JS6_EEE10hipError_tPvRmT3_T4_T5_T6_T7_T9_mT8_P12ihipStream_tbDpT10_ENKUlT_T0_E_clISt17integral_constantIbLb0EES15_IbLb1EEEEDaS11_S12_EUlS11_E_NS1_11comp_targetILNS1_3genE3ELNS1_11target_archE908ELNS1_3gpuE7ELNS1_3repE0EEENS1_30default_config_static_selectorELNS0_4arch9wavefront6targetE0EEEvT1_,@function
_ZN7rocprim17ROCPRIM_400000_NS6detail17trampoline_kernelINS0_14default_configENS1_25partition_config_selectorILNS1_17partition_subalgoE8ElNS0_10empty_typeEbEEZZNS1_14partition_implILS5_8ELb0ES3_jPKlPS6_PKS6_NS0_5tupleIJPlS6_EEENSE_IJSB_SB_EEENS0_18inequality_wrapperIN6hipcub16HIPCUB_304000_NS8EqualityEEESF_JS6_EEE10hipError_tPvRmT3_T4_T5_T6_T7_T9_mT8_P12ihipStream_tbDpT10_ENKUlT_T0_E_clISt17integral_constantIbLb0EES15_IbLb1EEEEDaS11_S12_EUlS11_E_NS1_11comp_targetILNS1_3genE3ELNS1_11target_archE908ELNS1_3gpuE7ELNS1_3repE0EEENS1_30default_config_static_selectorELNS0_4arch9wavefront6targetE0EEEvT1_: ; @_ZN7rocprim17ROCPRIM_400000_NS6detail17trampoline_kernelINS0_14default_configENS1_25partition_config_selectorILNS1_17partition_subalgoE8ElNS0_10empty_typeEbEEZZNS1_14partition_implILS5_8ELb0ES3_jPKlPS6_PKS6_NS0_5tupleIJPlS6_EEENSE_IJSB_SB_EEENS0_18inequality_wrapperIN6hipcub16HIPCUB_304000_NS8EqualityEEESF_JS6_EEE10hipError_tPvRmT3_T4_T5_T6_T7_T9_mT8_P12ihipStream_tbDpT10_ENKUlT_T0_E_clISt17integral_constantIbLb0EES15_IbLb1EEEEDaS11_S12_EUlS11_E_NS1_11comp_targetILNS1_3genE3ELNS1_11target_archE908ELNS1_3gpuE7ELNS1_3repE0EEENS1_30default_config_static_selectorELNS0_4arch9wavefront6targetE0EEEvT1_
; %bb.0:
	.section	.rodata,"a",@progbits
	.p2align	6, 0x0
	.amdhsa_kernel _ZN7rocprim17ROCPRIM_400000_NS6detail17trampoline_kernelINS0_14default_configENS1_25partition_config_selectorILNS1_17partition_subalgoE8ElNS0_10empty_typeEbEEZZNS1_14partition_implILS5_8ELb0ES3_jPKlPS6_PKS6_NS0_5tupleIJPlS6_EEENSE_IJSB_SB_EEENS0_18inequality_wrapperIN6hipcub16HIPCUB_304000_NS8EqualityEEESF_JS6_EEE10hipError_tPvRmT3_T4_T5_T6_T7_T9_mT8_P12ihipStream_tbDpT10_ENKUlT_T0_E_clISt17integral_constantIbLb0EES15_IbLb1EEEEDaS11_S12_EUlS11_E_NS1_11comp_targetILNS1_3genE3ELNS1_11target_archE908ELNS1_3gpuE7ELNS1_3repE0EEENS1_30default_config_static_selectorELNS0_4arch9wavefront6targetE0EEEvT1_
		.amdhsa_group_segment_fixed_size 0
		.amdhsa_private_segment_fixed_size 0
		.amdhsa_kernarg_size 128
		.amdhsa_user_sgpr_count 2
		.amdhsa_user_sgpr_dispatch_ptr 0
		.amdhsa_user_sgpr_queue_ptr 0
		.amdhsa_user_sgpr_kernarg_segment_ptr 1
		.amdhsa_user_sgpr_dispatch_id 0
		.amdhsa_user_sgpr_kernarg_preload_length 0
		.amdhsa_user_sgpr_kernarg_preload_offset 0
		.amdhsa_user_sgpr_private_segment_size 0
		.amdhsa_wavefront_size32 1
		.amdhsa_uses_dynamic_stack 0
		.amdhsa_enable_private_segment 0
		.amdhsa_system_sgpr_workgroup_id_x 1
		.amdhsa_system_sgpr_workgroup_id_y 0
		.amdhsa_system_sgpr_workgroup_id_z 0
		.amdhsa_system_sgpr_workgroup_info 0
		.amdhsa_system_vgpr_workitem_id 0
		.amdhsa_next_free_vgpr 1
		.amdhsa_next_free_sgpr 1
		.amdhsa_named_barrier_count 0
		.amdhsa_reserve_vcc 0
		.amdhsa_float_round_mode_32 0
		.amdhsa_float_round_mode_16_64 0
		.amdhsa_float_denorm_mode_32 3
		.amdhsa_float_denorm_mode_16_64 3
		.amdhsa_fp16_overflow 0
		.amdhsa_memory_ordered 1
		.amdhsa_forward_progress 1
		.amdhsa_inst_pref_size 0
		.amdhsa_round_robin_scheduling 0
		.amdhsa_exception_fp_ieee_invalid_op 0
		.amdhsa_exception_fp_denorm_src 0
		.amdhsa_exception_fp_ieee_div_zero 0
		.amdhsa_exception_fp_ieee_overflow 0
		.amdhsa_exception_fp_ieee_underflow 0
		.amdhsa_exception_fp_ieee_inexact 0
		.amdhsa_exception_int_div_zero 0
	.end_amdhsa_kernel
	.section	.text._ZN7rocprim17ROCPRIM_400000_NS6detail17trampoline_kernelINS0_14default_configENS1_25partition_config_selectorILNS1_17partition_subalgoE8ElNS0_10empty_typeEbEEZZNS1_14partition_implILS5_8ELb0ES3_jPKlPS6_PKS6_NS0_5tupleIJPlS6_EEENSE_IJSB_SB_EEENS0_18inequality_wrapperIN6hipcub16HIPCUB_304000_NS8EqualityEEESF_JS6_EEE10hipError_tPvRmT3_T4_T5_T6_T7_T9_mT8_P12ihipStream_tbDpT10_ENKUlT_T0_E_clISt17integral_constantIbLb0EES15_IbLb1EEEEDaS11_S12_EUlS11_E_NS1_11comp_targetILNS1_3genE3ELNS1_11target_archE908ELNS1_3gpuE7ELNS1_3repE0EEENS1_30default_config_static_selectorELNS0_4arch9wavefront6targetE0EEEvT1_,"axG",@progbits,_ZN7rocprim17ROCPRIM_400000_NS6detail17trampoline_kernelINS0_14default_configENS1_25partition_config_selectorILNS1_17partition_subalgoE8ElNS0_10empty_typeEbEEZZNS1_14partition_implILS5_8ELb0ES3_jPKlPS6_PKS6_NS0_5tupleIJPlS6_EEENSE_IJSB_SB_EEENS0_18inequality_wrapperIN6hipcub16HIPCUB_304000_NS8EqualityEEESF_JS6_EEE10hipError_tPvRmT3_T4_T5_T6_T7_T9_mT8_P12ihipStream_tbDpT10_ENKUlT_T0_E_clISt17integral_constantIbLb0EES15_IbLb1EEEEDaS11_S12_EUlS11_E_NS1_11comp_targetILNS1_3genE3ELNS1_11target_archE908ELNS1_3gpuE7ELNS1_3repE0EEENS1_30default_config_static_selectorELNS0_4arch9wavefront6targetE0EEEvT1_,comdat
.Lfunc_end506:
	.size	_ZN7rocprim17ROCPRIM_400000_NS6detail17trampoline_kernelINS0_14default_configENS1_25partition_config_selectorILNS1_17partition_subalgoE8ElNS0_10empty_typeEbEEZZNS1_14partition_implILS5_8ELb0ES3_jPKlPS6_PKS6_NS0_5tupleIJPlS6_EEENSE_IJSB_SB_EEENS0_18inequality_wrapperIN6hipcub16HIPCUB_304000_NS8EqualityEEESF_JS6_EEE10hipError_tPvRmT3_T4_T5_T6_T7_T9_mT8_P12ihipStream_tbDpT10_ENKUlT_T0_E_clISt17integral_constantIbLb0EES15_IbLb1EEEEDaS11_S12_EUlS11_E_NS1_11comp_targetILNS1_3genE3ELNS1_11target_archE908ELNS1_3gpuE7ELNS1_3repE0EEENS1_30default_config_static_selectorELNS0_4arch9wavefront6targetE0EEEvT1_, .Lfunc_end506-_ZN7rocprim17ROCPRIM_400000_NS6detail17trampoline_kernelINS0_14default_configENS1_25partition_config_selectorILNS1_17partition_subalgoE8ElNS0_10empty_typeEbEEZZNS1_14partition_implILS5_8ELb0ES3_jPKlPS6_PKS6_NS0_5tupleIJPlS6_EEENSE_IJSB_SB_EEENS0_18inequality_wrapperIN6hipcub16HIPCUB_304000_NS8EqualityEEESF_JS6_EEE10hipError_tPvRmT3_T4_T5_T6_T7_T9_mT8_P12ihipStream_tbDpT10_ENKUlT_T0_E_clISt17integral_constantIbLb0EES15_IbLb1EEEEDaS11_S12_EUlS11_E_NS1_11comp_targetILNS1_3genE3ELNS1_11target_archE908ELNS1_3gpuE7ELNS1_3repE0EEENS1_30default_config_static_selectorELNS0_4arch9wavefront6targetE0EEEvT1_
                                        ; -- End function
	.set _ZN7rocprim17ROCPRIM_400000_NS6detail17trampoline_kernelINS0_14default_configENS1_25partition_config_selectorILNS1_17partition_subalgoE8ElNS0_10empty_typeEbEEZZNS1_14partition_implILS5_8ELb0ES3_jPKlPS6_PKS6_NS0_5tupleIJPlS6_EEENSE_IJSB_SB_EEENS0_18inequality_wrapperIN6hipcub16HIPCUB_304000_NS8EqualityEEESF_JS6_EEE10hipError_tPvRmT3_T4_T5_T6_T7_T9_mT8_P12ihipStream_tbDpT10_ENKUlT_T0_E_clISt17integral_constantIbLb0EES15_IbLb1EEEEDaS11_S12_EUlS11_E_NS1_11comp_targetILNS1_3genE3ELNS1_11target_archE908ELNS1_3gpuE7ELNS1_3repE0EEENS1_30default_config_static_selectorELNS0_4arch9wavefront6targetE0EEEvT1_.num_vgpr, 0
	.set _ZN7rocprim17ROCPRIM_400000_NS6detail17trampoline_kernelINS0_14default_configENS1_25partition_config_selectorILNS1_17partition_subalgoE8ElNS0_10empty_typeEbEEZZNS1_14partition_implILS5_8ELb0ES3_jPKlPS6_PKS6_NS0_5tupleIJPlS6_EEENSE_IJSB_SB_EEENS0_18inequality_wrapperIN6hipcub16HIPCUB_304000_NS8EqualityEEESF_JS6_EEE10hipError_tPvRmT3_T4_T5_T6_T7_T9_mT8_P12ihipStream_tbDpT10_ENKUlT_T0_E_clISt17integral_constantIbLb0EES15_IbLb1EEEEDaS11_S12_EUlS11_E_NS1_11comp_targetILNS1_3genE3ELNS1_11target_archE908ELNS1_3gpuE7ELNS1_3repE0EEENS1_30default_config_static_selectorELNS0_4arch9wavefront6targetE0EEEvT1_.num_agpr, 0
	.set _ZN7rocprim17ROCPRIM_400000_NS6detail17trampoline_kernelINS0_14default_configENS1_25partition_config_selectorILNS1_17partition_subalgoE8ElNS0_10empty_typeEbEEZZNS1_14partition_implILS5_8ELb0ES3_jPKlPS6_PKS6_NS0_5tupleIJPlS6_EEENSE_IJSB_SB_EEENS0_18inequality_wrapperIN6hipcub16HIPCUB_304000_NS8EqualityEEESF_JS6_EEE10hipError_tPvRmT3_T4_T5_T6_T7_T9_mT8_P12ihipStream_tbDpT10_ENKUlT_T0_E_clISt17integral_constantIbLb0EES15_IbLb1EEEEDaS11_S12_EUlS11_E_NS1_11comp_targetILNS1_3genE3ELNS1_11target_archE908ELNS1_3gpuE7ELNS1_3repE0EEENS1_30default_config_static_selectorELNS0_4arch9wavefront6targetE0EEEvT1_.numbered_sgpr, 0
	.set _ZN7rocprim17ROCPRIM_400000_NS6detail17trampoline_kernelINS0_14default_configENS1_25partition_config_selectorILNS1_17partition_subalgoE8ElNS0_10empty_typeEbEEZZNS1_14partition_implILS5_8ELb0ES3_jPKlPS6_PKS6_NS0_5tupleIJPlS6_EEENSE_IJSB_SB_EEENS0_18inequality_wrapperIN6hipcub16HIPCUB_304000_NS8EqualityEEESF_JS6_EEE10hipError_tPvRmT3_T4_T5_T6_T7_T9_mT8_P12ihipStream_tbDpT10_ENKUlT_T0_E_clISt17integral_constantIbLb0EES15_IbLb1EEEEDaS11_S12_EUlS11_E_NS1_11comp_targetILNS1_3genE3ELNS1_11target_archE908ELNS1_3gpuE7ELNS1_3repE0EEENS1_30default_config_static_selectorELNS0_4arch9wavefront6targetE0EEEvT1_.num_named_barrier, 0
	.set _ZN7rocprim17ROCPRIM_400000_NS6detail17trampoline_kernelINS0_14default_configENS1_25partition_config_selectorILNS1_17partition_subalgoE8ElNS0_10empty_typeEbEEZZNS1_14partition_implILS5_8ELb0ES3_jPKlPS6_PKS6_NS0_5tupleIJPlS6_EEENSE_IJSB_SB_EEENS0_18inequality_wrapperIN6hipcub16HIPCUB_304000_NS8EqualityEEESF_JS6_EEE10hipError_tPvRmT3_T4_T5_T6_T7_T9_mT8_P12ihipStream_tbDpT10_ENKUlT_T0_E_clISt17integral_constantIbLb0EES15_IbLb1EEEEDaS11_S12_EUlS11_E_NS1_11comp_targetILNS1_3genE3ELNS1_11target_archE908ELNS1_3gpuE7ELNS1_3repE0EEENS1_30default_config_static_selectorELNS0_4arch9wavefront6targetE0EEEvT1_.private_seg_size, 0
	.set _ZN7rocprim17ROCPRIM_400000_NS6detail17trampoline_kernelINS0_14default_configENS1_25partition_config_selectorILNS1_17partition_subalgoE8ElNS0_10empty_typeEbEEZZNS1_14partition_implILS5_8ELb0ES3_jPKlPS6_PKS6_NS0_5tupleIJPlS6_EEENSE_IJSB_SB_EEENS0_18inequality_wrapperIN6hipcub16HIPCUB_304000_NS8EqualityEEESF_JS6_EEE10hipError_tPvRmT3_T4_T5_T6_T7_T9_mT8_P12ihipStream_tbDpT10_ENKUlT_T0_E_clISt17integral_constantIbLb0EES15_IbLb1EEEEDaS11_S12_EUlS11_E_NS1_11comp_targetILNS1_3genE3ELNS1_11target_archE908ELNS1_3gpuE7ELNS1_3repE0EEENS1_30default_config_static_selectorELNS0_4arch9wavefront6targetE0EEEvT1_.uses_vcc, 0
	.set _ZN7rocprim17ROCPRIM_400000_NS6detail17trampoline_kernelINS0_14default_configENS1_25partition_config_selectorILNS1_17partition_subalgoE8ElNS0_10empty_typeEbEEZZNS1_14partition_implILS5_8ELb0ES3_jPKlPS6_PKS6_NS0_5tupleIJPlS6_EEENSE_IJSB_SB_EEENS0_18inequality_wrapperIN6hipcub16HIPCUB_304000_NS8EqualityEEESF_JS6_EEE10hipError_tPvRmT3_T4_T5_T6_T7_T9_mT8_P12ihipStream_tbDpT10_ENKUlT_T0_E_clISt17integral_constantIbLb0EES15_IbLb1EEEEDaS11_S12_EUlS11_E_NS1_11comp_targetILNS1_3genE3ELNS1_11target_archE908ELNS1_3gpuE7ELNS1_3repE0EEENS1_30default_config_static_selectorELNS0_4arch9wavefront6targetE0EEEvT1_.uses_flat_scratch, 0
	.set _ZN7rocprim17ROCPRIM_400000_NS6detail17trampoline_kernelINS0_14default_configENS1_25partition_config_selectorILNS1_17partition_subalgoE8ElNS0_10empty_typeEbEEZZNS1_14partition_implILS5_8ELb0ES3_jPKlPS6_PKS6_NS0_5tupleIJPlS6_EEENSE_IJSB_SB_EEENS0_18inequality_wrapperIN6hipcub16HIPCUB_304000_NS8EqualityEEESF_JS6_EEE10hipError_tPvRmT3_T4_T5_T6_T7_T9_mT8_P12ihipStream_tbDpT10_ENKUlT_T0_E_clISt17integral_constantIbLb0EES15_IbLb1EEEEDaS11_S12_EUlS11_E_NS1_11comp_targetILNS1_3genE3ELNS1_11target_archE908ELNS1_3gpuE7ELNS1_3repE0EEENS1_30default_config_static_selectorELNS0_4arch9wavefront6targetE0EEEvT1_.has_dyn_sized_stack, 0
	.set _ZN7rocprim17ROCPRIM_400000_NS6detail17trampoline_kernelINS0_14default_configENS1_25partition_config_selectorILNS1_17partition_subalgoE8ElNS0_10empty_typeEbEEZZNS1_14partition_implILS5_8ELb0ES3_jPKlPS6_PKS6_NS0_5tupleIJPlS6_EEENSE_IJSB_SB_EEENS0_18inequality_wrapperIN6hipcub16HIPCUB_304000_NS8EqualityEEESF_JS6_EEE10hipError_tPvRmT3_T4_T5_T6_T7_T9_mT8_P12ihipStream_tbDpT10_ENKUlT_T0_E_clISt17integral_constantIbLb0EES15_IbLb1EEEEDaS11_S12_EUlS11_E_NS1_11comp_targetILNS1_3genE3ELNS1_11target_archE908ELNS1_3gpuE7ELNS1_3repE0EEENS1_30default_config_static_selectorELNS0_4arch9wavefront6targetE0EEEvT1_.has_recursion, 0
	.set _ZN7rocprim17ROCPRIM_400000_NS6detail17trampoline_kernelINS0_14default_configENS1_25partition_config_selectorILNS1_17partition_subalgoE8ElNS0_10empty_typeEbEEZZNS1_14partition_implILS5_8ELb0ES3_jPKlPS6_PKS6_NS0_5tupleIJPlS6_EEENSE_IJSB_SB_EEENS0_18inequality_wrapperIN6hipcub16HIPCUB_304000_NS8EqualityEEESF_JS6_EEE10hipError_tPvRmT3_T4_T5_T6_T7_T9_mT8_P12ihipStream_tbDpT10_ENKUlT_T0_E_clISt17integral_constantIbLb0EES15_IbLb1EEEEDaS11_S12_EUlS11_E_NS1_11comp_targetILNS1_3genE3ELNS1_11target_archE908ELNS1_3gpuE7ELNS1_3repE0EEENS1_30default_config_static_selectorELNS0_4arch9wavefront6targetE0EEEvT1_.has_indirect_call, 0
	.section	.AMDGPU.csdata,"",@progbits
; Kernel info:
; codeLenInByte = 0
; TotalNumSgprs: 0
; NumVgprs: 0
; ScratchSize: 0
; MemoryBound: 0
; FloatMode: 240
; IeeeMode: 1
; LDSByteSize: 0 bytes/workgroup (compile time only)
; SGPRBlocks: 0
; VGPRBlocks: 0
; NumSGPRsForWavesPerEU: 1
; NumVGPRsForWavesPerEU: 1
; NamedBarCnt: 0
; Occupancy: 16
; WaveLimiterHint : 0
; COMPUTE_PGM_RSRC2:SCRATCH_EN: 0
; COMPUTE_PGM_RSRC2:USER_SGPR: 2
; COMPUTE_PGM_RSRC2:TRAP_HANDLER: 0
; COMPUTE_PGM_RSRC2:TGID_X_EN: 1
; COMPUTE_PGM_RSRC2:TGID_Y_EN: 0
; COMPUTE_PGM_RSRC2:TGID_Z_EN: 0
; COMPUTE_PGM_RSRC2:TIDIG_COMP_CNT: 0
	.section	.text._ZN7rocprim17ROCPRIM_400000_NS6detail17trampoline_kernelINS0_14default_configENS1_25partition_config_selectorILNS1_17partition_subalgoE8ElNS0_10empty_typeEbEEZZNS1_14partition_implILS5_8ELb0ES3_jPKlPS6_PKS6_NS0_5tupleIJPlS6_EEENSE_IJSB_SB_EEENS0_18inequality_wrapperIN6hipcub16HIPCUB_304000_NS8EqualityEEESF_JS6_EEE10hipError_tPvRmT3_T4_T5_T6_T7_T9_mT8_P12ihipStream_tbDpT10_ENKUlT_T0_E_clISt17integral_constantIbLb0EES15_IbLb1EEEEDaS11_S12_EUlS11_E_NS1_11comp_targetILNS1_3genE2ELNS1_11target_archE906ELNS1_3gpuE6ELNS1_3repE0EEENS1_30default_config_static_selectorELNS0_4arch9wavefront6targetE0EEEvT1_,"axG",@progbits,_ZN7rocprim17ROCPRIM_400000_NS6detail17trampoline_kernelINS0_14default_configENS1_25partition_config_selectorILNS1_17partition_subalgoE8ElNS0_10empty_typeEbEEZZNS1_14partition_implILS5_8ELb0ES3_jPKlPS6_PKS6_NS0_5tupleIJPlS6_EEENSE_IJSB_SB_EEENS0_18inequality_wrapperIN6hipcub16HIPCUB_304000_NS8EqualityEEESF_JS6_EEE10hipError_tPvRmT3_T4_T5_T6_T7_T9_mT8_P12ihipStream_tbDpT10_ENKUlT_T0_E_clISt17integral_constantIbLb0EES15_IbLb1EEEEDaS11_S12_EUlS11_E_NS1_11comp_targetILNS1_3genE2ELNS1_11target_archE906ELNS1_3gpuE6ELNS1_3repE0EEENS1_30default_config_static_selectorELNS0_4arch9wavefront6targetE0EEEvT1_,comdat
	.protected	_ZN7rocprim17ROCPRIM_400000_NS6detail17trampoline_kernelINS0_14default_configENS1_25partition_config_selectorILNS1_17partition_subalgoE8ElNS0_10empty_typeEbEEZZNS1_14partition_implILS5_8ELb0ES3_jPKlPS6_PKS6_NS0_5tupleIJPlS6_EEENSE_IJSB_SB_EEENS0_18inequality_wrapperIN6hipcub16HIPCUB_304000_NS8EqualityEEESF_JS6_EEE10hipError_tPvRmT3_T4_T5_T6_T7_T9_mT8_P12ihipStream_tbDpT10_ENKUlT_T0_E_clISt17integral_constantIbLb0EES15_IbLb1EEEEDaS11_S12_EUlS11_E_NS1_11comp_targetILNS1_3genE2ELNS1_11target_archE906ELNS1_3gpuE6ELNS1_3repE0EEENS1_30default_config_static_selectorELNS0_4arch9wavefront6targetE0EEEvT1_ ; -- Begin function _ZN7rocprim17ROCPRIM_400000_NS6detail17trampoline_kernelINS0_14default_configENS1_25partition_config_selectorILNS1_17partition_subalgoE8ElNS0_10empty_typeEbEEZZNS1_14partition_implILS5_8ELb0ES3_jPKlPS6_PKS6_NS0_5tupleIJPlS6_EEENSE_IJSB_SB_EEENS0_18inequality_wrapperIN6hipcub16HIPCUB_304000_NS8EqualityEEESF_JS6_EEE10hipError_tPvRmT3_T4_T5_T6_T7_T9_mT8_P12ihipStream_tbDpT10_ENKUlT_T0_E_clISt17integral_constantIbLb0EES15_IbLb1EEEEDaS11_S12_EUlS11_E_NS1_11comp_targetILNS1_3genE2ELNS1_11target_archE906ELNS1_3gpuE6ELNS1_3repE0EEENS1_30default_config_static_selectorELNS0_4arch9wavefront6targetE0EEEvT1_
	.globl	_ZN7rocprim17ROCPRIM_400000_NS6detail17trampoline_kernelINS0_14default_configENS1_25partition_config_selectorILNS1_17partition_subalgoE8ElNS0_10empty_typeEbEEZZNS1_14partition_implILS5_8ELb0ES3_jPKlPS6_PKS6_NS0_5tupleIJPlS6_EEENSE_IJSB_SB_EEENS0_18inequality_wrapperIN6hipcub16HIPCUB_304000_NS8EqualityEEESF_JS6_EEE10hipError_tPvRmT3_T4_T5_T6_T7_T9_mT8_P12ihipStream_tbDpT10_ENKUlT_T0_E_clISt17integral_constantIbLb0EES15_IbLb1EEEEDaS11_S12_EUlS11_E_NS1_11comp_targetILNS1_3genE2ELNS1_11target_archE906ELNS1_3gpuE6ELNS1_3repE0EEENS1_30default_config_static_selectorELNS0_4arch9wavefront6targetE0EEEvT1_
	.p2align	8
	.type	_ZN7rocprim17ROCPRIM_400000_NS6detail17trampoline_kernelINS0_14default_configENS1_25partition_config_selectorILNS1_17partition_subalgoE8ElNS0_10empty_typeEbEEZZNS1_14partition_implILS5_8ELb0ES3_jPKlPS6_PKS6_NS0_5tupleIJPlS6_EEENSE_IJSB_SB_EEENS0_18inequality_wrapperIN6hipcub16HIPCUB_304000_NS8EqualityEEESF_JS6_EEE10hipError_tPvRmT3_T4_T5_T6_T7_T9_mT8_P12ihipStream_tbDpT10_ENKUlT_T0_E_clISt17integral_constantIbLb0EES15_IbLb1EEEEDaS11_S12_EUlS11_E_NS1_11comp_targetILNS1_3genE2ELNS1_11target_archE906ELNS1_3gpuE6ELNS1_3repE0EEENS1_30default_config_static_selectorELNS0_4arch9wavefront6targetE0EEEvT1_,@function
_ZN7rocprim17ROCPRIM_400000_NS6detail17trampoline_kernelINS0_14default_configENS1_25partition_config_selectorILNS1_17partition_subalgoE8ElNS0_10empty_typeEbEEZZNS1_14partition_implILS5_8ELb0ES3_jPKlPS6_PKS6_NS0_5tupleIJPlS6_EEENSE_IJSB_SB_EEENS0_18inequality_wrapperIN6hipcub16HIPCUB_304000_NS8EqualityEEESF_JS6_EEE10hipError_tPvRmT3_T4_T5_T6_T7_T9_mT8_P12ihipStream_tbDpT10_ENKUlT_T0_E_clISt17integral_constantIbLb0EES15_IbLb1EEEEDaS11_S12_EUlS11_E_NS1_11comp_targetILNS1_3genE2ELNS1_11target_archE906ELNS1_3gpuE6ELNS1_3repE0EEENS1_30default_config_static_selectorELNS0_4arch9wavefront6targetE0EEEvT1_: ; @_ZN7rocprim17ROCPRIM_400000_NS6detail17trampoline_kernelINS0_14default_configENS1_25partition_config_selectorILNS1_17partition_subalgoE8ElNS0_10empty_typeEbEEZZNS1_14partition_implILS5_8ELb0ES3_jPKlPS6_PKS6_NS0_5tupleIJPlS6_EEENSE_IJSB_SB_EEENS0_18inequality_wrapperIN6hipcub16HIPCUB_304000_NS8EqualityEEESF_JS6_EEE10hipError_tPvRmT3_T4_T5_T6_T7_T9_mT8_P12ihipStream_tbDpT10_ENKUlT_T0_E_clISt17integral_constantIbLb0EES15_IbLb1EEEEDaS11_S12_EUlS11_E_NS1_11comp_targetILNS1_3genE2ELNS1_11target_archE906ELNS1_3gpuE6ELNS1_3repE0EEENS1_30default_config_static_selectorELNS0_4arch9wavefront6targetE0EEEvT1_
; %bb.0:
	.section	.rodata,"a",@progbits
	.p2align	6, 0x0
	.amdhsa_kernel _ZN7rocprim17ROCPRIM_400000_NS6detail17trampoline_kernelINS0_14default_configENS1_25partition_config_selectorILNS1_17partition_subalgoE8ElNS0_10empty_typeEbEEZZNS1_14partition_implILS5_8ELb0ES3_jPKlPS6_PKS6_NS0_5tupleIJPlS6_EEENSE_IJSB_SB_EEENS0_18inequality_wrapperIN6hipcub16HIPCUB_304000_NS8EqualityEEESF_JS6_EEE10hipError_tPvRmT3_T4_T5_T6_T7_T9_mT8_P12ihipStream_tbDpT10_ENKUlT_T0_E_clISt17integral_constantIbLb0EES15_IbLb1EEEEDaS11_S12_EUlS11_E_NS1_11comp_targetILNS1_3genE2ELNS1_11target_archE906ELNS1_3gpuE6ELNS1_3repE0EEENS1_30default_config_static_selectorELNS0_4arch9wavefront6targetE0EEEvT1_
		.amdhsa_group_segment_fixed_size 0
		.amdhsa_private_segment_fixed_size 0
		.amdhsa_kernarg_size 128
		.amdhsa_user_sgpr_count 2
		.amdhsa_user_sgpr_dispatch_ptr 0
		.amdhsa_user_sgpr_queue_ptr 0
		.amdhsa_user_sgpr_kernarg_segment_ptr 1
		.amdhsa_user_sgpr_dispatch_id 0
		.amdhsa_user_sgpr_kernarg_preload_length 0
		.amdhsa_user_sgpr_kernarg_preload_offset 0
		.amdhsa_user_sgpr_private_segment_size 0
		.amdhsa_wavefront_size32 1
		.amdhsa_uses_dynamic_stack 0
		.amdhsa_enable_private_segment 0
		.amdhsa_system_sgpr_workgroup_id_x 1
		.amdhsa_system_sgpr_workgroup_id_y 0
		.amdhsa_system_sgpr_workgroup_id_z 0
		.amdhsa_system_sgpr_workgroup_info 0
		.amdhsa_system_vgpr_workitem_id 0
		.amdhsa_next_free_vgpr 1
		.amdhsa_next_free_sgpr 1
		.amdhsa_named_barrier_count 0
		.amdhsa_reserve_vcc 0
		.amdhsa_float_round_mode_32 0
		.amdhsa_float_round_mode_16_64 0
		.amdhsa_float_denorm_mode_32 3
		.amdhsa_float_denorm_mode_16_64 3
		.amdhsa_fp16_overflow 0
		.amdhsa_memory_ordered 1
		.amdhsa_forward_progress 1
		.amdhsa_inst_pref_size 0
		.amdhsa_round_robin_scheduling 0
		.amdhsa_exception_fp_ieee_invalid_op 0
		.amdhsa_exception_fp_denorm_src 0
		.amdhsa_exception_fp_ieee_div_zero 0
		.amdhsa_exception_fp_ieee_overflow 0
		.amdhsa_exception_fp_ieee_underflow 0
		.amdhsa_exception_fp_ieee_inexact 0
		.amdhsa_exception_int_div_zero 0
	.end_amdhsa_kernel
	.section	.text._ZN7rocprim17ROCPRIM_400000_NS6detail17trampoline_kernelINS0_14default_configENS1_25partition_config_selectorILNS1_17partition_subalgoE8ElNS0_10empty_typeEbEEZZNS1_14partition_implILS5_8ELb0ES3_jPKlPS6_PKS6_NS0_5tupleIJPlS6_EEENSE_IJSB_SB_EEENS0_18inequality_wrapperIN6hipcub16HIPCUB_304000_NS8EqualityEEESF_JS6_EEE10hipError_tPvRmT3_T4_T5_T6_T7_T9_mT8_P12ihipStream_tbDpT10_ENKUlT_T0_E_clISt17integral_constantIbLb0EES15_IbLb1EEEEDaS11_S12_EUlS11_E_NS1_11comp_targetILNS1_3genE2ELNS1_11target_archE906ELNS1_3gpuE6ELNS1_3repE0EEENS1_30default_config_static_selectorELNS0_4arch9wavefront6targetE0EEEvT1_,"axG",@progbits,_ZN7rocprim17ROCPRIM_400000_NS6detail17trampoline_kernelINS0_14default_configENS1_25partition_config_selectorILNS1_17partition_subalgoE8ElNS0_10empty_typeEbEEZZNS1_14partition_implILS5_8ELb0ES3_jPKlPS6_PKS6_NS0_5tupleIJPlS6_EEENSE_IJSB_SB_EEENS0_18inequality_wrapperIN6hipcub16HIPCUB_304000_NS8EqualityEEESF_JS6_EEE10hipError_tPvRmT3_T4_T5_T6_T7_T9_mT8_P12ihipStream_tbDpT10_ENKUlT_T0_E_clISt17integral_constantIbLb0EES15_IbLb1EEEEDaS11_S12_EUlS11_E_NS1_11comp_targetILNS1_3genE2ELNS1_11target_archE906ELNS1_3gpuE6ELNS1_3repE0EEENS1_30default_config_static_selectorELNS0_4arch9wavefront6targetE0EEEvT1_,comdat
.Lfunc_end507:
	.size	_ZN7rocprim17ROCPRIM_400000_NS6detail17trampoline_kernelINS0_14default_configENS1_25partition_config_selectorILNS1_17partition_subalgoE8ElNS0_10empty_typeEbEEZZNS1_14partition_implILS5_8ELb0ES3_jPKlPS6_PKS6_NS0_5tupleIJPlS6_EEENSE_IJSB_SB_EEENS0_18inequality_wrapperIN6hipcub16HIPCUB_304000_NS8EqualityEEESF_JS6_EEE10hipError_tPvRmT3_T4_T5_T6_T7_T9_mT8_P12ihipStream_tbDpT10_ENKUlT_T0_E_clISt17integral_constantIbLb0EES15_IbLb1EEEEDaS11_S12_EUlS11_E_NS1_11comp_targetILNS1_3genE2ELNS1_11target_archE906ELNS1_3gpuE6ELNS1_3repE0EEENS1_30default_config_static_selectorELNS0_4arch9wavefront6targetE0EEEvT1_, .Lfunc_end507-_ZN7rocprim17ROCPRIM_400000_NS6detail17trampoline_kernelINS0_14default_configENS1_25partition_config_selectorILNS1_17partition_subalgoE8ElNS0_10empty_typeEbEEZZNS1_14partition_implILS5_8ELb0ES3_jPKlPS6_PKS6_NS0_5tupleIJPlS6_EEENSE_IJSB_SB_EEENS0_18inequality_wrapperIN6hipcub16HIPCUB_304000_NS8EqualityEEESF_JS6_EEE10hipError_tPvRmT3_T4_T5_T6_T7_T9_mT8_P12ihipStream_tbDpT10_ENKUlT_T0_E_clISt17integral_constantIbLb0EES15_IbLb1EEEEDaS11_S12_EUlS11_E_NS1_11comp_targetILNS1_3genE2ELNS1_11target_archE906ELNS1_3gpuE6ELNS1_3repE0EEENS1_30default_config_static_selectorELNS0_4arch9wavefront6targetE0EEEvT1_
                                        ; -- End function
	.set _ZN7rocprim17ROCPRIM_400000_NS6detail17trampoline_kernelINS0_14default_configENS1_25partition_config_selectorILNS1_17partition_subalgoE8ElNS0_10empty_typeEbEEZZNS1_14partition_implILS5_8ELb0ES3_jPKlPS6_PKS6_NS0_5tupleIJPlS6_EEENSE_IJSB_SB_EEENS0_18inequality_wrapperIN6hipcub16HIPCUB_304000_NS8EqualityEEESF_JS6_EEE10hipError_tPvRmT3_T4_T5_T6_T7_T9_mT8_P12ihipStream_tbDpT10_ENKUlT_T0_E_clISt17integral_constantIbLb0EES15_IbLb1EEEEDaS11_S12_EUlS11_E_NS1_11comp_targetILNS1_3genE2ELNS1_11target_archE906ELNS1_3gpuE6ELNS1_3repE0EEENS1_30default_config_static_selectorELNS0_4arch9wavefront6targetE0EEEvT1_.num_vgpr, 0
	.set _ZN7rocprim17ROCPRIM_400000_NS6detail17trampoline_kernelINS0_14default_configENS1_25partition_config_selectorILNS1_17partition_subalgoE8ElNS0_10empty_typeEbEEZZNS1_14partition_implILS5_8ELb0ES3_jPKlPS6_PKS6_NS0_5tupleIJPlS6_EEENSE_IJSB_SB_EEENS0_18inequality_wrapperIN6hipcub16HIPCUB_304000_NS8EqualityEEESF_JS6_EEE10hipError_tPvRmT3_T4_T5_T6_T7_T9_mT8_P12ihipStream_tbDpT10_ENKUlT_T0_E_clISt17integral_constantIbLb0EES15_IbLb1EEEEDaS11_S12_EUlS11_E_NS1_11comp_targetILNS1_3genE2ELNS1_11target_archE906ELNS1_3gpuE6ELNS1_3repE0EEENS1_30default_config_static_selectorELNS0_4arch9wavefront6targetE0EEEvT1_.num_agpr, 0
	.set _ZN7rocprim17ROCPRIM_400000_NS6detail17trampoline_kernelINS0_14default_configENS1_25partition_config_selectorILNS1_17partition_subalgoE8ElNS0_10empty_typeEbEEZZNS1_14partition_implILS5_8ELb0ES3_jPKlPS6_PKS6_NS0_5tupleIJPlS6_EEENSE_IJSB_SB_EEENS0_18inequality_wrapperIN6hipcub16HIPCUB_304000_NS8EqualityEEESF_JS6_EEE10hipError_tPvRmT3_T4_T5_T6_T7_T9_mT8_P12ihipStream_tbDpT10_ENKUlT_T0_E_clISt17integral_constantIbLb0EES15_IbLb1EEEEDaS11_S12_EUlS11_E_NS1_11comp_targetILNS1_3genE2ELNS1_11target_archE906ELNS1_3gpuE6ELNS1_3repE0EEENS1_30default_config_static_selectorELNS0_4arch9wavefront6targetE0EEEvT1_.numbered_sgpr, 0
	.set _ZN7rocprim17ROCPRIM_400000_NS6detail17trampoline_kernelINS0_14default_configENS1_25partition_config_selectorILNS1_17partition_subalgoE8ElNS0_10empty_typeEbEEZZNS1_14partition_implILS5_8ELb0ES3_jPKlPS6_PKS6_NS0_5tupleIJPlS6_EEENSE_IJSB_SB_EEENS0_18inequality_wrapperIN6hipcub16HIPCUB_304000_NS8EqualityEEESF_JS6_EEE10hipError_tPvRmT3_T4_T5_T6_T7_T9_mT8_P12ihipStream_tbDpT10_ENKUlT_T0_E_clISt17integral_constantIbLb0EES15_IbLb1EEEEDaS11_S12_EUlS11_E_NS1_11comp_targetILNS1_3genE2ELNS1_11target_archE906ELNS1_3gpuE6ELNS1_3repE0EEENS1_30default_config_static_selectorELNS0_4arch9wavefront6targetE0EEEvT1_.num_named_barrier, 0
	.set _ZN7rocprim17ROCPRIM_400000_NS6detail17trampoline_kernelINS0_14default_configENS1_25partition_config_selectorILNS1_17partition_subalgoE8ElNS0_10empty_typeEbEEZZNS1_14partition_implILS5_8ELb0ES3_jPKlPS6_PKS6_NS0_5tupleIJPlS6_EEENSE_IJSB_SB_EEENS0_18inequality_wrapperIN6hipcub16HIPCUB_304000_NS8EqualityEEESF_JS6_EEE10hipError_tPvRmT3_T4_T5_T6_T7_T9_mT8_P12ihipStream_tbDpT10_ENKUlT_T0_E_clISt17integral_constantIbLb0EES15_IbLb1EEEEDaS11_S12_EUlS11_E_NS1_11comp_targetILNS1_3genE2ELNS1_11target_archE906ELNS1_3gpuE6ELNS1_3repE0EEENS1_30default_config_static_selectorELNS0_4arch9wavefront6targetE0EEEvT1_.private_seg_size, 0
	.set _ZN7rocprim17ROCPRIM_400000_NS6detail17trampoline_kernelINS0_14default_configENS1_25partition_config_selectorILNS1_17partition_subalgoE8ElNS0_10empty_typeEbEEZZNS1_14partition_implILS5_8ELb0ES3_jPKlPS6_PKS6_NS0_5tupleIJPlS6_EEENSE_IJSB_SB_EEENS0_18inequality_wrapperIN6hipcub16HIPCUB_304000_NS8EqualityEEESF_JS6_EEE10hipError_tPvRmT3_T4_T5_T6_T7_T9_mT8_P12ihipStream_tbDpT10_ENKUlT_T0_E_clISt17integral_constantIbLb0EES15_IbLb1EEEEDaS11_S12_EUlS11_E_NS1_11comp_targetILNS1_3genE2ELNS1_11target_archE906ELNS1_3gpuE6ELNS1_3repE0EEENS1_30default_config_static_selectorELNS0_4arch9wavefront6targetE0EEEvT1_.uses_vcc, 0
	.set _ZN7rocprim17ROCPRIM_400000_NS6detail17trampoline_kernelINS0_14default_configENS1_25partition_config_selectorILNS1_17partition_subalgoE8ElNS0_10empty_typeEbEEZZNS1_14partition_implILS5_8ELb0ES3_jPKlPS6_PKS6_NS0_5tupleIJPlS6_EEENSE_IJSB_SB_EEENS0_18inequality_wrapperIN6hipcub16HIPCUB_304000_NS8EqualityEEESF_JS6_EEE10hipError_tPvRmT3_T4_T5_T6_T7_T9_mT8_P12ihipStream_tbDpT10_ENKUlT_T0_E_clISt17integral_constantIbLb0EES15_IbLb1EEEEDaS11_S12_EUlS11_E_NS1_11comp_targetILNS1_3genE2ELNS1_11target_archE906ELNS1_3gpuE6ELNS1_3repE0EEENS1_30default_config_static_selectorELNS0_4arch9wavefront6targetE0EEEvT1_.uses_flat_scratch, 0
	.set _ZN7rocprim17ROCPRIM_400000_NS6detail17trampoline_kernelINS0_14default_configENS1_25partition_config_selectorILNS1_17partition_subalgoE8ElNS0_10empty_typeEbEEZZNS1_14partition_implILS5_8ELb0ES3_jPKlPS6_PKS6_NS0_5tupleIJPlS6_EEENSE_IJSB_SB_EEENS0_18inequality_wrapperIN6hipcub16HIPCUB_304000_NS8EqualityEEESF_JS6_EEE10hipError_tPvRmT3_T4_T5_T6_T7_T9_mT8_P12ihipStream_tbDpT10_ENKUlT_T0_E_clISt17integral_constantIbLb0EES15_IbLb1EEEEDaS11_S12_EUlS11_E_NS1_11comp_targetILNS1_3genE2ELNS1_11target_archE906ELNS1_3gpuE6ELNS1_3repE0EEENS1_30default_config_static_selectorELNS0_4arch9wavefront6targetE0EEEvT1_.has_dyn_sized_stack, 0
	.set _ZN7rocprim17ROCPRIM_400000_NS6detail17trampoline_kernelINS0_14default_configENS1_25partition_config_selectorILNS1_17partition_subalgoE8ElNS0_10empty_typeEbEEZZNS1_14partition_implILS5_8ELb0ES3_jPKlPS6_PKS6_NS0_5tupleIJPlS6_EEENSE_IJSB_SB_EEENS0_18inequality_wrapperIN6hipcub16HIPCUB_304000_NS8EqualityEEESF_JS6_EEE10hipError_tPvRmT3_T4_T5_T6_T7_T9_mT8_P12ihipStream_tbDpT10_ENKUlT_T0_E_clISt17integral_constantIbLb0EES15_IbLb1EEEEDaS11_S12_EUlS11_E_NS1_11comp_targetILNS1_3genE2ELNS1_11target_archE906ELNS1_3gpuE6ELNS1_3repE0EEENS1_30default_config_static_selectorELNS0_4arch9wavefront6targetE0EEEvT1_.has_recursion, 0
	.set _ZN7rocprim17ROCPRIM_400000_NS6detail17trampoline_kernelINS0_14default_configENS1_25partition_config_selectorILNS1_17partition_subalgoE8ElNS0_10empty_typeEbEEZZNS1_14partition_implILS5_8ELb0ES3_jPKlPS6_PKS6_NS0_5tupleIJPlS6_EEENSE_IJSB_SB_EEENS0_18inequality_wrapperIN6hipcub16HIPCUB_304000_NS8EqualityEEESF_JS6_EEE10hipError_tPvRmT3_T4_T5_T6_T7_T9_mT8_P12ihipStream_tbDpT10_ENKUlT_T0_E_clISt17integral_constantIbLb0EES15_IbLb1EEEEDaS11_S12_EUlS11_E_NS1_11comp_targetILNS1_3genE2ELNS1_11target_archE906ELNS1_3gpuE6ELNS1_3repE0EEENS1_30default_config_static_selectorELNS0_4arch9wavefront6targetE0EEEvT1_.has_indirect_call, 0
	.section	.AMDGPU.csdata,"",@progbits
; Kernel info:
; codeLenInByte = 0
; TotalNumSgprs: 0
; NumVgprs: 0
; ScratchSize: 0
; MemoryBound: 0
; FloatMode: 240
; IeeeMode: 1
; LDSByteSize: 0 bytes/workgroup (compile time only)
; SGPRBlocks: 0
; VGPRBlocks: 0
; NumSGPRsForWavesPerEU: 1
; NumVGPRsForWavesPerEU: 1
; NamedBarCnt: 0
; Occupancy: 16
; WaveLimiterHint : 0
; COMPUTE_PGM_RSRC2:SCRATCH_EN: 0
; COMPUTE_PGM_RSRC2:USER_SGPR: 2
; COMPUTE_PGM_RSRC2:TRAP_HANDLER: 0
; COMPUTE_PGM_RSRC2:TGID_X_EN: 1
; COMPUTE_PGM_RSRC2:TGID_Y_EN: 0
; COMPUTE_PGM_RSRC2:TGID_Z_EN: 0
; COMPUTE_PGM_RSRC2:TIDIG_COMP_CNT: 0
	.section	.text._ZN7rocprim17ROCPRIM_400000_NS6detail17trampoline_kernelINS0_14default_configENS1_25partition_config_selectorILNS1_17partition_subalgoE8ElNS0_10empty_typeEbEEZZNS1_14partition_implILS5_8ELb0ES3_jPKlPS6_PKS6_NS0_5tupleIJPlS6_EEENSE_IJSB_SB_EEENS0_18inequality_wrapperIN6hipcub16HIPCUB_304000_NS8EqualityEEESF_JS6_EEE10hipError_tPvRmT3_T4_T5_T6_T7_T9_mT8_P12ihipStream_tbDpT10_ENKUlT_T0_E_clISt17integral_constantIbLb0EES15_IbLb1EEEEDaS11_S12_EUlS11_E_NS1_11comp_targetILNS1_3genE10ELNS1_11target_archE1200ELNS1_3gpuE4ELNS1_3repE0EEENS1_30default_config_static_selectorELNS0_4arch9wavefront6targetE0EEEvT1_,"axG",@progbits,_ZN7rocprim17ROCPRIM_400000_NS6detail17trampoline_kernelINS0_14default_configENS1_25partition_config_selectorILNS1_17partition_subalgoE8ElNS0_10empty_typeEbEEZZNS1_14partition_implILS5_8ELb0ES3_jPKlPS6_PKS6_NS0_5tupleIJPlS6_EEENSE_IJSB_SB_EEENS0_18inequality_wrapperIN6hipcub16HIPCUB_304000_NS8EqualityEEESF_JS6_EEE10hipError_tPvRmT3_T4_T5_T6_T7_T9_mT8_P12ihipStream_tbDpT10_ENKUlT_T0_E_clISt17integral_constantIbLb0EES15_IbLb1EEEEDaS11_S12_EUlS11_E_NS1_11comp_targetILNS1_3genE10ELNS1_11target_archE1200ELNS1_3gpuE4ELNS1_3repE0EEENS1_30default_config_static_selectorELNS0_4arch9wavefront6targetE0EEEvT1_,comdat
	.protected	_ZN7rocprim17ROCPRIM_400000_NS6detail17trampoline_kernelINS0_14default_configENS1_25partition_config_selectorILNS1_17partition_subalgoE8ElNS0_10empty_typeEbEEZZNS1_14partition_implILS5_8ELb0ES3_jPKlPS6_PKS6_NS0_5tupleIJPlS6_EEENSE_IJSB_SB_EEENS0_18inequality_wrapperIN6hipcub16HIPCUB_304000_NS8EqualityEEESF_JS6_EEE10hipError_tPvRmT3_T4_T5_T6_T7_T9_mT8_P12ihipStream_tbDpT10_ENKUlT_T0_E_clISt17integral_constantIbLb0EES15_IbLb1EEEEDaS11_S12_EUlS11_E_NS1_11comp_targetILNS1_3genE10ELNS1_11target_archE1200ELNS1_3gpuE4ELNS1_3repE0EEENS1_30default_config_static_selectorELNS0_4arch9wavefront6targetE0EEEvT1_ ; -- Begin function _ZN7rocprim17ROCPRIM_400000_NS6detail17trampoline_kernelINS0_14default_configENS1_25partition_config_selectorILNS1_17partition_subalgoE8ElNS0_10empty_typeEbEEZZNS1_14partition_implILS5_8ELb0ES3_jPKlPS6_PKS6_NS0_5tupleIJPlS6_EEENSE_IJSB_SB_EEENS0_18inequality_wrapperIN6hipcub16HIPCUB_304000_NS8EqualityEEESF_JS6_EEE10hipError_tPvRmT3_T4_T5_T6_T7_T9_mT8_P12ihipStream_tbDpT10_ENKUlT_T0_E_clISt17integral_constantIbLb0EES15_IbLb1EEEEDaS11_S12_EUlS11_E_NS1_11comp_targetILNS1_3genE10ELNS1_11target_archE1200ELNS1_3gpuE4ELNS1_3repE0EEENS1_30default_config_static_selectorELNS0_4arch9wavefront6targetE0EEEvT1_
	.globl	_ZN7rocprim17ROCPRIM_400000_NS6detail17trampoline_kernelINS0_14default_configENS1_25partition_config_selectorILNS1_17partition_subalgoE8ElNS0_10empty_typeEbEEZZNS1_14partition_implILS5_8ELb0ES3_jPKlPS6_PKS6_NS0_5tupleIJPlS6_EEENSE_IJSB_SB_EEENS0_18inequality_wrapperIN6hipcub16HIPCUB_304000_NS8EqualityEEESF_JS6_EEE10hipError_tPvRmT3_T4_T5_T6_T7_T9_mT8_P12ihipStream_tbDpT10_ENKUlT_T0_E_clISt17integral_constantIbLb0EES15_IbLb1EEEEDaS11_S12_EUlS11_E_NS1_11comp_targetILNS1_3genE10ELNS1_11target_archE1200ELNS1_3gpuE4ELNS1_3repE0EEENS1_30default_config_static_selectorELNS0_4arch9wavefront6targetE0EEEvT1_
	.p2align	8
	.type	_ZN7rocprim17ROCPRIM_400000_NS6detail17trampoline_kernelINS0_14default_configENS1_25partition_config_selectorILNS1_17partition_subalgoE8ElNS0_10empty_typeEbEEZZNS1_14partition_implILS5_8ELb0ES3_jPKlPS6_PKS6_NS0_5tupleIJPlS6_EEENSE_IJSB_SB_EEENS0_18inequality_wrapperIN6hipcub16HIPCUB_304000_NS8EqualityEEESF_JS6_EEE10hipError_tPvRmT3_T4_T5_T6_T7_T9_mT8_P12ihipStream_tbDpT10_ENKUlT_T0_E_clISt17integral_constantIbLb0EES15_IbLb1EEEEDaS11_S12_EUlS11_E_NS1_11comp_targetILNS1_3genE10ELNS1_11target_archE1200ELNS1_3gpuE4ELNS1_3repE0EEENS1_30default_config_static_selectorELNS0_4arch9wavefront6targetE0EEEvT1_,@function
_ZN7rocprim17ROCPRIM_400000_NS6detail17trampoline_kernelINS0_14default_configENS1_25partition_config_selectorILNS1_17partition_subalgoE8ElNS0_10empty_typeEbEEZZNS1_14partition_implILS5_8ELb0ES3_jPKlPS6_PKS6_NS0_5tupleIJPlS6_EEENSE_IJSB_SB_EEENS0_18inequality_wrapperIN6hipcub16HIPCUB_304000_NS8EqualityEEESF_JS6_EEE10hipError_tPvRmT3_T4_T5_T6_T7_T9_mT8_P12ihipStream_tbDpT10_ENKUlT_T0_E_clISt17integral_constantIbLb0EES15_IbLb1EEEEDaS11_S12_EUlS11_E_NS1_11comp_targetILNS1_3genE10ELNS1_11target_archE1200ELNS1_3gpuE4ELNS1_3repE0EEENS1_30default_config_static_selectorELNS0_4arch9wavefront6targetE0EEEvT1_: ; @_ZN7rocprim17ROCPRIM_400000_NS6detail17trampoline_kernelINS0_14default_configENS1_25partition_config_selectorILNS1_17partition_subalgoE8ElNS0_10empty_typeEbEEZZNS1_14partition_implILS5_8ELb0ES3_jPKlPS6_PKS6_NS0_5tupleIJPlS6_EEENSE_IJSB_SB_EEENS0_18inequality_wrapperIN6hipcub16HIPCUB_304000_NS8EqualityEEESF_JS6_EEE10hipError_tPvRmT3_T4_T5_T6_T7_T9_mT8_P12ihipStream_tbDpT10_ENKUlT_T0_E_clISt17integral_constantIbLb0EES15_IbLb1EEEEDaS11_S12_EUlS11_E_NS1_11comp_targetILNS1_3genE10ELNS1_11target_archE1200ELNS1_3gpuE4ELNS1_3repE0EEENS1_30default_config_static_selectorELNS0_4arch9wavefront6targetE0EEEvT1_
; %bb.0:
	.section	.rodata,"a",@progbits
	.p2align	6, 0x0
	.amdhsa_kernel _ZN7rocprim17ROCPRIM_400000_NS6detail17trampoline_kernelINS0_14default_configENS1_25partition_config_selectorILNS1_17partition_subalgoE8ElNS0_10empty_typeEbEEZZNS1_14partition_implILS5_8ELb0ES3_jPKlPS6_PKS6_NS0_5tupleIJPlS6_EEENSE_IJSB_SB_EEENS0_18inequality_wrapperIN6hipcub16HIPCUB_304000_NS8EqualityEEESF_JS6_EEE10hipError_tPvRmT3_T4_T5_T6_T7_T9_mT8_P12ihipStream_tbDpT10_ENKUlT_T0_E_clISt17integral_constantIbLb0EES15_IbLb1EEEEDaS11_S12_EUlS11_E_NS1_11comp_targetILNS1_3genE10ELNS1_11target_archE1200ELNS1_3gpuE4ELNS1_3repE0EEENS1_30default_config_static_selectorELNS0_4arch9wavefront6targetE0EEEvT1_
		.amdhsa_group_segment_fixed_size 0
		.amdhsa_private_segment_fixed_size 0
		.amdhsa_kernarg_size 128
		.amdhsa_user_sgpr_count 2
		.amdhsa_user_sgpr_dispatch_ptr 0
		.amdhsa_user_sgpr_queue_ptr 0
		.amdhsa_user_sgpr_kernarg_segment_ptr 1
		.amdhsa_user_sgpr_dispatch_id 0
		.amdhsa_user_sgpr_kernarg_preload_length 0
		.amdhsa_user_sgpr_kernarg_preload_offset 0
		.amdhsa_user_sgpr_private_segment_size 0
		.amdhsa_wavefront_size32 1
		.amdhsa_uses_dynamic_stack 0
		.amdhsa_enable_private_segment 0
		.amdhsa_system_sgpr_workgroup_id_x 1
		.amdhsa_system_sgpr_workgroup_id_y 0
		.amdhsa_system_sgpr_workgroup_id_z 0
		.amdhsa_system_sgpr_workgroup_info 0
		.amdhsa_system_vgpr_workitem_id 0
		.amdhsa_next_free_vgpr 1
		.amdhsa_next_free_sgpr 1
		.amdhsa_named_barrier_count 0
		.amdhsa_reserve_vcc 0
		.amdhsa_float_round_mode_32 0
		.amdhsa_float_round_mode_16_64 0
		.amdhsa_float_denorm_mode_32 3
		.amdhsa_float_denorm_mode_16_64 3
		.amdhsa_fp16_overflow 0
		.amdhsa_memory_ordered 1
		.amdhsa_forward_progress 1
		.amdhsa_inst_pref_size 0
		.amdhsa_round_robin_scheduling 0
		.amdhsa_exception_fp_ieee_invalid_op 0
		.amdhsa_exception_fp_denorm_src 0
		.amdhsa_exception_fp_ieee_div_zero 0
		.amdhsa_exception_fp_ieee_overflow 0
		.amdhsa_exception_fp_ieee_underflow 0
		.amdhsa_exception_fp_ieee_inexact 0
		.amdhsa_exception_int_div_zero 0
	.end_amdhsa_kernel
	.section	.text._ZN7rocprim17ROCPRIM_400000_NS6detail17trampoline_kernelINS0_14default_configENS1_25partition_config_selectorILNS1_17partition_subalgoE8ElNS0_10empty_typeEbEEZZNS1_14partition_implILS5_8ELb0ES3_jPKlPS6_PKS6_NS0_5tupleIJPlS6_EEENSE_IJSB_SB_EEENS0_18inequality_wrapperIN6hipcub16HIPCUB_304000_NS8EqualityEEESF_JS6_EEE10hipError_tPvRmT3_T4_T5_T6_T7_T9_mT8_P12ihipStream_tbDpT10_ENKUlT_T0_E_clISt17integral_constantIbLb0EES15_IbLb1EEEEDaS11_S12_EUlS11_E_NS1_11comp_targetILNS1_3genE10ELNS1_11target_archE1200ELNS1_3gpuE4ELNS1_3repE0EEENS1_30default_config_static_selectorELNS0_4arch9wavefront6targetE0EEEvT1_,"axG",@progbits,_ZN7rocprim17ROCPRIM_400000_NS6detail17trampoline_kernelINS0_14default_configENS1_25partition_config_selectorILNS1_17partition_subalgoE8ElNS0_10empty_typeEbEEZZNS1_14partition_implILS5_8ELb0ES3_jPKlPS6_PKS6_NS0_5tupleIJPlS6_EEENSE_IJSB_SB_EEENS0_18inequality_wrapperIN6hipcub16HIPCUB_304000_NS8EqualityEEESF_JS6_EEE10hipError_tPvRmT3_T4_T5_T6_T7_T9_mT8_P12ihipStream_tbDpT10_ENKUlT_T0_E_clISt17integral_constantIbLb0EES15_IbLb1EEEEDaS11_S12_EUlS11_E_NS1_11comp_targetILNS1_3genE10ELNS1_11target_archE1200ELNS1_3gpuE4ELNS1_3repE0EEENS1_30default_config_static_selectorELNS0_4arch9wavefront6targetE0EEEvT1_,comdat
.Lfunc_end508:
	.size	_ZN7rocprim17ROCPRIM_400000_NS6detail17trampoline_kernelINS0_14default_configENS1_25partition_config_selectorILNS1_17partition_subalgoE8ElNS0_10empty_typeEbEEZZNS1_14partition_implILS5_8ELb0ES3_jPKlPS6_PKS6_NS0_5tupleIJPlS6_EEENSE_IJSB_SB_EEENS0_18inequality_wrapperIN6hipcub16HIPCUB_304000_NS8EqualityEEESF_JS6_EEE10hipError_tPvRmT3_T4_T5_T6_T7_T9_mT8_P12ihipStream_tbDpT10_ENKUlT_T0_E_clISt17integral_constantIbLb0EES15_IbLb1EEEEDaS11_S12_EUlS11_E_NS1_11comp_targetILNS1_3genE10ELNS1_11target_archE1200ELNS1_3gpuE4ELNS1_3repE0EEENS1_30default_config_static_selectorELNS0_4arch9wavefront6targetE0EEEvT1_, .Lfunc_end508-_ZN7rocprim17ROCPRIM_400000_NS6detail17trampoline_kernelINS0_14default_configENS1_25partition_config_selectorILNS1_17partition_subalgoE8ElNS0_10empty_typeEbEEZZNS1_14partition_implILS5_8ELb0ES3_jPKlPS6_PKS6_NS0_5tupleIJPlS6_EEENSE_IJSB_SB_EEENS0_18inequality_wrapperIN6hipcub16HIPCUB_304000_NS8EqualityEEESF_JS6_EEE10hipError_tPvRmT3_T4_T5_T6_T7_T9_mT8_P12ihipStream_tbDpT10_ENKUlT_T0_E_clISt17integral_constantIbLb0EES15_IbLb1EEEEDaS11_S12_EUlS11_E_NS1_11comp_targetILNS1_3genE10ELNS1_11target_archE1200ELNS1_3gpuE4ELNS1_3repE0EEENS1_30default_config_static_selectorELNS0_4arch9wavefront6targetE0EEEvT1_
                                        ; -- End function
	.set _ZN7rocprim17ROCPRIM_400000_NS6detail17trampoline_kernelINS0_14default_configENS1_25partition_config_selectorILNS1_17partition_subalgoE8ElNS0_10empty_typeEbEEZZNS1_14partition_implILS5_8ELb0ES3_jPKlPS6_PKS6_NS0_5tupleIJPlS6_EEENSE_IJSB_SB_EEENS0_18inequality_wrapperIN6hipcub16HIPCUB_304000_NS8EqualityEEESF_JS6_EEE10hipError_tPvRmT3_T4_T5_T6_T7_T9_mT8_P12ihipStream_tbDpT10_ENKUlT_T0_E_clISt17integral_constantIbLb0EES15_IbLb1EEEEDaS11_S12_EUlS11_E_NS1_11comp_targetILNS1_3genE10ELNS1_11target_archE1200ELNS1_3gpuE4ELNS1_3repE0EEENS1_30default_config_static_selectorELNS0_4arch9wavefront6targetE0EEEvT1_.num_vgpr, 0
	.set _ZN7rocprim17ROCPRIM_400000_NS6detail17trampoline_kernelINS0_14default_configENS1_25partition_config_selectorILNS1_17partition_subalgoE8ElNS0_10empty_typeEbEEZZNS1_14partition_implILS5_8ELb0ES3_jPKlPS6_PKS6_NS0_5tupleIJPlS6_EEENSE_IJSB_SB_EEENS0_18inequality_wrapperIN6hipcub16HIPCUB_304000_NS8EqualityEEESF_JS6_EEE10hipError_tPvRmT3_T4_T5_T6_T7_T9_mT8_P12ihipStream_tbDpT10_ENKUlT_T0_E_clISt17integral_constantIbLb0EES15_IbLb1EEEEDaS11_S12_EUlS11_E_NS1_11comp_targetILNS1_3genE10ELNS1_11target_archE1200ELNS1_3gpuE4ELNS1_3repE0EEENS1_30default_config_static_selectorELNS0_4arch9wavefront6targetE0EEEvT1_.num_agpr, 0
	.set _ZN7rocprim17ROCPRIM_400000_NS6detail17trampoline_kernelINS0_14default_configENS1_25partition_config_selectorILNS1_17partition_subalgoE8ElNS0_10empty_typeEbEEZZNS1_14partition_implILS5_8ELb0ES3_jPKlPS6_PKS6_NS0_5tupleIJPlS6_EEENSE_IJSB_SB_EEENS0_18inequality_wrapperIN6hipcub16HIPCUB_304000_NS8EqualityEEESF_JS6_EEE10hipError_tPvRmT3_T4_T5_T6_T7_T9_mT8_P12ihipStream_tbDpT10_ENKUlT_T0_E_clISt17integral_constantIbLb0EES15_IbLb1EEEEDaS11_S12_EUlS11_E_NS1_11comp_targetILNS1_3genE10ELNS1_11target_archE1200ELNS1_3gpuE4ELNS1_3repE0EEENS1_30default_config_static_selectorELNS0_4arch9wavefront6targetE0EEEvT1_.numbered_sgpr, 0
	.set _ZN7rocprim17ROCPRIM_400000_NS6detail17trampoline_kernelINS0_14default_configENS1_25partition_config_selectorILNS1_17partition_subalgoE8ElNS0_10empty_typeEbEEZZNS1_14partition_implILS5_8ELb0ES3_jPKlPS6_PKS6_NS0_5tupleIJPlS6_EEENSE_IJSB_SB_EEENS0_18inequality_wrapperIN6hipcub16HIPCUB_304000_NS8EqualityEEESF_JS6_EEE10hipError_tPvRmT3_T4_T5_T6_T7_T9_mT8_P12ihipStream_tbDpT10_ENKUlT_T0_E_clISt17integral_constantIbLb0EES15_IbLb1EEEEDaS11_S12_EUlS11_E_NS1_11comp_targetILNS1_3genE10ELNS1_11target_archE1200ELNS1_3gpuE4ELNS1_3repE0EEENS1_30default_config_static_selectorELNS0_4arch9wavefront6targetE0EEEvT1_.num_named_barrier, 0
	.set _ZN7rocprim17ROCPRIM_400000_NS6detail17trampoline_kernelINS0_14default_configENS1_25partition_config_selectorILNS1_17partition_subalgoE8ElNS0_10empty_typeEbEEZZNS1_14partition_implILS5_8ELb0ES3_jPKlPS6_PKS6_NS0_5tupleIJPlS6_EEENSE_IJSB_SB_EEENS0_18inequality_wrapperIN6hipcub16HIPCUB_304000_NS8EqualityEEESF_JS6_EEE10hipError_tPvRmT3_T4_T5_T6_T7_T9_mT8_P12ihipStream_tbDpT10_ENKUlT_T0_E_clISt17integral_constantIbLb0EES15_IbLb1EEEEDaS11_S12_EUlS11_E_NS1_11comp_targetILNS1_3genE10ELNS1_11target_archE1200ELNS1_3gpuE4ELNS1_3repE0EEENS1_30default_config_static_selectorELNS0_4arch9wavefront6targetE0EEEvT1_.private_seg_size, 0
	.set _ZN7rocprim17ROCPRIM_400000_NS6detail17trampoline_kernelINS0_14default_configENS1_25partition_config_selectorILNS1_17partition_subalgoE8ElNS0_10empty_typeEbEEZZNS1_14partition_implILS5_8ELb0ES3_jPKlPS6_PKS6_NS0_5tupleIJPlS6_EEENSE_IJSB_SB_EEENS0_18inequality_wrapperIN6hipcub16HIPCUB_304000_NS8EqualityEEESF_JS6_EEE10hipError_tPvRmT3_T4_T5_T6_T7_T9_mT8_P12ihipStream_tbDpT10_ENKUlT_T0_E_clISt17integral_constantIbLb0EES15_IbLb1EEEEDaS11_S12_EUlS11_E_NS1_11comp_targetILNS1_3genE10ELNS1_11target_archE1200ELNS1_3gpuE4ELNS1_3repE0EEENS1_30default_config_static_selectorELNS0_4arch9wavefront6targetE0EEEvT1_.uses_vcc, 0
	.set _ZN7rocprim17ROCPRIM_400000_NS6detail17trampoline_kernelINS0_14default_configENS1_25partition_config_selectorILNS1_17partition_subalgoE8ElNS0_10empty_typeEbEEZZNS1_14partition_implILS5_8ELb0ES3_jPKlPS6_PKS6_NS0_5tupleIJPlS6_EEENSE_IJSB_SB_EEENS0_18inequality_wrapperIN6hipcub16HIPCUB_304000_NS8EqualityEEESF_JS6_EEE10hipError_tPvRmT3_T4_T5_T6_T7_T9_mT8_P12ihipStream_tbDpT10_ENKUlT_T0_E_clISt17integral_constantIbLb0EES15_IbLb1EEEEDaS11_S12_EUlS11_E_NS1_11comp_targetILNS1_3genE10ELNS1_11target_archE1200ELNS1_3gpuE4ELNS1_3repE0EEENS1_30default_config_static_selectorELNS0_4arch9wavefront6targetE0EEEvT1_.uses_flat_scratch, 0
	.set _ZN7rocprim17ROCPRIM_400000_NS6detail17trampoline_kernelINS0_14default_configENS1_25partition_config_selectorILNS1_17partition_subalgoE8ElNS0_10empty_typeEbEEZZNS1_14partition_implILS5_8ELb0ES3_jPKlPS6_PKS6_NS0_5tupleIJPlS6_EEENSE_IJSB_SB_EEENS0_18inequality_wrapperIN6hipcub16HIPCUB_304000_NS8EqualityEEESF_JS6_EEE10hipError_tPvRmT3_T4_T5_T6_T7_T9_mT8_P12ihipStream_tbDpT10_ENKUlT_T0_E_clISt17integral_constantIbLb0EES15_IbLb1EEEEDaS11_S12_EUlS11_E_NS1_11comp_targetILNS1_3genE10ELNS1_11target_archE1200ELNS1_3gpuE4ELNS1_3repE0EEENS1_30default_config_static_selectorELNS0_4arch9wavefront6targetE0EEEvT1_.has_dyn_sized_stack, 0
	.set _ZN7rocprim17ROCPRIM_400000_NS6detail17trampoline_kernelINS0_14default_configENS1_25partition_config_selectorILNS1_17partition_subalgoE8ElNS0_10empty_typeEbEEZZNS1_14partition_implILS5_8ELb0ES3_jPKlPS6_PKS6_NS0_5tupleIJPlS6_EEENSE_IJSB_SB_EEENS0_18inequality_wrapperIN6hipcub16HIPCUB_304000_NS8EqualityEEESF_JS6_EEE10hipError_tPvRmT3_T4_T5_T6_T7_T9_mT8_P12ihipStream_tbDpT10_ENKUlT_T0_E_clISt17integral_constantIbLb0EES15_IbLb1EEEEDaS11_S12_EUlS11_E_NS1_11comp_targetILNS1_3genE10ELNS1_11target_archE1200ELNS1_3gpuE4ELNS1_3repE0EEENS1_30default_config_static_selectorELNS0_4arch9wavefront6targetE0EEEvT1_.has_recursion, 0
	.set _ZN7rocprim17ROCPRIM_400000_NS6detail17trampoline_kernelINS0_14default_configENS1_25partition_config_selectorILNS1_17partition_subalgoE8ElNS0_10empty_typeEbEEZZNS1_14partition_implILS5_8ELb0ES3_jPKlPS6_PKS6_NS0_5tupleIJPlS6_EEENSE_IJSB_SB_EEENS0_18inequality_wrapperIN6hipcub16HIPCUB_304000_NS8EqualityEEESF_JS6_EEE10hipError_tPvRmT3_T4_T5_T6_T7_T9_mT8_P12ihipStream_tbDpT10_ENKUlT_T0_E_clISt17integral_constantIbLb0EES15_IbLb1EEEEDaS11_S12_EUlS11_E_NS1_11comp_targetILNS1_3genE10ELNS1_11target_archE1200ELNS1_3gpuE4ELNS1_3repE0EEENS1_30default_config_static_selectorELNS0_4arch9wavefront6targetE0EEEvT1_.has_indirect_call, 0
	.section	.AMDGPU.csdata,"",@progbits
; Kernel info:
; codeLenInByte = 0
; TotalNumSgprs: 0
; NumVgprs: 0
; ScratchSize: 0
; MemoryBound: 0
; FloatMode: 240
; IeeeMode: 1
; LDSByteSize: 0 bytes/workgroup (compile time only)
; SGPRBlocks: 0
; VGPRBlocks: 0
; NumSGPRsForWavesPerEU: 1
; NumVGPRsForWavesPerEU: 1
; NamedBarCnt: 0
; Occupancy: 16
; WaveLimiterHint : 0
; COMPUTE_PGM_RSRC2:SCRATCH_EN: 0
; COMPUTE_PGM_RSRC2:USER_SGPR: 2
; COMPUTE_PGM_RSRC2:TRAP_HANDLER: 0
; COMPUTE_PGM_RSRC2:TGID_X_EN: 1
; COMPUTE_PGM_RSRC2:TGID_Y_EN: 0
; COMPUTE_PGM_RSRC2:TGID_Z_EN: 0
; COMPUTE_PGM_RSRC2:TIDIG_COMP_CNT: 0
	.section	.text._ZN7rocprim17ROCPRIM_400000_NS6detail17trampoline_kernelINS0_14default_configENS1_25partition_config_selectorILNS1_17partition_subalgoE8ElNS0_10empty_typeEbEEZZNS1_14partition_implILS5_8ELb0ES3_jPKlPS6_PKS6_NS0_5tupleIJPlS6_EEENSE_IJSB_SB_EEENS0_18inequality_wrapperIN6hipcub16HIPCUB_304000_NS8EqualityEEESF_JS6_EEE10hipError_tPvRmT3_T4_T5_T6_T7_T9_mT8_P12ihipStream_tbDpT10_ENKUlT_T0_E_clISt17integral_constantIbLb0EES15_IbLb1EEEEDaS11_S12_EUlS11_E_NS1_11comp_targetILNS1_3genE9ELNS1_11target_archE1100ELNS1_3gpuE3ELNS1_3repE0EEENS1_30default_config_static_selectorELNS0_4arch9wavefront6targetE0EEEvT1_,"axG",@progbits,_ZN7rocprim17ROCPRIM_400000_NS6detail17trampoline_kernelINS0_14default_configENS1_25partition_config_selectorILNS1_17partition_subalgoE8ElNS0_10empty_typeEbEEZZNS1_14partition_implILS5_8ELb0ES3_jPKlPS6_PKS6_NS0_5tupleIJPlS6_EEENSE_IJSB_SB_EEENS0_18inequality_wrapperIN6hipcub16HIPCUB_304000_NS8EqualityEEESF_JS6_EEE10hipError_tPvRmT3_T4_T5_T6_T7_T9_mT8_P12ihipStream_tbDpT10_ENKUlT_T0_E_clISt17integral_constantIbLb0EES15_IbLb1EEEEDaS11_S12_EUlS11_E_NS1_11comp_targetILNS1_3genE9ELNS1_11target_archE1100ELNS1_3gpuE3ELNS1_3repE0EEENS1_30default_config_static_selectorELNS0_4arch9wavefront6targetE0EEEvT1_,comdat
	.protected	_ZN7rocprim17ROCPRIM_400000_NS6detail17trampoline_kernelINS0_14default_configENS1_25partition_config_selectorILNS1_17partition_subalgoE8ElNS0_10empty_typeEbEEZZNS1_14partition_implILS5_8ELb0ES3_jPKlPS6_PKS6_NS0_5tupleIJPlS6_EEENSE_IJSB_SB_EEENS0_18inequality_wrapperIN6hipcub16HIPCUB_304000_NS8EqualityEEESF_JS6_EEE10hipError_tPvRmT3_T4_T5_T6_T7_T9_mT8_P12ihipStream_tbDpT10_ENKUlT_T0_E_clISt17integral_constantIbLb0EES15_IbLb1EEEEDaS11_S12_EUlS11_E_NS1_11comp_targetILNS1_3genE9ELNS1_11target_archE1100ELNS1_3gpuE3ELNS1_3repE0EEENS1_30default_config_static_selectorELNS0_4arch9wavefront6targetE0EEEvT1_ ; -- Begin function _ZN7rocprim17ROCPRIM_400000_NS6detail17trampoline_kernelINS0_14default_configENS1_25partition_config_selectorILNS1_17partition_subalgoE8ElNS0_10empty_typeEbEEZZNS1_14partition_implILS5_8ELb0ES3_jPKlPS6_PKS6_NS0_5tupleIJPlS6_EEENSE_IJSB_SB_EEENS0_18inequality_wrapperIN6hipcub16HIPCUB_304000_NS8EqualityEEESF_JS6_EEE10hipError_tPvRmT3_T4_T5_T6_T7_T9_mT8_P12ihipStream_tbDpT10_ENKUlT_T0_E_clISt17integral_constantIbLb0EES15_IbLb1EEEEDaS11_S12_EUlS11_E_NS1_11comp_targetILNS1_3genE9ELNS1_11target_archE1100ELNS1_3gpuE3ELNS1_3repE0EEENS1_30default_config_static_selectorELNS0_4arch9wavefront6targetE0EEEvT1_
	.globl	_ZN7rocprim17ROCPRIM_400000_NS6detail17trampoline_kernelINS0_14default_configENS1_25partition_config_selectorILNS1_17partition_subalgoE8ElNS0_10empty_typeEbEEZZNS1_14partition_implILS5_8ELb0ES3_jPKlPS6_PKS6_NS0_5tupleIJPlS6_EEENSE_IJSB_SB_EEENS0_18inequality_wrapperIN6hipcub16HIPCUB_304000_NS8EqualityEEESF_JS6_EEE10hipError_tPvRmT3_T4_T5_T6_T7_T9_mT8_P12ihipStream_tbDpT10_ENKUlT_T0_E_clISt17integral_constantIbLb0EES15_IbLb1EEEEDaS11_S12_EUlS11_E_NS1_11comp_targetILNS1_3genE9ELNS1_11target_archE1100ELNS1_3gpuE3ELNS1_3repE0EEENS1_30default_config_static_selectorELNS0_4arch9wavefront6targetE0EEEvT1_
	.p2align	8
	.type	_ZN7rocprim17ROCPRIM_400000_NS6detail17trampoline_kernelINS0_14default_configENS1_25partition_config_selectorILNS1_17partition_subalgoE8ElNS0_10empty_typeEbEEZZNS1_14partition_implILS5_8ELb0ES3_jPKlPS6_PKS6_NS0_5tupleIJPlS6_EEENSE_IJSB_SB_EEENS0_18inequality_wrapperIN6hipcub16HIPCUB_304000_NS8EqualityEEESF_JS6_EEE10hipError_tPvRmT3_T4_T5_T6_T7_T9_mT8_P12ihipStream_tbDpT10_ENKUlT_T0_E_clISt17integral_constantIbLb0EES15_IbLb1EEEEDaS11_S12_EUlS11_E_NS1_11comp_targetILNS1_3genE9ELNS1_11target_archE1100ELNS1_3gpuE3ELNS1_3repE0EEENS1_30default_config_static_selectorELNS0_4arch9wavefront6targetE0EEEvT1_,@function
_ZN7rocprim17ROCPRIM_400000_NS6detail17trampoline_kernelINS0_14default_configENS1_25partition_config_selectorILNS1_17partition_subalgoE8ElNS0_10empty_typeEbEEZZNS1_14partition_implILS5_8ELb0ES3_jPKlPS6_PKS6_NS0_5tupleIJPlS6_EEENSE_IJSB_SB_EEENS0_18inequality_wrapperIN6hipcub16HIPCUB_304000_NS8EqualityEEESF_JS6_EEE10hipError_tPvRmT3_T4_T5_T6_T7_T9_mT8_P12ihipStream_tbDpT10_ENKUlT_T0_E_clISt17integral_constantIbLb0EES15_IbLb1EEEEDaS11_S12_EUlS11_E_NS1_11comp_targetILNS1_3genE9ELNS1_11target_archE1100ELNS1_3gpuE3ELNS1_3repE0EEENS1_30default_config_static_selectorELNS0_4arch9wavefront6targetE0EEEvT1_: ; @_ZN7rocprim17ROCPRIM_400000_NS6detail17trampoline_kernelINS0_14default_configENS1_25partition_config_selectorILNS1_17partition_subalgoE8ElNS0_10empty_typeEbEEZZNS1_14partition_implILS5_8ELb0ES3_jPKlPS6_PKS6_NS0_5tupleIJPlS6_EEENSE_IJSB_SB_EEENS0_18inequality_wrapperIN6hipcub16HIPCUB_304000_NS8EqualityEEESF_JS6_EEE10hipError_tPvRmT3_T4_T5_T6_T7_T9_mT8_P12ihipStream_tbDpT10_ENKUlT_T0_E_clISt17integral_constantIbLb0EES15_IbLb1EEEEDaS11_S12_EUlS11_E_NS1_11comp_targetILNS1_3genE9ELNS1_11target_archE1100ELNS1_3gpuE3ELNS1_3repE0EEENS1_30default_config_static_selectorELNS0_4arch9wavefront6targetE0EEEvT1_
; %bb.0:
	.section	.rodata,"a",@progbits
	.p2align	6, 0x0
	.amdhsa_kernel _ZN7rocprim17ROCPRIM_400000_NS6detail17trampoline_kernelINS0_14default_configENS1_25partition_config_selectorILNS1_17partition_subalgoE8ElNS0_10empty_typeEbEEZZNS1_14partition_implILS5_8ELb0ES3_jPKlPS6_PKS6_NS0_5tupleIJPlS6_EEENSE_IJSB_SB_EEENS0_18inequality_wrapperIN6hipcub16HIPCUB_304000_NS8EqualityEEESF_JS6_EEE10hipError_tPvRmT3_T4_T5_T6_T7_T9_mT8_P12ihipStream_tbDpT10_ENKUlT_T0_E_clISt17integral_constantIbLb0EES15_IbLb1EEEEDaS11_S12_EUlS11_E_NS1_11comp_targetILNS1_3genE9ELNS1_11target_archE1100ELNS1_3gpuE3ELNS1_3repE0EEENS1_30default_config_static_selectorELNS0_4arch9wavefront6targetE0EEEvT1_
		.amdhsa_group_segment_fixed_size 0
		.amdhsa_private_segment_fixed_size 0
		.amdhsa_kernarg_size 128
		.amdhsa_user_sgpr_count 2
		.amdhsa_user_sgpr_dispatch_ptr 0
		.amdhsa_user_sgpr_queue_ptr 0
		.amdhsa_user_sgpr_kernarg_segment_ptr 1
		.amdhsa_user_sgpr_dispatch_id 0
		.amdhsa_user_sgpr_kernarg_preload_length 0
		.amdhsa_user_sgpr_kernarg_preload_offset 0
		.amdhsa_user_sgpr_private_segment_size 0
		.amdhsa_wavefront_size32 1
		.amdhsa_uses_dynamic_stack 0
		.amdhsa_enable_private_segment 0
		.amdhsa_system_sgpr_workgroup_id_x 1
		.amdhsa_system_sgpr_workgroup_id_y 0
		.amdhsa_system_sgpr_workgroup_id_z 0
		.amdhsa_system_sgpr_workgroup_info 0
		.amdhsa_system_vgpr_workitem_id 0
		.amdhsa_next_free_vgpr 1
		.amdhsa_next_free_sgpr 1
		.amdhsa_named_barrier_count 0
		.amdhsa_reserve_vcc 0
		.amdhsa_float_round_mode_32 0
		.amdhsa_float_round_mode_16_64 0
		.amdhsa_float_denorm_mode_32 3
		.amdhsa_float_denorm_mode_16_64 3
		.amdhsa_fp16_overflow 0
		.amdhsa_memory_ordered 1
		.amdhsa_forward_progress 1
		.amdhsa_inst_pref_size 0
		.amdhsa_round_robin_scheduling 0
		.amdhsa_exception_fp_ieee_invalid_op 0
		.amdhsa_exception_fp_denorm_src 0
		.amdhsa_exception_fp_ieee_div_zero 0
		.amdhsa_exception_fp_ieee_overflow 0
		.amdhsa_exception_fp_ieee_underflow 0
		.amdhsa_exception_fp_ieee_inexact 0
		.amdhsa_exception_int_div_zero 0
	.end_amdhsa_kernel
	.section	.text._ZN7rocprim17ROCPRIM_400000_NS6detail17trampoline_kernelINS0_14default_configENS1_25partition_config_selectorILNS1_17partition_subalgoE8ElNS0_10empty_typeEbEEZZNS1_14partition_implILS5_8ELb0ES3_jPKlPS6_PKS6_NS0_5tupleIJPlS6_EEENSE_IJSB_SB_EEENS0_18inequality_wrapperIN6hipcub16HIPCUB_304000_NS8EqualityEEESF_JS6_EEE10hipError_tPvRmT3_T4_T5_T6_T7_T9_mT8_P12ihipStream_tbDpT10_ENKUlT_T0_E_clISt17integral_constantIbLb0EES15_IbLb1EEEEDaS11_S12_EUlS11_E_NS1_11comp_targetILNS1_3genE9ELNS1_11target_archE1100ELNS1_3gpuE3ELNS1_3repE0EEENS1_30default_config_static_selectorELNS0_4arch9wavefront6targetE0EEEvT1_,"axG",@progbits,_ZN7rocprim17ROCPRIM_400000_NS6detail17trampoline_kernelINS0_14default_configENS1_25partition_config_selectorILNS1_17partition_subalgoE8ElNS0_10empty_typeEbEEZZNS1_14partition_implILS5_8ELb0ES3_jPKlPS6_PKS6_NS0_5tupleIJPlS6_EEENSE_IJSB_SB_EEENS0_18inequality_wrapperIN6hipcub16HIPCUB_304000_NS8EqualityEEESF_JS6_EEE10hipError_tPvRmT3_T4_T5_T6_T7_T9_mT8_P12ihipStream_tbDpT10_ENKUlT_T0_E_clISt17integral_constantIbLb0EES15_IbLb1EEEEDaS11_S12_EUlS11_E_NS1_11comp_targetILNS1_3genE9ELNS1_11target_archE1100ELNS1_3gpuE3ELNS1_3repE0EEENS1_30default_config_static_selectorELNS0_4arch9wavefront6targetE0EEEvT1_,comdat
.Lfunc_end509:
	.size	_ZN7rocprim17ROCPRIM_400000_NS6detail17trampoline_kernelINS0_14default_configENS1_25partition_config_selectorILNS1_17partition_subalgoE8ElNS0_10empty_typeEbEEZZNS1_14partition_implILS5_8ELb0ES3_jPKlPS6_PKS6_NS0_5tupleIJPlS6_EEENSE_IJSB_SB_EEENS0_18inequality_wrapperIN6hipcub16HIPCUB_304000_NS8EqualityEEESF_JS6_EEE10hipError_tPvRmT3_T4_T5_T6_T7_T9_mT8_P12ihipStream_tbDpT10_ENKUlT_T0_E_clISt17integral_constantIbLb0EES15_IbLb1EEEEDaS11_S12_EUlS11_E_NS1_11comp_targetILNS1_3genE9ELNS1_11target_archE1100ELNS1_3gpuE3ELNS1_3repE0EEENS1_30default_config_static_selectorELNS0_4arch9wavefront6targetE0EEEvT1_, .Lfunc_end509-_ZN7rocprim17ROCPRIM_400000_NS6detail17trampoline_kernelINS0_14default_configENS1_25partition_config_selectorILNS1_17partition_subalgoE8ElNS0_10empty_typeEbEEZZNS1_14partition_implILS5_8ELb0ES3_jPKlPS6_PKS6_NS0_5tupleIJPlS6_EEENSE_IJSB_SB_EEENS0_18inequality_wrapperIN6hipcub16HIPCUB_304000_NS8EqualityEEESF_JS6_EEE10hipError_tPvRmT3_T4_T5_T6_T7_T9_mT8_P12ihipStream_tbDpT10_ENKUlT_T0_E_clISt17integral_constantIbLb0EES15_IbLb1EEEEDaS11_S12_EUlS11_E_NS1_11comp_targetILNS1_3genE9ELNS1_11target_archE1100ELNS1_3gpuE3ELNS1_3repE0EEENS1_30default_config_static_selectorELNS0_4arch9wavefront6targetE0EEEvT1_
                                        ; -- End function
	.set _ZN7rocprim17ROCPRIM_400000_NS6detail17trampoline_kernelINS0_14default_configENS1_25partition_config_selectorILNS1_17partition_subalgoE8ElNS0_10empty_typeEbEEZZNS1_14partition_implILS5_8ELb0ES3_jPKlPS6_PKS6_NS0_5tupleIJPlS6_EEENSE_IJSB_SB_EEENS0_18inequality_wrapperIN6hipcub16HIPCUB_304000_NS8EqualityEEESF_JS6_EEE10hipError_tPvRmT3_T4_T5_T6_T7_T9_mT8_P12ihipStream_tbDpT10_ENKUlT_T0_E_clISt17integral_constantIbLb0EES15_IbLb1EEEEDaS11_S12_EUlS11_E_NS1_11comp_targetILNS1_3genE9ELNS1_11target_archE1100ELNS1_3gpuE3ELNS1_3repE0EEENS1_30default_config_static_selectorELNS0_4arch9wavefront6targetE0EEEvT1_.num_vgpr, 0
	.set _ZN7rocprim17ROCPRIM_400000_NS6detail17trampoline_kernelINS0_14default_configENS1_25partition_config_selectorILNS1_17partition_subalgoE8ElNS0_10empty_typeEbEEZZNS1_14partition_implILS5_8ELb0ES3_jPKlPS6_PKS6_NS0_5tupleIJPlS6_EEENSE_IJSB_SB_EEENS0_18inequality_wrapperIN6hipcub16HIPCUB_304000_NS8EqualityEEESF_JS6_EEE10hipError_tPvRmT3_T4_T5_T6_T7_T9_mT8_P12ihipStream_tbDpT10_ENKUlT_T0_E_clISt17integral_constantIbLb0EES15_IbLb1EEEEDaS11_S12_EUlS11_E_NS1_11comp_targetILNS1_3genE9ELNS1_11target_archE1100ELNS1_3gpuE3ELNS1_3repE0EEENS1_30default_config_static_selectorELNS0_4arch9wavefront6targetE0EEEvT1_.num_agpr, 0
	.set _ZN7rocprim17ROCPRIM_400000_NS6detail17trampoline_kernelINS0_14default_configENS1_25partition_config_selectorILNS1_17partition_subalgoE8ElNS0_10empty_typeEbEEZZNS1_14partition_implILS5_8ELb0ES3_jPKlPS6_PKS6_NS0_5tupleIJPlS6_EEENSE_IJSB_SB_EEENS0_18inequality_wrapperIN6hipcub16HIPCUB_304000_NS8EqualityEEESF_JS6_EEE10hipError_tPvRmT3_T4_T5_T6_T7_T9_mT8_P12ihipStream_tbDpT10_ENKUlT_T0_E_clISt17integral_constantIbLb0EES15_IbLb1EEEEDaS11_S12_EUlS11_E_NS1_11comp_targetILNS1_3genE9ELNS1_11target_archE1100ELNS1_3gpuE3ELNS1_3repE0EEENS1_30default_config_static_selectorELNS0_4arch9wavefront6targetE0EEEvT1_.numbered_sgpr, 0
	.set _ZN7rocprim17ROCPRIM_400000_NS6detail17trampoline_kernelINS0_14default_configENS1_25partition_config_selectorILNS1_17partition_subalgoE8ElNS0_10empty_typeEbEEZZNS1_14partition_implILS5_8ELb0ES3_jPKlPS6_PKS6_NS0_5tupleIJPlS6_EEENSE_IJSB_SB_EEENS0_18inequality_wrapperIN6hipcub16HIPCUB_304000_NS8EqualityEEESF_JS6_EEE10hipError_tPvRmT3_T4_T5_T6_T7_T9_mT8_P12ihipStream_tbDpT10_ENKUlT_T0_E_clISt17integral_constantIbLb0EES15_IbLb1EEEEDaS11_S12_EUlS11_E_NS1_11comp_targetILNS1_3genE9ELNS1_11target_archE1100ELNS1_3gpuE3ELNS1_3repE0EEENS1_30default_config_static_selectorELNS0_4arch9wavefront6targetE0EEEvT1_.num_named_barrier, 0
	.set _ZN7rocprim17ROCPRIM_400000_NS6detail17trampoline_kernelINS0_14default_configENS1_25partition_config_selectorILNS1_17partition_subalgoE8ElNS0_10empty_typeEbEEZZNS1_14partition_implILS5_8ELb0ES3_jPKlPS6_PKS6_NS0_5tupleIJPlS6_EEENSE_IJSB_SB_EEENS0_18inequality_wrapperIN6hipcub16HIPCUB_304000_NS8EqualityEEESF_JS6_EEE10hipError_tPvRmT3_T4_T5_T6_T7_T9_mT8_P12ihipStream_tbDpT10_ENKUlT_T0_E_clISt17integral_constantIbLb0EES15_IbLb1EEEEDaS11_S12_EUlS11_E_NS1_11comp_targetILNS1_3genE9ELNS1_11target_archE1100ELNS1_3gpuE3ELNS1_3repE0EEENS1_30default_config_static_selectorELNS0_4arch9wavefront6targetE0EEEvT1_.private_seg_size, 0
	.set _ZN7rocprim17ROCPRIM_400000_NS6detail17trampoline_kernelINS0_14default_configENS1_25partition_config_selectorILNS1_17partition_subalgoE8ElNS0_10empty_typeEbEEZZNS1_14partition_implILS5_8ELb0ES3_jPKlPS6_PKS6_NS0_5tupleIJPlS6_EEENSE_IJSB_SB_EEENS0_18inequality_wrapperIN6hipcub16HIPCUB_304000_NS8EqualityEEESF_JS6_EEE10hipError_tPvRmT3_T4_T5_T6_T7_T9_mT8_P12ihipStream_tbDpT10_ENKUlT_T0_E_clISt17integral_constantIbLb0EES15_IbLb1EEEEDaS11_S12_EUlS11_E_NS1_11comp_targetILNS1_3genE9ELNS1_11target_archE1100ELNS1_3gpuE3ELNS1_3repE0EEENS1_30default_config_static_selectorELNS0_4arch9wavefront6targetE0EEEvT1_.uses_vcc, 0
	.set _ZN7rocprim17ROCPRIM_400000_NS6detail17trampoline_kernelINS0_14default_configENS1_25partition_config_selectorILNS1_17partition_subalgoE8ElNS0_10empty_typeEbEEZZNS1_14partition_implILS5_8ELb0ES3_jPKlPS6_PKS6_NS0_5tupleIJPlS6_EEENSE_IJSB_SB_EEENS0_18inequality_wrapperIN6hipcub16HIPCUB_304000_NS8EqualityEEESF_JS6_EEE10hipError_tPvRmT3_T4_T5_T6_T7_T9_mT8_P12ihipStream_tbDpT10_ENKUlT_T0_E_clISt17integral_constantIbLb0EES15_IbLb1EEEEDaS11_S12_EUlS11_E_NS1_11comp_targetILNS1_3genE9ELNS1_11target_archE1100ELNS1_3gpuE3ELNS1_3repE0EEENS1_30default_config_static_selectorELNS0_4arch9wavefront6targetE0EEEvT1_.uses_flat_scratch, 0
	.set _ZN7rocprim17ROCPRIM_400000_NS6detail17trampoline_kernelINS0_14default_configENS1_25partition_config_selectorILNS1_17partition_subalgoE8ElNS0_10empty_typeEbEEZZNS1_14partition_implILS5_8ELb0ES3_jPKlPS6_PKS6_NS0_5tupleIJPlS6_EEENSE_IJSB_SB_EEENS0_18inequality_wrapperIN6hipcub16HIPCUB_304000_NS8EqualityEEESF_JS6_EEE10hipError_tPvRmT3_T4_T5_T6_T7_T9_mT8_P12ihipStream_tbDpT10_ENKUlT_T0_E_clISt17integral_constantIbLb0EES15_IbLb1EEEEDaS11_S12_EUlS11_E_NS1_11comp_targetILNS1_3genE9ELNS1_11target_archE1100ELNS1_3gpuE3ELNS1_3repE0EEENS1_30default_config_static_selectorELNS0_4arch9wavefront6targetE0EEEvT1_.has_dyn_sized_stack, 0
	.set _ZN7rocprim17ROCPRIM_400000_NS6detail17trampoline_kernelINS0_14default_configENS1_25partition_config_selectorILNS1_17partition_subalgoE8ElNS0_10empty_typeEbEEZZNS1_14partition_implILS5_8ELb0ES3_jPKlPS6_PKS6_NS0_5tupleIJPlS6_EEENSE_IJSB_SB_EEENS0_18inequality_wrapperIN6hipcub16HIPCUB_304000_NS8EqualityEEESF_JS6_EEE10hipError_tPvRmT3_T4_T5_T6_T7_T9_mT8_P12ihipStream_tbDpT10_ENKUlT_T0_E_clISt17integral_constantIbLb0EES15_IbLb1EEEEDaS11_S12_EUlS11_E_NS1_11comp_targetILNS1_3genE9ELNS1_11target_archE1100ELNS1_3gpuE3ELNS1_3repE0EEENS1_30default_config_static_selectorELNS0_4arch9wavefront6targetE0EEEvT1_.has_recursion, 0
	.set _ZN7rocprim17ROCPRIM_400000_NS6detail17trampoline_kernelINS0_14default_configENS1_25partition_config_selectorILNS1_17partition_subalgoE8ElNS0_10empty_typeEbEEZZNS1_14partition_implILS5_8ELb0ES3_jPKlPS6_PKS6_NS0_5tupleIJPlS6_EEENSE_IJSB_SB_EEENS0_18inequality_wrapperIN6hipcub16HIPCUB_304000_NS8EqualityEEESF_JS6_EEE10hipError_tPvRmT3_T4_T5_T6_T7_T9_mT8_P12ihipStream_tbDpT10_ENKUlT_T0_E_clISt17integral_constantIbLb0EES15_IbLb1EEEEDaS11_S12_EUlS11_E_NS1_11comp_targetILNS1_3genE9ELNS1_11target_archE1100ELNS1_3gpuE3ELNS1_3repE0EEENS1_30default_config_static_selectorELNS0_4arch9wavefront6targetE0EEEvT1_.has_indirect_call, 0
	.section	.AMDGPU.csdata,"",@progbits
; Kernel info:
; codeLenInByte = 0
; TotalNumSgprs: 0
; NumVgprs: 0
; ScratchSize: 0
; MemoryBound: 0
; FloatMode: 240
; IeeeMode: 1
; LDSByteSize: 0 bytes/workgroup (compile time only)
; SGPRBlocks: 0
; VGPRBlocks: 0
; NumSGPRsForWavesPerEU: 1
; NumVGPRsForWavesPerEU: 1
; NamedBarCnt: 0
; Occupancy: 16
; WaveLimiterHint : 0
; COMPUTE_PGM_RSRC2:SCRATCH_EN: 0
; COMPUTE_PGM_RSRC2:USER_SGPR: 2
; COMPUTE_PGM_RSRC2:TRAP_HANDLER: 0
; COMPUTE_PGM_RSRC2:TGID_X_EN: 1
; COMPUTE_PGM_RSRC2:TGID_Y_EN: 0
; COMPUTE_PGM_RSRC2:TGID_Z_EN: 0
; COMPUTE_PGM_RSRC2:TIDIG_COMP_CNT: 0
	.section	.text._ZN7rocprim17ROCPRIM_400000_NS6detail17trampoline_kernelINS0_14default_configENS1_25partition_config_selectorILNS1_17partition_subalgoE8ElNS0_10empty_typeEbEEZZNS1_14partition_implILS5_8ELb0ES3_jPKlPS6_PKS6_NS0_5tupleIJPlS6_EEENSE_IJSB_SB_EEENS0_18inequality_wrapperIN6hipcub16HIPCUB_304000_NS8EqualityEEESF_JS6_EEE10hipError_tPvRmT3_T4_T5_T6_T7_T9_mT8_P12ihipStream_tbDpT10_ENKUlT_T0_E_clISt17integral_constantIbLb0EES15_IbLb1EEEEDaS11_S12_EUlS11_E_NS1_11comp_targetILNS1_3genE8ELNS1_11target_archE1030ELNS1_3gpuE2ELNS1_3repE0EEENS1_30default_config_static_selectorELNS0_4arch9wavefront6targetE0EEEvT1_,"axG",@progbits,_ZN7rocprim17ROCPRIM_400000_NS6detail17trampoline_kernelINS0_14default_configENS1_25partition_config_selectorILNS1_17partition_subalgoE8ElNS0_10empty_typeEbEEZZNS1_14partition_implILS5_8ELb0ES3_jPKlPS6_PKS6_NS0_5tupleIJPlS6_EEENSE_IJSB_SB_EEENS0_18inequality_wrapperIN6hipcub16HIPCUB_304000_NS8EqualityEEESF_JS6_EEE10hipError_tPvRmT3_T4_T5_T6_T7_T9_mT8_P12ihipStream_tbDpT10_ENKUlT_T0_E_clISt17integral_constantIbLb0EES15_IbLb1EEEEDaS11_S12_EUlS11_E_NS1_11comp_targetILNS1_3genE8ELNS1_11target_archE1030ELNS1_3gpuE2ELNS1_3repE0EEENS1_30default_config_static_selectorELNS0_4arch9wavefront6targetE0EEEvT1_,comdat
	.protected	_ZN7rocprim17ROCPRIM_400000_NS6detail17trampoline_kernelINS0_14default_configENS1_25partition_config_selectorILNS1_17partition_subalgoE8ElNS0_10empty_typeEbEEZZNS1_14partition_implILS5_8ELb0ES3_jPKlPS6_PKS6_NS0_5tupleIJPlS6_EEENSE_IJSB_SB_EEENS0_18inequality_wrapperIN6hipcub16HIPCUB_304000_NS8EqualityEEESF_JS6_EEE10hipError_tPvRmT3_T4_T5_T6_T7_T9_mT8_P12ihipStream_tbDpT10_ENKUlT_T0_E_clISt17integral_constantIbLb0EES15_IbLb1EEEEDaS11_S12_EUlS11_E_NS1_11comp_targetILNS1_3genE8ELNS1_11target_archE1030ELNS1_3gpuE2ELNS1_3repE0EEENS1_30default_config_static_selectorELNS0_4arch9wavefront6targetE0EEEvT1_ ; -- Begin function _ZN7rocprim17ROCPRIM_400000_NS6detail17trampoline_kernelINS0_14default_configENS1_25partition_config_selectorILNS1_17partition_subalgoE8ElNS0_10empty_typeEbEEZZNS1_14partition_implILS5_8ELb0ES3_jPKlPS6_PKS6_NS0_5tupleIJPlS6_EEENSE_IJSB_SB_EEENS0_18inequality_wrapperIN6hipcub16HIPCUB_304000_NS8EqualityEEESF_JS6_EEE10hipError_tPvRmT3_T4_T5_T6_T7_T9_mT8_P12ihipStream_tbDpT10_ENKUlT_T0_E_clISt17integral_constantIbLb0EES15_IbLb1EEEEDaS11_S12_EUlS11_E_NS1_11comp_targetILNS1_3genE8ELNS1_11target_archE1030ELNS1_3gpuE2ELNS1_3repE0EEENS1_30default_config_static_selectorELNS0_4arch9wavefront6targetE0EEEvT1_
	.globl	_ZN7rocprim17ROCPRIM_400000_NS6detail17trampoline_kernelINS0_14default_configENS1_25partition_config_selectorILNS1_17partition_subalgoE8ElNS0_10empty_typeEbEEZZNS1_14partition_implILS5_8ELb0ES3_jPKlPS6_PKS6_NS0_5tupleIJPlS6_EEENSE_IJSB_SB_EEENS0_18inequality_wrapperIN6hipcub16HIPCUB_304000_NS8EqualityEEESF_JS6_EEE10hipError_tPvRmT3_T4_T5_T6_T7_T9_mT8_P12ihipStream_tbDpT10_ENKUlT_T0_E_clISt17integral_constantIbLb0EES15_IbLb1EEEEDaS11_S12_EUlS11_E_NS1_11comp_targetILNS1_3genE8ELNS1_11target_archE1030ELNS1_3gpuE2ELNS1_3repE0EEENS1_30default_config_static_selectorELNS0_4arch9wavefront6targetE0EEEvT1_
	.p2align	8
	.type	_ZN7rocprim17ROCPRIM_400000_NS6detail17trampoline_kernelINS0_14default_configENS1_25partition_config_selectorILNS1_17partition_subalgoE8ElNS0_10empty_typeEbEEZZNS1_14partition_implILS5_8ELb0ES3_jPKlPS6_PKS6_NS0_5tupleIJPlS6_EEENSE_IJSB_SB_EEENS0_18inequality_wrapperIN6hipcub16HIPCUB_304000_NS8EqualityEEESF_JS6_EEE10hipError_tPvRmT3_T4_T5_T6_T7_T9_mT8_P12ihipStream_tbDpT10_ENKUlT_T0_E_clISt17integral_constantIbLb0EES15_IbLb1EEEEDaS11_S12_EUlS11_E_NS1_11comp_targetILNS1_3genE8ELNS1_11target_archE1030ELNS1_3gpuE2ELNS1_3repE0EEENS1_30default_config_static_selectorELNS0_4arch9wavefront6targetE0EEEvT1_,@function
_ZN7rocprim17ROCPRIM_400000_NS6detail17trampoline_kernelINS0_14default_configENS1_25partition_config_selectorILNS1_17partition_subalgoE8ElNS0_10empty_typeEbEEZZNS1_14partition_implILS5_8ELb0ES3_jPKlPS6_PKS6_NS0_5tupleIJPlS6_EEENSE_IJSB_SB_EEENS0_18inequality_wrapperIN6hipcub16HIPCUB_304000_NS8EqualityEEESF_JS6_EEE10hipError_tPvRmT3_T4_T5_T6_T7_T9_mT8_P12ihipStream_tbDpT10_ENKUlT_T0_E_clISt17integral_constantIbLb0EES15_IbLb1EEEEDaS11_S12_EUlS11_E_NS1_11comp_targetILNS1_3genE8ELNS1_11target_archE1030ELNS1_3gpuE2ELNS1_3repE0EEENS1_30default_config_static_selectorELNS0_4arch9wavefront6targetE0EEEvT1_: ; @_ZN7rocprim17ROCPRIM_400000_NS6detail17trampoline_kernelINS0_14default_configENS1_25partition_config_selectorILNS1_17partition_subalgoE8ElNS0_10empty_typeEbEEZZNS1_14partition_implILS5_8ELb0ES3_jPKlPS6_PKS6_NS0_5tupleIJPlS6_EEENSE_IJSB_SB_EEENS0_18inequality_wrapperIN6hipcub16HIPCUB_304000_NS8EqualityEEESF_JS6_EEE10hipError_tPvRmT3_T4_T5_T6_T7_T9_mT8_P12ihipStream_tbDpT10_ENKUlT_T0_E_clISt17integral_constantIbLb0EES15_IbLb1EEEEDaS11_S12_EUlS11_E_NS1_11comp_targetILNS1_3genE8ELNS1_11target_archE1030ELNS1_3gpuE2ELNS1_3repE0EEENS1_30default_config_static_selectorELNS0_4arch9wavefront6targetE0EEEvT1_
; %bb.0:
	.section	.rodata,"a",@progbits
	.p2align	6, 0x0
	.amdhsa_kernel _ZN7rocprim17ROCPRIM_400000_NS6detail17trampoline_kernelINS0_14default_configENS1_25partition_config_selectorILNS1_17partition_subalgoE8ElNS0_10empty_typeEbEEZZNS1_14partition_implILS5_8ELb0ES3_jPKlPS6_PKS6_NS0_5tupleIJPlS6_EEENSE_IJSB_SB_EEENS0_18inequality_wrapperIN6hipcub16HIPCUB_304000_NS8EqualityEEESF_JS6_EEE10hipError_tPvRmT3_T4_T5_T6_T7_T9_mT8_P12ihipStream_tbDpT10_ENKUlT_T0_E_clISt17integral_constantIbLb0EES15_IbLb1EEEEDaS11_S12_EUlS11_E_NS1_11comp_targetILNS1_3genE8ELNS1_11target_archE1030ELNS1_3gpuE2ELNS1_3repE0EEENS1_30default_config_static_selectorELNS0_4arch9wavefront6targetE0EEEvT1_
		.amdhsa_group_segment_fixed_size 0
		.amdhsa_private_segment_fixed_size 0
		.amdhsa_kernarg_size 128
		.amdhsa_user_sgpr_count 2
		.amdhsa_user_sgpr_dispatch_ptr 0
		.amdhsa_user_sgpr_queue_ptr 0
		.amdhsa_user_sgpr_kernarg_segment_ptr 1
		.amdhsa_user_sgpr_dispatch_id 0
		.amdhsa_user_sgpr_kernarg_preload_length 0
		.amdhsa_user_sgpr_kernarg_preload_offset 0
		.amdhsa_user_sgpr_private_segment_size 0
		.amdhsa_wavefront_size32 1
		.amdhsa_uses_dynamic_stack 0
		.amdhsa_enable_private_segment 0
		.amdhsa_system_sgpr_workgroup_id_x 1
		.amdhsa_system_sgpr_workgroup_id_y 0
		.amdhsa_system_sgpr_workgroup_id_z 0
		.amdhsa_system_sgpr_workgroup_info 0
		.amdhsa_system_vgpr_workitem_id 0
		.amdhsa_next_free_vgpr 1
		.amdhsa_next_free_sgpr 1
		.amdhsa_named_barrier_count 0
		.amdhsa_reserve_vcc 0
		.amdhsa_float_round_mode_32 0
		.amdhsa_float_round_mode_16_64 0
		.amdhsa_float_denorm_mode_32 3
		.amdhsa_float_denorm_mode_16_64 3
		.amdhsa_fp16_overflow 0
		.amdhsa_memory_ordered 1
		.amdhsa_forward_progress 1
		.amdhsa_inst_pref_size 0
		.amdhsa_round_robin_scheduling 0
		.amdhsa_exception_fp_ieee_invalid_op 0
		.amdhsa_exception_fp_denorm_src 0
		.amdhsa_exception_fp_ieee_div_zero 0
		.amdhsa_exception_fp_ieee_overflow 0
		.amdhsa_exception_fp_ieee_underflow 0
		.amdhsa_exception_fp_ieee_inexact 0
		.amdhsa_exception_int_div_zero 0
	.end_amdhsa_kernel
	.section	.text._ZN7rocprim17ROCPRIM_400000_NS6detail17trampoline_kernelINS0_14default_configENS1_25partition_config_selectorILNS1_17partition_subalgoE8ElNS0_10empty_typeEbEEZZNS1_14partition_implILS5_8ELb0ES3_jPKlPS6_PKS6_NS0_5tupleIJPlS6_EEENSE_IJSB_SB_EEENS0_18inequality_wrapperIN6hipcub16HIPCUB_304000_NS8EqualityEEESF_JS6_EEE10hipError_tPvRmT3_T4_T5_T6_T7_T9_mT8_P12ihipStream_tbDpT10_ENKUlT_T0_E_clISt17integral_constantIbLb0EES15_IbLb1EEEEDaS11_S12_EUlS11_E_NS1_11comp_targetILNS1_3genE8ELNS1_11target_archE1030ELNS1_3gpuE2ELNS1_3repE0EEENS1_30default_config_static_selectorELNS0_4arch9wavefront6targetE0EEEvT1_,"axG",@progbits,_ZN7rocprim17ROCPRIM_400000_NS6detail17trampoline_kernelINS0_14default_configENS1_25partition_config_selectorILNS1_17partition_subalgoE8ElNS0_10empty_typeEbEEZZNS1_14partition_implILS5_8ELb0ES3_jPKlPS6_PKS6_NS0_5tupleIJPlS6_EEENSE_IJSB_SB_EEENS0_18inequality_wrapperIN6hipcub16HIPCUB_304000_NS8EqualityEEESF_JS6_EEE10hipError_tPvRmT3_T4_T5_T6_T7_T9_mT8_P12ihipStream_tbDpT10_ENKUlT_T0_E_clISt17integral_constantIbLb0EES15_IbLb1EEEEDaS11_S12_EUlS11_E_NS1_11comp_targetILNS1_3genE8ELNS1_11target_archE1030ELNS1_3gpuE2ELNS1_3repE0EEENS1_30default_config_static_selectorELNS0_4arch9wavefront6targetE0EEEvT1_,comdat
.Lfunc_end510:
	.size	_ZN7rocprim17ROCPRIM_400000_NS6detail17trampoline_kernelINS0_14default_configENS1_25partition_config_selectorILNS1_17partition_subalgoE8ElNS0_10empty_typeEbEEZZNS1_14partition_implILS5_8ELb0ES3_jPKlPS6_PKS6_NS0_5tupleIJPlS6_EEENSE_IJSB_SB_EEENS0_18inequality_wrapperIN6hipcub16HIPCUB_304000_NS8EqualityEEESF_JS6_EEE10hipError_tPvRmT3_T4_T5_T6_T7_T9_mT8_P12ihipStream_tbDpT10_ENKUlT_T0_E_clISt17integral_constantIbLb0EES15_IbLb1EEEEDaS11_S12_EUlS11_E_NS1_11comp_targetILNS1_3genE8ELNS1_11target_archE1030ELNS1_3gpuE2ELNS1_3repE0EEENS1_30default_config_static_selectorELNS0_4arch9wavefront6targetE0EEEvT1_, .Lfunc_end510-_ZN7rocprim17ROCPRIM_400000_NS6detail17trampoline_kernelINS0_14default_configENS1_25partition_config_selectorILNS1_17partition_subalgoE8ElNS0_10empty_typeEbEEZZNS1_14partition_implILS5_8ELb0ES3_jPKlPS6_PKS6_NS0_5tupleIJPlS6_EEENSE_IJSB_SB_EEENS0_18inequality_wrapperIN6hipcub16HIPCUB_304000_NS8EqualityEEESF_JS6_EEE10hipError_tPvRmT3_T4_T5_T6_T7_T9_mT8_P12ihipStream_tbDpT10_ENKUlT_T0_E_clISt17integral_constantIbLb0EES15_IbLb1EEEEDaS11_S12_EUlS11_E_NS1_11comp_targetILNS1_3genE8ELNS1_11target_archE1030ELNS1_3gpuE2ELNS1_3repE0EEENS1_30default_config_static_selectorELNS0_4arch9wavefront6targetE0EEEvT1_
                                        ; -- End function
	.set _ZN7rocprim17ROCPRIM_400000_NS6detail17trampoline_kernelINS0_14default_configENS1_25partition_config_selectorILNS1_17partition_subalgoE8ElNS0_10empty_typeEbEEZZNS1_14partition_implILS5_8ELb0ES3_jPKlPS6_PKS6_NS0_5tupleIJPlS6_EEENSE_IJSB_SB_EEENS0_18inequality_wrapperIN6hipcub16HIPCUB_304000_NS8EqualityEEESF_JS6_EEE10hipError_tPvRmT3_T4_T5_T6_T7_T9_mT8_P12ihipStream_tbDpT10_ENKUlT_T0_E_clISt17integral_constantIbLb0EES15_IbLb1EEEEDaS11_S12_EUlS11_E_NS1_11comp_targetILNS1_3genE8ELNS1_11target_archE1030ELNS1_3gpuE2ELNS1_3repE0EEENS1_30default_config_static_selectorELNS0_4arch9wavefront6targetE0EEEvT1_.num_vgpr, 0
	.set _ZN7rocprim17ROCPRIM_400000_NS6detail17trampoline_kernelINS0_14default_configENS1_25partition_config_selectorILNS1_17partition_subalgoE8ElNS0_10empty_typeEbEEZZNS1_14partition_implILS5_8ELb0ES3_jPKlPS6_PKS6_NS0_5tupleIJPlS6_EEENSE_IJSB_SB_EEENS0_18inequality_wrapperIN6hipcub16HIPCUB_304000_NS8EqualityEEESF_JS6_EEE10hipError_tPvRmT3_T4_T5_T6_T7_T9_mT8_P12ihipStream_tbDpT10_ENKUlT_T0_E_clISt17integral_constantIbLb0EES15_IbLb1EEEEDaS11_S12_EUlS11_E_NS1_11comp_targetILNS1_3genE8ELNS1_11target_archE1030ELNS1_3gpuE2ELNS1_3repE0EEENS1_30default_config_static_selectorELNS0_4arch9wavefront6targetE0EEEvT1_.num_agpr, 0
	.set _ZN7rocprim17ROCPRIM_400000_NS6detail17trampoline_kernelINS0_14default_configENS1_25partition_config_selectorILNS1_17partition_subalgoE8ElNS0_10empty_typeEbEEZZNS1_14partition_implILS5_8ELb0ES3_jPKlPS6_PKS6_NS0_5tupleIJPlS6_EEENSE_IJSB_SB_EEENS0_18inequality_wrapperIN6hipcub16HIPCUB_304000_NS8EqualityEEESF_JS6_EEE10hipError_tPvRmT3_T4_T5_T6_T7_T9_mT8_P12ihipStream_tbDpT10_ENKUlT_T0_E_clISt17integral_constantIbLb0EES15_IbLb1EEEEDaS11_S12_EUlS11_E_NS1_11comp_targetILNS1_3genE8ELNS1_11target_archE1030ELNS1_3gpuE2ELNS1_3repE0EEENS1_30default_config_static_selectorELNS0_4arch9wavefront6targetE0EEEvT1_.numbered_sgpr, 0
	.set _ZN7rocprim17ROCPRIM_400000_NS6detail17trampoline_kernelINS0_14default_configENS1_25partition_config_selectorILNS1_17partition_subalgoE8ElNS0_10empty_typeEbEEZZNS1_14partition_implILS5_8ELb0ES3_jPKlPS6_PKS6_NS0_5tupleIJPlS6_EEENSE_IJSB_SB_EEENS0_18inequality_wrapperIN6hipcub16HIPCUB_304000_NS8EqualityEEESF_JS6_EEE10hipError_tPvRmT3_T4_T5_T6_T7_T9_mT8_P12ihipStream_tbDpT10_ENKUlT_T0_E_clISt17integral_constantIbLb0EES15_IbLb1EEEEDaS11_S12_EUlS11_E_NS1_11comp_targetILNS1_3genE8ELNS1_11target_archE1030ELNS1_3gpuE2ELNS1_3repE0EEENS1_30default_config_static_selectorELNS0_4arch9wavefront6targetE0EEEvT1_.num_named_barrier, 0
	.set _ZN7rocprim17ROCPRIM_400000_NS6detail17trampoline_kernelINS0_14default_configENS1_25partition_config_selectorILNS1_17partition_subalgoE8ElNS0_10empty_typeEbEEZZNS1_14partition_implILS5_8ELb0ES3_jPKlPS6_PKS6_NS0_5tupleIJPlS6_EEENSE_IJSB_SB_EEENS0_18inequality_wrapperIN6hipcub16HIPCUB_304000_NS8EqualityEEESF_JS6_EEE10hipError_tPvRmT3_T4_T5_T6_T7_T9_mT8_P12ihipStream_tbDpT10_ENKUlT_T0_E_clISt17integral_constantIbLb0EES15_IbLb1EEEEDaS11_S12_EUlS11_E_NS1_11comp_targetILNS1_3genE8ELNS1_11target_archE1030ELNS1_3gpuE2ELNS1_3repE0EEENS1_30default_config_static_selectorELNS0_4arch9wavefront6targetE0EEEvT1_.private_seg_size, 0
	.set _ZN7rocprim17ROCPRIM_400000_NS6detail17trampoline_kernelINS0_14default_configENS1_25partition_config_selectorILNS1_17partition_subalgoE8ElNS0_10empty_typeEbEEZZNS1_14partition_implILS5_8ELb0ES3_jPKlPS6_PKS6_NS0_5tupleIJPlS6_EEENSE_IJSB_SB_EEENS0_18inequality_wrapperIN6hipcub16HIPCUB_304000_NS8EqualityEEESF_JS6_EEE10hipError_tPvRmT3_T4_T5_T6_T7_T9_mT8_P12ihipStream_tbDpT10_ENKUlT_T0_E_clISt17integral_constantIbLb0EES15_IbLb1EEEEDaS11_S12_EUlS11_E_NS1_11comp_targetILNS1_3genE8ELNS1_11target_archE1030ELNS1_3gpuE2ELNS1_3repE0EEENS1_30default_config_static_selectorELNS0_4arch9wavefront6targetE0EEEvT1_.uses_vcc, 0
	.set _ZN7rocprim17ROCPRIM_400000_NS6detail17trampoline_kernelINS0_14default_configENS1_25partition_config_selectorILNS1_17partition_subalgoE8ElNS0_10empty_typeEbEEZZNS1_14partition_implILS5_8ELb0ES3_jPKlPS6_PKS6_NS0_5tupleIJPlS6_EEENSE_IJSB_SB_EEENS0_18inequality_wrapperIN6hipcub16HIPCUB_304000_NS8EqualityEEESF_JS6_EEE10hipError_tPvRmT3_T4_T5_T6_T7_T9_mT8_P12ihipStream_tbDpT10_ENKUlT_T0_E_clISt17integral_constantIbLb0EES15_IbLb1EEEEDaS11_S12_EUlS11_E_NS1_11comp_targetILNS1_3genE8ELNS1_11target_archE1030ELNS1_3gpuE2ELNS1_3repE0EEENS1_30default_config_static_selectorELNS0_4arch9wavefront6targetE0EEEvT1_.uses_flat_scratch, 0
	.set _ZN7rocprim17ROCPRIM_400000_NS6detail17trampoline_kernelINS0_14default_configENS1_25partition_config_selectorILNS1_17partition_subalgoE8ElNS0_10empty_typeEbEEZZNS1_14partition_implILS5_8ELb0ES3_jPKlPS6_PKS6_NS0_5tupleIJPlS6_EEENSE_IJSB_SB_EEENS0_18inequality_wrapperIN6hipcub16HIPCUB_304000_NS8EqualityEEESF_JS6_EEE10hipError_tPvRmT3_T4_T5_T6_T7_T9_mT8_P12ihipStream_tbDpT10_ENKUlT_T0_E_clISt17integral_constantIbLb0EES15_IbLb1EEEEDaS11_S12_EUlS11_E_NS1_11comp_targetILNS1_3genE8ELNS1_11target_archE1030ELNS1_3gpuE2ELNS1_3repE0EEENS1_30default_config_static_selectorELNS0_4arch9wavefront6targetE0EEEvT1_.has_dyn_sized_stack, 0
	.set _ZN7rocprim17ROCPRIM_400000_NS6detail17trampoline_kernelINS0_14default_configENS1_25partition_config_selectorILNS1_17partition_subalgoE8ElNS0_10empty_typeEbEEZZNS1_14partition_implILS5_8ELb0ES3_jPKlPS6_PKS6_NS0_5tupleIJPlS6_EEENSE_IJSB_SB_EEENS0_18inequality_wrapperIN6hipcub16HIPCUB_304000_NS8EqualityEEESF_JS6_EEE10hipError_tPvRmT3_T4_T5_T6_T7_T9_mT8_P12ihipStream_tbDpT10_ENKUlT_T0_E_clISt17integral_constantIbLb0EES15_IbLb1EEEEDaS11_S12_EUlS11_E_NS1_11comp_targetILNS1_3genE8ELNS1_11target_archE1030ELNS1_3gpuE2ELNS1_3repE0EEENS1_30default_config_static_selectorELNS0_4arch9wavefront6targetE0EEEvT1_.has_recursion, 0
	.set _ZN7rocprim17ROCPRIM_400000_NS6detail17trampoline_kernelINS0_14default_configENS1_25partition_config_selectorILNS1_17partition_subalgoE8ElNS0_10empty_typeEbEEZZNS1_14partition_implILS5_8ELb0ES3_jPKlPS6_PKS6_NS0_5tupleIJPlS6_EEENSE_IJSB_SB_EEENS0_18inequality_wrapperIN6hipcub16HIPCUB_304000_NS8EqualityEEESF_JS6_EEE10hipError_tPvRmT3_T4_T5_T6_T7_T9_mT8_P12ihipStream_tbDpT10_ENKUlT_T0_E_clISt17integral_constantIbLb0EES15_IbLb1EEEEDaS11_S12_EUlS11_E_NS1_11comp_targetILNS1_3genE8ELNS1_11target_archE1030ELNS1_3gpuE2ELNS1_3repE0EEENS1_30default_config_static_selectorELNS0_4arch9wavefront6targetE0EEEvT1_.has_indirect_call, 0
	.section	.AMDGPU.csdata,"",@progbits
; Kernel info:
; codeLenInByte = 0
; TotalNumSgprs: 0
; NumVgprs: 0
; ScratchSize: 0
; MemoryBound: 0
; FloatMode: 240
; IeeeMode: 1
; LDSByteSize: 0 bytes/workgroup (compile time only)
; SGPRBlocks: 0
; VGPRBlocks: 0
; NumSGPRsForWavesPerEU: 1
; NumVGPRsForWavesPerEU: 1
; NamedBarCnt: 0
; Occupancy: 16
; WaveLimiterHint : 0
; COMPUTE_PGM_RSRC2:SCRATCH_EN: 0
; COMPUTE_PGM_RSRC2:USER_SGPR: 2
; COMPUTE_PGM_RSRC2:TRAP_HANDLER: 0
; COMPUTE_PGM_RSRC2:TGID_X_EN: 1
; COMPUTE_PGM_RSRC2:TGID_Y_EN: 0
; COMPUTE_PGM_RSRC2:TGID_Z_EN: 0
; COMPUTE_PGM_RSRC2:TIDIG_COMP_CNT: 0
	.section	.text._ZN7rocprim17ROCPRIM_400000_NS6detail17trampoline_kernelINS0_14default_configENS1_33run_length_encode_config_selectorIljNS0_4plusIjEEEEZZNS1_33reduce_by_key_impl_wrapped_configILNS1_25lookback_scan_determinismE0ES3_S7_PKlNS0_17constant_iteratorIjlEEPlSE_SE_S6_NS0_8equal_toIlEEEE10hipError_tPvRmT2_T3_mT4_T5_T6_T7_T8_P12ihipStream_tbENKUlT_T0_E_clISt17integral_constantIbLb0EESY_EEDaST_SU_EUlST_E_NS1_11comp_targetILNS1_3genE0ELNS1_11target_archE4294967295ELNS1_3gpuE0ELNS1_3repE0EEENS1_30default_config_static_selectorELNS0_4arch9wavefront6targetE0EEEvT1_,"axG",@progbits,_ZN7rocprim17ROCPRIM_400000_NS6detail17trampoline_kernelINS0_14default_configENS1_33run_length_encode_config_selectorIljNS0_4plusIjEEEEZZNS1_33reduce_by_key_impl_wrapped_configILNS1_25lookback_scan_determinismE0ES3_S7_PKlNS0_17constant_iteratorIjlEEPlSE_SE_S6_NS0_8equal_toIlEEEE10hipError_tPvRmT2_T3_mT4_T5_T6_T7_T8_P12ihipStream_tbENKUlT_T0_E_clISt17integral_constantIbLb0EESY_EEDaST_SU_EUlST_E_NS1_11comp_targetILNS1_3genE0ELNS1_11target_archE4294967295ELNS1_3gpuE0ELNS1_3repE0EEENS1_30default_config_static_selectorELNS0_4arch9wavefront6targetE0EEEvT1_,comdat
	.protected	_ZN7rocprim17ROCPRIM_400000_NS6detail17trampoline_kernelINS0_14default_configENS1_33run_length_encode_config_selectorIljNS0_4plusIjEEEEZZNS1_33reduce_by_key_impl_wrapped_configILNS1_25lookback_scan_determinismE0ES3_S7_PKlNS0_17constant_iteratorIjlEEPlSE_SE_S6_NS0_8equal_toIlEEEE10hipError_tPvRmT2_T3_mT4_T5_T6_T7_T8_P12ihipStream_tbENKUlT_T0_E_clISt17integral_constantIbLb0EESY_EEDaST_SU_EUlST_E_NS1_11comp_targetILNS1_3genE0ELNS1_11target_archE4294967295ELNS1_3gpuE0ELNS1_3repE0EEENS1_30default_config_static_selectorELNS0_4arch9wavefront6targetE0EEEvT1_ ; -- Begin function _ZN7rocprim17ROCPRIM_400000_NS6detail17trampoline_kernelINS0_14default_configENS1_33run_length_encode_config_selectorIljNS0_4plusIjEEEEZZNS1_33reduce_by_key_impl_wrapped_configILNS1_25lookback_scan_determinismE0ES3_S7_PKlNS0_17constant_iteratorIjlEEPlSE_SE_S6_NS0_8equal_toIlEEEE10hipError_tPvRmT2_T3_mT4_T5_T6_T7_T8_P12ihipStream_tbENKUlT_T0_E_clISt17integral_constantIbLb0EESY_EEDaST_SU_EUlST_E_NS1_11comp_targetILNS1_3genE0ELNS1_11target_archE4294967295ELNS1_3gpuE0ELNS1_3repE0EEENS1_30default_config_static_selectorELNS0_4arch9wavefront6targetE0EEEvT1_
	.globl	_ZN7rocprim17ROCPRIM_400000_NS6detail17trampoline_kernelINS0_14default_configENS1_33run_length_encode_config_selectorIljNS0_4plusIjEEEEZZNS1_33reduce_by_key_impl_wrapped_configILNS1_25lookback_scan_determinismE0ES3_S7_PKlNS0_17constant_iteratorIjlEEPlSE_SE_S6_NS0_8equal_toIlEEEE10hipError_tPvRmT2_T3_mT4_T5_T6_T7_T8_P12ihipStream_tbENKUlT_T0_E_clISt17integral_constantIbLb0EESY_EEDaST_SU_EUlST_E_NS1_11comp_targetILNS1_3genE0ELNS1_11target_archE4294967295ELNS1_3gpuE0ELNS1_3repE0EEENS1_30default_config_static_selectorELNS0_4arch9wavefront6targetE0EEEvT1_
	.p2align	8
	.type	_ZN7rocprim17ROCPRIM_400000_NS6detail17trampoline_kernelINS0_14default_configENS1_33run_length_encode_config_selectorIljNS0_4plusIjEEEEZZNS1_33reduce_by_key_impl_wrapped_configILNS1_25lookback_scan_determinismE0ES3_S7_PKlNS0_17constant_iteratorIjlEEPlSE_SE_S6_NS0_8equal_toIlEEEE10hipError_tPvRmT2_T3_mT4_T5_T6_T7_T8_P12ihipStream_tbENKUlT_T0_E_clISt17integral_constantIbLb0EESY_EEDaST_SU_EUlST_E_NS1_11comp_targetILNS1_3genE0ELNS1_11target_archE4294967295ELNS1_3gpuE0ELNS1_3repE0EEENS1_30default_config_static_selectorELNS0_4arch9wavefront6targetE0EEEvT1_,@function
_ZN7rocprim17ROCPRIM_400000_NS6detail17trampoline_kernelINS0_14default_configENS1_33run_length_encode_config_selectorIljNS0_4plusIjEEEEZZNS1_33reduce_by_key_impl_wrapped_configILNS1_25lookback_scan_determinismE0ES3_S7_PKlNS0_17constant_iteratorIjlEEPlSE_SE_S6_NS0_8equal_toIlEEEE10hipError_tPvRmT2_T3_mT4_T5_T6_T7_T8_P12ihipStream_tbENKUlT_T0_E_clISt17integral_constantIbLb0EESY_EEDaST_SU_EUlST_E_NS1_11comp_targetILNS1_3genE0ELNS1_11target_archE4294967295ELNS1_3gpuE0ELNS1_3repE0EEENS1_30default_config_static_selectorELNS0_4arch9wavefront6targetE0EEEvT1_: ; @_ZN7rocprim17ROCPRIM_400000_NS6detail17trampoline_kernelINS0_14default_configENS1_33run_length_encode_config_selectorIljNS0_4plusIjEEEEZZNS1_33reduce_by_key_impl_wrapped_configILNS1_25lookback_scan_determinismE0ES3_S7_PKlNS0_17constant_iteratorIjlEEPlSE_SE_S6_NS0_8equal_toIlEEEE10hipError_tPvRmT2_T3_mT4_T5_T6_T7_T8_P12ihipStream_tbENKUlT_T0_E_clISt17integral_constantIbLb0EESY_EEDaST_SU_EUlST_E_NS1_11comp_targetILNS1_3genE0ELNS1_11target_archE4294967295ELNS1_3gpuE0ELNS1_3repE0EEENS1_30default_config_static_selectorELNS0_4arch9wavefront6targetE0EEEvT1_
; %bb.0:
	s_clause 0x1
	s_load_b128 s[8:11], s[0:1], 0x0
	s_load_b256 s[20:27], s[0:1], 0x40
	s_bfe_u32 s5, ttmp6, 0x4000c
	s_clause 0x1
	s_load_b32 s4, s[0:1], 0x10
	s_load_b128 s[28:31], s[0:1], 0x60
	s_add_co_i32 s5, s5, 1
	s_and_b32 s2, ttmp6, 15
	s_mul_i32 s5, ttmp9, s5
	s_getreg_b32 s12, hwreg(HW_REG_IB_STS2, 6, 4)
	s_add_co_i32 s2, s2, s5
	s_mov_b32 s3, 0
	s_delay_alu instid0(SALU_CYCLE_1)
	s_mov_b32 s35, s3
	s_wait_kmcnt 0x0
	s_lshl_b64 s[6:7], s[10:11], 3
	s_cmp_eq_u32 s12, 0
	s_mul_u64 s[10:11], s[24:25], s[22:23]
	s_cselect_b32 s34, ttmp9, s2
	s_add_nc_u64 s[12:13], s[26:27], -1
	s_mul_i32 s2, s34, 0xf00
	s_add_nc_u64 s[16:17], s[10:11], s[34:35]
	s_lshl_b64 s[10:11], s[2:3], 3
	s_cmp_eq_u64 s[16:17], s[12:13]
	s_add_nc_u64 s[6:7], s[8:9], s[6:7]
	s_cselect_b32 s33, -1, 0
	s_cmp_lg_u64 s[16:17], s[12:13]
	s_add_nc_u64 s[18:19], s[6:7], s[10:11]
	s_cselect_b32 s2, -1, 0
	s_and_b32 vcc_lo, exec_lo, s33
	s_mul_i32 s35, s12, 0xfffff100
	s_cbranch_vccnz .LBB511_2
; %bb.1:
	s_clause 0xe
	global_load_b64 v[2:3], v0, s[18:19] scale_offset
	global_load_b64 v[4:5], v0, s[18:19] offset:2048 scale_offset
	global_load_b64 v[6:7], v0, s[18:19] offset:4096 scale_offset
	global_load_b64 v[8:9], v0, s[18:19] offset:6144 scale_offset
	global_load_b64 v[10:11], v0, s[18:19] offset:8192 scale_offset
	global_load_b64 v[12:13], v0, s[18:19] offset:10240 scale_offset
	global_load_b64 v[14:15], v0, s[18:19] offset:12288 scale_offset
	global_load_b64 v[16:17], v0, s[18:19] offset:14336 scale_offset
	global_load_b64 v[18:19], v0, s[18:19] offset:16384 scale_offset
	global_load_b64 v[20:21], v0, s[18:19] offset:18432 scale_offset
	global_load_b64 v[22:23], v0, s[18:19] offset:20480 scale_offset
	global_load_b64 v[24:25], v0, s[18:19] offset:22528 scale_offset
	global_load_b64 v[26:27], v0, s[18:19] offset:24576 scale_offset
	global_load_b64 v[28:29], v0, s[18:19] offset:26624 scale_offset
	global_load_b64 v[30:31], v0, s[18:19] offset:28672 scale_offset
	v_lshlrev_b32_e32 v1, 3, v0
	s_mov_b32 s5, 0
	s_mov_b32 s3, -1
	s_wait_loadcnt 0xd
	ds_store_2addr_stride64_b64 v1, v[2:3], v[4:5] offset1:4
	s_wait_loadcnt 0xb
	ds_store_2addr_stride64_b64 v1, v[6:7], v[8:9] offset0:8 offset1:12
	s_wait_loadcnt 0x9
	ds_store_2addr_stride64_b64 v1, v[10:11], v[12:13] offset0:16 offset1:20
	s_wait_loadcnt 0x7
	ds_store_2addr_stride64_b64 v1, v[14:15], v[16:17] offset0:24 offset1:28
	s_wait_loadcnt 0x5
	ds_store_2addr_stride64_b64 v1, v[18:19], v[20:21] offset0:32 offset1:36
	s_wait_loadcnt 0x3
	ds_store_2addr_stride64_b64 v1, v[22:23], v[24:25] offset0:40 offset1:44
	s_wait_loadcnt 0x1
	ds_store_2addr_stride64_b64 v1, v[26:27], v[28:29] offset0:48 offset1:52
	s_wait_loadcnt 0x0
	ds_store_b64 v1, v[30:31] offset:28672
	v_mad_u32_u24 v32, 0x70, v0, v1
	s_wait_dscnt 0x0
	s_barrier_signal -1
	s_barrier_wait -1
	ds_load_2addr_b64 v[26:29], v32 offset1:1
	ds_load_2addr_b64 v[22:25], v32 offset0:2 offset1:3
	ds_load_2addr_b64 v[18:21], v32 offset0:4 offset1:5
	;; [unrolled: 1-line block ×6, first 2 shown]
	ds_load_b64 v[42:43], v32 offset:112
	s_wait_dscnt 0x7
	v_dual_mov_b32 v30, v26 :: v_dual_mov_b32 v31, v27
	s_wait_dscnt 0x6
	v_dual_mov_b32 v32, v22 :: v_dual_mov_b32 v33, v23
	;; [unrolled: 2-line block ×7, first 2 shown]
	s_branch .LBB511_3
.LBB511_2:
	s_mov_b32 s5, -1
                                        ; implicit-def: $vgpr42_vgpr43
                                        ; implicit-def: $vgpr2_vgpr3
                                        ; implicit-def: $vgpr6_vgpr7
                                        ; implicit-def: $vgpr10_vgpr11
                                        ; implicit-def: $vgpr14_vgpr15
                                        ; implicit-def: $vgpr18_vgpr19
                                        ; implicit-def: $vgpr22_vgpr23
                                        ; implicit-def: $vgpr26_vgpr27
                                        ; implicit-def: $vgpr38_vgpr39_vgpr40_vgpr41
                                        ; implicit-def: $vgpr34_vgpr35_vgpr36_vgpr37
                                        ; implicit-def: $vgpr30_vgpr31_vgpr32_vgpr33
                                        ; implicit-def: $vgpr44_vgpr45
.LBB511_3:
	v_dual_mov_b32 v68, s4 :: v_dual_mov_b32 v69, s4
	v_dual_mov_b32 v70, s4 :: v_dual_mov_b32 v71, s4
	;; [unrolled: 1-line block ×7, first 2 shown]
	s_and_not1_b32 vcc_lo, exec_lo, s5
	s_add_co_i32 s35, s35, s28
                                        ; implicit-def: $vgpr96
	s_cbranch_vccnz .LBB511_35
; %bb.4:
	s_mov_b32 s3, exec_lo
                                        ; implicit-def: $vgpr2_vgpr3
	v_cmpx_gt_u32_e64 s35, v0
	s_cbranch_execz .LBB511_6
; %bb.5:
	global_load_b64 v[2:3], v0, s[18:19] scale_offset
.LBB511_6:
	s_wait_xcnt 0x0
	s_or_b32 exec_lo, exec_lo, s3
	v_or_b32_e32 v1, 0x100, v0
	s_mov_b32 s3, exec_lo
                                        ; implicit-def: $vgpr4_vgpr5
	s_delay_alu instid0(VALU_DEP_1)
	v_cmpx_gt_u32_e64 s35, v1
	s_cbranch_execz .LBB511_8
; %bb.7:
	global_load_b64 v[4:5], v0, s[18:19] offset:2048 scale_offset
.LBB511_8:
	s_wait_xcnt 0x0
	s_or_b32 exec_lo, exec_lo, s3
	v_or_b32_e32 v1, 0x200, v0
	s_mov_b32 s3, exec_lo
                                        ; implicit-def: $vgpr6_vgpr7
	s_delay_alu instid0(VALU_DEP_1)
	v_cmpx_gt_u32_e64 s35, v1
	s_cbranch_execz .LBB511_10
; %bb.9:
	global_load_b64 v[6:7], v0, s[18:19] offset:4096 scale_offset
.LBB511_10:
	s_wait_xcnt 0x0
	s_or_b32 exec_lo, exec_lo, s3
	v_or_b32_e32 v1, 0x300, v0
	s_mov_b32 s3, exec_lo
                                        ; implicit-def: $vgpr8_vgpr9
	s_delay_alu instid0(VALU_DEP_1)
	v_cmpx_gt_u32_e64 s35, v1
	s_cbranch_execz .LBB511_12
; %bb.11:
	global_load_b64 v[8:9], v0, s[18:19] offset:6144 scale_offset
.LBB511_12:
	s_wait_xcnt 0x0
	s_or_b32 exec_lo, exec_lo, s3
	v_or_b32_e32 v1, 0x400, v0
	s_mov_b32 s3, exec_lo
                                        ; implicit-def: $vgpr10_vgpr11
	s_delay_alu instid0(VALU_DEP_1)
	v_cmpx_gt_u32_e64 s35, v1
	s_cbranch_execz .LBB511_14
; %bb.13:
	global_load_b64 v[10:11], v0, s[18:19] offset:8192 scale_offset
.LBB511_14:
	s_wait_xcnt 0x0
	s_or_b32 exec_lo, exec_lo, s3
	v_or_b32_e32 v1, 0x500, v0
	s_mov_b32 s3, exec_lo
                                        ; implicit-def: $vgpr12_vgpr13
	s_delay_alu instid0(VALU_DEP_1)
	v_cmpx_gt_u32_e64 s35, v1
	s_cbranch_execz .LBB511_16
; %bb.15:
	global_load_b64 v[12:13], v0, s[18:19] offset:10240 scale_offset
.LBB511_16:
	s_wait_xcnt 0x0
	s_or_b32 exec_lo, exec_lo, s3
	v_or_b32_e32 v1, 0x600, v0
	s_mov_b32 s3, exec_lo
                                        ; implicit-def: $vgpr14_vgpr15
	s_delay_alu instid0(VALU_DEP_1)
	v_cmpx_gt_u32_e64 s35, v1
	s_cbranch_execz .LBB511_18
; %bb.17:
	global_load_b64 v[14:15], v0, s[18:19] offset:12288 scale_offset
.LBB511_18:
	s_wait_xcnt 0x0
	s_or_b32 exec_lo, exec_lo, s3
	v_or_b32_e32 v1, 0x700, v0
	s_mov_b32 s3, exec_lo
                                        ; implicit-def: $vgpr16_vgpr17
	s_delay_alu instid0(VALU_DEP_1)
	v_cmpx_gt_u32_e64 s35, v1
	s_cbranch_execz .LBB511_20
; %bb.19:
	global_load_b64 v[16:17], v0, s[18:19] offset:14336 scale_offset
.LBB511_20:
	s_wait_xcnt 0x0
	s_or_b32 exec_lo, exec_lo, s3
	v_or_b32_e32 v1, 0x800, v0
	s_mov_b32 s3, exec_lo
                                        ; implicit-def: $vgpr18_vgpr19
	s_delay_alu instid0(VALU_DEP_1)
	v_cmpx_gt_u32_e64 s35, v1
	s_cbranch_execz .LBB511_22
; %bb.21:
	global_load_b64 v[18:19], v0, s[18:19] offset:16384 scale_offset
.LBB511_22:
	s_wait_xcnt 0x0
	s_or_b32 exec_lo, exec_lo, s3
	v_or_b32_e32 v1, 0x900, v0
	s_mov_b32 s3, exec_lo
                                        ; implicit-def: $vgpr20_vgpr21
	s_delay_alu instid0(VALU_DEP_1)
	v_cmpx_gt_u32_e64 s35, v1
	s_cbranch_execz .LBB511_24
; %bb.23:
	global_load_b64 v[20:21], v0, s[18:19] offset:18432 scale_offset
.LBB511_24:
	s_wait_xcnt 0x0
	s_or_b32 exec_lo, exec_lo, s3
	v_or_b32_e32 v1, 0xa00, v0
	s_mov_b32 s3, exec_lo
                                        ; implicit-def: $vgpr22_vgpr23
	s_delay_alu instid0(VALU_DEP_1)
	v_cmpx_gt_u32_e64 s35, v1
	s_cbranch_execz .LBB511_26
; %bb.25:
	global_load_b64 v[22:23], v0, s[18:19] offset:20480 scale_offset
.LBB511_26:
	s_wait_xcnt 0x0
	s_or_b32 exec_lo, exec_lo, s3
	v_or_b32_e32 v1, 0xb00, v0
	s_mov_b32 s3, exec_lo
                                        ; implicit-def: $vgpr24_vgpr25
	s_delay_alu instid0(VALU_DEP_1)
	v_cmpx_gt_u32_e64 s35, v1
	s_cbranch_execz .LBB511_28
; %bb.27:
	global_load_b64 v[24:25], v0, s[18:19] offset:22528 scale_offset
.LBB511_28:
	s_wait_xcnt 0x0
	s_or_b32 exec_lo, exec_lo, s3
	v_or_b32_e32 v1, 0xc00, v0
	s_mov_b32 s3, exec_lo
                                        ; implicit-def: $vgpr26_vgpr27
	s_delay_alu instid0(VALU_DEP_1)
	v_cmpx_gt_u32_e64 s35, v1
	s_cbranch_execz .LBB511_30
; %bb.29:
	global_load_b64 v[26:27], v0, s[18:19] offset:24576 scale_offset
.LBB511_30:
	s_wait_xcnt 0x0
	s_or_b32 exec_lo, exec_lo, s3
	v_or_b32_e32 v1, 0xd00, v0
	s_mov_b32 s3, exec_lo
                                        ; implicit-def: $vgpr28_vgpr29
	s_delay_alu instid0(VALU_DEP_1)
	v_cmpx_gt_u32_e64 s35, v1
	s_cbranch_execz .LBB511_32
; %bb.31:
	global_load_b64 v[28:29], v0, s[18:19] offset:26624 scale_offset
.LBB511_32:
	s_wait_xcnt 0x0
	s_or_b32 exec_lo, exec_lo, s3
	v_or_b32_e32 v1, 0xe00, v0
	s_mov_b32 s3, exec_lo
                                        ; implicit-def: $vgpr30_vgpr31
	s_delay_alu instid0(VALU_DEP_1)
	v_cmpx_gt_u32_e64 s35, v1
	s_cbranch_execz .LBB511_34
; %bb.33:
	global_load_b64 v[30:31], v0, s[18:19] offset:28672 scale_offset
.LBB511_34:
	s_wait_xcnt 0x0
	s_or_b32 exec_lo, exec_lo, s3
	v_lshlrev_b32_e32 v1, 3, v0
	s_wait_loadcnt 0x0
	ds_store_2addr_stride64_b64 v1, v[2:3], v[4:5] offset1:4
	ds_store_2addr_stride64_b64 v1, v[6:7], v[8:9] offset0:8 offset1:12
	ds_store_2addr_stride64_b64 v1, v[10:11], v[12:13] offset0:16 offset1:20
	;; [unrolled: 1-line block ×6, first 2 shown]
	ds_store_b64 v1, v[30:31] offset:28672
	v_mul_u32_u24_e32 v30, 15, v0
	v_mad_u32_u24 v1, 0x70, v0, v1
	v_mad_u32_u24 v31, v0, 15, 1
	s_wait_dscnt 0x0
	s_barrier_signal -1
	v_cmp_gt_u32_e32 vcc_lo, s35, v30
	s_barrier_wait -1
	ds_load_2addr_b64 v[26:29], v1 offset1:1
	ds_load_2addr_b64 v[22:25], v1 offset0:2 offset1:3
	ds_load_2addr_b64 v[18:21], v1 offset0:4 offset1:5
	ds_load_2addr_b64 v[14:17], v1 offset0:6 offset1:7
	ds_load_2addr_b64 v[10:13], v1 offset0:8 offset1:9
	ds_load_2addr_b64 v[6:9], v1 offset0:10 offset1:11
	ds_load_2addr_b64 v[2:5], v1 offset0:12 offset1:13
	ds_load_b64 v[42:43], v1 offset:112
	v_mad_u32_u24 v1, v0, 15, 2
	v_cndmask_b32_e64 v75, 0, s4, vcc_lo
	v_cmp_gt_u32_e32 vcc_lo, s35, v31
	v_mad_u32_u24 v30, v0, 15, 3
	v_mad_u32_u24 v31, v0, 15, 5
	v_mov_b32_e32 v96, 0
	v_cndmask_b32_e64 v72, 0, s4, vcc_lo
	v_cmp_gt_u32_e32 vcc_lo, s35, v1
	v_mad_u32_u24 v1, v0, 15, 4
	v_cndmask_b32_e64 v74, 0, s4, vcc_lo
	v_cmp_gt_u32_e32 vcc_lo, s35, v30
	v_mad_u32_u24 v30, v0, 15, 6
	s_wait_dscnt 0x5
	v_dual_mov_b32 v33, v23 :: v_dual_mov_b32 v34, v18
	s_wait_dscnt 0x4
	v_dual_mov_b32 v35, v19 :: v_dual_mov_b32 v36, v14
	v_cndmask_b32_e64 v92, 0, s4, vcc_lo
	v_cmp_gt_u32_e32 vcc_lo, s35, v1
	v_mad_u32_u24 v1, v0, 15, 7
	s_wait_dscnt 0x3
	v_dual_mov_b32 v37, v15 :: v_dual_mov_b32 v38, v10
	s_wait_dscnt 0x2
	v_dual_mov_b32 v39, v11 :: v_dual_mov_b32 v40, v6
	v_cndmask_b32_e64 v94, 0, s4, vcc_lo
	v_cmp_gt_u32_e32 vcc_lo, s35, v31
	v_mad_u32_u24 v31, v0, 15, 9
	s_wait_dscnt 0x1
	v_dual_mov_b32 v41, v7 :: v_dual_mov_b32 v44, v2
	v_mov_b32_e32 v45, v3
	v_cndmask_b32_e64 v90, 0, s4, vcc_lo
	v_cmp_gt_u32_e32 vcc_lo, s35, v30
	v_mad_u32_u24 v30, v0, 15, 8
	v_mov_b32_e32 v32, v22
	v_cndmask_b32_e64 v89, 0, s4, vcc_lo
	v_cmp_gt_u32_e32 vcc_lo, s35, v1
	v_mad_u32_u24 v1, v0, 15, 10
	v_cndmask_b32_e64 v93, 0, s4, vcc_lo
	v_cmp_gt_u32_e32 vcc_lo, s35, v30
	v_mad_u32_u24 v30, v0, 15, 11
	;; [unrolled: 3-line block ×5, first 2 shown]
	v_cndmask_b32_e64 v70, 0, s4, vcc_lo
	v_cmp_gt_u32_e32 vcc_lo, s35, v1
	s_delay_alu instid0(VALU_DEP_3)
	v_cmp_gt_u32_e64 s3, s35, v30
	v_mov_b32_e32 v30, v26
	v_cndmask_b32_e64 v69, 0, s4, vcc_lo
	v_cmp_gt_u32_e32 vcc_lo, s35, v31
	v_mov_b32_e32 v31, v27
	v_cndmask_b32_e64 v68, 0, s4, vcc_lo
.LBB511_35:
	s_and_saveexec_b32 s5, s3
; %bb.36:
	v_mov_b32_e32 v96, s4
; %bb.37:
	s_or_b32 exec_lo, exec_lo, s5
	s_load_b64 s[26:27], s[0:1], 0x70
	s_cmp_eq_u64 s[16:17], 0
	s_wait_dscnt 0x0
	s_cselect_b32 s36, -1, 0
	s_cmp_lg_u64 s[16:17], 0
	s_barrier_signal -1
	s_cselect_b32 s24, -1, 0
	s_and_b32 vcc_lo, exec_lo, s2
	s_barrier_wait -1
	s_cbranch_vccz .LBB511_42
; %bb.38:
	s_and_b32 vcc_lo, exec_lo, s24
	s_cbranch_vccz .LBB511_43
; %bb.39:
	s_add_nc_u64 s[2:3], s[18:19], -8
	v_lshlrev_b32_e32 v1, 3, v0
	s_load_b64 s[2:3], s[2:3], 0x0
	ds_store_b64 v1, v[42:43]
	s_wait_dscnt 0x0
	s_barrier_signal -1
	s_barrier_wait -1
	s_wait_kmcnt 0x0
	v_mov_b64_e32 v[46:47], s[2:3]
	s_mov_b32 s2, 0
	s_mov_b32 s3, exec_lo
	v_cmpx_ne_u32_e32 0, v0
; %bb.40:
	v_add_nc_u32_e32 v1, -8, v1
	ds_load_b64 v[46:47], v1
; %bb.41:
	s_or_b32 exec_lo, exec_lo, s3
	v_cmp_ne_u64_e32 vcc_lo, v[30:31], v[28:29]
	s_wait_dscnt 0x0
	v_cmp_ne_u64_e64 s38, v[46:47], v[26:27]
	s_mov_b32 s37, -1
	v_cndmask_b32_e64 v88, 0, 1, vcc_lo
	v_cmp_ne_u64_e32 vcc_lo, v[32:33], v[28:29]
	v_cndmask_b32_e64 v87, 0, 1, vcc_lo
	v_cmp_ne_u64_e32 vcc_lo, v[32:33], v[24:25]
	;; [unrolled: 2-line block ×13, first 2 shown]
	v_cndmask_b32_e64 v86, 0, 1, vcc_lo
	s_and_b32 vcc_lo, exec_lo, s2
	s_cbranch_vccnz .LBB511_44
	s_branch .LBB511_47
.LBB511_42:
	s_mov_b32 s37, 0
                                        ; implicit-def: $sgpr38
                                        ; implicit-def: $vgpr86
                                        ; implicit-def: $vgpr81
                                        ; implicit-def: $vgpr82
                                        ; implicit-def: $vgpr76
                                        ; implicit-def: $vgpr1
                                        ; implicit-def: $vgpr77
                                        ; implicit-def: $vgpr78
                                        ; implicit-def: $vgpr79
                                        ; implicit-def: $vgpr83
                                        ; implicit-def: $vgpr80
                                        ; implicit-def: $vgpr84
                                        ; implicit-def: $vgpr85
                                        ; implicit-def: $vgpr87
                                        ; implicit-def: $vgpr88
	s_cbranch_execnz .LBB511_48
	s_branch .LBB511_56
.LBB511_43:
	s_mov_b32 s37, 0
                                        ; implicit-def: $sgpr38
                                        ; implicit-def: $vgpr86
                                        ; implicit-def: $vgpr81
                                        ; implicit-def: $vgpr82
                                        ; implicit-def: $vgpr76
                                        ; implicit-def: $vgpr1
                                        ; implicit-def: $vgpr77
                                        ; implicit-def: $vgpr78
                                        ; implicit-def: $vgpr79
                                        ; implicit-def: $vgpr83
                                        ; implicit-def: $vgpr80
                                        ; implicit-def: $vgpr84
                                        ; implicit-def: $vgpr85
                                        ; implicit-def: $vgpr87
                                        ; implicit-def: $vgpr88
	s_cbranch_execz .LBB511_47
.LBB511_44:
	v_cmp_ne_u64_e64 s2, v[4:5], v[44:45]
	v_cmp_ne_u64_e64 s3, v[44:45], v[8:9]
	;; [unrolled: 1-line block ×13, first 2 shown]
	v_lshlrev_b32_e32 v1, 3, v0
	v_cmp_ne_u32_e64 s15, 0, v0
	v_cmp_ne_u64_e32 vcc_lo, v[4:5], v[42:43]
                                        ; implicit-def: $sgpr38
	ds_store_b64 v1, v[42:43]
	s_wait_dscnt 0x0
	s_barrier_signal -1
	s_barrier_wait -1
	s_and_saveexec_b32 s25, s15
	s_delay_alu instid0(SALU_CYCLE_1)
	s_xor_b32 s15, exec_lo, s25
	s_cbranch_execz .LBB511_46
; %bb.45:
	v_add_nc_u32_e32 v1, -8, v1
	s_or_b32 s37, s37, exec_lo
	ds_load_b64 v[30:31], v1
	s_wait_dscnt 0x0
	v_cmp_ne_u64_e64 s38, v[30:31], v[26:27]
.LBB511_46:
	s_or_b32 exec_lo, exec_lo, s15
	v_cndmask_b32_e64 v88, 0, 1, s14
	v_cndmask_b32_e64 v87, 0, 1, s13
	;; [unrolled: 1-line block ×13, first 2 shown]
	v_cndmask_b32_e64 v86, 0, 1, vcc_lo
.LBB511_47:
	s_branch .LBB511_56
.LBB511_48:
	s_mov_b64 s[2:3], 0xfffffffffffff100
	v_cmp_ne_u64_e64 s15, v[4:5], v[42:43]
	s_mul_u64 s[38:39], s[16:17], s[2:3]
	v_cmp_ne_u64_e64 s16, v[2:3], v[4:5]
	v_cmp_ne_u64_e64 s13, v[8:9], v[2:3]
	;; [unrolled: 1-line block ×13, first 2 shown]
	v_mad_u32_u24 v30, v0, 15, 14
	v_mad_u32_u24 v58, v0, 15, 13
	;; [unrolled: 1-line block ×14, first 2 shown]
	v_cmp_ne_u32_e64 s9, 0, v0
	s_and_b32 vcc_lo, exec_lo, s24
	s_add_nc_u64 s[24:25], s[38:39], s[28:29]
	s_cbranch_vccz .LBB511_52
; %bb.49:
	v_dual_mov_b32 v31, 0 :: v_dual_lshlrev_b32 v1, 3, v0
	s_add_nc_u64 s[18:19], s[18:19], -8
	v_mul_u32_u24_e32 v60, 15, v0
	s_load_b64 s[38:39], s[18:19], 0x0
	s_delay_alu instid0(VALU_DEP_2) | instskip(SKIP_2) | instid1(VALU_DEP_3)
	v_dual_mov_b32 v59, v31 :: v_dual_mov_b32 v57, v31
	v_cmp_gt_u64_e32 vcc_lo, s[24:25], v[30:31]
	v_dual_mov_b32 v55, v31 :: v_dual_mov_b32 v53, v31
	v_cmp_gt_u64_e64 s17, s[24:25], v[58:59]
	v_dual_mov_b32 v51, v31 :: v_dual_mov_b32 v49, v31
	s_wait_xcnt 0x0
	v_cmp_gt_u64_e64 s18, s[24:25], v[56:57]
	v_cmp_gt_u64_e64 s19, s[24:25], v[54:55]
	s_and_b32 s28, vcc_lo, s15
	v_cmp_gt_u64_e32 vcc_lo, s[24:25], v[52:53]
	s_and_b32 s29, s17, s16
	v_cmp_gt_u64_e64 s15, s[24:25], v[50:51]
	v_cmp_gt_u64_e64 s16, s[24:25], v[48:49]
	v_dual_mov_b32 v47, v31 :: v_dual_mov_b32 v45, v31
	v_dual_mov_b32 v41, v31 :: v_dual_mov_b32 v39, v31
	;; [unrolled: 1-line block ×3, first 2 shown]
	v_mov_b32_e32 v33, v31
	s_and_b32 s18, s18, s13
	s_and_b32 s19, s19, s14
	s_and_b32 s37, vcc_lo, s10
	s_and_b32 s17, s15, s11
	s_and_b32 s16, s16, s12
	v_cmp_gt_u64_e32 vcc_lo, s[24:25], v[46:47]
	v_cmp_gt_u64_e64 s10, s[24:25], v[44:45]
	v_cmp_gt_u64_e64 s11, s[24:25], v[40:41]
	;; [unrolled: 1-line block ×6, first 2 shown]
	s_wait_kmcnt 0x0
	v_mov_b64_e32 v[62:63], s[38:39]
	s_and_b32 s2, vcc_lo, s2
	s_and_b32 s10, s10, s3
	s_and_b32 s4, s11, s4
	;; [unrolled: 1-line block ×6, first 2 shown]
	s_mov_b32 s3, 0
	ds_store_b64 v1, v[42:43]
	s_wait_dscnt 0x0
	s_barrier_signal -1
	s_barrier_wait -1
	s_and_saveexec_b32 s11, s9
; %bb.50:
	v_add_nc_u32_e32 v1, -8, v1
	ds_load_b64 v[62:63], v1
; %bb.51:
	s_or_b32 exec_lo, exec_lo, s11
	v_mov_b32_e32 v61, v31
	v_cndmask_b32_e64 v79, 0, 1, s2
	s_wait_dscnt 0x0
	v_cmp_ne_u64_e64 s2, v[62:63], v[26:27]
	v_cndmask_b32_e64 v86, 0, 1, s28
	v_cndmask_b32_e64 v81, 0, 1, s29
	v_cmp_gt_u64_e32 vcc_lo, s[24:25], v[60:61]
	v_cndmask_b32_e64 v82, 0, 1, s18
	v_cndmask_b32_e64 v76, 0, 1, s19
	;; [unrolled: 1-line block ×11, first 2 shown]
	s_and_b32 s38, vcc_lo, s2
	s_mov_b32 s37, -1
	s_and_b32 vcc_lo, exec_lo, s3
	s_cbranch_vccnz .LBB511_53
	s_branch .LBB511_56
.LBB511_52:
                                        ; implicit-def: $sgpr38
                                        ; implicit-def: $vgpr86
                                        ; implicit-def: $vgpr81
                                        ; implicit-def: $vgpr82
                                        ; implicit-def: $vgpr76
                                        ; implicit-def: $vgpr1
                                        ; implicit-def: $vgpr77
                                        ; implicit-def: $vgpr78
                                        ; implicit-def: $vgpr79
                                        ; implicit-def: $vgpr83
                                        ; implicit-def: $vgpr80
                                        ; implicit-def: $vgpr84
                                        ; implicit-def: $vgpr85
                                        ; implicit-def: $vgpr87
                                        ; implicit-def: $vgpr88
	s_cbranch_execz .LBB511_56
.LBB511_53:
	v_dual_mov_b32 v31, 0 :: v_dual_lshlrev_b32 v1, 3, v0
	v_cmp_ne_u64_e32 vcc_lo, v[4:5], v[42:43]
	v_cmp_ne_u64_e64 s2, v[2:3], v[4:5]
	v_cmp_ne_u64_e64 s3, v[8:9], v[2:3]
	s_delay_alu instid0(VALU_DEP_4) | instskip(SKIP_2) | instid1(VALU_DEP_3)
	v_dual_mov_b32 v59, v31 :: v_dual_mov_b32 v57, v31
	v_cmp_gt_u64_e64 s5, s[24:25], v[30:31]
	v_dual_mov_b32 v55, v31 :: v_dual_mov_b32 v53, v31
	v_cmp_gt_u64_e64 s6, s[24:25], v[58:59]
	v_dual_mov_b32 v51, v31 :: v_dual_mov_b32 v49, v31
	v_cmp_ne_u64_e64 s4, v[6:7], v[8:9]
	v_cmp_gt_u64_e64 s7, s[24:25], v[56:57]
	v_cmp_gt_u64_e64 s8, s[24:25], v[54:55]
	s_and_b32 s15, s5, vcc_lo
	s_and_b32 s16, s6, s2
	v_cmp_gt_u64_e32 vcc_lo, s[24:25], v[52:53]
	v_cmp_ne_u64_e64 s2, v[12:13], v[6:7]
	v_cmp_gt_u64_e64 s5, s[24:25], v[50:51]
	v_cmp_ne_u64_e64 s6, v[10:11], v[12:13]
	v_cmp_gt_u64_e64 s9, s[24:25], v[48:49]
	v_cmp_ne_u64_e64 s10, v[16:17], v[10:11]
	v_dual_mov_b32 v47, v31 :: v_dual_mov_b32 v45, v31
	v_dual_mov_b32 v41, v31 :: v_dual_mov_b32 v39, v31
	;; [unrolled: 1-line block ×3, first 2 shown]
	v_mov_b32_e32 v33, v31
	s_and_b32 s17, s7, s3
	s_and_b32 s18, s8, s4
	s_and_b32 s19, vcc_lo, s2
	s_and_b32 s28, s5, s6
	s_and_b32 s29, s9, s10
	v_cmp_gt_u64_e32 vcc_lo, s[24:25], v[46:47]
	v_cmp_ne_u64_e64 s2, v[14:15], v[16:17]
	v_cmp_gt_u64_e64 s3, s[24:25], v[44:45]
	v_cmp_ne_u64_e64 s4, v[20:21], v[14:15]
	v_cmp_gt_u64_e64 s5, s[24:25], v[40:41]
	;; [unrolled: 2-line block ×6, first 2 shown]
	v_cmp_ne_u64_e64 s14, v[26:27], v[28:29]
	s_and_b32 s39, vcc_lo, s2
	s_and_b32 s3, s3, s4
	s_and_b32 s4, s5, s6
	;; [unrolled: 1-line block ×6, first 2 shown]
	s_mov_b32 s9, exec_lo
	ds_store_b64 v1, v[42:43]
	s_wait_dscnt 0x0
	s_barrier_signal -1
	s_barrier_wait -1
                                        ; implicit-def: $sgpr38
	v_cmpx_ne_u32_e32 0, v0
	s_cbranch_execz .LBB511_55
; %bb.54:
	v_add_nc_u32_e32 v1, -8, v1
	v_mul_u32_u24_e32 v30, 15, v0
	s_or_b32 s37, s37, exec_lo
	ds_load_b64 v[32:33], v1
	v_cmp_gt_u64_e32 vcc_lo, s[24:25], v[30:31]
	s_wait_dscnt 0x0
	v_cmp_ne_u64_e64 s2, v[32:33], v[26:27]
	s_and_b32 s38, vcc_lo, s2
.LBB511_55:
	s_or_b32 exec_lo, exec_lo, s9
	v_cndmask_b32_e64 v86, 0, 1, s15
	v_cndmask_b32_e64 v81, 0, 1, s16
	;; [unrolled: 1-line block ×14, first 2 shown]
.LBB511_56:
	v_mov_b32_e32 v95, 1
	s_and_saveexec_b32 s2, s37
; %bb.57:
	v_cndmask_b32_e64 v95, 0, 1, s38
; %bb.58:
	s_or_b32 exec_lo, exec_lo, s2
	s_clause 0x1
	s_load_b128 s[16:19], s[0:1], 0x20
	s_load_b64 s[24:25], s[0:1], 0x30
	v_add3_u32 v30, v88, v95, v87
	v_cmp_eq_u32_e64 s12, 0, v88
	v_cmp_eq_u32_e64 s11, 0, v87
	;; [unrolled: 1-line block ×4, first 2 shown]
	v_add3_u32 v100, v30, v85, v84
	v_cmp_eq_u32_e64 s8, 0, v80
	v_cmp_eq_u32_e64 s7, 0, v83
	;; [unrolled: 1-line block ×7, first 2 shown]
	s_wait_xcnt 0x0
	v_cmp_eq_u32_e64 s1, 0, v82
	v_cmp_eq_u32_e64 s0, 0, v81
	v_mbcnt_lo_u32_b32 v97, -1, 0
	v_dual_lshrrev_b32 v98, 5, v0 :: v_dual_bitop2_b32 v99, 31, v0 bitop3:0x54
	s_cmp_eq_u64 s[22:23], 0
	v_cmp_eq_u32_e32 vcc_lo, 0, v86
	s_cselect_b32 s22, -1, 0
	s_cmp_lg_u32 s34, 0
	s_cbranch_scc0 .LBB511_79
; %bb.59:
	v_dual_cndmask_b32 v30, 0, v75, s12 :: v_dual_bitop2_b32 v33, 15, v97 bitop3:0x40
	v_add3_u32 v31, v100, v80, v83
	s_delay_alu instid0(VALU_DEP_2) | instskip(NEXT) | instid1(VALU_DEP_2)
	v_add_nc_u32_e32 v30, v30, v72
	v_add3_u32 v31, v31, v79, v78
	s_delay_alu instid0(VALU_DEP_2) | instskip(NEXT) | instid1(VALU_DEP_2)
	v_cndmask_b32_e64 v30, 0, v30, s11
	v_add3_u32 v31, v31, v77, v1
	s_delay_alu instid0(VALU_DEP_2) | instskip(NEXT) | instid1(VALU_DEP_2)
	v_add_nc_u32_e32 v30, v30, v74
	v_add3_u32 v31, v31, v76, v82
	s_delay_alu instid0(VALU_DEP_1) | instskip(NEXT) | instid1(VALU_DEP_3)
	v_add3_u32 v31, v31, v81, v86
	v_cndmask_b32_e64 v30, 0, v30, s10
	s_delay_alu instid0(VALU_DEP_2) | instskip(NEXT) | instid1(VALU_DEP_2)
	v_mov_b32_dpp v34, v31 row_shr:1 row_mask:0xf bank_mask:0xf
	v_add_nc_u32_e32 v30, v30, v92
	s_delay_alu instid0(VALU_DEP_1) | instskip(NEXT) | instid1(VALU_DEP_1)
	v_cndmask_b32_e64 v30, 0, v30, s9
	v_add_nc_u32_e32 v30, v30, v94
	s_delay_alu instid0(VALU_DEP_1) | instskip(NEXT) | instid1(VALU_DEP_1)
	v_cndmask_b32_e64 v30, 0, v30, s8
	;; [unrolled: 3-line block ×10, first 2 shown]
	v_add_nc_u32_e32 v30, v30, v68
	s_delay_alu instid0(VALU_DEP_1) | instskip(SKIP_1) | instid1(VALU_DEP_2)
	v_cndmask_b32_e32 v30, 0, v30, vcc_lo
	v_cmp_eq_u32_e32 vcc_lo, 0, v31
	v_add_nc_u32_e32 v30, v30, v96
	s_delay_alu instid0(VALU_DEP_1) | instskip(NEXT) | instid1(VALU_DEP_1)
	v_mov_b32_dpp v32, v30 row_shr:1 row_mask:0xf bank_mask:0xf
	v_cndmask_b32_e32 v32, 0, v32, vcc_lo
	v_cmp_eq_u32_e32 vcc_lo, 0, v33
	v_cndmask_b32_e64 v34, v34, 0, vcc_lo
	s_delay_alu instid0(VALU_DEP_3) | instskip(SKIP_1) | instid1(VALU_DEP_2)
	v_cndmask_b32_e64 v32, v32, 0, vcc_lo
	v_cmp_lt_u32_e32 vcc_lo, 1, v33
	v_dual_add_nc_u32 v31, v34, v31 :: v_dual_add_nc_u32 v30, v32, v30
	s_delay_alu instid0(VALU_DEP_1) | instskip(SKIP_1) | instid1(VALU_DEP_3)
	v_mov_b32_dpp v32, v31 row_shr:2 row_mask:0xf bank_mask:0xf
	v_cmp_eq_u32_e64 s13, 0, v31
	v_mov_b32_dpp v34, v30 row_shr:2 row_mask:0xf bank_mask:0xf
	s_delay_alu instid0(VALU_DEP_3) | instskip(SKIP_1) | instid1(VALU_DEP_2)
	v_cndmask_b32_e32 v32, 0, v32, vcc_lo
	s_and_b32 vcc_lo, vcc_lo, s13
	v_cndmask_b32_e32 v34, 0, v34, vcc_lo
	v_cmp_lt_u32_e32 vcc_lo, 3, v33
	s_delay_alu instid0(VALU_DEP_2) | instskip(NEXT) | instid1(VALU_DEP_1)
	v_dual_add_nc_u32 v31, v31, v32 :: v_dual_add_nc_u32 v30, v34, v30
	v_mov_b32_dpp v32, v31 row_shr:4 row_mask:0xf bank_mask:0xf
	v_cmp_eq_u32_e64 s13, 0, v31
	s_delay_alu instid0(VALU_DEP_3) | instskip(NEXT) | instid1(VALU_DEP_3)
	v_mov_b32_dpp v34, v30 row_shr:4 row_mask:0xf bank_mask:0xf
	v_cndmask_b32_e32 v32, 0, v32, vcc_lo
	s_and_b32 vcc_lo, vcc_lo, s13
	s_delay_alu instid0(VALU_DEP_2) | instskip(SKIP_1) | instid1(VALU_DEP_2)
	v_cndmask_b32_e32 v34, 0, v34, vcc_lo
	v_cmp_lt_u32_e32 vcc_lo, 7, v33
	v_dual_add_nc_u32 v31, v32, v31 :: v_dual_add_nc_u32 v30, v30, v34
	v_bfe_i32 v34, v97, 4, 1
	s_delay_alu instid0(VALU_DEP_2) | instskip(SKIP_1) | instid1(VALU_DEP_4)
	v_mov_b32_dpp v32, v31 row_shr:8 row_mask:0xf bank_mask:0xf
	v_cmp_eq_u32_e64 s13, 0, v31
	v_mov_b32_dpp v33, v30 row_shr:8 row_mask:0xf bank_mask:0xf
	s_delay_alu instid0(VALU_DEP_3) | instskip(SKIP_2) | instid1(VALU_DEP_2)
	v_cndmask_b32_e32 v32, 0, v32, vcc_lo
	s_and_b32 vcc_lo, vcc_lo, s13
	s_mov_b32 s13, exec_lo
	v_cndmask_b32_e32 v33, 0, v33, vcc_lo
	s_delay_alu instid0(VALU_DEP_1)
	v_dual_add_nc_u32 v33, v33, v30 :: v_dual_add_nc_u32 v30, v32, v31
	ds_swizzle_b32 v31, v33 offset:swizzle(BROADCAST,32,15)
	ds_swizzle_b32 v32, v30 offset:swizzle(BROADCAST,32,15)
	v_cmp_eq_u32_e32 vcc_lo, 0, v30
	s_wait_dscnt 0x0
	v_dual_cndmask_b32 v31, 0, v31, vcc_lo :: v_dual_bitop2_b32 v32, v34, v32 bitop3:0x40
	s_delay_alu instid0(VALU_DEP_1) | instskip(NEXT) | instid1(VALU_DEP_1)
	v_dual_add_nc_u32 v30, v32, v30 :: v_dual_bitop2_b32 v31, v34, v31 bitop3:0x40
	v_dual_lshlrev_b32 v32, 3, v98 :: v_dual_add_nc_u32 v31, v31, v33
	v_cmpx_eq_u32_e64 v0, v99
; %bb.60:
	ds_store_b64 v32, v[30:31] offset:4112
; %bb.61:
	s_or_b32 exec_lo, exec_lo, s13
	s_delay_alu instid0(SALU_CYCLE_1)
	s_mov_b32 s14, exec_lo
	s_wait_dscnt 0x0
	s_barrier_signal -1
	s_barrier_wait -1
	v_cmpx_gt_u32_e32 8, v0
	s_cbranch_execz .LBB511_63
; %bb.62:
	v_dual_lshlrev_b32 v33, 3, v0 :: v_dual_bitop2_b32 v37, 7, v97 bitop3:0x40
	ds_load_b64 v[34:35], v33 offset:4112
	s_wait_dscnt 0x0
	v_mov_b32_dpp v36, v35 row_shr:1 row_mask:0xf bank_mask:0xf
	v_cmp_eq_u32_e32 vcc_lo, 0, v34
	v_mov_b32_dpp v38, v34 row_shr:1 row_mask:0xf bank_mask:0xf
	s_delay_alu instid0(VALU_DEP_3) | instskip(SKIP_1) | instid1(VALU_DEP_3)
	v_cndmask_b32_e32 v36, 0, v36, vcc_lo
	v_cmp_eq_u32_e32 vcc_lo, 0, v37
	v_cndmask_b32_e64 v38, v38, 0, vcc_lo
	s_delay_alu instid0(VALU_DEP_1) | instskip(NEXT) | instid1(VALU_DEP_4)
	v_add_nc_u32_e32 v34, v38, v34
	v_cndmask_b32_e64 v36, v36, 0, vcc_lo
	v_cmp_lt_u32_e32 vcc_lo, 1, v37
	s_delay_alu instid0(VALU_DEP_3) | instskip(NEXT) | instid1(VALU_DEP_3)
	v_cmp_eq_u32_e64 s13, 0, v34
	v_add_nc_u32_e32 v35, v36, v35
	v_mov_b32_dpp v36, v34 row_shr:2 row_mask:0xf bank_mask:0xf
	s_delay_alu instid0(VALU_DEP_1) | instskip(NEXT) | instid1(VALU_DEP_3)
	v_cndmask_b32_e32 v36, 0, v36, vcc_lo
	v_mov_b32_dpp v38, v35 row_shr:2 row_mask:0xf bank_mask:0xf
	s_and_b32 vcc_lo, vcc_lo, s13
	s_delay_alu instid0(VALU_DEP_2) | instskip(NEXT) | instid1(VALU_DEP_1)
	v_add_nc_u32_e32 v34, v36, v34
	v_mov_b32_dpp v36, v34 row_shr:4 row_mask:0xf bank_mask:0xf
	s_delay_alu instid0(VALU_DEP_3) | instskip(SKIP_1) | instid1(VALU_DEP_2)
	v_cndmask_b32_e32 v38, 0, v38, vcc_lo
	v_cmp_lt_u32_e32 vcc_lo, 3, v37
	v_dual_cndmask_b32 v36, 0, v36 :: v_dual_add_nc_u32 v35, v38, v35
	v_cmp_eq_u32_e64 s13, 0, v34
	s_delay_alu instid0(VALU_DEP_2) | instskip(NEXT) | instid1(VALU_DEP_3)
	v_add_nc_u32_e32 v34, v36, v34
	v_mov_b32_dpp v37, v35 row_shr:4 row_mask:0xf bank_mask:0xf
	s_and_b32 vcc_lo, vcc_lo, s13
	s_delay_alu instid0(VALU_DEP_1) | instskip(NEXT) | instid1(VALU_DEP_1)
	v_cndmask_b32_e32 v37, 0, v37, vcc_lo
	v_add_nc_u32_e32 v35, v37, v35
	ds_store_b64 v33, v[34:35] offset:4112
.LBB511_63:
	s_or_b32 exec_lo, exec_lo, s14
	v_dual_mov_b32 v38, 0 :: v_dual_mov_b32 v39, 0
	s_mov_b32 s14, exec_lo
	v_cmp_gt_u32_e32 vcc_lo, 32, v0
	s_wait_dscnt 0x0
	s_barrier_signal -1
	s_barrier_wait -1
	v_cmpx_lt_u32_e32 31, v0
	s_cbranch_execz .LBB511_65
; %bb.64:
	ds_load_b64 v[38:39], v32 offset:4104
	v_cmp_eq_u32_e64 s13, 0, v30
	s_wait_dscnt 0x0
	s_delay_alu instid0(VALU_DEP_1) | instskip(NEXT) | instid1(VALU_DEP_1)
	v_dual_cndmask_b32 v32, 0, v39, s13 :: v_dual_add_nc_u32 v30, v38, v30
	v_add_nc_u32_e32 v31, v32, v31
.LBB511_65:
	s_or_b32 exec_lo, exec_lo, s14
	v_sub_co_u32 v32, s13, v97, 1
	s_delay_alu instid0(VALU_DEP_1) | instskip(NEXT) | instid1(VALU_DEP_1)
	v_cmp_gt_i32_e64 s14, 0, v32
	v_cndmask_b32_e64 v32, v32, v97, s14
	s_delay_alu instid0(VALU_DEP_1)
	v_lshlrev_b32_e32 v32, 2, v32
	ds_bpermute_b32 v46, v32, v30
	ds_bpermute_b32 v47, v32, v31
	s_and_saveexec_b32 s23, vcc_lo
	s_cbranch_execz .LBB511_84
; %bb.66:
	v_mov_b32_e32 v33, 0
	ds_load_b64 v[30:31], v33 offset:4168
	s_and_saveexec_b32 s14, s13
	s_cbranch_execz .LBB511_68
; %bb.67:
	s_add_co_i32 s28, s34, 32
	s_mov_b32 s29, 0
	v_mov_b32_e32 v32, 1
	s_lshl_b64 s[28:29], s[28:29], 4
	s_delay_alu instid0(SALU_CYCLE_1) | instskip(NEXT) | instid1(SALU_CYCLE_1)
	s_add_nc_u64 s[28:29], s[20:21], s[28:29]
	v_mov_b64_e32 v[34:35], s[28:29]
	s_wait_dscnt 0x0
	;;#ASMSTART
	global_store_b128 v[34:35], v[30:33] off scope:SCOPE_DEV	
s_wait_storecnt 0x0
	;;#ASMEND
.LBB511_68:
	s_or_b32 exec_lo, exec_lo, s14
	v_xad_u32 v40, v97, -1, s34
	s_mov_b32 s15, 0
	s_mov_b32 s14, exec_lo
	s_delay_alu instid0(VALU_DEP_1) | instskip(NEXT) | instid1(VALU_DEP_1)
	v_add_nc_u32_e32 v32, 32, v40
	v_lshl_add_u64 v[32:33], v[32:33], 4, s[20:21]
	;;#ASMSTART
	global_load_b128 v[34:37], v[32:33] off scope:SCOPE_DEV	
s_wait_loadcnt 0x0
	;;#ASMEND
	v_and_b32_e32 v37, 0xff, v36
	s_delay_alu instid0(VALU_DEP_1)
	v_cmpx_eq_u16_e32 0, v37
	s_cbranch_execz .LBB511_71
.LBB511_69:                             ; =>This Inner Loop Header: Depth=1
	;;#ASMSTART
	global_load_b128 v[34:37], v[32:33] off scope:SCOPE_DEV	
s_wait_loadcnt 0x0
	;;#ASMEND
	v_and_b32_e32 v37, 0xff, v36
	s_delay_alu instid0(VALU_DEP_1) | instskip(SKIP_1) | instid1(SALU_CYCLE_1)
	v_cmp_ne_u16_e32 vcc_lo, 0, v37
	s_or_b32 s15, vcc_lo, s15
	s_and_not1_b32 exec_lo, exec_lo, s15
	s_cbranch_execnz .LBB511_69
; %bb.70:
	s_or_b32 exec_lo, exec_lo, s15
.LBB511_71:
	s_delay_alu instid0(SALU_CYCLE_1)
	s_or_b32 exec_lo, exec_lo, s14
	v_cmp_ne_u32_e32 vcc_lo, 31, v97
	v_lshlrev_b32_e64 v49, v97, -1
	v_cmp_gt_u32_e64 s15, 30, v97
	v_lshl_or_b32 v56, v97, 2, 64
	v_add_nc_u32_e32 v51, 2, v97
	v_add_co_ci_u32_e64 v32, null, 0, v97, vcc_lo
	s_delay_alu instid0(VALU_DEP_4) | instskip(SKIP_1) | instid1(VALU_DEP_3)
	v_cndmask_b32_e64 v41, 0, 2, s15
	v_dual_add_nc_u32 v53, 4, v97 :: v_dual_add_nc_u32 v55, 8, v97
	v_lshlrev_b32_e32 v48, 2, v32
	v_and_b32_e32 v32, 0xff, v36
	s_delay_alu instid0(VALU_DEP_4)
	v_add_lshl_u32 v50, v41, v97, 2
	v_add_nc_u32_e32 v57, 16, v97
	ds_bpermute_b32 v33, v48, v34
	v_cmp_eq_u16_e32 vcc_lo, 2, v32
	v_and_or_b32 v37, vcc_lo, v49, 0x80000000
	v_cmp_eq_u32_e32 vcc_lo, 0, v34
	s_delay_alu instid0(VALU_DEP_2) | instskip(NEXT) | instid1(VALU_DEP_1)
	v_ctz_i32_b32_e32 v37, v37
	v_cmp_lt_u32_e64 s14, v97, v37
	s_wait_dscnt 0x0
	s_delay_alu instid0(VALU_DEP_1) | instskip(SKIP_4) | instid1(VALU_DEP_1)
	v_cndmask_b32_e64 v33, 0, v33, s14
	ds_bpermute_b32 v32, v48, v35
	s_and_b32 vcc_lo, s14, vcc_lo
	s_wait_dscnt 0x0
	v_dual_cndmask_b32 v32, 0, v32 :: v_dual_add_nc_u32 v33, v33, v34
	v_cmp_eq_u32_e32 vcc_lo, 0, v33
	s_delay_alu instid0(VALU_DEP_2)
	v_add_nc_u32_e32 v32, v32, v35
	ds_bpermute_b32 v35, v50, v32
	s_wait_dscnt 0x0
	v_cndmask_b32_e32 v34, 0, v35, vcc_lo
	ds_bpermute_b32 v35, v50, v33
	v_cmp_gt_u32_e32 vcc_lo, 28, v97
	v_cndmask_b32_e64 v41, 0, 4, vcc_lo
	v_cmp_gt_u32_e32 vcc_lo, v51, v37
	s_delay_alu instid0(VALU_DEP_2) | instskip(SKIP_2) | instid1(VALU_DEP_1)
	v_add_lshl_u32 v52, v41, v97, 2
	s_wait_dscnt 0x0
	v_cndmask_b32_e64 v35, v35, 0, vcc_lo
	v_add_nc_u32_e32 v33, v33, v35
	v_cndmask_b32_e64 v34, v34, 0, vcc_lo
	ds_bpermute_b32 v35, v52, v33
	v_add_nc_u32_e32 v32, v34, v32
	v_cmp_eq_u32_e32 vcc_lo, 0, v33
	ds_bpermute_b32 v34, v52, v32
	s_wait_dscnt 0x0
	v_cndmask_b32_e32 v34, 0, v34, vcc_lo
	v_cmp_gt_u32_e32 vcc_lo, 24, v97
	v_cndmask_b32_e64 v41, 0, 8, vcc_lo
	v_cmp_gt_u32_e32 vcc_lo, v53, v37
	s_delay_alu instid0(VALU_DEP_2) | instskip(SKIP_1) | instid1(VALU_DEP_1)
	v_add_lshl_u32 v54, v41, v97, 2
	v_cndmask_b32_e64 v35, v35, 0, vcc_lo
	v_dual_mov_b32 v41, 0 :: v_dual_add_nc_u32 v33, v33, v35
	v_cndmask_b32_e64 v34, v34, 0, vcc_lo
	ds_bpermute_b32 v35, v54, v33
	v_add_nc_u32_e32 v32, v32, v34
	v_cmp_eq_u32_e32 vcc_lo, 0, v33
	ds_bpermute_b32 v34, v54, v32
	s_wait_dscnt 0x0
	v_cndmask_b32_e32 v34, 0, v34, vcc_lo
	v_cmp_gt_u32_e32 vcc_lo, v55, v37
	s_delay_alu instid0(VALU_DEP_2) | instskip(NEXT) | instid1(VALU_DEP_1)
	v_cndmask_b32_e64 v34, v34, 0, vcc_lo
	v_add_nc_u32_e32 v32, v32, v34
	v_cndmask_b32_e64 v34, v35, 0, vcc_lo
	s_delay_alu instid0(VALU_DEP_1)
	v_add_nc_u32_e32 v33, v33, v34
	ds_bpermute_b32 v35, v56, v32
	ds_bpermute_b32 v34, v56, v33
	v_cmp_eq_u32_e32 vcc_lo, 0, v33
	s_wait_dscnt 0x1
	v_cndmask_b32_e32 v35, 0, v35, vcc_lo
	v_cmp_gt_u32_e32 vcc_lo, v57, v37
	s_wait_dscnt 0x0
	v_cndmask_b32_e64 v34, v34, 0, vcc_lo
	s_delay_alu instid0(VALU_DEP_1) | instskip(SKIP_1) | instid1(VALU_DEP_1)
	v_add_nc_u32_e32 v34, v34, v33
	v_cndmask_b32_e64 v35, v35, 0, vcc_lo
	v_add_nc_u32_e32 v35, v35, v32
	s_branch .LBB511_75
.LBB511_72:                             ;   in Loop: Header=BB511_75 Depth=1
	s_or_b32 exec_lo, exec_lo, s15
.LBB511_73:                             ;   in Loop: Header=BB511_75 Depth=1
	s_delay_alu instid0(SALU_CYCLE_1)
	s_or_b32 exec_lo, exec_lo, s14
	v_and_b32_e32 v37, 0xff, v36
	ds_bpermute_b32 v44, v48, v34
	v_subrev_nc_u32_e32 v40, 32, v40
	v_cmp_eq_u16_e32 vcc_lo, 2, v37
	ds_bpermute_b32 v37, v48, v35
	v_and_or_b32 v45, vcc_lo, v49, 0x80000000
	v_cmp_eq_u32_e32 vcc_lo, 0, v34
	s_delay_alu instid0(VALU_DEP_2) | instskip(NEXT) | instid1(VALU_DEP_1)
	v_ctz_i32_b32_e32 v45, v45
	v_cmp_lt_u32_e64 s14, v97, v45
	s_and_b32 vcc_lo, s14, vcc_lo
	s_wait_dscnt 0x0
	v_dual_cndmask_b32 v44, 0, v44, s14 :: v_dual_cndmask_b32 v37, 0, v37, vcc_lo
	s_mov_b32 s14, 0
	s_delay_alu instid0(VALU_DEP_1)
	v_dual_add_nc_u32 v34, v44, v34 :: v_dual_add_nc_u32 v35, v37, v35
	ds_bpermute_b32 v44, v50, v34
	ds_bpermute_b32 v37, v50, v35
	v_cmp_eq_u32_e32 vcc_lo, 0, v34
	s_wait_dscnt 0x0
	v_cndmask_b32_e32 v37, 0, v37, vcc_lo
	v_cmp_gt_u32_e32 vcc_lo, v51, v45
	v_cndmask_b32_e64 v44, v44, 0, vcc_lo
	s_delay_alu instid0(VALU_DEP_1) | instskip(NEXT) | instid1(VALU_DEP_4)
	v_add_nc_u32_e32 v34, v34, v44
	v_cndmask_b32_e64 v37, v37, 0, vcc_lo
	s_delay_alu instid0(VALU_DEP_2) | instskip(NEXT) | instid1(VALU_DEP_2)
	v_cmp_eq_u32_e32 vcc_lo, 0, v34
	v_add_nc_u32_e32 v35, v37, v35
	ds_bpermute_b32 v44, v52, v34
	ds_bpermute_b32 v37, v52, v35
	s_wait_dscnt 0x0
	v_cndmask_b32_e32 v37, 0, v37, vcc_lo
	v_cmp_gt_u32_e32 vcc_lo, v53, v45
	s_delay_alu instid0(VALU_DEP_2) | instskip(SKIP_1) | instid1(VALU_DEP_1)
	v_cndmask_b32_e64 v37, v37, 0, vcc_lo
	v_cndmask_b32_e64 v44, v44, 0, vcc_lo
	v_dual_add_nc_u32 v35, v35, v37 :: v_dual_add_nc_u32 v34, v34, v44
	ds_bpermute_b32 v37, v54, v35
	ds_bpermute_b32 v44, v54, v34
	v_cmp_eq_u32_e32 vcc_lo, 0, v34
	s_wait_dscnt 0x1
	v_cndmask_b32_e32 v37, 0, v37, vcc_lo
	v_cmp_gt_u32_e32 vcc_lo, v55, v45
	s_wait_dscnt 0x0
	v_cndmask_b32_e64 v44, v44, 0, vcc_lo
	s_delay_alu instid0(VALU_DEP_1) | instskip(SKIP_1) | instid1(VALU_DEP_2)
	v_add_nc_u32_e32 v34, v34, v44
	v_cndmask_b32_e64 v37, v37, 0, vcc_lo
	v_cmp_eq_u32_e32 vcc_lo, 0, v34
	s_delay_alu instid0(VALU_DEP_2)
	v_add_nc_u32_e32 v35, v35, v37
	ds_bpermute_b32 v44, v56, v34
	ds_bpermute_b32 v37, v56, v35
	s_wait_dscnt 0x0
	v_cndmask_b32_e32 v37, 0, v37, vcc_lo
	v_cmp_gt_u32_e32 vcc_lo, v57, v45
	s_delay_alu instid0(VALU_DEP_2) | instskip(NEXT) | instid1(VALU_DEP_1)
	v_cndmask_b32_e64 v37, v37, 0, vcc_lo
	v_add_nc_u32_e32 v35, v37, v35
	v_cndmask_b32_e64 v37, v44, 0, vcc_lo
	v_cmp_eq_u32_e32 vcc_lo, 0, v32
	s_delay_alu instid0(VALU_DEP_2) | instskip(NEXT) | instid1(VALU_DEP_4)
	v_add3_u32 v34, v34, v32, v37
	v_cndmask_b32_e32 v35, 0, v35, vcc_lo
	s_delay_alu instid0(VALU_DEP_1)
	v_add_nc_u32_e32 v35, v35, v33
.LBB511_74:                             ;   in Loop: Header=BB511_75 Depth=1
	s_and_b32 vcc_lo, exec_lo, s14
	s_cbranch_vccnz .LBB511_80
.LBB511_75:                             ; =>This Loop Header: Depth=1
                                        ;     Child Loop BB511_78 Depth 2
	v_and_b32_e32 v32, 0xff, v36
	s_delay_alu instid0(VALU_DEP_2) | instskip(SKIP_1) | instid1(VALU_DEP_2)
	v_mov_b32_e32 v33, v35
	s_mov_b32 s14, -1
                                        ; implicit-def: $vgpr35
                                        ; implicit-def: $vgpr36
	v_cmp_ne_u16_e32 vcc_lo, 2, v32
	v_mov_b32_e32 v32, v34
                                        ; implicit-def: $vgpr34
	s_cmp_lg_u32 vcc_lo, exec_lo
	s_cbranch_scc1 .LBB511_74
; %bb.76:                               ;   in Loop: Header=BB511_75 Depth=1
	v_lshl_add_u64 v[44:45], v[40:41], 4, s[20:21]
	;;#ASMSTART
	global_load_b128 v[34:37], v[44:45] off scope:SCOPE_DEV	
s_wait_loadcnt 0x0
	;;#ASMEND
	v_and_b32_e32 v37, 0xff, v36
	s_mov_b32 s14, exec_lo
	s_delay_alu instid0(VALU_DEP_1)
	v_cmpx_eq_u16_e32 0, v37
	s_cbranch_execz .LBB511_73
; %bb.77:                               ;   in Loop: Header=BB511_75 Depth=1
	s_mov_b32 s15, 0
.LBB511_78:                             ;   Parent Loop BB511_75 Depth=1
                                        ; =>  This Inner Loop Header: Depth=2
	;;#ASMSTART
	global_load_b128 v[34:37], v[44:45] off scope:SCOPE_DEV	
s_wait_loadcnt 0x0
	;;#ASMEND
	v_and_b32_e32 v37, 0xff, v36
	s_delay_alu instid0(VALU_DEP_1) | instskip(SKIP_1) | instid1(SALU_CYCLE_1)
	v_cmp_ne_u16_e32 vcc_lo, 0, v37
	s_or_b32 s15, vcc_lo, s15
	s_and_not1_b32 exec_lo, exec_lo, s15
	s_cbranch_execnz .LBB511_78
	s_branch .LBB511_72
.LBB511_79:
                                        ; implicit-def: $vgpr30
                                        ; implicit-def: $vgpr34
                                        ; implicit-def: $vgpr36_vgpr37
                                        ; implicit-def: $vgpr44_vgpr45
                                        ; implicit-def: $vgpr50_vgpr51
                                        ; implicit-def: $vgpr46_vgpr47
                                        ; implicit-def: $vgpr62_vgpr63
                                        ; implicit-def: $vgpr66_vgpr67
                                        ; implicit-def: $vgpr64_vgpr65
                                        ; implicit-def: $vgpr60_vgpr61
                                        ; implicit-def: $vgpr56_vgpr57
                                        ; implicit-def: $vgpr52_vgpr53
                                        ; implicit-def: $vgpr48_vgpr49
                                        ; implicit-def: $vgpr54_vgpr55
                                        ; implicit-def: $vgpr58_vgpr59
                                        ; implicit-def: $vgpr38_vgpr39
                                        ; implicit-def: $vgpr40_vgpr41
	s_cbranch_execnz .LBB511_85
	s_branch .LBB511_96
.LBB511_80:
	s_and_saveexec_b32 s14, s13
	s_cbranch_execz .LBB511_82
; %bb.81:
	v_cmp_eq_u32_e32 vcc_lo, 0, v30
	s_mov_b32 s29, 0
	s_add_co_i32 s28, s34, 32
	v_mov_b32_e32 v37, 0
	s_lshl_b64 s[28:29], s[28:29], 4
	v_dual_cndmask_b32 v35, 0, v33 :: v_dual_add_nc_u32 v34, v32, v30
	s_add_nc_u64 s[28:29], s[20:21], s[28:29]
	v_mov_b32_e32 v36, 2
	v_mov_b64_e32 v[40:41], s[28:29]
	s_delay_alu instid0(VALU_DEP_3)
	v_add_nc_u32_e32 v35, v35, v31
	;;#ASMSTART
	global_store_b128 v[40:41], v[34:37] off scope:SCOPE_DEV	
s_wait_storecnt 0x0
	;;#ASMEND
	ds_store_b128 v37, v[30:33] offset:4096
.LBB511_82:
	s_or_b32 exec_lo, exec_lo, s14
	v_cmp_eq_u32_e32 vcc_lo, 0, v0
	s_and_b32 exec_lo, exec_lo, vcc_lo
; %bb.83:
	v_mov_b32_e32 v30, 0
	ds_store_b64 v30, v[32:33] offset:4168
.LBB511_84:
	s_or_b32 exec_lo, exec_lo, s23
	s_wait_dscnt 0x1
	v_dual_mov_b32 v32, 0 :: v_dual_cndmask_b32 v33, v46, v38, s13
	s_wait_dscnt 0x0
	s_barrier_signal -1
	s_barrier_wait -1
	ds_load_b64 v[30:31], v32 offset:4168
	v_cmp_eq_u32_e32 vcc_lo, 0, v33
	v_cndmask_b32_e64 v34, v47, v39, s13
	v_cmp_eq_u32_e64 s13, 0, v95
	s_wait_dscnt 0x0
	s_barrier_signal -1
	s_barrier_wait -1
	v_cndmask_b32_e32 v35, 0, v31, vcc_lo
	v_cmp_eq_u32_e32 vcc_lo, 0, v0
	s_delay_alu instid0(VALU_DEP_2) | instskip(NEXT) | instid1(VALU_DEP_1)
	v_add_nc_u32_e32 v34, v35, v34
	v_cndmask_b32_e32 v63, v34, v31, vcc_lo
	s_delay_alu instid0(VALU_DEP_1) | instskip(NEXT) | instid1(VALU_DEP_1)
	v_cndmask_b32_e64 v31, 0, v63, s13
	v_add_nc_u32_e32 v67, v31, v75
	s_delay_alu instid0(VALU_DEP_1) | instskip(NEXT) | instid1(VALU_DEP_1)
	v_cndmask_b32_e64 v31, 0, v67, s12
	v_add_nc_u32_e32 v65, v31, v72
	;; [unrolled: 3-line block ×6, first 2 shown]
	v_cndmask_b32_e64 v31, v33, 0, vcc_lo
	s_delay_alu instid0(VALU_DEP_1) | instskip(NEXT) | instid1(VALU_DEP_1)
	v_dual_cndmask_b32 v33, 0, v49, s7 :: v_dual_add_nc_u32 v62, v30, v31
	v_dual_add_nc_u32 v55, v33, v89 :: v_dual_add_nc_u32 v66, v62, v95
	s_delay_alu instid0(VALU_DEP_1) | instskip(NEXT) | instid1(VALU_DEP_1)
	v_dual_cndmask_b32 v30, 0, v55, s6 :: v_dual_add_nc_u32 v64, v66, v88
	v_dual_add_nc_u32 v59, v30, v93 :: v_dual_add_nc_u32 v60, v64, v87
	;; [unrolled: 3-line block ×4, first 2 shown]
	s_delay_alu instid0(VALU_DEP_1) | instskip(NEXT) | instid1(VALU_DEP_1)
	v_dual_cndmask_b32 v30, 0, v41, s3 :: v_dual_add_nc_u32 v58, v54, v79
	v_add_nc_u32_e32 v38, v58, v78
	s_delay_alu instid0(VALU_DEP_1) | instskip(NEXT) | instid1(VALU_DEP_3)
	v_add_nc_u32_e32 v40, v38, v77
	v_add_nc_u32_e32 v47, v30, v71
	ds_load_b128 v[30:33], v32 offset:4096
	v_dual_add_nc_u32 v46, v40, v1 :: v_dual_cndmask_b32 v34, 0, v47, s2
	s_delay_alu instid0(VALU_DEP_1) | instskip(NEXT) | instid1(VALU_DEP_1)
	v_add_nc_u32_e32 v51, v34, v70
	v_cndmask_b32_e64 v34, 0, v51, s1
	s_delay_alu instid0(VALU_DEP_1) | instskip(NEXT) | instid1(VALU_DEP_4)
	v_add_nc_u32_e32 v45, v34, v69
	v_add_nc_u32_e32 v50, v46, v76
	s_wait_dscnt 0x0
	v_cmp_eq_u32_e32 vcc_lo, 0, v30
	s_delay_alu instid0(VALU_DEP_2) | instskip(SKIP_1) | instid1(VALU_DEP_2)
	v_dual_cndmask_b32 v34, 0, v45, s0 :: v_dual_add_nc_u32 v44, v50, v82
	v_cndmask_b32_e32 v33, 0, v33, vcc_lo
	v_dual_add_nc_u32 v37, v34, v68 :: v_dual_add_nc_u32 v36, v44, v81
	s_delay_alu instid0(VALU_DEP_2)
	v_add_nc_u32_e32 v34, v33, v31
	s_branch .LBB511_96
.LBB511_85:
	s_wait_kmcnt 0x0
	s_cmp_eq_u64 s[26:27], 0
	v_mov_b32_e32 v34, v75
	s_cselect_b32 s0, -1, 0
	s_delay_alu instid0(SALU_CYCLE_1) | instskip(NEXT) | instid1(SALU_CYCLE_1)
	s_or_b32 s0, s22, s0
	s_and_b32 vcc_lo, exec_lo, s0
	s_cbranch_vccnz .LBB511_87
; %bb.86:
	v_mov_b32_e32 v30, 0
	global_load_b32 v34, v30, s[26:27]
.LBB511_87:
	v_add3_u32 v31, v100, v80, v83
	v_cmp_eq_u32_e64 s6, 0, v88
	v_cmp_eq_u32_e64 s7, 0, v87
	;; [unrolled: 1-line block ×4, first 2 shown]
	v_add3_u32 v31, v31, v79, v78
	s_wait_xcnt 0x0
	v_dual_cndmask_b32 v30, 0, v75, s6 :: v_dual_bitop2_b32 v33, 15, v97 bitop3:0x40
	v_cmp_eq_u32_e64 s10, 0, v80
	v_cmp_eq_u32_e64 s11, 0, v83
	v_add3_u32 v31, v31, v77, v1
	v_cmp_eq_u32_e64 s5, 0, v79
	v_cmp_eq_u32_e64 s4, 0, v78
	;; [unrolled: 1-line block ×4, first 2 shown]
	v_add3_u32 v31, v31, v76, v82
	v_cmp_eq_u32_e64 s1, 0, v76
	v_cmp_eq_u32_e32 vcc_lo, 0, v82
	v_cmp_eq_u32_e64 s0, 0, v81
	v_cmp_eq_u32_e64 s12, 0, v86
	v_add3_u32 v31, v31, v81, v86
	v_add_nc_u32_e32 v30, v30, v72
	s_delay_alu instid0(VALU_DEP_2) | instskip(NEXT) | instid1(VALU_DEP_2)
	v_mov_b32_dpp v35, v31 row_shr:1 row_mask:0xf bank_mask:0xf
	v_cndmask_b32_e64 v30, 0, v30, s7
	s_delay_alu instid0(VALU_DEP_1) | instskip(NEXT) | instid1(VALU_DEP_1)
	v_add_nc_u32_e32 v30, v30, v74
	v_cndmask_b32_e64 v30, 0, v30, s8
	s_delay_alu instid0(VALU_DEP_1) | instskip(NEXT) | instid1(VALU_DEP_1)
	v_add_nc_u32_e32 v30, v30, v92
	;; [unrolled: 3-line block ×10, first 2 shown]
	v_cndmask_b32_e32 v30, 0, v30, vcc_lo
	s_delay_alu instid0(VALU_DEP_1) | instskip(NEXT) | instid1(VALU_DEP_1)
	v_add_nc_u32_e32 v30, v30, v69
	v_cndmask_b32_e64 v30, 0, v30, s0
	s_delay_alu instid0(VALU_DEP_1) | instskip(NEXT) | instid1(VALU_DEP_1)
	v_add_nc_u32_e32 v30, v30, v68
	v_cndmask_b32_e64 v30, 0, v30, s12
	v_cmp_eq_u32_e64 s12, 0, v31
	s_delay_alu instid0(VALU_DEP_2) | instskip(NEXT) | instid1(VALU_DEP_1)
	v_add_nc_u32_e32 v30, v30, v96
	v_mov_b32_dpp v32, v30 row_shr:1 row_mask:0xf bank_mask:0xf
	s_delay_alu instid0(VALU_DEP_1) | instskip(SKIP_1) | instid1(VALU_DEP_1)
	v_cndmask_b32_e64 v32, 0, v32, s12
	v_cmp_eq_u32_e64 s12, 0, v33
	v_cndmask_b32_e64 v35, v35, 0, s12
	s_delay_alu instid0(VALU_DEP_3) | instskip(SKIP_1) | instid1(VALU_DEP_2)
	v_cndmask_b32_e64 v32, v32, 0, s12
	v_cmp_lt_u32_e64 s12, 1, v33
	v_dual_add_nc_u32 v31, v35, v31 :: v_dual_add_nc_u32 v30, v32, v30
	s_delay_alu instid0(VALU_DEP_1) | instskip(SKIP_1) | instid1(VALU_DEP_3)
	v_mov_b32_dpp v32, v31 row_shr:2 row_mask:0xf bank_mask:0xf
	v_cmp_eq_u32_e64 s13, 0, v31
	v_mov_b32_dpp v35, v30 row_shr:2 row_mask:0xf bank_mask:0xf
	s_delay_alu instid0(VALU_DEP_3)
	v_cndmask_b32_e64 v32, 0, v32, s12
	s_and_b32 s12, s12, s13
	s_delay_alu instid0(VALU_DEP_2) | instid1(SALU_CYCLE_1)
	v_cndmask_b32_e64 v35, 0, v35, s12
	v_cmp_lt_u32_e64 s12, 3, v33
	s_delay_alu instid0(VALU_DEP_3) | instskip(NEXT) | instid1(VALU_DEP_3)
	v_add_nc_u32_e32 v31, v31, v32
	v_add_nc_u32_e32 v30, v35, v30
	s_delay_alu instid0(VALU_DEP_2) | instskip(SKIP_1) | instid1(VALU_DEP_3)
	v_mov_b32_dpp v32, v31 row_shr:4 row_mask:0xf bank_mask:0xf
	v_cmp_eq_u32_e64 s13, 0, v31
	v_mov_b32_dpp v35, v30 row_shr:4 row_mask:0xf bank_mask:0xf
	s_delay_alu instid0(VALU_DEP_3)
	v_cndmask_b32_e64 v32, 0, v32, s12
	s_and_b32 s12, s12, s13
	s_delay_alu instid0(VALU_DEP_2) | instid1(SALU_CYCLE_1)
	v_cndmask_b32_e64 v35, 0, v35, s12
	v_cmp_lt_u32_e64 s12, 7, v33
	s_delay_alu instid0(VALU_DEP_3) | instskip(NEXT) | instid1(VALU_DEP_3)
	v_add_nc_u32_e32 v31, v32, v31
	v_add_nc_u32_e32 v30, v30, v35
	v_bfe_i32 v35, v97, 4, 1
	s_delay_alu instid0(VALU_DEP_3) | instskip(SKIP_1) | instid1(VALU_DEP_4)
	v_mov_b32_dpp v32, v31 row_shr:8 row_mask:0xf bank_mask:0xf
	v_cmp_eq_u32_e64 s13, 0, v31
	v_mov_b32_dpp v33, v30 row_shr:8 row_mask:0xf bank_mask:0xf
	s_delay_alu instid0(VALU_DEP_3) | instskip(SKIP_2) | instid1(VALU_DEP_2)
	v_cndmask_b32_e64 v32, 0, v32, s12
	s_and_b32 s12, s12, s13
	s_mov_b32 s13, exec_lo
	v_cndmask_b32_e64 v33, 0, v33, s12
	s_delay_alu instid0(VALU_DEP_1) | instskip(SKIP_4) | instid1(VALU_DEP_1)
	v_dual_add_nc_u32 v33, v33, v30 :: v_dual_add_nc_u32 v30, v32, v31
	ds_swizzle_b32 v31, v33 offset:swizzle(BROADCAST,32,15)
	ds_swizzle_b32 v32, v30 offset:swizzle(BROADCAST,32,15)
	v_cmp_eq_u32_e64 s12, 0, v30
	s_wait_dscnt 0x0
	v_dual_cndmask_b32 v31, 0, v31, s12 :: v_dual_bitop2_b32 v32, v35, v32 bitop3:0x40
	s_delay_alu instid0(VALU_DEP_1) | instskip(NEXT) | instid1(VALU_DEP_1)
	v_dual_add_nc_u32 v30, v32, v30 :: v_dual_bitop2_b32 v31, v35, v31 bitop3:0x40
	v_dual_add_nc_u32 v31, v31, v33 :: v_dual_lshlrev_b32 v33, 3, v98
	v_cmpx_eq_u32_e64 v0, v99
; %bb.88:
	ds_store_b64 v33, v[30:31] offset:4112
; %bb.89:
	s_or_b32 exec_lo, exec_lo, s13
	s_delay_alu instid0(SALU_CYCLE_1)
	s_mov_b32 s14, exec_lo
	s_wait_loadcnt_dscnt 0x0
	s_barrier_signal -1
	s_barrier_wait -1
	v_cmpx_gt_u32_e32 8, v0
	s_cbranch_execz .LBB511_91
; %bb.90:
	v_dual_lshlrev_b32 v32, 3, v0 :: v_dual_bitop2_b32 v38, 7, v97 bitop3:0x40
	ds_load_b64 v[36:37], v32 offset:4112
	s_wait_dscnt 0x0
	v_mov_b32_dpp v35, v37 row_shr:1 row_mask:0xf bank_mask:0xf
	v_cmp_eq_u32_e64 s12, 0, v36
	v_mov_b32_dpp v39, v36 row_shr:1 row_mask:0xf bank_mask:0xf
	s_delay_alu instid0(VALU_DEP_2) | instskip(SKIP_1) | instid1(VALU_DEP_1)
	v_cndmask_b32_e64 v35, 0, v35, s12
	v_cmp_eq_u32_e64 s12, 0, v38
	v_cndmask_b32_e64 v39, v39, 0, s12
	s_delay_alu instid0(VALU_DEP_1) | instskip(NEXT) | instid1(VALU_DEP_4)
	v_add_nc_u32_e32 v36, v39, v36
	v_cndmask_b32_e64 v35, v35, 0, s12
	v_cmp_lt_u32_e64 s12, 1, v38
	s_delay_alu instid0(VALU_DEP_3) | instskip(NEXT) | instid1(VALU_DEP_3)
	v_cmp_eq_u32_e64 s13, 0, v36
	v_add_nc_u32_e32 v35, v35, v37
	v_mov_b32_dpp v37, v36 row_shr:2 row_mask:0xf bank_mask:0xf
	s_delay_alu instid0(VALU_DEP_1) | instskip(NEXT) | instid1(VALU_DEP_3)
	v_cndmask_b32_e64 v37, 0, v37, s12
	v_mov_b32_dpp v39, v35 row_shr:2 row_mask:0xf bank_mask:0xf
	s_and_b32 s12, s12, s13
	s_delay_alu instid0(VALU_DEP_1) | instid1(SALU_CYCLE_1)
	v_dual_add_nc_u32 v36, v37, v36 :: v_dual_cndmask_b32 v39, 0, v39, s12
	v_cmp_lt_u32_e64 s12, 3, v38
	s_delay_alu instid0(VALU_DEP_2) | instskip(NEXT) | instid1(VALU_DEP_3)
	v_mov_b32_dpp v37, v36 row_shr:4 row_mask:0xf bank_mask:0xf
	v_add_nc_u32_e32 v35, v39, v35
	v_cmp_eq_u32_e64 s13, 0, v36
	s_delay_alu instid0(VALU_DEP_3) | instskip(NEXT) | instid1(VALU_DEP_3)
	v_cndmask_b32_e64 v37, 0, v37, s12
	v_mov_b32_dpp v38, v35 row_shr:4 row_mask:0xf bank_mask:0xf
	s_and_b32 s12, s12, s13
	s_delay_alu instid0(VALU_DEP_1) | instid1(SALU_CYCLE_1)
	v_dual_add_nc_u32 v36, v37, v36 :: v_dual_cndmask_b32 v38, 0, v38, s12
	s_delay_alu instid0(VALU_DEP_1)
	v_add_nc_u32_e32 v37, v38, v35
	ds_store_b64 v32, v[36:37] offset:4112
.LBB511_91:
	s_or_b32 exec_lo, exec_lo, s14
	v_dual_mov_b32 v35, 0 :: v_dual_mov_b32 v32, 0
	v_mov_b32_e32 v36, v34
	s_mov_b32 s13, exec_lo
	s_wait_dscnt 0x0
	s_barrier_signal -1
	s_barrier_wait -1
	v_cmpx_lt_u32_e32 31, v0
	s_cbranch_execz .LBB511_93
; %bb.92:
	ds_load_b64 v[32:33], v33 offset:4104
	s_wait_dscnt 0x0
	v_cmp_eq_u32_e64 s12, 0, v32
	s_delay_alu instid0(VALU_DEP_1) | instskip(NEXT) | instid1(VALU_DEP_1)
	v_cndmask_b32_e64 v36, 0, v34, s12
	v_add_nc_u32_e32 v36, v36, v33
.LBB511_93:
	s_or_b32 exec_lo, exec_lo, s13
	v_sub_co_u32 v33, s12, v97, 1
	s_delay_alu instid0(VALU_DEP_1) | instskip(NEXT) | instid1(VALU_DEP_1)
	v_cmp_gt_i32_e64 s13, 0, v33
	v_cndmask_b32_e64 v33, v33, v97, s13
	v_cmp_eq_u32_e64 s13, 0, v30
	s_delay_alu instid0(VALU_DEP_1) | instskip(NEXT) | instid1(VALU_DEP_3)
	v_dual_cndmask_b32 v37, 0, v36, s13 :: v_dual_add_nc_u32 v30, v32, v30
	v_lshlrev_b32_e32 v33, 2, v33
	v_cmp_eq_u32_e64 s13, 0, v95
	ds_bpermute_b32 v30, v33, v30
	s_wait_dscnt 0x0
	v_dual_add_nc_u32 v31, v37, v31 :: v_dual_cndmask_b32 v30, v30, v32, s12
	ds_bpermute_b32 v31, v33, v31
	s_wait_dscnt 0x0
	v_cndmask_b32_e64 v31, v31, v36, s12
	v_cmp_eq_u32_e64 s12, 0, v0
	s_delay_alu instid0(VALU_DEP_1) | instskip(NEXT) | instid1(VALU_DEP_1)
	v_cndmask_b32_e64 v62, v30, 0, s12
	v_dual_add_nc_u32 v66, v62, v95 :: v_dual_cndmask_b32 v63, v31, v34, s12
	s_delay_alu instid0(VALU_DEP_1) | instskip(NEXT) | instid1(VALU_DEP_1)
	v_dual_add_nc_u32 v64, v66, v88 :: v_dual_cndmask_b32 v31, 0, v63, s13
	v_add_nc_u32_e32 v60, v64, v87
	s_delay_alu instid0(VALU_DEP_1) | instskip(NEXT) | instid1(VALU_DEP_1)
	v_dual_add_nc_u32 v67, v31, v75 :: v_dual_add_nc_u32 v56, v60, v85
	v_dual_cndmask_b32 v31, 0, v67, s6 :: v_dual_add_nc_u32 v52, v56, v84
	s_delay_alu instid0(VALU_DEP_1) | instskip(NEXT) | instid1(VALU_DEP_1)
	v_add_nc_u32_e32 v65, v31, v72
	v_cndmask_b32_e64 v31, 0, v65, s7
	s_delay_alu instid0(VALU_DEP_1) | instskip(NEXT) | instid1(VALU_DEP_1)
	v_add_nc_u32_e32 v61, v31, v74
	v_cndmask_b32_e64 v31, 0, v61, s8
	;; [unrolled: 3-line block ×7, first 2 shown]
	s_delay_alu instid0(VALU_DEP_1) | instskip(NEXT) | instid1(VALU_DEP_1)
	v_add_nc_u32_e32 v39, v30, v91
	v_dual_cndmask_b32 v30, 0, v39, s3 :: v_dual_add_nc_u32 v48, v52, v80
	s_delay_alu instid0(VALU_DEP_1) | instskip(NEXT) | instid1(VALU_DEP_1)
	v_dual_add_nc_u32 v41, v30, v73 :: v_dual_add_nc_u32 v54, v48, v83
	v_cndmask_b32_e64 v30, 0, v41, s2
	s_delay_alu instid0(VALU_DEP_1) | instskip(SKIP_2) | instid1(VALU_DEP_1)
	v_add_nc_u32_e32 v47, v30, v71
	ds_load_b64 v[30:31], v35 offset:4168
	v_cndmask_b32_e64 v32, 0, v47, s1
	v_dual_add_nc_u32 v58, v54, v79 :: v_dual_add_nc_u32 v51, v32, v70
	s_delay_alu instid0(VALU_DEP_1) | instskip(NEXT) | instid1(VALU_DEP_1)
	v_dual_add_nc_u32 v38, v58, v78 :: v_dual_cndmask_b32 v32, 0, v51, vcc_lo
	v_add_nc_u32_e32 v40, v38, v77
	s_delay_alu instid0(VALU_DEP_2) | instskip(NEXT) | instid1(VALU_DEP_2)
	v_add_nc_u32_e32 v45, v32, v69
	v_add_nc_u32_e32 v46, v40, v1
	s_wait_dscnt 0x0
	v_cmp_eq_u32_e32 vcc_lo, 0, v30
	s_delay_alu instid0(VALU_DEP_2) | instskip(NEXT) | instid1(VALU_DEP_1)
	v_dual_cndmask_b32 v32, 0, v45, s0 :: v_dual_add_nc_u32 v50, v46, v76
	v_add_nc_u32_e32 v44, v50, v82
	s_delay_alu instid0(VALU_DEP_1) | instskip(NEXT) | instid1(VALU_DEP_1)
	v_dual_cndmask_b32 v33, 0, v34 :: v_dual_add_nc_u32 v36, v44, v81
	v_dual_add_nc_u32 v37, v32, v68 :: v_dual_add_nc_u32 v34, v33, v31
	s_and_saveexec_b32 s0, s12
	s_cbranch_execz .LBB511_95
; %bb.94:
	s_add_nc_u64 s[2:3], s[20:21], 0x200
	v_dual_mov_b32 v32, 2 :: v_dual_mov_b32 v33, 0
	v_mov_b32_e32 v31, v34
	v_mov_b64_e32 v[68:69], s[2:3]
	;;#ASMSTART
	global_store_b128 v[68:69], v[30:33] off scope:SCOPE_DEV	
s_wait_storecnt 0x0
	;;#ASMEND
.LBB511_95:
	s_or_b32 exec_lo, exec_lo, s0
	v_mov_b32_e32 v32, 0
.LBB511_96:
	s_cmp_eq_u64 s[30:31], 0
	v_mov_b64_e32 v[68:69], 0
	s_cselect_b32 s0, -1, 0
	s_delay_alu instid0(SALU_CYCLE_1)
	s_or_b32 s0, s22, s0
	s_barrier_signal -1
	s_and_b32 vcc_lo, exec_lo, s0
	s_barrier_wait -1
	s_cbranch_vccnz .LBB511_98
; %bb.97:
	v_mov_b32_e32 v31, 0
	global_load_b64 v[68:69], v31, s[30:31]
.LBB511_98:
	v_cmp_eq_u32_e32 vcc_lo, 0, v95
	s_wait_loadcnt 0x0
	v_lshlrev_b64_e32 v[70:71], 3, v[68:69]
	v_cmp_ne_u32_e64 s14, 0, v95
	v_cmp_ne_u32_e64 s13, 0, v88
	;; [unrolled: 1-line block ×3, first 2 shown]
	v_cndmask_b32_e64 v31, 1, 2, vcc_lo
	v_cmp_eq_u32_e32 vcc_lo, 0, v88
	v_cmp_ne_u32_e64 s11, 0, v85
	s_wait_kmcnt 0x0
	v_add_nc_u64_e32 v[74:75], s[16:17], v[70:71]
	v_cmp_ne_u32_e64 s10, 0, v84
	v_cmp_ne_u32_e64 s9, 0, v80
	v_cndmask_b32_e64 v33, 1, 2, vcc_lo
	v_cmp_eq_u32_e32 vcc_lo, 0, v87
	v_cmp_ne_u32_e64 s8, 0, v83
	v_cmp_ne_u32_e64 s7, 0, v79
	;; [unrolled: 1-line block ×4, first 2 shown]
	v_cndmask_b32_e64 v35, 1, 2, vcc_lo
	v_cmp_eq_u32_e32 vcc_lo, 0, v85
	v_cmp_ne_u32_e64 s4, 0, v1
	v_cmp_ne_u32_e64 s3, 0, v76
	;; [unrolled: 1-line block ×3, first 2 shown]
	v_bitop3_b16 v31, v33, v35, v31 bitop3:0x80
	v_cndmask_b32_e64 v35, 1, 2, vcc_lo
	v_cmp_eq_u32_e32 vcc_lo, 0, v84
	v_mov_b32_e32 v33, 0
	v_cmp_ne_u32_e64 s1, 0, v81
	v_cmp_ne_u32_e64 s0, 0, v86
	s_mov_b32 s16, -1
	v_cndmask_b32_e64 v72, 1, 2, vcc_lo
	v_cmp_eq_u32_e32 vcc_lo, 0, v80
	s_delay_alu instid0(VALU_DEP_2)
	v_bitop3_b16 v31, v31, v72, v35 bitop3:0x80
	v_cndmask_b32_e64 v35, 1, 2, vcc_lo
	v_cmp_eq_u32_e32 vcc_lo, 0, v83
	v_lshlrev_b64_e32 v[72:73], 3, v[32:33]
	v_cndmask_b32_e64 v89, 1, 2, vcc_lo
	v_cmp_eq_u32_e32 vcc_lo, 0, v79
	s_delay_alu instid0(VALU_DEP_3) | instskip(NEXT) | instid1(VALU_DEP_3)
	v_add_nc_u64_e32 v[74:75], v[74:75], v[72:73]
	v_bitop3_b16 v31, v31, v89, v35 bitop3:0x80
	v_cndmask_b32_e64 v35, 1, 2, vcc_lo
	v_cmp_eq_u32_e32 vcc_lo, 0, v78
	v_cndmask_b32_e64 v89, 1, 2, vcc_lo
	v_cmp_eq_u32_e32 vcc_lo, 0, v77
	s_delay_alu instid0(VALU_DEP_2) | instskip(SKIP_4) | instid1(VALU_DEP_2)
	v_bitop3_b16 v31, v31, v89, v35 bitop3:0x80
	v_cndmask_b32_e64 v35, 1, 2, vcc_lo
	v_cmp_eq_u32_e32 vcc_lo, 0, v1
	v_cndmask_b32_e64 v89, 1, 2, vcc_lo
	v_cmp_eq_u32_e32 vcc_lo, 0, v76
	v_bitop3_b16 v31, v31, v89, v35 bitop3:0x80
	v_cndmask_b32_e64 v35, 1, 2, vcc_lo
	v_cmp_eq_u32_e32 vcc_lo, 0, v82
	v_cndmask_b32_e64 v89, 1, 2, vcc_lo
	v_cmp_eq_u32_e32 vcc_lo, 0, v81
	s_delay_alu instid0(VALU_DEP_2) | instskip(SKIP_4) | instid1(VALU_DEP_2)
	v_bitop3_b16 v31, v31, v89, v35 bitop3:0x80
	v_cndmask_b32_e64 v35, 1, 2, vcc_lo
	v_cmp_eq_u32_e32 vcc_lo, 0, v86
	v_cndmask_b32_e64 v89, 1, 2, vcc_lo
	v_cmp_gt_u32_e32 vcc_lo, 0x100, v30
	v_bitop3_b16 v31, v31, v89, v35 bitop3:0x80
	s_delay_alu instid0(VALU_DEP_1)
	v_cmp_gt_i16_e64 s15, 2, v31
	s_cbranch_vccz .LBB511_105
; %bb.99:
	s_and_saveexec_b32 s16, s15
	s_cbranch_execz .LBB511_104
; %bb.100:
	s_mov_b32 s17, 0
	s_mov_b32 s15, exec_lo
	v_cmpx_ne_u16_e32 1, v31
	s_xor_b32 s15, exec_lo, s15
	s_cbranch_execnz .LBB511_136
; %bb.101:
	s_and_not1_saveexec_b32 s15, s15
	s_cbranch_execnz .LBB511_152
.LBB511_102:
	s_or_b32 exec_lo, exec_lo, s15
	s_delay_alu instid0(SALU_CYCLE_1)
	s_and_b32 exec_lo, exec_lo, s17
	s_cbranch_execz .LBB511_104
.LBB511_103:
	v_sub_nc_u32_e32 v35, v36, v32
	v_readfirstlane_b32 s20, v74
	v_readfirstlane_b32 s21, v75
	global_store_b64 v35, v[42:43], s[20:21] scale_offset
.LBB511_104:
	s_wait_xcnt 0x0
	s_or_b32 exec_lo, exec_lo, s16
	s_mov_b32 s16, 0
.LBB511_105:
	s_delay_alu instid0(SALU_CYCLE_1)
	s_and_b32 vcc_lo, exec_lo, s16
	s_cbranch_vccz .LBB511_115
; %bb.106:
	s_mov_b32 s15, exec_lo
	v_cmpx_gt_i16_e32 2, v31
	s_cbranch_execz .LBB511_111
; %bb.107:
	s_mov_b32 s17, 0
	s_mov_b32 s16, exec_lo
	v_cmpx_ne_u16_e32 1, v31
	s_xor_b32 s16, exec_lo, s16
	s_cbranch_execnz .LBB511_153
; %bb.108:
	s_and_not1_saveexec_b32 s0, s16
	s_cbranch_execnz .LBB511_169
.LBB511_109:
	s_or_b32 exec_lo, exec_lo, s0
	s_delay_alu instid0(SALU_CYCLE_1)
	s_and_b32 exec_lo, exec_lo, s17
.LBB511_110:
	v_sub_nc_u32_e32 v2, v36, v32
	s_delay_alu instid0(VALU_DEP_1)
	v_lshlrev_b32_e32 v2, 3, v2
	ds_store_b64 v2, v[42:43]
.LBB511_111:
	s_or_b32 exec_lo, exec_lo, s15
	s_delay_alu instid0(SALU_CYCLE_1)
	s_mov_b32 s0, exec_lo
	s_wait_storecnt_dscnt 0x0
	s_barrier_signal -1
	s_barrier_wait -1
	v_cmpx_lt_u32_e64 v0, v30
	s_cbranch_execz .LBB511_114
; %bb.112:
	v_dual_mov_b32 v3, v0 :: v_dual_lshlrev_b32 v2, 3, v0
	s_mov_b32 s1, 0
.LBB511_113:                            ; =>This Inner Loop Header: Depth=1
	ds_load_b64 v[4:5], v2
	v_readfirstlane_b32 s2, v74
	v_readfirstlane_b32 s3, v75
	v_add_nc_u32_e32 v2, 0x800, v2
	s_wait_dscnt 0x0
	global_store_b64 v3, v[4:5], s[2:3] scale_offset
	s_wait_xcnt 0x0
	v_add_nc_u32_e32 v3, 0x100, v3
	s_delay_alu instid0(VALU_DEP_1) | instskip(SKIP_1) | instid1(SALU_CYCLE_1)
	v_cmp_ge_u32_e32 vcc_lo, v3, v30
	s_or_b32 s1, vcc_lo, s1
	s_and_not1_b32 exec_lo, exec_lo, s1
	s_cbranch_execnz .LBB511_113
.LBB511_114:
	s_or_b32 exec_lo, exec_lo, s0
.LBB511_115:
	s_cmp_lg_u32 s35, 0xf00
	v_cmp_eq_u32_e32 vcc_lo, 0, v0
	s_cselect_b32 s0, -1, 0
	v_cndmask_b32_e64 v6, 0, 1, s36
	s_and_b32 s0, s33, s0
	v_mad_i32_i24 v4, v0, -15, s35
	v_cndmask_b32_e64 v3, 0, 1, s0
	s_mul_hi_u32 s0, s35, 0x88888889
	s_and_b32 s1, vcc_lo, s36
	s_lshr_b32 s0, s0, 3
	v_sub_nc_u32_e32 v2, v30, v6
	v_cndmask_b32_e64 v5, v95, 0, s1
	v_cmp_eq_u32_e32 vcc_lo, s0, v0
	v_cmp_ne_u32_e64 s0, 0, v4
	s_mov_b32 s16, -1
	v_add_nc_u32_e32 v8, v2, v3
	s_wait_storecnt 0x0
	s_and_b32 vcc_lo, s33, vcc_lo
	v_cndmask_b32_e64 v2, 1, v5, s0
	v_cmp_ne_u32_e64 s0, 1, v4
	s_barrier_signal -1
	s_barrier_wait -1
	s_delay_alu instid0(VALU_DEP_1) | instskip(SKIP_1) | instid1(VALU_DEP_2)
	v_cndmask_b32_e64 v3, 1, v88, s0
	v_cmp_ne_u32_e64 s0, 2, v4
	v_cndmask_b32_e32 v21, v88, v3, vcc_lo
	s_delay_alu instid0(VALU_DEP_2) | instskip(SKIP_1) | instid1(VALU_DEP_3)
	v_cndmask_b32_e64 v7, 1, v87, s0
	v_cmp_ne_u32_e64 s0, 3, v4
	v_cmp_ne_u32_e64 s13, 0, v21
	s_delay_alu instid0(VALU_DEP_2) | instskip(SKIP_1) | instid1(VALU_DEP_2)
	v_cndmask_b32_e64 v9, 1, v85, s0
	v_cmp_ne_u32_e64 s0, 4, v4
	v_dual_cndmask_b32 v7, v87, v7, vcc_lo :: v_dual_cndmask_b32 v9, v85, v9, vcc_lo
	s_delay_alu instid0(VALU_DEP_2) | instskip(SKIP_1) | instid1(VALU_DEP_3)
	v_cndmask_b32_e64 v10, 1, v84, s0
	v_cmp_ne_u32_e64 s0, 5, v4
	v_cmp_ne_u32_e64 s12, 0, v7
	s_delay_alu instid0(VALU_DEP_4) | instskip(NEXT) | instid1(VALU_DEP_3)
	v_cmp_ne_u32_e64 s11, 0, v9
	v_cndmask_b32_e64 v11, 1, v80, s0
	v_cmp_ne_u32_e64 s0, 6, v4
	s_delay_alu instid0(VALU_DEP_1) | instskip(SKIP_1) | instid1(VALU_DEP_2)
	v_cndmask_b32_e64 v12, 1, v83, s0
	v_cmp_ne_u32_e64 s0, 7, v4
	v_dual_cndmask_b32 v10, v84, v10, vcc_lo :: v_dual_cndmask_b32 v12, v83, v12, vcc_lo
	s_delay_alu instid0(VALU_DEP_2) | instskip(SKIP_2) | instid1(VALU_DEP_4)
	v_cndmask_b32_e64 v13, 1, v79, s0
	v_cmp_ne_u32_e64 s0, 8, v4
	v_cndmask_b32_e32 v11, v80, v11, vcc_lo
	v_cmp_ne_u32_e64 s10, 0, v10
	v_cmp_ne_u32_e64 s8, 0, v12
	s_delay_alu instid0(VALU_DEP_4) | instskip(SKIP_1) | instid1(VALU_DEP_2)
	v_dual_cndmask_b32 v13, v79, v13, vcc_lo :: v_dual_cndmask_b32 v14, 1, v78, s0
	v_cmp_ne_u32_e64 s0, 9, v4
	v_cmp_ne_u32_e64 s7, 0, v13
	s_delay_alu instid0(VALU_DEP_2) | instskip(SKIP_1) | instid1(VALU_DEP_2)
	v_cndmask_b32_e64 v15, 1, v77, s0
	v_cmp_ne_u32_e64 s0, 10, v4
	v_dual_cndmask_b32 v14, v78, v14 :: v_dual_cndmask_b32 v15, v77, v15
	s_delay_alu instid0(VALU_DEP_2) | instskip(SKIP_1) | instid1(VALU_DEP_3)
	v_cndmask_b32_e64 v16, 1, v1, s0
	v_cmp_ne_u32_e64 s0, 11, v4
	v_cmp_ne_u32_e64 s6, 0, v14
	s_delay_alu instid0(VALU_DEP_2) | instskip(SKIP_3) | instid1(VALU_DEP_3)
	v_cndmask_b32_e64 v17, 1, v76, s0
	v_cmp_ne_u32_e64 s0, 14, v4
	v_dual_cndmask_b32 v16, v1, v16 :: v_dual_add_nc_u32 v1, v32, v6
	v_cmp_ne_u32_e64 s5, 0, v15
	v_dual_cndmask_b32 v17, v76, v17, vcc_lo :: v_dual_cndmask_b32 v18, 1, v86, s0
	v_cmp_ne_u32_e64 s0, 13, v4
	s_delay_alu instid0(VALU_DEP_4) | instskip(NEXT) | instid1(VALU_DEP_3)
	v_cmp_ne_u32_e64 s4, 0, v16
	v_cmp_ne_u32_e64 s3, 0, v17
	s_delay_alu instid0(VALU_DEP_3) | instskip(SKIP_1) | instid1(VALU_DEP_2)
	v_cndmask_b32_e64 v19, 1, v81, s0
	v_cmp_ne_u32_e64 s0, 12, v4
	v_dual_cndmask_b32 v18, v86, v18 :: v_dual_cndmask_b32 v19, v81, v19
	s_delay_alu instid0(VALU_DEP_2) | instskip(SKIP_2) | instid1(VALU_DEP_4)
	v_cndmask_b32_e64 v4, 1, v82, s0
	v_cndmask_b32_e32 v20, v5, v2, vcc_lo
	v_add_nc_u64_e32 v[2:3], s[18:19], v[70:71]
	v_cmp_ne_u32_e64 s1, 0, v19
	s_delay_alu instid0(VALU_DEP_4) | instskip(NEXT) | instid1(VALU_DEP_4)
	v_cndmask_b32_e32 v22, v82, v4, vcc_lo
	v_cmp_eq_u32_e64 s0, 0, v20
	v_cmp_eq_u32_e32 vcc_lo, 0, v15
	v_cmp_ne_u32_e64 s14, 0, v20
	v_add_nc_u64_e32 v[2:3], v[2:3], v[72:73]
	v_cmp_ne_u32_e64 s2, 0, v22
	v_cndmask_b32_e64 v4, 1, 2, s0
	v_cmp_eq_u32_e64 s0, 0, v21
	s_delay_alu instid0(VALU_DEP_1) | instskip(SKIP_1) | instid1(VALU_DEP_1)
	v_cndmask_b32_e64 v5, 1, 2, s0
	v_cmp_eq_u32_e64 s0, 0, v7
	v_cndmask_b32_e64 v23, 1, 2, s0
	v_cmp_eq_u32_e64 s0, 0, v9
	s_delay_alu instid0(VALU_DEP_2) | instskip(NEXT) | instid1(VALU_DEP_2)
	v_bitop3_b16 v23, v5, v23, v4 bitop3:0x80
	v_cndmask_b32_e64 v24, 1, 2, s0
	v_cmp_eq_u32_e64 s0, 0, v10
	v_dual_mov_b32 v5, 0 :: v_dual_lshlrev_b32 v4, 3, v6
	v_cmp_ne_u32_e64 s9, 0, v11
	s_delay_alu instid0(VALU_DEP_3) | instskip(SKIP_1) | instid1(VALU_DEP_4)
	v_cndmask_b32_e64 v25, 1, 2, s0
	v_cmp_eq_u32_e64 s0, 0, v11
	v_add_nc_u64_e32 v[4:5], v[2:3], v[4:5]
	s_delay_alu instid0(VALU_DEP_3) | instskip(NEXT) | instid1(VALU_DEP_3)
	v_bitop3_b16 v23, v23, v25, v24 bitop3:0x80
	v_cndmask_b32_e64 v24, 1, 2, s0
	v_cmp_eq_u32_e64 s0, 0, v12
	s_delay_alu instid0(VALU_DEP_4) | instskip(NEXT) | instid1(VALU_DEP_2)
	v_add_nc_u64_e32 v[4:5], -8, v[4:5]
	v_cndmask_b32_e64 v25, 1, 2, s0
	v_cmp_eq_u32_e64 s0, 0, v13
	s_delay_alu instid0(VALU_DEP_2) | instskip(NEXT) | instid1(VALU_DEP_2)
	v_bitop3_b16 v23, v23, v25, v24 bitop3:0x80
	v_cndmask_b32_e64 v24, 1, 2, s0
	v_cmp_eq_u32_e64 s0, 0, v14
	s_delay_alu instid0(VALU_DEP_1) | instskip(SKIP_1) | instid1(VALU_DEP_2)
	v_cndmask_b32_e64 v25, 1, 2, s0
	v_cmp_ne_u32_e64 s0, 0, v18
	v_bitop3_b16 v6, v23, v25, v24 bitop3:0x80
	v_cndmask_b32_e64 v23, 1, 2, vcc_lo
	v_cmp_eq_u32_e32 vcc_lo, 0, v16
	v_cndmask_b32_e64 v24, 1, 2, vcc_lo
	v_cmp_eq_u32_e32 vcc_lo, 0, v17
	s_delay_alu instid0(VALU_DEP_2) | instskip(SKIP_4) | instid1(VALU_DEP_2)
	v_bitop3_b16 v6, v6, v24, v23 bitop3:0x80
	v_cndmask_b32_e64 v7, 1, 2, vcc_lo
	v_cmp_eq_u32_e32 vcc_lo, 0, v22
	v_cndmask_b32_e64 v9, 1, 2, vcc_lo
	v_cmp_eq_u32_e32 vcc_lo, 0, v19
	v_bitop3_b16 v6, v6, v9, v7 bitop3:0x80
	v_cndmask_b32_e64 v7, 1, 2, vcc_lo
	v_cmp_eq_u32_e32 vcc_lo, 0, v18
	v_cndmask_b32_e64 v9, 1, 2, vcc_lo
	v_cmp_gt_u32_e32 vcc_lo, 0x100, v8
	s_delay_alu instid0(VALU_DEP_2) | instskip(NEXT) | instid1(VALU_DEP_1)
	v_bitop3_b16 v6, v6, v9, v7 bitop3:0x80
	v_cmp_gt_i16_e64 s15, 2, v6
	s_cbranch_vccnz .LBB511_119
; %bb.116:
	s_and_b32 vcc_lo, exec_lo, s16
	s_cbranch_vccnz .LBB511_125
.LBB511_117:
	v_cmp_eq_u32_e32 vcc_lo, 0xff, v0
	s_and_b32 s0, vcc_lo, s33
	s_delay_alu instid0(SALU_CYCLE_1)
	s_and_saveexec_b32 s1, s0
	s_cbranch_execnz .LBB511_134
.LBB511_118:
	s_sendmsg sendmsg(MSG_DEALLOC_VGPRS)
	s_endpgm
.LBB511_119:
	s_and_saveexec_b32 s16, s15
	s_cbranch_execz .LBB511_124
; %bb.120:
	s_mov_b32 s17, 0
	s_mov_b32 s15, exec_lo
	v_cmpx_ne_u16_e32 1, v6
	s_xor_b32 s15, exec_lo, s15
	s_cbranch_execnz .LBB511_170
; %bb.121:
	s_and_not1_saveexec_b32 s15, s15
	s_cbranch_execnz .LBB511_186
.LBB511_122:
	s_or_b32 exec_lo, exec_lo, s15
	s_delay_alu instid0(SALU_CYCLE_1)
	s_and_b32 exec_lo, exec_lo, s17
	s_cbranch_execz .LBB511_124
.LBB511_123:
	v_dual_mov_b32 v11, 0 :: v_dual_mov_b32 v10, v37
	v_sub_nc_u32_e32 v7, v36, v1
	v_readfirstlane_b32 s18, v4
	v_readfirstlane_b32 s19, v5
	global_store_b64 v7, v[10:11], s[18:19] scale_offset
.LBB511_124:
	s_wait_xcnt 0x0
	s_or_b32 exec_lo, exec_lo, s16
	s_branch .LBB511_117
.LBB511_125:
	s_mov_b32 s15, exec_lo
	v_cmpx_gt_i16_e32 2, v6
	s_cbranch_execz .LBB511_130
; %bb.126:
	s_mov_b32 s17, 0
	s_mov_b32 s16, exec_lo
	v_cmpx_ne_u16_e32 1, v6
	s_xor_b32 s16, exec_lo, s16
	s_cbranch_execnz .LBB511_187
; %bb.127:
	s_and_not1_saveexec_b32 s0, s16
	s_cbranch_execnz .LBB511_203
.LBB511_128:
	s_or_b32 exec_lo, exec_lo, s0
	s_delay_alu instid0(SALU_CYCLE_1)
	s_and_b32 exec_lo, exec_lo, s17
.LBB511_129:
	v_sub_nc_u32_e32 v1, v36, v1
	s_delay_alu instid0(VALU_DEP_1)
	v_lshlrev_b32_e32 v1, 2, v1
	ds_store_b32 v1, v37
.LBB511_130:
	s_or_b32 exec_lo, exec_lo, s15
	s_delay_alu instid0(SALU_CYCLE_1)
	s_mov_b32 s0, exec_lo
	s_wait_storecnt_dscnt 0x0
	s_barrier_signal -1
	s_barrier_wait -1
	v_cmpx_lt_u32_e64 v0, v8
	s_cbranch_execz .LBB511_133
; %bb.131:
	v_dual_lshlrev_b32 v1, 2, v0 :: v_dual_mov_b32 v7, 0
	v_mov_b32_e32 v9, v0
	s_mov_b32 s1, 0
.LBB511_132:                            ; =>This Inner Loop Header: Depth=1
	ds_load_b32 v6, v1
	v_readfirstlane_b32 s2, v4
	v_readfirstlane_b32 s3, v5
	v_add_nc_u32_e32 v1, 0x400, v1
	s_wait_dscnt 0x0
	global_store_b64 v9, v[6:7], s[2:3] scale_offset
	s_wait_xcnt 0x0
	v_add_nc_u32_e32 v9, 0x100, v9
	s_delay_alu instid0(VALU_DEP_1) | instskip(SKIP_1) | instid1(SALU_CYCLE_1)
	v_cmp_ge_u32_e32 vcc_lo, v9, v8
	s_or_b32 s1, vcc_lo, s1
	s_and_not1_b32 exec_lo, exec_lo, s1
	s_cbranch_execnz .LBB511_132
.LBB511_133:
	s_or_b32 exec_lo, exec_lo, s0
	v_cmp_eq_u32_e32 vcc_lo, 0xff, v0
	s_and_b32 s0, vcc_lo, s33
	s_delay_alu instid0(SALU_CYCLE_1)
	s_and_saveexec_b32 s1, s0
	s_cbranch_execz .LBB511_118
.LBB511_134:
	v_mov_b32_e32 v31, 0
	s_cmp_lg_u32 s35, 0xf00
	s_delay_alu instid0(VALU_DEP_1) | instskip(NEXT) | instid1(VALU_DEP_1)
	v_add_nc_u64_e32 v[0:1], v[30:31], v[32:33]
	v_add_nc_u64_e32 v[0:1], v[0:1], v[68:69]
	global_store_b64 v31, v[0:1], s[24:25]
	s_cbranch_scc1 .LBB511_118
; %bb.135:
	s_wait_xcnt 0x0
	v_lshlrev_b64_e32 v[0:1], 3, v[30:31]
	v_mov_b32_e32 v35, v31
	s_delay_alu instid0(VALU_DEP_2)
	v_add_nc_u64_e32 v[0:1], v[2:3], v[0:1]
	global_store_b64 v[0:1], v[34:35], off offset:-8
	s_sendmsg sendmsg(MSG_DEALLOC_VGPRS)
	s_endpgm
.LBB511_136:
	s_and_saveexec_b32 s17, s14
	s_cbranch_execnz .LBB511_204
; %bb.137:
	s_or_b32 exec_lo, exec_lo, s17
	s_and_saveexec_b32 s17, s13
	s_cbranch_execnz .LBB511_205
.LBB511_138:
	s_or_b32 exec_lo, exec_lo, s17
	s_and_saveexec_b32 s17, s12
	s_cbranch_execnz .LBB511_206
.LBB511_139:
	s_or_b32 exec_lo, exec_lo, s17
	s_and_saveexec_b32 s17, s11
	s_cbranch_execnz .LBB511_207
.LBB511_140:
	s_or_b32 exec_lo, exec_lo, s17
	s_and_saveexec_b32 s17, s10
	s_cbranch_execnz .LBB511_208
.LBB511_141:
	s_or_b32 exec_lo, exec_lo, s17
	s_and_saveexec_b32 s17, s9
	s_cbranch_execnz .LBB511_209
.LBB511_142:
	s_or_b32 exec_lo, exec_lo, s17
	s_and_saveexec_b32 s17, s8
	s_cbranch_execnz .LBB511_210
.LBB511_143:
	s_or_b32 exec_lo, exec_lo, s17
	s_and_saveexec_b32 s17, s7
	s_cbranch_execnz .LBB511_211
.LBB511_144:
	s_or_b32 exec_lo, exec_lo, s17
	s_and_saveexec_b32 s17, s6
	s_cbranch_execnz .LBB511_212
.LBB511_145:
	s_or_b32 exec_lo, exec_lo, s17
	s_and_saveexec_b32 s17, s5
	s_cbranch_execnz .LBB511_213
.LBB511_146:
	s_or_b32 exec_lo, exec_lo, s17
	s_and_saveexec_b32 s17, s4
	s_cbranch_execnz .LBB511_214
.LBB511_147:
	s_or_b32 exec_lo, exec_lo, s17
	s_and_saveexec_b32 s17, s3
	s_cbranch_execnz .LBB511_215
.LBB511_148:
	s_or_b32 exec_lo, exec_lo, s17
	s_and_saveexec_b32 s17, s2
	s_cbranch_execnz .LBB511_216
.LBB511_149:
	s_or_b32 exec_lo, exec_lo, s17
	s_and_saveexec_b32 s17, s1
	s_cbranch_execz .LBB511_151
.LBB511_150:
	v_sub_nc_u32_e32 v35, v44, v32
	v_readfirstlane_b32 s20, v74
	v_readfirstlane_b32 s21, v75
	global_store_b64 v35, v[4:5], s[20:21] scale_offset
.LBB511_151:
	s_wait_xcnt 0x0
	s_or_b32 exec_lo, exec_lo, s17
	s_delay_alu instid0(SALU_CYCLE_1)
	s_and_b32 s17, s0, exec_lo
	s_and_not1_saveexec_b32 s15, s15
	s_cbranch_execz .LBB511_102
.LBB511_152:
	v_dual_sub_nc_u32 v35, v62, v32 :: v_dual_sub_nc_u32 v90, v64, v32
	v_readfirstlane_b32 s20, v74
	v_readfirstlane_b32 s21, v75
	v_dual_sub_nc_u32 v89, v66, v32 :: v_dual_sub_nc_u32 v91, v60, v32
	s_clause 0x2
	global_store_b64 v35, v[26:27], s[20:21] scale_offset
	global_store_b64 v89, v[28:29], s[20:21] scale_offset
	;; [unrolled: 1-line block ×3, first 2 shown]
	s_wait_xcnt 0x2
	v_sub_nc_u32_e32 v35, v56, v32
	s_wait_xcnt 0x1
	v_sub_nc_u32_e32 v89, v52, v32
	;; [unrolled: 2-line block ×3, first 2 shown]
	global_store_b64 v91, v[24:25], s[20:21] scale_offset
	s_wait_xcnt 0x0
	v_sub_nc_u32_e32 v91, v54, v32
	global_store_b64 v35, v[18:19], s[20:21] scale_offset
	s_wait_xcnt 0x0
	v_sub_nc_u32_e32 v35, v58, v32
	s_clause 0x2
	global_store_b64 v89, v[20:21], s[20:21] scale_offset
	global_store_b64 v90, v[14:15], s[20:21] scale_offset
	;; [unrolled: 1-line block ×3, first 2 shown]
	s_wait_xcnt 0x2
	v_sub_nc_u32_e32 v89, v38, v32
	s_wait_xcnt 0x0
	v_sub_nc_u32_e32 v91, v50, v32
	v_sub_nc_u32_e32 v90, v46, v32
	global_store_b64 v35, v[10:11], s[20:21] scale_offset
	s_wait_xcnt 0x0
	v_sub_nc_u32_e32 v35, v40, v32
	global_store_b64 v89, v[12:13], s[20:21] scale_offset
	s_wait_xcnt 0x0
	v_sub_nc_u32_e32 v89, v44, v32
	s_or_b32 s17, s17, exec_lo
	s_clause 0x3
	global_store_b64 v35, v[6:7], s[20:21] scale_offset
	global_store_b64 v90, v[8:9], s[20:21] scale_offset
	;; [unrolled: 1-line block ×4, first 2 shown]
	s_wait_xcnt 0x0
	s_or_b32 exec_lo, exec_lo, s15
	s_delay_alu instid0(SALU_CYCLE_1)
	s_and_b32 exec_lo, exec_lo, s17
	s_cbranch_execnz .LBB511_103
	s_branch .LBB511_104
.LBB511_153:
	s_and_saveexec_b32 s17, s14
	s_cbranch_execnz .LBB511_217
; %bb.154:
	s_or_b32 exec_lo, exec_lo, s17
	s_and_saveexec_b32 s14, s13
	s_cbranch_execnz .LBB511_218
.LBB511_155:
	s_or_b32 exec_lo, exec_lo, s14
	s_and_saveexec_b32 s13, s12
	s_cbranch_execnz .LBB511_219
.LBB511_156:
	s_or_b32 exec_lo, exec_lo, s13
	s_and_saveexec_b32 s12, s11
	s_cbranch_execnz .LBB511_220
.LBB511_157:
	s_or_b32 exec_lo, exec_lo, s12
	s_and_saveexec_b32 s11, s10
	s_cbranch_execnz .LBB511_221
.LBB511_158:
	s_or_b32 exec_lo, exec_lo, s11
	s_and_saveexec_b32 s10, s9
	s_cbranch_execnz .LBB511_222
.LBB511_159:
	s_or_b32 exec_lo, exec_lo, s10
	s_and_saveexec_b32 s9, s8
	s_cbranch_execnz .LBB511_223
.LBB511_160:
	s_or_b32 exec_lo, exec_lo, s9
	s_and_saveexec_b32 s8, s7
	s_cbranch_execnz .LBB511_224
.LBB511_161:
	s_or_b32 exec_lo, exec_lo, s8
	s_and_saveexec_b32 s7, s6
	s_cbranch_execnz .LBB511_225
.LBB511_162:
	s_or_b32 exec_lo, exec_lo, s7
	s_and_saveexec_b32 s6, s5
	s_cbranch_execnz .LBB511_226
.LBB511_163:
	s_or_b32 exec_lo, exec_lo, s6
	s_and_saveexec_b32 s5, s4
	s_cbranch_execnz .LBB511_227
.LBB511_164:
	s_or_b32 exec_lo, exec_lo, s5
	s_and_saveexec_b32 s4, s3
	s_cbranch_execnz .LBB511_228
.LBB511_165:
	s_or_b32 exec_lo, exec_lo, s4
	s_and_saveexec_b32 s3, s2
	s_cbranch_execnz .LBB511_229
.LBB511_166:
	s_or_b32 exec_lo, exec_lo, s3
	s_and_saveexec_b32 s2, s1
.LBB511_167:
	v_sub_nc_u32_e32 v2, v44, v32
	s_delay_alu instid0(VALU_DEP_1)
	v_lshlrev_b32_e32 v2, 3, v2
	ds_store_b64 v2, v[4:5]
.LBB511_168:
	s_or_b32 exec_lo, exec_lo, s2
	s_delay_alu instid0(SALU_CYCLE_1)
	s_and_b32 s17, s0, exec_lo
                                        ; implicit-def: $vgpr2_vgpr3
                                        ; implicit-def: $vgpr6_vgpr7
                                        ; implicit-def: $vgpr10_vgpr11
                                        ; implicit-def: $vgpr14_vgpr15
                                        ; implicit-def: $vgpr18_vgpr19
                                        ; implicit-def: $vgpr22_vgpr23
                                        ; implicit-def: $vgpr26_vgpr27
	s_and_not1_saveexec_b32 s0, s16
	s_cbranch_execz .LBB511_109
.LBB511_169:
	v_dual_sub_nc_u32 v31, v62, v32 :: v_dual_sub_nc_u32 v89, v64, v32
	v_dual_sub_nc_u32 v35, v66, v32 :: v_dual_sub_nc_u32 v90, v60, v32
	s_or_b32 s17, s17, exec_lo
	s_delay_alu instid0(VALU_DEP_2) | instskip(NEXT) | instid1(VALU_DEP_2)
	v_dual_lshlrev_b32 v31, 3, v31 :: v_dual_lshlrev_b32 v89, 3, v89
	v_dual_lshlrev_b32 v35, 3, v35 :: v_dual_lshlrev_b32 v90, 3, v90
	ds_store_b64 v31, v[26:27]
	ds_store_b64 v35, v[28:29]
	;; [unrolled: 1-line block ×3, first 2 shown]
	v_sub_nc_u32_e32 v22, v56, v32
	ds_store_b64 v90, v[24:25]
	v_dual_sub_nc_u32 v25, v54, v32 :: v_dual_sub_nc_u32 v23, v52, v32
	v_dual_sub_nc_u32 v24, v48, v32 :: v_dual_sub_nc_u32 v26, v58, v32
	s_delay_alu instid0(VALU_DEP_2) | instskip(NEXT) | instid1(VALU_DEP_2)
	v_dual_lshlrev_b32 v22, 3, v22 :: v_dual_lshlrev_b32 v25, 3, v25
	v_dual_lshlrev_b32 v23, 3, v23 :: v_dual_lshlrev_b32 v24, 3, v24
	ds_store_b64 v22, v[18:19]
	v_lshlrev_b32_e32 v18, 3, v26
	ds_store_b64 v23, v[20:21]
	ds_store_b64 v24, v[14:15]
	;; [unrolled: 1-line block ×3, first 2 shown]
	v_sub_nc_u32_e32 v14, v38, v32
	v_dual_sub_nc_u32 v15, v50, v32 :: v_dual_sub_nc_u32 v16, v44, v32
	ds_store_b64 v18, v[10:11]
	v_dual_sub_nc_u32 v10, v40, v32 :: v_dual_sub_nc_u32 v11, v46, v32
	v_dual_lshlrev_b32 v14, 3, v14 :: v_dual_lshlrev_b32 v15, 3, v15
	s_delay_alu instid0(VALU_DEP_2)
	v_dual_lshlrev_b32 v10, 3, v10 :: v_dual_lshlrev_b32 v11, 3, v11
	ds_store_b64 v14, v[12:13]
	v_lshlrev_b32_e32 v12, 3, v16
	ds_store_b64 v10, v[6:7]
	ds_store_b64 v11, v[8:9]
	ds_store_b64 v15, v[2:3]
	ds_store_b64 v12, v[4:5]
	s_or_b32 exec_lo, exec_lo, s0
	s_delay_alu instid0(SALU_CYCLE_1)
	s_and_b32 exec_lo, exec_lo, s17
	s_cbranch_execnz .LBB511_110
	s_branch .LBB511_111
.LBB511_170:
	s_and_saveexec_b32 s17, s14
	s_cbranch_execnz .LBB511_230
; %bb.171:
	s_or_b32 exec_lo, exec_lo, s17
	s_and_saveexec_b32 s17, s13
	s_cbranch_execnz .LBB511_231
.LBB511_172:
	s_or_b32 exec_lo, exec_lo, s17
	s_and_saveexec_b32 s17, s12
	s_cbranch_execnz .LBB511_232
.LBB511_173:
	s_or_b32 exec_lo, exec_lo, s17
	s_and_saveexec_b32 s17, s11
	s_cbranch_execnz .LBB511_233
.LBB511_174:
	s_or_b32 exec_lo, exec_lo, s17
	s_and_saveexec_b32 s17, s10
	s_cbranch_execnz .LBB511_234
.LBB511_175:
	s_or_b32 exec_lo, exec_lo, s17
	s_and_saveexec_b32 s17, s9
	s_cbranch_execnz .LBB511_235
.LBB511_176:
	s_or_b32 exec_lo, exec_lo, s17
	s_and_saveexec_b32 s17, s8
	s_cbranch_execnz .LBB511_236
.LBB511_177:
	s_or_b32 exec_lo, exec_lo, s17
	s_and_saveexec_b32 s17, s7
	s_cbranch_execnz .LBB511_237
.LBB511_178:
	s_or_b32 exec_lo, exec_lo, s17
	s_and_saveexec_b32 s17, s6
	s_cbranch_execnz .LBB511_238
.LBB511_179:
	s_or_b32 exec_lo, exec_lo, s17
	s_and_saveexec_b32 s17, s5
	s_cbranch_execnz .LBB511_239
.LBB511_180:
	s_or_b32 exec_lo, exec_lo, s17
	s_and_saveexec_b32 s17, s4
	s_cbranch_execnz .LBB511_240
.LBB511_181:
	s_or_b32 exec_lo, exec_lo, s17
	s_and_saveexec_b32 s17, s3
	s_cbranch_execnz .LBB511_241
.LBB511_182:
	s_or_b32 exec_lo, exec_lo, s17
	s_and_saveexec_b32 s17, s2
	s_cbranch_execnz .LBB511_242
.LBB511_183:
	s_or_b32 exec_lo, exec_lo, s17
	s_and_saveexec_b32 s17, s1
	s_cbranch_execz .LBB511_185
.LBB511_184:
	v_dual_sub_nc_u32 v7, v44, v1 :: v_dual_mov_b32 v11, 0
	v_mov_b32_e32 v10, v45
	v_readfirstlane_b32 s18, v4
	v_readfirstlane_b32 s19, v5
	global_store_b64 v7, v[10:11], s[18:19] scale_offset
.LBB511_185:
	s_wait_xcnt 0x0
	s_or_b32 exec_lo, exec_lo, s17
	s_delay_alu instid0(SALU_CYCLE_1)
	s_and_b32 s17, s0, exec_lo
	s_and_not1_saveexec_b32 s15, s15
	s_cbranch_execz .LBB511_122
.LBB511_186:
	v_dual_mov_b32 v11, 0 :: v_dual_mov_b32 v10, v63
	v_sub_nc_u32_e32 v7, v62, v1
	v_readfirstlane_b32 s18, v4
	v_readfirstlane_b32 s19, v5
	v_sub_nc_u32_e32 v9, v64, v1
	s_or_b32 s17, s17, exec_lo
	global_store_b64 v7, v[10:11], s[18:19] scale_offset
	s_wait_xcnt 0x0
	v_dual_mov_b32 v10, v67 :: v_dual_sub_nc_u32 v7, v66, v1
	global_store_b64 v7, v[10:11], s[18:19] scale_offset
	s_wait_xcnt 0x0
	v_dual_mov_b32 v10, v65 :: v_dual_sub_nc_u32 v7, v60, v1
	;; [unrolled: 3-line block ×12, first 2 shown]
	global_store_b64 v9, v[10:11], s[18:19] scale_offset
	s_wait_xcnt 0x0
	v_mov_b32_e32 v10, v45
	global_store_b64 v7, v[10:11], s[18:19] scale_offset
	s_wait_xcnt 0x0
	s_or_b32 exec_lo, exec_lo, s15
	s_delay_alu instid0(SALU_CYCLE_1)
	s_and_b32 exec_lo, exec_lo, s17
	s_cbranch_execnz .LBB511_123
	s_branch .LBB511_124
.LBB511_187:
	s_and_saveexec_b32 s17, s14
	s_cbranch_execnz .LBB511_243
; %bb.188:
	s_or_b32 exec_lo, exec_lo, s17
	s_and_saveexec_b32 s14, s13
	s_cbranch_execnz .LBB511_244
.LBB511_189:
	s_or_b32 exec_lo, exec_lo, s14
	s_and_saveexec_b32 s13, s12
	s_cbranch_execnz .LBB511_245
.LBB511_190:
	s_or_b32 exec_lo, exec_lo, s13
	s_and_saveexec_b32 s12, s11
	s_cbranch_execnz .LBB511_246
.LBB511_191:
	s_or_b32 exec_lo, exec_lo, s12
	s_and_saveexec_b32 s11, s10
	s_cbranch_execnz .LBB511_247
.LBB511_192:
	s_or_b32 exec_lo, exec_lo, s11
	s_and_saveexec_b32 s10, s9
	s_cbranch_execnz .LBB511_248
.LBB511_193:
	s_or_b32 exec_lo, exec_lo, s10
	s_and_saveexec_b32 s9, s8
	s_cbranch_execnz .LBB511_249
.LBB511_194:
	s_or_b32 exec_lo, exec_lo, s9
	s_and_saveexec_b32 s8, s7
	s_cbranch_execnz .LBB511_250
.LBB511_195:
	s_or_b32 exec_lo, exec_lo, s8
	s_and_saveexec_b32 s7, s6
	s_cbranch_execnz .LBB511_251
.LBB511_196:
	s_or_b32 exec_lo, exec_lo, s7
	s_and_saveexec_b32 s6, s5
	s_cbranch_execnz .LBB511_252
.LBB511_197:
	s_or_b32 exec_lo, exec_lo, s6
	s_and_saveexec_b32 s5, s4
	s_cbranch_execnz .LBB511_253
.LBB511_198:
	s_or_b32 exec_lo, exec_lo, s5
	s_and_saveexec_b32 s4, s3
	s_cbranch_execnz .LBB511_254
.LBB511_199:
	s_or_b32 exec_lo, exec_lo, s4
	s_and_saveexec_b32 s3, s2
	s_cbranch_execnz .LBB511_255
.LBB511_200:
	s_or_b32 exec_lo, exec_lo, s3
	s_and_saveexec_b32 s2, s1
.LBB511_201:
	v_sub_nc_u32_e32 v6, v44, v1
	s_delay_alu instid0(VALU_DEP_1)
	v_lshlrev_b32_e32 v6, 2, v6
	ds_store_b32 v6, v45
.LBB511_202:
	s_or_b32 exec_lo, exec_lo, s2
	s_delay_alu instid0(SALU_CYCLE_1)
	s_and_b32 s17, s0, exec_lo
                                        ; implicit-def: $vgpr44_vgpr45
                                        ; implicit-def: $vgpr50_vgpr51
                                        ; implicit-def: $vgpr46_vgpr47
                                        ; implicit-def: $vgpr62_vgpr63
                                        ; implicit-def: $vgpr66_vgpr67
                                        ; implicit-def: $vgpr64_vgpr65
                                        ; implicit-def: $vgpr60_vgpr61
                                        ; implicit-def: $vgpr56_vgpr57
                                        ; implicit-def: $vgpr52_vgpr53
                                        ; implicit-def: $vgpr48_vgpr49
                                        ; implicit-def: $vgpr54_vgpr55
                                        ; implicit-def: $vgpr58_vgpr59
                                        ; implicit-def: $vgpr38_vgpr39
                                        ; implicit-def: $vgpr40_vgpr41
	s_and_not1_saveexec_b32 s0, s16
	s_cbranch_execz .LBB511_128
.LBB511_203:
	v_dual_sub_nc_u32 v6, v62, v1 :: v_dual_sub_nc_u32 v9, v64, v1
	v_dual_sub_nc_u32 v7, v66, v1 :: v_dual_sub_nc_u32 v10, v60, v1
	s_or_b32 s17, s17, exec_lo
	s_delay_alu instid0(VALU_DEP_2) | instskip(NEXT) | instid1(VALU_DEP_2)
	v_dual_lshlrev_b32 v6, 2, v6 :: v_dual_lshlrev_b32 v9, 2, v9
	v_dual_lshlrev_b32 v7, 2, v7 :: v_dual_lshlrev_b32 v10, 2, v10
	ds_store_b32 v6, v63
	ds_store_b32 v7, v67
	;; [unrolled: 1-line block ×3, first 2 shown]
	v_sub_nc_u32_e32 v6, v56, v1
	ds_store_b32 v10, v61
	v_dual_sub_nc_u32 v10, v54, v1 :: v_dual_sub_nc_u32 v7, v52, v1
	v_dual_sub_nc_u32 v9, v48, v1 :: v_dual_sub_nc_u32 v11, v58, v1
	v_lshlrev_b32_e32 v6, 2, v6
	s_delay_alu instid0(VALU_DEP_3) | instskip(NEXT) | instid1(VALU_DEP_3)
	v_dual_lshlrev_b32 v10, 2, v10 :: v_dual_lshlrev_b32 v7, 2, v7
	v_lshlrev_b32_e32 v9, 2, v9
	ds_store_b32 v6, v57
	v_lshlrev_b32_e32 v6, 2, v11
	ds_store_b32 v7, v53
	ds_store_b32 v9, v49
	ds_store_b32 v10, v55
	v_sub_nc_u32_e32 v7, v38, v1
	v_dual_sub_nc_u32 v10, v50, v1 :: v_dual_sub_nc_u32 v11, v44, v1
	ds_store_b32 v6, v59
	v_dual_sub_nc_u32 v6, v40, v1 :: v_dual_sub_nc_u32 v9, v46, v1
	v_dual_lshlrev_b32 v7, 2, v7 :: v_dual_lshlrev_b32 v10, 2, v10
	s_delay_alu instid0(VALU_DEP_2)
	v_dual_lshlrev_b32 v6, 2, v6 :: v_dual_lshlrev_b32 v9, 2, v9
	ds_store_b32 v7, v39
	v_lshlrev_b32_e32 v7, 2, v11
	ds_store_b32 v6, v41
	ds_store_b32 v9, v47
	;; [unrolled: 1-line block ×4, first 2 shown]
	s_or_b32 exec_lo, exec_lo, s0
	s_delay_alu instid0(SALU_CYCLE_1)
	s_and_b32 exec_lo, exec_lo, s17
	s_cbranch_execnz .LBB511_129
	s_branch .LBB511_130
.LBB511_204:
	v_sub_nc_u32_e32 v35, v62, v32
	v_readfirstlane_b32 s20, v74
	v_readfirstlane_b32 s21, v75
	global_store_b64 v35, v[26:27], s[20:21] scale_offset
	s_wait_xcnt 0x0
	s_or_b32 exec_lo, exec_lo, s17
	s_and_saveexec_b32 s17, s13
	s_cbranch_execz .LBB511_138
.LBB511_205:
	v_sub_nc_u32_e32 v35, v66, v32
	v_readfirstlane_b32 s20, v74
	v_readfirstlane_b32 s21, v75
	global_store_b64 v35, v[28:29], s[20:21] scale_offset
	s_wait_xcnt 0x0
	s_or_b32 exec_lo, exec_lo, s17
	s_and_saveexec_b32 s17, s12
	s_cbranch_execz .LBB511_139
.LBB511_206:
	v_sub_nc_u32_e32 v35, v64, v32
	v_readfirstlane_b32 s20, v74
	v_readfirstlane_b32 s21, v75
	global_store_b64 v35, v[22:23], s[20:21] scale_offset
	s_wait_xcnt 0x0
	s_or_b32 exec_lo, exec_lo, s17
	s_and_saveexec_b32 s17, s11
	s_cbranch_execz .LBB511_140
.LBB511_207:
	v_sub_nc_u32_e32 v35, v60, v32
	v_readfirstlane_b32 s20, v74
	v_readfirstlane_b32 s21, v75
	global_store_b64 v35, v[24:25], s[20:21] scale_offset
	s_wait_xcnt 0x0
	s_or_b32 exec_lo, exec_lo, s17
	s_and_saveexec_b32 s17, s10
	s_cbranch_execz .LBB511_141
.LBB511_208:
	v_sub_nc_u32_e32 v35, v56, v32
	v_readfirstlane_b32 s20, v74
	v_readfirstlane_b32 s21, v75
	global_store_b64 v35, v[18:19], s[20:21] scale_offset
	s_wait_xcnt 0x0
	s_or_b32 exec_lo, exec_lo, s17
	s_and_saveexec_b32 s17, s9
	s_cbranch_execz .LBB511_142
.LBB511_209:
	v_sub_nc_u32_e32 v35, v52, v32
	v_readfirstlane_b32 s20, v74
	v_readfirstlane_b32 s21, v75
	global_store_b64 v35, v[20:21], s[20:21] scale_offset
	s_wait_xcnt 0x0
	s_or_b32 exec_lo, exec_lo, s17
	s_and_saveexec_b32 s17, s8
	s_cbranch_execz .LBB511_143
.LBB511_210:
	v_sub_nc_u32_e32 v35, v48, v32
	v_readfirstlane_b32 s20, v74
	v_readfirstlane_b32 s21, v75
	global_store_b64 v35, v[14:15], s[20:21] scale_offset
	s_wait_xcnt 0x0
	s_or_b32 exec_lo, exec_lo, s17
	s_and_saveexec_b32 s17, s7
	s_cbranch_execz .LBB511_144
.LBB511_211:
	v_sub_nc_u32_e32 v35, v54, v32
	v_readfirstlane_b32 s20, v74
	v_readfirstlane_b32 s21, v75
	global_store_b64 v35, v[16:17], s[20:21] scale_offset
	s_wait_xcnt 0x0
	s_or_b32 exec_lo, exec_lo, s17
	s_and_saveexec_b32 s17, s6
	s_cbranch_execz .LBB511_145
.LBB511_212:
	v_sub_nc_u32_e32 v35, v58, v32
	v_readfirstlane_b32 s20, v74
	v_readfirstlane_b32 s21, v75
	global_store_b64 v35, v[10:11], s[20:21] scale_offset
	s_wait_xcnt 0x0
	s_or_b32 exec_lo, exec_lo, s17
	s_and_saveexec_b32 s17, s5
	s_cbranch_execz .LBB511_146
.LBB511_213:
	v_sub_nc_u32_e32 v35, v38, v32
	v_readfirstlane_b32 s20, v74
	v_readfirstlane_b32 s21, v75
	global_store_b64 v35, v[12:13], s[20:21] scale_offset
	s_wait_xcnt 0x0
	s_or_b32 exec_lo, exec_lo, s17
	s_and_saveexec_b32 s17, s4
	s_cbranch_execz .LBB511_147
.LBB511_214:
	v_sub_nc_u32_e32 v35, v40, v32
	v_readfirstlane_b32 s20, v74
	v_readfirstlane_b32 s21, v75
	global_store_b64 v35, v[6:7], s[20:21] scale_offset
	s_wait_xcnt 0x0
	s_or_b32 exec_lo, exec_lo, s17
	s_and_saveexec_b32 s17, s3
	s_cbranch_execz .LBB511_148
.LBB511_215:
	v_sub_nc_u32_e32 v35, v46, v32
	v_readfirstlane_b32 s20, v74
	v_readfirstlane_b32 s21, v75
	global_store_b64 v35, v[8:9], s[20:21] scale_offset
	s_wait_xcnt 0x0
	s_or_b32 exec_lo, exec_lo, s17
	s_and_saveexec_b32 s17, s2
	s_cbranch_execz .LBB511_149
.LBB511_216:
	v_sub_nc_u32_e32 v35, v50, v32
	v_readfirstlane_b32 s20, v74
	v_readfirstlane_b32 s21, v75
	global_store_b64 v35, v[2:3], s[20:21] scale_offset
	s_wait_xcnt 0x0
	s_or_b32 exec_lo, exec_lo, s17
	s_and_saveexec_b32 s17, s1
	s_cbranch_execnz .LBB511_150
	s_branch .LBB511_151
.LBB511_217:
	v_sub_nc_u32_e32 v31, v62, v32
	s_delay_alu instid0(VALU_DEP_1)
	v_lshlrev_b32_e32 v31, 3, v31
	ds_store_b64 v31, v[26:27]
	s_or_b32 exec_lo, exec_lo, s17
	s_and_saveexec_b32 s14, s13
	s_cbranch_execz .LBB511_155
.LBB511_218:
	v_sub_nc_u32_e32 v26, v66, v32
	s_delay_alu instid0(VALU_DEP_1)
	v_lshlrev_b32_e32 v26, 3, v26
	ds_store_b64 v26, v[28:29]
	s_or_b32 exec_lo, exec_lo, s14
	s_and_saveexec_b32 s13, s12
	s_cbranch_execz .LBB511_156
.LBB511_219:
	v_sub_nc_u32_e32 v26, v64, v32
	s_delay_alu instid0(VALU_DEP_1)
	v_lshlrev_b32_e32 v26, 3, v26
	ds_store_b64 v26, v[22:23]
	s_or_b32 exec_lo, exec_lo, s13
	s_and_saveexec_b32 s12, s11
	s_cbranch_execz .LBB511_157
.LBB511_220:
	v_sub_nc_u32_e32 v22, v60, v32
	s_delay_alu instid0(VALU_DEP_1)
	v_lshlrev_b32_e32 v22, 3, v22
	ds_store_b64 v22, v[24:25]
	s_or_b32 exec_lo, exec_lo, s12
	s_and_saveexec_b32 s11, s10
	s_cbranch_execz .LBB511_158
.LBB511_221:
	v_sub_nc_u32_e32 v22, v56, v32
	s_delay_alu instid0(VALU_DEP_1)
	v_lshlrev_b32_e32 v22, 3, v22
	ds_store_b64 v22, v[18:19]
	s_or_b32 exec_lo, exec_lo, s11
	s_and_saveexec_b32 s10, s9
	s_cbranch_execz .LBB511_159
.LBB511_222:
	v_sub_nc_u32_e32 v18, v52, v32
	s_delay_alu instid0(VALU_DEP_1)
	v_lshlrev_b32_e32 v18, 3, v18
	ds_store_b64 v18, v[20:21]
	s_or_b32 exec_lo, exec_lo, s10
	s_and_saveexec_b32 s9, s8
	s_cbranch_execz .LBB511_160
.LBB511_223:
	v_sub_nc_u32_e32 v18, v48, v32
	s_delay_alu instid0(VALU_DEP_1)
	v_lshlrev_b32_e32 v18, 3, v18
	ds_store_b64 v18, v[14:15]
	s_or_b32 exec_lo, exec_lo, s9
	s_and_saveexec_b32 s8, s7
	s_cbranch_execz .LBB511_161
.LBB511_224:
	v_sub_nc_u32_e32 v14, v54, v32
	s_delay_alu instid0(VALU_DEP_1)
	v_lshlrev_b32_e32 v14, 3, v14
	ds_store_b64 v14, v[16:17]
	s_or_b32 exec_lo, exec_lo, s8
	s_and_saveexec_b32 s7, s6
	s_cbranch_execz .LBB511_162
.LBB511_225:
	v_sub_nc_u32_e32 v14, v58, v32
	s_delay_alu instid0(VALU_DEP_1)
	v_lshlrev_b32_e32 v14, 3, v14
	ds_store_b64 v14, v[10:11]
	s_or_b32 exec_lo, exec_lo, s7
	s_and_saveexec_b32 s6, s5
	s_cbranch_execz .LBB511_163
.LBB511_226:
	v_sub_nc_u32_e32 v10, v38, v32
	s_delay_alu instid0(VALU_DEP_1)
	v_lshlrev_b32_e32 v10, 3, v10
	ds_store_b64 v10, v[12:13]
	s_or_b32 exec_lo, exec_lo, s6
	s_and_saveexec_b32 s5, s4
	s_cbranch_execz .LBB511_164
.LBB511_227:
	v_sub_nc_u32_e32 v10, v40, v32
	s_delay_alu instid0(VALU_DEP_1)
	v_lshlrev_b32_e32 v10, 3, v10
	ds_store_b64 v10, v[6:7]
	s_or_b32 exec_lo, exec_lo, s5
	s_and_saveexec_b32 s4, s3
	s_cbranch_execz .LBB511_165
.LBB511_228:
	v_sub_nc_u32_e32 v6, v46, v32
	s_delay_alu instid0(VALU_DEP_1)
	v_lshlrev_b32_e32 v6, 3, v6
	ds_store_b64 v6, v[8:9]
	s_or_b32 exec_lo, exec_lo, s4
	s_and_saveexec_b32 s3, s2
	s_cbranch_execz .LBB511_166
.LBB511_229:
	v_sub_nc_u32_e32 v6, v50, v32
	s_delay_alu instid0(VALU_DEP_1)
	v_lshlrev_b32_e32 v6, 3, v6
	ds_store_b64 v6, v[2:3]
	s_or_b32 exec_lo, exec_lo, s3
	s_and_saveexec_b32 s2, s1
	s_cbranch_execnz .LBB511_167
	s_branch .LBB511_168
.LBB511_230:
	v_dual_sub_nc_u32 v7, v62, v1 :: v_dual_mov_b32 v11, 0
	v_mov_b32_e32 v10, v63
	v_readfirstlane_b32 s18, v4
	v_readfirstlane_b32 s19, v5
	global_store_b64 v7, v[10:11], s[18:19] scale_offset
	s_wait_xcnt 0x0
	s_or_b32 exec_lo, exec_lo, s17
	s_and_saveexec_b32 s17, s13
	s_cbranch_execz .LBB511_172
.LBB511_231:
	v_dual_sub_nc_u32 v7, v66, v1 :: v_dual_mov_b32 v11, 0
	v_mov_b32_e32 v10, v67
	v_readfirstlane_b32 s18, v4
	v_readfirstlane_b32 s19, v5
	global_store_b64 v7, v[10:11], s[18:19] scale_offset
	s_wait_xcnt 0x0
	s_or_b32 exec_lo, exec_lo, s17
	s_and_saveexec_b32 s17, s12
	s_cbranch_execz .LBB511_173
.LBB511_232:
	v_dual_sub_nc_u32 v7, v64, v1 :: v_dual_mov_b32 v11, 0
	v_mov_b32_e32 v10, v65
	v_readfirstlane_b32 s18, v4
	v_readfirstlane_b32 s19, v5
	global_store_b64 v7, v[10:11], s[18:19] scale_offset
	s_wait_xcnt 0x0
	s_or_b32 exec_lo, exec_lo, s17
	s_and_saveexec_b32 s17, s11
	s_cbranch_execz .LBB511_174
.LBB511_233:
	v_dual_sub_nc_u32 v7, v60, v1 :: v_dual_mov_b32 v11, 0
	v_mov_b32_e32 v10, v61
	v_readfirstlane_b32 s18, v4
	v_readfirstlane_b32 s19, v5
	global_store_b64 v7, v[10:11], s[18:19] scale_offset
	s_wait_xcnt 0x0
	s_or_b32 exec_lo, exec_lo, s17
	s_and_saveexec_b32 s17, s10
	s_cbranch_execz .LBB511_175
.LBB511_234:
	v_dual_sub_nc_u32 v7, v56, v1 :: v_dual_mov_b32 v11, 0
	v_mov_b32_e32 v10, v57
	v_readfirstlane_b32 s18, v4
	v_readfirstlane_b32 s19, v5
	global_store_b64 v7, v[10:11], s[18:19] scale_offset
	s_wait_xcnt 0x0
	s_or_b32 exec_lo, exec_lo, s17
	s_and_saveexec_b32 s17, s9
	s_cbranch_execz .LBB511_176
.LBB511_235:
	v_dual_sub_nc_u32 v7, v52, v1 :: v_dual_mov_b32 v11, 0
	v_mov_b32_e32 v10, v53
	v_readfirstlane_b32 s18, v4
	v_readfirstlane_b32 s19, v5
	global_store_b64 v7, v[10:11], s[18:19] scale_offset
	s_wait_xcnt 0x0
	s_or_b32 exec_lo, exec_lo, s17
	s_and_saveexec_b32 s17, s8
	s_cbranch_execz .LBB511_177
.LBB511_236:
	v_dual_sub_nc_u32 v7, v48, v1 :: v_dual_mov_b32 v11, 0
	v_mov_b32_e32 v10, v49
	v_readfirstlane_b32 s18, v4
	v_readfirstlane_b32 s19, v5
	global_store_b64 v7, v[10:11], s[18:19] scale_offset
	s_wait_xcnt 0x0
	s_or_b32 exec_lo, exec_lo, s17
	s_and_saveexec_b32 s17, s7
	s_cbranch_execz .LBB511_178
.LBB511_237:
	v_dual_sub_nc_u32 v7, v54, v1 :: v_dual_mov_b32 v11, 0
	v_mov_b32_e32 v10, v55
	v_readfirstlane_b32 s18, v4
	v_readfirstlane_b32 s19, v5
	global_store_b64 v7, v[10:11], s[18:19] scale_offset
	s_wait_xcnt 0x0
	s_or_b32 exec_lo, exec_lo, s17
	s_and_saveexec_b32 s17, s6
	s_cbranch_execz .LBB511_179
.LBB511_238:
	v_dual_sub_nc_u32 v7, v58, v1 :: v_dual_mov_b32 v11, 0
	v_mov_b32_e32 v10, v59
	v_readfirstlane_b32 s18, v4
	v_readfirstlane_b32 s19, v5
	global_store_b64 v7, v[10:11], s[18:19] scale_offset
	s_wait_xcnt 0x0
	s_or_b32 exec_lo, exec_lo, s17
	s_and_saveexec_b32 s17, s5
	s_cbranch_execz .LBB511_180
.LBB511_239:
	v_dual_sub_nc_u32 v7, v38, v1 :: v_dual_mov_b32 v11, 0
	v_mov_b32_e32 v10, v39
	v_readfirstlane_b32 s18, v4
	v_readfirstlane_b32 s19, v5
	global_store_b64 v7, v[10:11], s[18:19] scale_offset
	s_wait_xcnt 0x0
	s_or_b32 exec_lo, exec_lo, s17
	s_and_saveexec_b32 s17, s4
	s_cbranch_execz .LBB511_181
.LBB511_240:
	v_dual_sub_nc_u32 v7, v40, v1 :: v_dual_mov_b32 v11, 0
	v_mov_b32_e32 v10, v41
	v_readfirstlane_b32 s18, v4
	v_readfirstlane_b32 s19, v5
	global_store_b64 v7, v[10:11], s[18:19] scale_offset
	s_wait_xcnt 0x0
	s_or_b32 exec_lo, exec_lo, s17
	s_and_saveexec_b32 s17, s3
	s_cbranch_execz .LBB511_182
.LBB511_241:
	v_dual_sub_nc_u32 v7, v46, v1 :: v_dual_mov_b32 v11, 0
	v_mov_b32_e32 v10, v47
	v_readfirstlane_b32 s18, v4
	v_readfirstlane_b32 s19, v5
	global_store_b64 v7, v[10:11], s[18:19] scale_offset
	s_wait_xcnt 0x0
	s_or_b32 exec_lo, exec_lo, s17
	s_and_saveexec_b32 s17, s2
	s_cbranch_execz .LBB511_183
.LBB511_242:
	v_dual_sub_nc_u32 v7, v50, v1 :: v_dual_mov_b32 v11, 0
	v_mov_b32_e32 v10, v51
	v_readfirstlane_b32 s18, v4
	v_readfirstlane_b32 s19, v5
	global_store_b64 v7, v[10:11], s[18:19] scale_offset
	s_wait_xcnt 0x0
	s_or_b32 exec_lo, exec_lo, s17
	s_and_saveexec_b32 s17, s1
	s_cbranch_execnz .LBB511_184
	s_branch .LBB511_185
.LBB511_243:
	v_sub_nc_u32_e32 v6, v62, v1
	s_delay_alu instid0(VALU_DEP_1)
	v_lshlrev_b32_e32 v6, 2, v6
	ds_store_b32 v6, v63
	s_or_b32 exec_lo, exec_lo, s17
	s_and_saveexec_b32 s14, s13
	s_cbranch_execz .LBB511_189
.LBB511_244:
	v_sub_nc_u32_e32 v6, v66, v1
	s_delay_alu instid0(VALU_DEP_1)
	v_lshlrev_b32_e32 v6, 2, v6
	ds_store_b32 v6, v67
	s_or_b32 exec_lo, exec_lo, s14
	s_and_saveexec_b32 s13, s12
	s_cbranch_execz .LBB511_190
.LBB511_245:
	v_sub_nc_u32_e32 v6, v64, v1
	s_delay_alu instid0(VALU_DEP_1)
	v_lshlrev_b32_e32 v6, 2, v6
	ds_store_b32 v6, v65
	s_or_b32 exec_lo, exec_lo, s13
	s_and_saveexec_b32 s12, s11
	s_cbranch_execz .LBB511_191
.LBB511_246:
	v_sub_nc_u32_e32 v6, v60, v1
	s_delay_alu instid0(VALU_DEP_1)
	v_lshlrev_b32_e32 v6, 2, v6
	ds_store_b32 v6, v61
	s_or_b32 exec_lo, exec_lo, s12
	s_and_saveexec_b32 s11, s10
	s_cbranch_execz .LBB511_192
.LBB511_247:
	v_sub_nc_u32_e32 v6, v56, v1
	s_delay_alu instid0(VALU_DEP_1)
	v_lshlrev_b32_e32 v6, 2, v6
	ds_store_b32 v6, v57
	s_or_b32 exec_lo, exec_lo, s11
	s_and_saveexec_b32 s10, s9
	s_cbranch_execz .LBB511_193
.LBB511_248:
	v_sub_nc_u32_e32 v6, v52, v1
	s_delay_alu instid0(VALU_DEP_1)
	v_lshlrev_b32_e32 v6, 2, v6
	ds_store_b32 v6, v53
	s_or_b32 exec_lo, exec_lo, s10
	s_and_saveexec_b32 s9, s8
	s_cbranch_execz .LBB511_194
.LBB511_249:
	v_sub_nc_u32_e32 v6, v48, v1
	s_delay_alu instid0(VALU_DEP_1)
	v_lshlrev_b32_e32 v6, 2, v6
	ds_store_b32 v6, v49
	s_or_b32 exec_lo, exec_lo, s9
	s_and_saveexec_b32 s8, s7
	s_cbranch_execz .LBB511_195
.LBB511_250:
	v_sub_nc_u32_e32 v6, v54, v1
	s_delay_alu instid0(VALU_DEP_1)
	v_lshlrev_b32_e32 v6, 2, v6
	ds_store_b32 v6, v55
	s_or_b32 exec_lo, exec_lo, s8
	s_and_saveexec_b32 s7, s6
	s_cbranch_execz .LBB511_196
.LBB511_251:
	v_sub_nc_u32_e32 v6, v58, v1
	s_delay_alu instid0(VALU_DEP_1)
	v_lshlrev_b32_e32 v6, 2, v6
	ds_store_b32 v6, v59
	s_or_b32 exec_lo, exec_lo, s7
	s_and_saveexec_b32 s6, s5
	s_cbranch_execz .LBB511_197
.LBB511_252:
	v_sub_nc_u32_e32 v6, v38, v1
	s_delay_alu instid0(VALU_DEP_1)
	v_lshlrev_b32_e32 v6, 2, v6
	ds_store_b32 v6, v39
	s_or_b32 exec_lo, exec_lo, s6
	s_and_saveexec_b32 s5, s4
	s_cbranch_execz .LBB511_198
.LBB511_253:
	v_sub_nc_u32_e32 v6, v40, v1
	s_delay_alu instid0(VALU_DEP_1)
	v_lshlrev_b32_e32 v6, 2, v6
	ds_store_b32 v6, v41
	s_or_b32 exec_lo, exec_lo, s5
	s_and_saveexec_b32 s4, s3
	s_cbranch_execz .LBB511_199
.LBB511_254:
	v_sub_nc_u32_e32 v6, v46, v1
	s_delay_alu instid0(VALU_DEP_1)
	v_lshlrev_b32_e32 v6, 2, v6
	ds_store_b32 v6, v47
	s_or_b32 exec_lo, exec_lo, s4
	s_and_saveexec_b32 s3, s2
	s_cbranch_execz .LBB511_200
.LBB511_255:
	v_sub_nc_u32_e32 v6, v50, v1
	s_delay_alu instid0(VALU_DEP_1)
	v_lshlrev_b32_e32 v6, 2, v6
	ds_store_b32 v6, v51
	s_or_b32 exec_lo, exec_lo, s3
	s_and_saveexec_b32 s2, s1
	s_cbranch_execnz .LBB511_201
	s_branch .LBB511_202
	.section	.rodata,"a",@progbits
	.p2align	6, 0x0
	.amdhsa_kernel _ZN7rocprim17ROCPRIM_400000_NS6detail17trampoline_kernelINS0_14default_configENS1_33run_length_encode_config_selectorIljNS0_4plusIjEEEEZZNS1_33reduce_by_key_impl_wrapped_configILNS1_25lookback_scan_determinismE0ES3_S7_PKlNS0_17constant_iteratorIjlEEPlSE_SE_S6_NS0_8equal_toIlEEEE10hipError_tPvRmT2_T3_mT4_T5_T6_T7_T8_P12ihipStream_tbENKUlT_T0_E_clISt17integral_constantIbLb0EESY_EEDaST_SU_EUlST_E_NS1_11comp_targetILNS1_3genE0ELNS1_11target_archE4294967295ELNS1_3gpuE0ELNS1_3repE0EEENS1_30default_config_static_selectorELNS0_4arch9wavefront6targetE0EEEvT1_
		.amdhsa_group_segment_fixed_size 30720
		.amdhsa_private_segment_fixed_size 0
		.amdhsa_kernarg_size 128
		.amdhsa_user_sgpr_count 2
		.amdhsa_user_sgpr_dispatch_ptr 0
		.amdhsa_user_sgpr_queue_ptr 0
		.amdhsa_user_sgpr_kernarg_segment_ptr 1
		.amdhsa_user_sgpr_dispatch_id 0
		.amdhsa_user_sgpr_kernarg_preload_length 0
		.amdhsa_user_sgpr_kernarg_preload_offset 0
		.amdhsa_user_sgpr_private_segment_size 0
		.amdhsa_wavefront_size32 1
		.amdhsa_uses_dynamic_stack 0
		.amdhsa_enable_private_segment 0
		.amdhsa_system_sgpr_workgroup_id_x 1
		.amdhsa_system_sgpr_workgroup_id_y 0
		.amdhsa_system_sgpr_workgroup_id_z 0
		.amdhsa_system_sgpr_workgroup_info 0
		.amdhsa_system_vgpr_workitem_id 0
		.amdhsa_next_free_vgpr 101
		.amdhsa_next_free_sgpr 40
		.amdhsa_named_barrier_count 0
		.amdhsa_reserve_vcc 1
		.amdhsa_float_round_mode_32 0
		.amdhsa_float_round_mode_16_64 0
		.amdhsa_float_denorm_mode_32 3
		.amdhsa_float_denorm_mode_16_64 3
		.amdhsa_fp16_overflow 0
		.amdhsa_memory_ordered 1
		.amdhsa_forward_progress 1
		.amdhsa_inst_pref_size 116
		.amdhsa_round_robin_scheduling 0
		.amdhsa_exception_fp_ieee_invalid_op 0
		.amdhsa_exception_fp_denorm_src 0
		.amdhsa_exception_fp_ieee_div_zero 0
		.amdhsa_exception_fp_ieee_overflow 0
		.amdhsa_exception_fp_ieee_underflow 0
		.amdhsa_exception_fp_ieee_inexact 0
		.amdhsa_exception_int_div_zero 0
	.end_amdhsa_kernel
	.section	.text._ZN7rocprim17ROCPRIM_400000_NS6detail17trampoline_kernelINS0_14default_configENS1_33run_length_encode_config_selectorIljNS0_4plusIjEEEEZZNS1_33reduce_by_key_impl_wrapped_configILNS1_25lookback_scan_determinismE0ES3_S7_PKlNS0_17constant_iteratorIjlEEPlSE_SE_S6_NS0_8equal_toIlEEEE10hipError_tPvRmT2_T3_mT4_T5_T6_T7_T8_P12ihipStream_tbENKUlT_T0_E_clISt17integral_constantIbLb0EESY_EEDaST_SU_EUlST_E_NS1_11comp_targetILNS1_3genE0ELNS1_11target_archE4294967295ELNS1_3gpuE0ELNS1_3repE0EEENS1_30default_config_static_selectorELNS0_4arch9wavefront6targetE0EEEvT1_,"axG",@progbits,_ZN7rocprim17ROCPRIM_400000_NS6detail17trampoline_kernelINS0_14default_configENS1_33run_length_encode_config_selectorIljNS0_4plusIjEEEEZZNS1_33reduce_by_key_impl_wrapped_configILNS1_25lookback_scan_determinismE0ES3_S7_PKlNS0_17constant_iteratorIjlEEPlSE_SE_S6_NS0_8equal_toIlEEEE10hipError_tPvRmT2_T3_mT4_T5_T6_T7_T8_P12ihipStream_tbENKUlT_T0_E_clISt17integral_constantIbLb0EESY_EEDaST_SU_EUlST_E_NS1_11comp_targetILNS1_3genE0ELNS1_11target_archE4294967295ELNS1_3gpuE0ELNS1_3repE0EEENS1_30default_config_static_selectorELNS0_4arch9wavefront6targetE0EEEvT1_,comdat
.Lfunc_end511:
	.size	_ZN7rocprim17ROCPRIM_400000_NS6detail17trampoline_kernelINS0_14default_configENS1_33run_length_encode_config_selectorIljNS0_4plusIjEEEEZZNS1_33reduce_by_key_impl_wrapped_configILNS1_25lookback_scan_determinismE0ES3_S7_PKlNS0_17constant_iteratorIjlEEPlSE_SE_S6_NS0_8equal_toIlEEEE10hipError_tPvRmT2_T3_mT4_T5_T6_T7_T8_P12ihipStream_tbENKUlT_T0_E_clISt17integral_constantIbLb0EESY_EEDaST_SU_EUlST_E_NS1_11comp_targetILNS1_3genE0ELNS1_11target_archE4294967295ELNS1_3gpuE0ELNS1_3repE0EEENS1_30default_config_static_selectorELNS0_4arch9wavefront6targetE0EEEvT1_, .Lfunc_end511-_ZN7rocprim17ROCPRIM_400000_NS6detail17trampoline_kernelINS0_14default_configENS1_33run_length_encode_config_selectorIljNS0_4plusIjEEEEZZNS1_33reduce_by_key_impl_wrapped_configILNS1_25lookback_scan_determinismE0ES3_S7_PKlNS0_17constant_iteratorIjlEEPlSE_SE_S6_NS0_8equal_toIlEEEE10hipError_tPvRmT2_T3_mT4_T5_T6_T7_T8_P12ihipStream_tbENKUlT_T0_E_clISt17integral_constantIbLb0EESY_EEDaST_SU_EUlST_E_NS1_11comp_targetILNS1_3genE0ELNS1_11target_archE4294967295ELNS1_3gpuE0ELNS1_3repE0EEENS1_30default_config_static_selectorELNS0_4arch9wavefront6targetE0EEEvT1_
                                        ; -- End function
	.set _ZN7rocprim17ROCPRIM_400000_NS6detail17trampoline_kernelINS0_14default_configENS1_33run_length_encode_config_selectorIljNS0_4plusIjEEEEZZNS1_33reduce_by_key_impl_wrapped_configILNS1_25lookback_scan_determinismE0ES3_S7_PKlNS0_17constant_iteratorIjlEEPlSE_SE_S6_NS0_8equal_toIlEEEE10hipError_tPvRmT2_T3_mT4_T5_T6_T7_T8_P12ihipStream_tbENKUlT_T0_E_clISt17integral_constantIbLb0EESY_EEDaST_SU_EUlST_E_NS1_11comp_targetILNS1_3genE0ELNS1_11target_archE4294967295ELNS1_3gpuE0ELNS1_3repE0EEENS1_30default_config_static_selectorELNS0_4arch9wavefront6targetE0EEEvT1_.num_vgpr, 101
	.set _ZN7rocprim17ROCPRIM_400000_NS6detail17trampoline_kernelINS0_14default_configENS1_33run_length_encode_config_selectorIljNS0_4plusIjEEEEZZNS1_33reduce_by_key_impl_wrapped_configILNS1_25lookback_scan_determinismE0ES3_S7_PKlNS0_17constant_iteratorIjlEEPlSE_SE_S6_NS0_8equal_toIlEEEE10hipError_tPvRmT2_T3_mT4_T5_T6_T7_T8_P12ihipStream_tbENKUlT_T0_E_clISt17integral_constantIbLb0EESY_EEDaST_SU_EUlST_E_NS1_11comp_targetILNS1_3genE0ELNS1_11target_archE4294967295ELNS1_3gpuE0ELNS1_3repE0EEENS1_30default_config_static_selectorELNS0_4arch9wavefront6targetE0EEEvT1_.num_agpr, 0
	.set _ZN7rocprim17ROCPRIM_400000_NS6detail17trampoline_kernelINS0_14default_configENS1_33run_length_encode_config_selectorIljNS0_4plusIjEEEEZZNS1_33reduce_by_key_impl_wrapped_configILNS1_25lookback_scan_determinismE0ES3_S7_PKlNS0_17constant_iteratorIjlEEPlSE_SE_S6_NS0_8equal_toIlEEEE10hipError_tPvRmT2_T3_mT4_T5_T6_T7_T8_P12ihipStream_tbENKUlT_T0_E_clISt17integral_constantIbLb0EESY_EEDaST_SU_EUlST_E_NS1_11comp_targetILNS1_3genE0ELNS1_11target_archE4294967295ELNS1_3gpuE0ELNS1_3repE0EEENS1_30default_config_static_selectorELNS0_4arch9wavefront6targetE0EEEvT1_.numbered_sgpr, 40
	.set _ZN7rocprim17ROCPRIM_400000_NS6detail17trampoline_kernelINS0_14default_configENS1_33run_length_encode_config_selectorIljNS0_4plusIjEEEEZZNS1_33reduce_by_key_impl_wrapped_configILNS1_25lookback_scan_determinismE0ES3_S7_PKlNS0_17constant_iteratorIjlEEPlSE_SE_S6_NS0_8equal_toIlEEEE10hipError_tPvRmT2_T3_mT4_T5_T6_T7_T8_P12ihipStream_tbENKUlT_T0_E_clISt17integral_constantIbLb0EESY_EEDaST_SU_EUlST_E_NS1_11comp_targetILNS1_3genE0ELNS1_11target_archE4294967295ELNS1_3gpuE0ELNS1_3repE0EEENS1_30default_config_static_selectorELNS0_4arch9wavefront6targetE0EEEvT1_.num_named_barrier, 0
	.set _ZN7rocprim17ROCPRIM_400000_NS6detail17trampoline_kernelINS0_14default_configENS1_33run_length_encode_config_selectorIljNS0_4plusIjEEEEZZNS1_33reduce_by_key_impl_wrapped_configILNS1_25lookback_scan_determinismE0ES3_S7_PKlNS0_17constant_iteratorIjlEEPlSE_SE_S6_NS0_8equal_toIlEEEE10hipError_tPvRmT2_T3_mT4_T5_T6_T7_T8_P12ihipStream_tbENKUlT_T0_E_clISt17integral_constantIbLb0EESY_EEDaST_SU_EUlST_E_NS1_11comp_targetILNS1_3genE0ELNS1_11target_archE4294967295ELNS1_3gpuE0ELNS1_3repE0EEENS1_30default_config_static_selectorELNS0_4arch9wavefront6targetE0EEEvT1_.private_seg_size, 0
	.set _ZN7rocprim17ROCPRIM_400000_NS6detail17trampoline_kernelINS0_14default_configENS1_33run_length_encode_config_selectorIljNS0_4plusIjEEEEZZNS1_33reduce_by_key_impl_wrapped_configILNS1_25lookback_scan_determinismE0ES3_S7_PKlNS0_17constant_iteratorIjlEEPlSE_SE_S6_NS0_8equal_toIlEEEE10hipError_tPvRmT2_T3_mT4_T5_T6_T7_T8_P12ihipStream_tbENKUlT_T0_E_clISt17integral_constantIbLb0EESY_EEDaST_SU_EUlST_E_NS1_11comp_targetILNS1_3genE0ELNS1_11target_archE4294967295ELNS1_3gpuE0ELNS1_3repE0EEENS1_30default_config_static_selectorELNS0_4arch9wavefront6targetE0EEEvT1_.uses_vcc, 1
	.set _ZN7rocprim17ROCPRIM_400000_NS6detail17trampoline_kernelINS0_14default_configENS1_33run_length_encode_config_selectorIljNS0_4plusIjEEEEZZNS1_33reduce_by_key_impl_wrapped_configILNS1_25lookback_scan_determinismE0ES3_S7_PKlNS0_17constant_iteratorIjlEEPlSE_SE_S6_NS0_8equal_toIlEEEE10hipError_tPvRmT2_T3_mT4_T5_T6_T7_T8_P12ihipStream_tbENKUlT_T0_E_clISt17integral_constantIbLb0EESY_EEDaST_SU_EUlST_E_NS1_11comp_targetILNS1_3genE0ELNS1_11target_archE4294967295ELNS1_3gpuE0ELNS1_3repE0EEENS1_30default_config_static_selectorELNS0_4arch9wavefront6targetE0EEEvT1_.uses_flat_scratch, 0
	.set _ZN7rocprim17ROCPRIM_400000_NS6detail17trampoline_kernelINS0_14default_configENS1_33run_length_encode_config_selectorIljNS0_4plusIjEEEEZZNS1_33reduce_by_key_impl_wrapped_configILNS1_25lookback_scan_determinismE0ES3_S7_PKlNS0_17constant_iteratorIjlEEPlSE_SE_S6_NS0_8equal_toIlEEEE10hipError_tPvRmT2_T3_mT4_T5_T6_T7_T8_P12ihipStream_tbENKUlT_T0_E_clISt17integral_constantIbLb0EESY_EEDaST_SU_EUlST_E_NS1_11comp_targetILNS1_3genE0ELNS1_11target_archE4294967295ELNS1_3gpuE0ELNS1_3repE0EEENS1_30default_config_static_selectorELNS0_4arch9wavefront6targetE0EEEvT1_.has_dyn_sized_stack, 0
	.set _ZN7rocprim17ROCPRIM_400000_NS6detail17trampoline_kernelINS0_14default_configENS1_33run_length_encode_config_selectorIljNS0_4plusIjEEEEZZNS1_33reduce_by_key_impl_wrapped_configILNS1_25lookback_scan_determinismE0ES3_S7_PKlNS0_17constant_iteratorIjlEEPlSE_SE_S6_NS0_8equal_toIlEEEE10hipError_tPvRmT2_T3_mT4_T5_T6_T7_T8_P12ihipStream_tbENKUlT_T0_E_clISt17integral_constantIbLb0EESY_EEDaST_SU_EUlST_E_NS1_11comp_targetILNS1_3genE0ELNS1_11target_archE4294967295ELNS1_3gpuE0ELNS1_3repE0EEENS1_30default_config_static_selectorELNS0_4arch9wavefront6targetE0EEEvT1_.has_recursion, 0
	.set _ZN7rocprim17ROCPRIM_400000_NS6detail17trampoline_kernelINS0_14default_configENS1_33run_length_encode_config_selectorIljNS0_4plusIjEEEEZZNS1_33reduce_by_key_impl_wrapped_configILNS1_25lookback_scan_determinismE0ES3_S7_PKlNS0_17constant_iteratorIjlEEPlSE_SE_S6_NS0_8equal_toIlEEEE10hipError_tPvRmT2_T3_mT4_T5_T6_T7_T8_P12ihipStream_tbENKUlT_T0_E_clISt17integral_constantIbLb0EESY_EEDaST_SU_EUlST_E_NS1_11comp_targetILNS1_3genE0ELNS1_11target_archE4294967295ELNS1_3gpuE0ELNS1_3repE0EEENS1_30default_config_static_selectorELNS0_4arch9wavefront6targetE0EEEvT1_.has_indirect_call, 0
	.section	.AMDGPU.csdata,"",@progbits
; Kernel info:
; codeLenInByte = 14820
; TotalNumSgprs: 42
; NumVgprs: 101
; ScratchSize: 0
; MemoryBound: 0
; FloatMode: 240
; IeeeMode: 1
; LDSByteSize: 30720 bytes/workgroup (compile time only)
; SGPRBlocks: 0
; VGPRBlocks: 6
; NumSGPRsForWavesPerEU: 42
; NumVGPRsForWavesPerEU: 101
; NamedBarCnt: 0
; Occupancy: 9
; WaveLimiterHint : 1
; COMPUTE_PGM_RSRC2:SCRATCH_EN: 0
; COMPUTE_PGM_RSRC2:USER_SGPR: 2
; COMPUTE_PGM_RSRC2:TRAP_HANDLER: 0
; COMPUTE_PGM_RSRC2:TGID_X_EN: 1
; COMPUTE_PGM_RSRC2:TGID_Y_EN: 0
; COMPUTE_PGM_RSRC2:TGID_Z_EN: 0
; COMPUTE_PGM_RSRC2:TIDIG_COMP_CNT: 0
	.section	.text._ZN7rocprim17ROCPRIM_400000_NS6detail17trampoline_kernelINS0_14default_configENS1_33run_length_encode_config_selectorIljNS0_4plusIjEEEEZZNS1_33reduce_by_key_impl_wrapped_configILNS1_25lookback_scan_determinismE0ES3_S7_PKlNS0_17constant_iteratorIjlEEPlSE_SE_S6_NS0_8equal_toIlEEEE10hipError_tPvRmT2_T3_mT4_T5_T6_T7_T8_P12ihipStream_tbENKUlT_T0_E_clISt17integral_constantIbLb0EESY_EEDaST_SU_EUlST_E_NS1_11comp_targetILNS1_3genE5ELNS1_11target_archE942ELNS1_3gpuE9ELNS1_3repE0EEENS1_30default_config_static_selectorELNS0_4arch9wavefront6targetE0EEEvT1_,"axG",@progbits,_ZN7rocprim17ROCPRIM_400000_NS6detail17trampoline_kernelINS0_14default_configENS1_33run_length_encode_config_selectorIljNS0_4plusIjEEEEZZNS1_33reduce_by_key_impl_wrapped_configILNS1_25lookback_scan_determinismE0ES3_S7_PKlNS0_17constant_iteratorIjlEEPlSE_SE_S6_NS0_8equal_toIlEEEE10hipError_tPvRmT2_T3_mT4_T5_T6_T7_T8_P12ihipStream_tbENKUlT_T0_E_clISt17integral_constantIbLb0EESY_EEDaST_SU_EUlST_E_NS1_11comp_targetILNS1_3genE5ELNS1_11target_archE942ELNS1_3gpuE9ELNS1_3repE0EEENS1_30default_config_static_selectorELNS0_4arch9wavefront6targetE0EEEvT1_,comdat
	.protected	_ZN7rocprim17ROCPRIM_400000_NS6detail17trampoline_kernelINS0_14default_configENS1_33run_length_encode_config_selectorIljNS0_4plusIjEEEEZZNS1_33reduce_by_key_impl_wrapped_configILNS1_25lookback_scan_determinismE0ES3_S7_PKlNS0_17constant_iteratorIjlEEPlSE_SE_S6_NS0_8equal_toIlEEEE10hipError_tPvRmT2_T3_mT4_T5_T6_T7_T8_P12ihipStream_tbENKUlT_T0_E_clISt17integral_constantIbLb0EESY_EEDaST_SU_EUlST_E_NS1_11comp_targetILNS1_3genE5ELNS1_11target_archE942ELNS1_3gpuE9ELNS1_3repE0EEENS1_30default_config_static_selectorELNS0_4arch9wavefront6targetE0EEEvT1_ ; -- Begin function _ZN7rocprim17ROCPRIM_400000_NS6detail17trampoline_kernelINS0_14default_configENS1_33run_length_encode_config_selectorIljNS0_4plusIjEEEEZZNS1_33reduce_by_key_impl_wrapped_configILNS1_25lookback_scan_determinismE0ES3_S7_PKlNS0_17constant_iteratorIjlEEPlSE_SE_S6_NS0_8equal_toIlEEEE10hipError_tPvRmT2_T3_mT4_T5_T6_T7_T8_P12ihipStream_tbENKUlT_T0_E_clISt17integral_constantIbLb0EESY_EEDaST_SU_EUlST_E_NS1_11comp_targetILNS1_3genE5ELNS1_11target_archE942ELNS1_3gpuE9ELNS1_3repE0EEENS1_30default_config_static_selectorELNS0_4arch9wavefront6targetE0EEEvT1_
	.globl	_ZN7rocprim17ROCPRIM_400000_NS6detail17trampoline_kernelINS0_14default_configENS1_33run_length_encode_config_selectorIljNS0_4plusIjEEEEZZNS1_33reduce_by_key_impl_wrapped_configILNS1_25lookback_scan_determinismE0ES3_S7_PKlNS0_17constant_iteratorIjlEEPlSE_SE_S6_NS0_8equal_toIlEEEE10hipError_tPvRmT2_T3_mT4_T5_T6_T7_T8_P12ihipStream_tbENKUlT_T0_E_clISt17integral_constantIbLb0EESY_EEDaST_SU_EUlST_E_NS1_11comp_targetILNS1_3genE5ELNS1_11target_archE942ELNS1_3gpuE9ELNS1_3repE0EEENS1_30default_config_static_selectorELNS0_4arch9wavefront6targetE0EEEvT1_
	.p2align	8
	.type	_ZN7rocprim17ROCPRIM_400000_NS6detail17trampoline_kernelINS0_14default_configENS1_33run_length_encode_config_selectorIljNS0_4plusIjEEEEZZNS1_33reduce_by_key_impl_wrapped_configILNS1_25lookback_scan_determinismE0ES3_S7_PKlNS0_17constant_iteratorIjlEEPlSE_SE_S6_NS0_8equal_toIlEEEE10hipError_tPvRmT2_T3_mT4_T5_T6_T7_T8_P12ihipStream_tbENKUlT_T0_E_clISt17integral_constantIbLb0EESY_EEDaST_SU_EUlST_E_NS1_11comp_targetILNS1_3genE5ELNS1_11target_archE942ELNS1_3gpuE9ELNS1_3repE0EEENS1_30default_config_static_selectorELNS0_4arch9wavefront6targetE0EEEvT1_,@function
_ZN7rocprim17ROCPRIM_400000_NS6detail17trampoline_kernelINS0_14default_configENS1_33run_length_encode_config_selectorIljNS0_4plusIjEEEEZZNS1_33reduce_by_key_impl_wrapped_configILNS1_25lookback_scan_determinismE0ES3_S7_PKlNS0_17constant_iteratorIjlEEPlSE_SE_S6_NS0_8equal_toIlEEEE10hipError_tPvRmT2_T3_mT4_T5_T6_T7_T8_P12ihipStream_tbENKUlT_T0_E_clISt17integral_constantIbLb0EESY_EEDaST_SU_EUlST_E_NS1_11comp_targetILNS1_3genE5ELNS1_11target_archE942ELNS1_3gpuE9ELNS1_3repE0EEENS1_30default_config_static_selectorELNS0_4arch9wavefront6targetE0EEEvT1_: ; @_ZN7rocprim17ROCPRIM_400000_NS6detail17trampoline_kernelINS0_14default_configENS1_33run_length_encode_config_selectorIljNS0_4plusIjEEEEZZNS1_33reduce_by_key_impl_wrapped_configILNS1_25lookback_scan_determinismE0ES3_S7_PKlNS0_17constant_iteratorIjlEEPlSE_SE_S6_NS0_8equal_toIlEEEE10hipError_tPvRmT2_T3_mT4_T5_T6_T7_T8_P12ihipStream_tbENKUlT_T0_E_clISt17integral_constantIbLb0EESY_EEDaST_SU_EUlST_E_NS1_11comp_targetILNS1_3genE5ELNS1_11target_archE942ELNS1_3gpuE9ELNS1_3repE0EEENS1_30default_config_static_selectorELNS0_4arch9wavefront6targetE0EEEvT1_
; %bb.0:
	.section	.rodata,"a",@progbits
	.p2align	6, 0x0
	.amdhsa_kernel _ZN7rocprim17ROCPRIM_400000_NS6detail17trampoline_kernelINS0_14default_configENS1_33run_length_encode_config_selectorIljNS0_4plusIjEEEEZZNS1_33reduce_by_key_impl_wrapped_configILNS1_25lookback_scan_determinismE0ES3_S7_PKlNS0_17constant_iteratorIjlEEPlSE_SE_S6_NS0_8equal_toIlEEEE10hipError_tPvRmT2_T3_mT4_T5_T6_T7_T8_P12ihipStream_tbENKUlT_T0_E_clISt17integral_constantIbLb0EESY_EEDaST_SU_EUlST_E_NS1_11comp_targetILNS1_3genE5ELNS1_11target_archE942ELNS1_3gpuE9ELNS1_3repE0EEENS1_30default_config_static_selectorELNS0_4arch9wavefront6targetE0EEEvT1_
		.amdhsa_group_segment_fixed_size 0
		.amdhsa_private_segment_fixed_size 0
		.amdhsa_kernarg_size 128
		.amdhsa_user_sgpr_count 2
		.amdhsa_user_sgpr_dispatch_ptr 0
		.amdhsa_user_sgpr_queue_ptr 0
		.amdhsa_user_sgpr_kernarg_segment_ptr 1
		.amdhsa_user_sgpr_dispatch_id 0
		.amdhsa_user_sgpr_kernarg_preload_length 0
		.amdhsa_user_sgpr_kernarg_preload_offset 0
		.amdhsa_user_sgpr_private_segment_size 0
		.amdhsa_wavefront_size32 1
		.amdhsa_uses_dynamic_stack 0
		.amdhsa_enable_private_segment 0
		.amdhsa_system_sgpr_workgroup_id_x 1
		.amdhsa_system_sgpr_workgroup_id_y 0
		.amdhsa_system_sgpr_workgroup_id_z 0
		.amdhsa_system_sgpr_workgroup_info 0
		.amdhsa_system_vgpr_workitem_id 0
		.amdhsa_next_free_vgpr 1
		.amdhsa_next_free_sgpr 1
		.amdhsa_named_barrier_count 0
		.amdhsa_reserve_vcc 0
		.amdhsa_float_round_mode_32 0
		.amdhsa_float_round_mode_16_64 0
		.amdhsa_float_denorm_mode_32 3
		.amdhsa_float_denorm_mode_16_64 3
		.amdhsa_fp16_overflow 0
		.amdhsa_memory_ordered 1
		.amdhsa_forward_progress 1
		.amdhsa_inst_pref_size 0
		.amdhsa_round_robin_scheduling 0
		.amdhsa_exception_fp_ieee_invalid_op 0
		.amdhsa_exception_fp_denorm_src 0
		.amdhsa_exception_fp_ieee_div_zero 0
		.amdhsa_exception_fp_ieee_overflow 0
		.amdhsa_exception_fp_ieee_underflow 0
		.amdhsa_exception_fp_ieee_inexact 0
		.amdhsa_exception_int_div_zero 0
	.end_amdhsa_kernel
	.section	.text._ZN7rocprim17ROCPRIM_400000_NS6detail17trampoline_kernelINS0_14default_configENS1_33run_length_encode_config_selectorIljNS0_4plusIjEEEEZZNS1_33reduce_by_key_impl_wrapped_configILNS1_25lookback_scan_determinismE0ES3_S7_PKlNS0_17constant_iteratorIjlEEPlSE_SE_S6_NS0_8equal_toIlEEEE10hipError_tPvRmT2_T3_mT4_T5_T6_T7_T8_P12ihipStream_tbENKUlT_T0_E_clISt17integral_constantIbLb0EESY_EEDaST_SU_EUlST_E_NS1_11comp_targetILNS1_3genE5ELNS1_11target_archE942ELNS1_3gpuE9ELNS1_3repE0EEENS1_30default_config_static_selectorELNS0_4arch9wavefront6targetE0EEEvT1_,"axG",@progbits,_ZN7rocprim17ROCPRIM_400000_NS6detail17trampoline_kernelINS0_14default_configENS1_33run_length_encode_config_selectorIljNS0_4plusIjEEEEZZNS1_33reduce_by_key_impl_wrapped_configILNS1_25lookback_scan_determinismE0ES3_S7_PKlNS0_17constant_iteratorIjlEEPlSE_SE_S6_NS0_8equal_toIlEEEE10hipError_tPvRmT2_T3_mT4_T5_T6_T7_T8_P12ihipStream_tbENKUlT_T0_E_clISt17integral_constantIbLb0EESY_EEDaST_SU_EUlST_E_NS1_11comp_targetILNS1_3genE5ELNS1_11target_archE942ELNS1_3gpuE9ELNS1_3repE0EEENS1_30default_config_static_selectorELNS0_4arch9wavefront6targetE0EEEvT1_,comdat
.Lfunc_end512:
	.size	_ZN7rocprim17ROCPRIM_400000_NS6detail17trampoline_kernelINS0_14default_configENS1_33run_length_encode_config_selectorIljNS0_4plusIjEEEEZZNS1_33reduce_by_key_impl_wrapped_configILNS1_25lookback_scan_determinismE0ES3_S7_PKlNS0_17constant_iteratorIjlEEPlSE_SE_S6_NS0_8equal_toIlEEEE10hipError_tPvRmT2_T3_mT4_T5_T6_T7_T8_P12ihipStream_tbENKUlT_T0_E_clISt17integral_constantIbLb0EESY_EEDaST_SU_EUlST_E_NS1_11comp_targetILNS1_3genE5ELNS1_11target_archE942ELNS1_3gpuE9ELNS1_3repE0EEENS1_30default_config_static_selectorELNS0_4arch9wavefront6targetE0EEEvT1_, .Lfunc_end512-_ZN7rocprim17ROCPRIM_400000_NS6detail17trampoline_kernelINS0_14default_configENS1_33run_length_encode_config_selectorIljNS0_4plusIjEEEEZZNS1_33reduce_by_key_impl_wrapped_configILNS1_25lookback_scan_determinismE0ES3_S7_PKlNS0_17constant_iteratorIjlEEPlSE_SE_S6_NS0_8equal_toIlEEEE10hipError_tPvRmT2_T3_mT4_T5_T6_T7_T8_P12ihipStream_tbENKUlT_T0_E_clISt17integral_constantIbLb0EESY_EEDaST_SU_EUlST_E_NS1_11comp_targetILNS1_3genE5ELNS1_11target_archE942ELNS1_3gpuE9ELNS1_3repE0EEENS1_30default_config_static_selectorELNS0_4arch9wavefront6targetE0EEEvT1_
                                        ; -- End function
	.set _ZN7rocprim17ROCPRIM_400000_NS6detail17trampoline_kernelINS0_14default_configENS1_33run_length_encode_config_selectorIljNS0_4plusIjEEEEZZNS1_33reduce_by_key_impl_wrapped_configILNS1_25lookback_scan_determinismE0ES3_S7_PKlNS0_17constant_iteratorIjlEEPlSE_SE_S6_NS0_8equal_toIlEEEE10hipError_tPvRmT2_T3_mT4_T5_T6_T7_T8_P12ihipStream_tbENKUlT_T0_E_clISt17integral_constantIbLb0EESY_EEDaST_SU_EUlST_E_NS1_11comp_targetILNS1_3genE5ELNS1_11target_archE942ELNS1_3gpuE9ELNS1_3repE0EEENS1_30default_config_static_selectorELNS0_4arch9wavefront6targetE0EEEvT1_.num_vgpr, 0
	.set _ZN7rocprim17ROCPRIM_400000_NS6detail17trampoline_kernelINS0_14default_configENS1_33run_length_encode_config_selectorIljNS0_4plusIjEEEEZZNS1_33reduce_by_key_impl_wrapped_configILNS1_25lookback_scan_determinismE0ES3_S7_PKlNS0_17constant_iteratorIjlEEPlSE_SE_S6_NS0_8equal_toIlEEEE10hipError_tPvRmT2_T3_mT4_T5_T6_T7_T8_P12ihipStream_tbENKUlT_T0_E_clISt17integral_constantIbLb0EESY_EEDaST_SU_EUlST_E_NS1_11comp_targetILNS1_3genE5ELNS1_11target_archE942ELNS1_3gpuE9ELNS1_3repE0EEENS1_30default_config_static_selectorELNS0_4arch9wavefront6targetE0EEEvT1_.num_agpr, 0
	.set _ZN7rocprim17ROCPRIM_400000_NS6detail17trampoline_kernelINS0_14default_configENS1_33run_length_encode_config_selectorIljNS0_4plusIjEEEEZZNS1_33reduce_by_key_impl_wrapped_configILNS1_25lookback_scan_determinismE0ES3_S7_PKlNS0_17constant_iteratorIjlEEPlSE_SE_S6_NS0_8equal_toIlEEEE10hipError_tPvRmT2_T3_mT4_T5_T6_T7_T8_P12ihipStream_tbENKUlT_T0_E_clISt17integral_constantIbLb0EESY_EEDaST_SU_EUlST_E_NS1_11comp_targetILNS1_3genE5ELNS1_11target_archE942ELNS1_3gpuE9ELNS1_3repE0EEENS1_30default_config_static_selectorELNS0_4arch9wavefront6targetE0EEEvT1_.numbered_sgpr, 0
	.set _ZN7rocprim17ROCPRIM_400000_NS6detail17trampoline_kernelINS0_14default_configENS1_33run_length_encode_config_selectorIljNS0_4plusIjEEEEZZNS1_33reduce_by_key_impl_wrapped_configILNS1_25lookback_scan_determinismE0ES3_S7_PKlNS0_17constant_iteratorIjlEEPlSE_SE_S6_NS0_8equal_toIlEEEE10hipError_tPvRmT2_T3_mT4_T5_T6_T7_T8_P12ihipStream_tbENKUlT_T0_E_clISt17integral_constantIbLb0EESY_EEDaST_SU_EUlST_E_NS1_11comp_targetILNS1_3genE5ELNS1_11target_archE942ELNS1_3gpuE9ELNS1_3repE0EEENS1_30default_config_static_selectorELNS0_4arch9wavefront6targetE0EEEvT1_.num_named_barrier, 0
	.set _ZN7rocprim17ROCPRIM_400000_NS6detail17trampoline_kernelINS0_14default_configENS1_33run_length_encode_config_selectorIljNS0_4plusIjEEEEZZNS1_33reduce_by_key_impl_wrapped_configILNS1_25lookback_scan_determinismE0ES3_S7_PKlNS0_17constant_iteratorIjlEEPlSE_SE_S6_NS0_8equal_toIlEEEE10hipError_tPvRmT2_T3_mT4_T5_T6_T7_T8_P12ihipStream_tbENKUlT_T0_E_clISt17integral_constantIbLb0EESY_EEDaST_SU_EUlST_E_NS1_11comp_targetILNS1_3genE5ELNS1_11target_archE942ELNS1_3gpuE9ELNS1_3repE0EEENS1_30default_config_static_selectorELNS0_4arch9wavefront6targetE0EEEvT1_.private_seg_size, 0
	.set _ZN7rocprim17ROCPRIM_400000_NS6detail17trampoline_kernelINS0_14default_configENS1_33run_length_encode_config_selectorIljNS0_4plusIjEEEEZZNS1_33reduce_by_key_impl_wrapped_configILNS1_25lookback_scan_determinismE0ES3_S7_PKlNS0_17constant_iteratorIjlEEPlSE_SE_S6_NS0_8equal_toIlEEEE10hipError_tPvRmT2_T3_mT4_T5_T6_T7_T8_P12ihipStream_tbENKUlT_T0_E_clISt17integral_constantIbLb0EESY_EEDaST_SU_EUlST_E_NS1_11comp_targetILNS1_3genE5ELNS1_11target_archE942ELNS1_3gpuE9ELNS1_3repE0EEENS1_30default_config_static_selectorELNS0_4arch9wavefront6targetE0EEEvT1_.uses_vcc, 0
	.set _ZN7rocprim17ROCPRIM_400000_NS6detail17trampoline_kernelINS0_14default_configENS1_33run_length_encode_config_selectorIljNS0_4plusIjEEEEZZNS1_33reduce_by_key_impl_wrapped_configILNS1_25lookback_scan_determinismE0ES3_S7_PKlNS0_17constant_iteratorIjlEEPlSE_SE_S6_NS0_8equal_toIlEEEE10hipError_tPvRmT2_T3_mT4_T5_T6_T7_T8_P12ihipStream_tbENKUlT_T0_E_clISt17integral_constantIbLb0EESY_EEDaST_SU_EUlST_E_NS1_11comp_targetILNS1_3genE5ELNS1_11target_archE942ELNS1_3gpuE9ELNS1_3repE0EEENS1_30default_config_static_selectorELNS0_4arch9wavefront6targetE0EEEvT1_.uses_flat_scratch, 0
	.set _ZN7rocprim17ROCPRIM_400000_NS6detail17trampoline_kernelINS0_14default_configENS1_33run_length_encode_config_selectorIljNS0_4plusIjEEEEZZNS1_33reduce_by_key_impl_wrapped_configILNS1_25lookback_scan_determinismE0ES3_S7_PKlNS0_17constant_iteratorIjlEEPlSE_SE_S6_NS0_8equal_toIlEEEE10hipError_tPvRmT2_T3_mT4_T5_T6_T7_T8_P12ihipStream_tbENKUlT_T0_E_clISt17integral_constantIbLb0EESY_EEDaST_SU_EUlST_E_NS1_11comp_targetILNS1_3genE5ELNS1_11target_archE942ELNS1_3gpuE9ELNS1_3repE0EEENS1_30default_config_static_selectorELNS0_4arch9wavefront6targetE0EEEvT1_.has_dyn_sized_stack, 0
	.set _ZN7rocprim17ROCPRIM_400000_NS6detail17trampoline_kernelINS0_14default_configENS1_33run_length_encode_config_selectorIljNS0_4plusIjEEEEZZNS1_33reduce_by_key_impl_wrapped_configILNS1_25lookback_scan_determinismE0ES3_S7_PKlNS0_17constant_iteratorIjlEEPlSE_SE_S6_NS0_8equal_toIlEEEE10hipError_tPvRmT2_T3_mT4_T5_T6_T7_T8_P12ihipStream_tbENKUlT_T0_E_clISt17integral_constantIbLb0EESY_EEDaST_SU_EUlST_E_NS1_11comp_targetILNS1_3genE5ELNS1_11target_archE942ELNS1_3gpuE9ELNS1_3repE0EEENS1_30default_config_static_selectorELNS0_4arch9wavefront6targetE0EEEvT1_.has_recursion, 0
	.set _ZN7rocprim17ROCPRIM_400000_NS6detail17trampoline_kernelINS0_14default_configENS1_33run_length_encode_config_selectorIljNS0_4plusIjEEEEZZNS1_33reduce_by_key_impl_wrapped_configILNS1_25lookback_scan_determinismE0ES3_S7_PKlNS0_17constant_iteratorIjlEEPlSE_SE_S6_NS0_8equal_toIlEEEE10hipError_tPvRmT2_T3_mT4_T5_T6_T7_T8_P12ihipStream_tbENKUlT_T0_E_clISt17integral_constantIbLb0EESY_EEDaST_SU_EUlST_E_NS1_11comp_targetILNS1_3genE5ELNS1_11target_archE942ELNS1_3gpuE9ELNS1_3repE0EEENS1_30default_config_static_selectorELNS0_4arch9wavefront6targetE0EEEvT1_.has_indirect_call, 0
	.section	.AMDGPU.csdata,"",@progbits
; Kernel info:
; codeLenInByte = 0
; TotalNumSgprs: 0
; NumVgprs: 0
; ScratchSize: 0
; MemoryBound: 0
; FloatMode: 240
; IeeeMode: 1
; LDSByteSize: 0 bytes/workgroup (compile time only)
; SGPRBlocks: 0
; VGPRBlocks: 0
; NumSGPRsForWavesPerEU: 1
; NumVGPRsForWavesPerEU: 1
; NamedBarCnt: 0
; Occupancy: 16
; WaveLimiterHint : 0
; COMPUTE_PGM_RSRC2:SCRATCH_EN: 0
; COMPUTE_PGM_RSRC2:USER_SGPR: 2
; COMPUTE_PGM_RSRC2:TRAP_HANDLER: 0
; COMPUTE_PGM_RSRC2:TGID_X_EN: 1
; COMPUTE_PGM_RSRC2:TGID_Y_EN: 0
; COMPUTE_PGM_RSRC2:TGID_Z_EN: 0
; COMPUTE_PGM_RSRC2:TIDIG_COMP_CNT: 0
	.section	.text._ZN7rocprim17ROCPRIM_400000_NS6detail17trampoline_kernelINS0_14default_configENS1_33run_length_encode_config_selectorIljNS0_4plusIjEEEEZZNS1_33reduce_by_key_impl_wrapped_configILNS1_25lookback_scan_determinismE0ES3_S7_PKlNS0_17constant_iteratorIjlEEPlSE_SE_S6_NS0_8equal_toIlEEEE10hipError_tPvRmT2_T3_mT4_T5_T6_T7_T8_P12ihipStream_tbENKUlT_T0_E_clISt17integral_constantIbLb0EESY_EEDaST_SU_EUlST_E_NS1_11comp_targetILNS1_3genE4ELNS1_11target_archE910ELNS1_3gpuE8ELNS1_3repE0EEENS1_30default_config_static_selectorELNS0_4arch9wavefront6targetE0EEEvT1_,"axG",@progbits,_ZN7rocprim17ROCPRIM_400000_NS6detail17trampoline_kernelINS0_14default_configENS1_33run_length_encode_config_selectorIljNS0_4plusIjEEEEZZNS1_33reduce_by_key_impl_wrapped_configILNS1_25lookback_scan_determinismE0ES3_S7_PKlNS0_17constant_iteratorIjlEEPlSE_SE_S6_NS0_8equal_toIlEEEE10hipError_tPvRmT2_T3_mT4_T5_T6_T7_T8_P12ihipStream_tbENKUlT_T0_E_clISt17integral_constantIbLb0EESY_EEDaST_SU_EUlST_E_NS1_11comp_targetILNS1_3genE4ELNS1_11target_archE910ELNS1_3gpuE8ELNS1_3repE0EEENS1_30default_config_static_selectorELNS0_4arch9wavefront6targetE0EEEvT1_,comdat
	.protected	_ZN7rocprim17ROCPRIM_400000_NS6detail17trampoline_kernelINS0_14default_configENS1_33run_length_encode_config_selectorIljNS0_4plusIjEEEEZZNS1_33reduce_by_key_impl_wrapped_configILNS1_25lookback_scan_determinismE0ES3_S7_PKlNS0_17constant_iteratorIjlEEPlSE_SE_S6_NS0_8equal_toIlEEEE10hipError_tPvRmT2_T3_mT4_T5_T6_T7_T8_P12ihipStream_tbENKUlT_T0_E_clISt17integral_constantIbLb0EESY_EEDaST_SU_EUlST_E_NS1_11comp_targetILNS1_3genE4ELNS1_11target_archE910ELNS1_3gpuE8ELNS1_3repE0EEENS1_30default_config_static_selectorELNS0_4arch9wavefront6targetE0EEEvT1_ ; -- Begin function _ZN7rocprim17ROCPRIM_400000_NS6detail17trampoline_kernelINS0_14default_configENS1_33run_length_encode_config_selectorIljNS0_4plusIjEEEEZZNS1_33reduce_by_key_impl_wrapped_configILNS1_25lookback_scan_determinismE0ES3_S7_PKlNS0_17constant_iteratorIjlEEPlSE_SE_S6_NS0_8equal_toIlEEEE10hipError_tPvRmT2_T3_mT4_T5_T6_T7_T8_P12ihipStream_tbENKUlT_T0_E_clISt17integral_constantIbLb0EESY_EEDaST_SU_EUlST_E_NS1_11comp_targetILNS1_3genE4ELNS1_11target_archE910ELNS1_3gpuE8ELNS1_3repE0EEENS1_30default_config_static_selectorELNS0_4arch9wavefront6targetE0EEEvT1_
	.globl	_ZN7rocprim17ROCPRIM_400000_NS6detail17trampoline_kernelINS0_14default_configENS1_33run_length_encode_config_selectorIljNS0_4plusIjEEEEZZNS1_33reduce_by_key_impl_wrapped_configILNS1_25lookback_scan_determinismE0ES3_S7_PKlNS0_17constant_iteratorIjlEEPlSE_SE_S6_NS0_8equal_toIlEEEE10hipError_tPvRmT2_T3_mT4_T5_T6_T7_T8_P12ihipStream_tbENKUlT_T0_E_clISt17integral_constantIbLb0EESY_EEDaST_SU_EUlST_E_NS1_11comp_targetILNS1_3genE4ELNS1_11target_archE910ELNS1_3gpuE8ELNS1_3repE0EEENS1_30default_config_static_selectorELNS0_4arch9wavefront6targetE0EEEvT1_
	.p2align	8
	.type	_ZN7rocprim17ROCPRIM_400000_NS6detail17trampoline_kernelINS0_14default_configENS1_33run_length_encode_config_selectorIljNS0_4plusIjEEEEZZNS1_33reduce_by_key_impl_wrapped_configILNS1_25lookback_scan_determinismE0ES3_S7_PKlNS0_17constant_iteratorIjlEEPlSE_SE_S6_NS0_8equal_toIlEEEE10hipError_tPvRmT2_T3_mT4_T5_T6_T7_T8_P12ihipStream_tbENKUlT_T0_E_clISt17integral_constantIbLb0EESY_EEDaST_SU_EUlST_E_NS1_11comp_targetILNS1_3genE4ELNS1_11target_archE910ELNS1_3gpuE8ELNS1_3repE0EEENS1_30default_config_static_selectorELNS0_4arch9wavefront6targetE0EEEvT1_,@function
_ZN7rocprim17ROCPRIM_400000_NS6detail17trampoline_kernelINS0_14default_configENS1_33run_length_encode_config_selectorIljNS0_4plusIjEEEEZZNS1_33reduce_by_key_impl_wrapped_configILNS1_25lookback_scan_determinismE0ES3_S7_PKlNS0_17constant_iteratorIjlEEPlSE_SE_S6_NS0_8equal_toIlEEEE10hipError_tPvRmT2_T3_mT4_T5_T6_T7_T8_P12ihipStream_tbENKUlT_T0_E_clISt17integral_constantIbLb0EESY_EEDaST_SU_EUlST_E_NS1_11comp_targetILNS1_3genE4ELNS1_11target_archE910ELNS1_3gpuE8ELNS1_3repE0EEENS1_30default_config_static_selectorELNS0_4arch9wavefront6targetE0EEEvT1_: ; @_ZN7rocprim17ROCPRIM_400000_NS6detail17trampoline_kernelINS0_14default_configENS1_33run_length_encode_config_selectorIljNS0_4plusIjEEEEZZNS1_33reduce_by_key_impl_wrapped_configILNS1_25lookback_scan_determinismE0ES3_S7_PKlNS0_17constant_iteratorIjlEEPlSE_SE_S6_NS0_8equal_toIlEEEE10hipError_tPvRmT2_T3_mT4_T5_T6_T7_T8_P12ihipStream_tbENKUlT_T0_E_clISt17integral_constantIbLb0EESY_EEDaST_SU_EUlST_E_NS1_11comp_targetILNS1_3genE4ELNS1_11target_archE910ELNS1_3gpuE8ELNS1_3repE0EEENS1_30default_config_static_selectorELNS0_4arch9wavefront6targetE0EEEvT1_
; %bb.0:
	.section	.rodata,"a",@progbits
	.p2align	6, 0x0
	.amdhsa_kernel _ZN7rocprim17ROCPRIM_400000_NS6detail17trampoline_kernelINS0_14default_configENS1_33run_length_encode_config_selectorIljNS0_4plusIjEEEEZZNS1_33reduce_by_key_impl_wrapped_configILNS1_25lookback_scan_determinismE0ES3_S7_PKlNS0_17constant_iteratorIjlEEPlSE_SE_S6_NS0_8equal_toIlEEEE10hipError_tPvRmT2_T3_mT4_T5_T6_T7_T8_P12ihipStream_tbENKUlT_T0_E_clISt17integral_constantIbLb0EESY_EEDaST_SU_EUlST_E_NS1_11comp_targetILNS1_3genE4ELNS1_11target_archE910ELNS1_3gpuE8ELNS1_3repE0EEENS1_30default_config_static_selectorELNS0_4arch9wavefront6targetE0EEEvT1_
		.amdhsa_group_segment_fixed_size 0
		.amdhsa_private_segment_fixed_size 0
		.amdhsa_kernarg_size 128
		.amdhsa_user_sgpr_count 2
		.amdhsa_user_sgpr_dispatch_ptr 0
		.amdhsa_user_sgpr_queue_ptr 0
		.amdhsa_user_sgpr_kernarg_segment_ptr 1
		.amdhsa_user_sgpr_dispatch_id 0
		.amdhsa_user_sgpr_kernarg_preload_length 0
		.amdhsa_user_sgpr_kernarg_preload_offset 0
		.amdhsa_user_sgpr_private_segment_size 0
		.amdhsa_wavefront_size32 1
		.amdhsa_uses_dynamic_stack 0
		.amdhsa_enable_private_segment 0
		.amdhsa_system_sgpr_workgroup_id_x 1
		.amdhsa_system_sgpr_workgroup_id_y 0
		.amdhsa_system_sgpr_workgroup_id_z 0
		.amdhsa_system_sgpr_workgroup_info 0
		.amdhsa_system_vgpr_workitem_id 0
		.amdhsa_next_free_vgpr 1
		.amdhsa_next_free_sgpr 1
		.amdhsa_named_barrier_count 0
		.amdhsa_reserve_vcc 0
		.amdhsa_float_round_mode_32 0
		.amdhsa_float_round_mode_16_64 0
		.amdhsa_float_denorm_mode_32 3
		.amdhsa_float_denorm_mode_16_64 3
		.amdhsa_fp16_overflow 0
		.amdhsa_memory_ordered 1
		.amdhsa_forward_progress 1
		.amdhsa_inst_pref_size 0
		.amdhsa_round_robin_scheduling 0
		.amdhsa_exception_fp_ieee_invalid_op 0
		.amdhsa_exception_fp_denorm_src 0
		.amdhsa_exception_fp_ieee_div_zero 0
		.amdhsa_exception_fp_ieee_overflow 0
		.amdhsa_exception_fp_ieee_underflow 0
		.amdhsa_exception_fp_ieee_inexact 0
		.amdhsa_exception_int_div_zero 0
	.end_amdhsa_kernel
	.section	.text._ZN7rocprim17ROCPRIM_400000_NS6detail17trampoline_kernelINS0_14default_configENS1_33run_length_encode_config_selectorIljNS0_4plusIjEEEEZZNS1_33reduce_by_key_impl_wrapped_configILNS1_25lookback_scan_determinismE0ES3_S7_PKlNS0_17constant_iteratorIjlEEPlSE_SE_S6_NS0_8equal_toIlEEEE10hipError_tPvRmT2_T3_mT4_T5_T6_T7_T8_P12ihipStream_tbENKUlT_T0_E_clISt17integral_constantIbLb0EESY_EEDaST_SU_EUlST_E_NS1_11comp_targetILNS1_3genE4ELNS1_11target_archE910ELNS1_3gpuE8ELNS1_3repE0EEENS1_30default_config_static_selectorELNS0_4arch9wavefront6targetE0EEEvT1_,"axG",@progbits,_ZN7rocprim17ROCPRIM_400000_NS6detail17trampoline_kernelINS0_14default_configENS1_33run_length_encode_config_selectorIljNS0_4plusIjEEEEZZNS1_33reduce_by_key_impl_wrapped_configILNS1_25lookback_scan_determinismE0ES3_S7_PKlNS0_17constant_iteratorIjlEEPlSE_SE_S6_NS0_8equal_toIlEEEE10hipError_tPvRmT2_T3_mT4_T5_T6_T7_T8_P12ihipStream_tbENKUlT_T0_E_clISt17integral_constantIbLb0EESY_EEDaST_SU_EUlST_E_NS1_11comp_targetILNS1_3genE4ELNS1_11target_archE910ELNS1_3gpuE8ELNS1_3repE0EEENS1_30default_config_static_selectorELNS0_4arch9wavefront6targetE0EEEvT1_,comdat
.Lfunc_end513:
	.size	_ZN7rocprim17ROCPRIM_400000_NS6detail17trampoline_kernelINS0_14default_configENS1_33run_length_encode_config_selectorIljNS0_4plusIjEEEEZZNS1_33reduce_by_key_impl_wrapped_configILNS1_25lookback_scan_determinismE0ES3_S7_PKlNS0_17constant_iteratorIjlEEPlSE_SE_S6_NS0_8equal_toIlEEEE10hipError_tPvRmT2_T3_mT4_T5_T6_T7_T8_P12ihipStream_tbENKUlT_T0_E_clISt17integral_constantIbLb0EESY_EEDaST_SU_EUlST_E_NS1_11comp_targetILNS1_3genE4ELNS1_11target_archE910ELNS1_3gpuE8ELNS1_3repE0EEENS1_30default_config_static_selectorELNS0_4arch9wavefront6targetE0EEEvT1_, .Lfunc_end513-_ZN7rocprim17ROCPRIM_400000_NS6detail17trampoline_kernelINS0_14default_configENS1_33run_length_encode_config_selectorIljNS0_4plusIjEEEEZZNS1_33reduce_by_key_impl_wrapped_configILNS1_25lookback_scan_determinismE0ES3_S7_PKlNS0_17constant_iteratorIjlEEPlSE_SE_S6_NS0_8equal_toIlEEEE10hipError_tPvRmT2_T3_mT4_T5_T6_T7_T8_P12ihipStream_tbENKUlT_T0_E_clISt17integral_constantIbLb0EESY_EEDaST_SU_EUlST_E_NS1_11comp_targetILNS1_3genE4ELNS1_11target_archE910ELNS1_3gpuE8ELNS1_3repE0EEENS1_30default_config_static_selectorELNS0_4arch9wavefront6targetE0EEEvT1_
                                        ; -- End function
	.set _ZN7rocprim17ROCPRIM_400000_NS6detail17trampoline_kernelINS0_14default_configENS1_33run_length_encode_config_selectorIljNS0_4plusIjEEEEZZNS1_33reduce_by_key_impl_wrapped_configILNS1_25lookback_scan_determinismE0ES3_S7_PKlNS0_17constant_iteratorIjlEEPlSE_SE_S6_NS0_8equal_toIlEEEE10hipError_tPvRmT2_T3_mT4_T5_T6_T7_T8_P12ihipStream_tbENKUlT_T0_E_clISt17integral_constantIbLb0EESY_EEDaST_SU_EUlST_E_NS1_11comp_targetILNS1_3genE4ELNS1_11target_archE910ELNS1_3gpuE8ELNS1_3repE0EEENS1_30default_config_static_selectorELNS0_4arch9wavefront6targetE0EEEvT1_.num_vgpr, 0
	.set _ZN7rocprim17ROCPRIM_400000_NS6detail17trampoline_kernelINS0_14default_configENS1_33run_length_encode_config_selectorIljNS0_4plusIjEEEEZZNS1_33reduce_by_key_impl_wrapped_configILNS1_25lookback_scan_determinismE0ES3_S7_PKlNS0_17constant_iteratorIjlEEPlSE_SE_S6_NS0_8equal_toIlEEEE10hipError_tPvRmT2_T3_mT4_T5_T6_T7_T8_P12ihipStream_tbENKUlT_T0_E_clISt17integral_constantIbLb0EESY_EEDaST_SU_EUlST_E_NS1_11comp_targetILNS1_3genE4ELNS1_11target_archE910ELNS1_3gpuE8ELNS1_3repE0EEENS1_30default_config_static_selectorELNS0_4arch9wavefront6targetE0EEEvT1_.num_agpr, 0
	.set _ZN7rocprim17ROCPRIM_400000_NS6detail17trampoline_kernelINS0_14default_configENS1_33run_length_encode_config_selectorIljNS0_4plusIjEEEEZZNS1_33reduce_by_key_impl_wrapped_configILNS1_25lookback_scan_determinismE0ES3_S7_PKlNS0_17constant_iteratorIjlEEPlSE_SE_S6_NS0_8equal_toIlEEEE10hipError_tPvRmT2_T3_mT4_T5_T6_T7_T8_P12ihipStream_tbENKUlT_T0_E_clISt17integral_constantIbLb0EESY_EEDaST_SU_EUlST_E_NS1_11comp_targetILNS1_3genE4ELNS1_11target_archE910ELNS1_3gpuE8ELNS1_3repE0EEENS1_30default_config_static_selectorELNS0_4arch9wavefront6targetE0EEEvT1_.numbered_sgpr, 0
	.set _ZN7rocprim17ROCPRIM_400000_NS6detail17trampoline_kernelINS0_14default_configENS1_33run_length_encode_config_selectorIljNS0_4plusIjEEEEZZNS1_33reduce_by_key_impl_wrapped_configILNS1_25lookback_scan_determinismE0ES3_S7_PKlNS0_17constant_iteratorIjlEEPlSE_SE_S6_NS0_8equal_toIlEEEE10hipError_tPvRmT2_T3_mT4_T5_T6_T7_T8_P12ihipStream_tbENKUlT_T0_E_clISt17integral_constantIbLb0EESY_EEDaST_SU_EUlST_E_NS1_11comp_targetILNS1_3genE4ELNS1_11target_archE910ELNS1_3gpuE8ELNS1_3repE0EEENS1_30default_config_static_selectorELNS0_4arch9wavefront6targetE0EEEvT1_.num_named_barrier, 0
	.set _ZN7rocprim17ROCPRIM_400000_NS6detail17trampoline_kernelINS0_14default_configENS1_33run_length_encode_config_selectorIljNS0_4plusIjEEEEZZNS1_33reduce_by_key_impl_wrapped_configILNS1_25lookback_scan_determinismE0ES3_S7_PKlNS0_17constant_iteratorIjlEEPlSE_SE_S6_NS0_8equal_toIlEEEE10hipError_tPvRmT2_T3_mT4_T5_T6_T7_T8_P12ihipStream_tbENKUlT_T0_E_clISt17integral_constantIbLb0EESY_EEDaST_SU_EUlST_E_NS1_11comp_targetILNS1_3genE4ELNS1_11target_archE910ELNS1_3gpuE8ELNS1_3repE0EEENS1_30default_config_static_selectorELNS0_4arch9wavefront6targetE0EEEvT1_.private_seg_size, 0
	.set _ZN7rocprim17ROCPRIM_400000_NS6detail17trampoline_kernelINS0_14default_configENS1_33run_length_encode_config_selectorIljNS0_4plusIjEEEEZZNS1_33reduce_by_key_impl_wrapped_configILNS1_25lookback_scan_determinismE0ES3_S7_PKlNS0_17constant_iteratorIjlEEPlSE_SE_S6_NS0_8equal_toIlEEEE10hipError_tPvRmT2_T3_mT4_T5_T6_T7_T8_P12ihipStream_tbENKUlT_T0_E_clISt17integral_constantIbLb0EESY_EEDaST_SU_EUlST_E_NS1_11comp_targetILNS1_3genE4ELNS1_11target_archE910ELNS1_3gpuE8ELNS1_3repE0EEENS1_30default_config_static_selectorELNS0_4arch9wavefront6targetE0EEEvT1_.uses_vcc, 0
	.set _ZN7rocprim17ROCPRIM_400000_NS6detail17trampoline_kernelINS0_14default_configENS1_33run_length_encode_config_selectorIljNS0_4plusIjEEEEZZNS1_33reduce_by_key_impl_wrapped_configILNS1_25lookback_scan_determinismE0ES3_S7_PKlNS0_17constant_iteratorIjlEEPlSE_SE_S6_NS0_8equal_toIlEEEE10hipError_tPvRmT2_T3_mT4_T5_T6_T7_T8_P12ihipStream_tbENKUlT_T0_E_clISt17integral_constantIbLb0EESY_EEDaST_SU_EUlST_E_NS1_11comp_targetILNS1_3genE4ELNS1_11target_archE910ELNS1_3gpuE8ELNS1_3repE0EEENS1_30default_config_static_selectorELNS0_4arch9wavefront6targetE0EEEvT1_.uses_flat_scratch, 0
	.set _ZN7rocprim17ROCPRIM_400000_NS6detail17trampoline_kernelINS0_14default_configENS1_33run_length_encode_config_selectorIljNS0_4plusIjEEEEZZNS1_33reduce_by_key_impl_wrapped_configILNS1_25lookback_scan_determinismE0ES3_S7_PKlNS0_17constant_iteratorIjlEEPlSE_SE_S6_NS0_8equal_toIlEEEE10hipError_tPvRmT2_T3_mT4_T5_T6_T7_T8_P12ihipStream_tbENKUlT_T0_E_clISt17integral_constantIbLb0EESY_EEDaST_SU_EUlST_E_NS1_11comp_targetILNS1_3genE4ELNS1_11target_archE910ELNS1_3gpuE8ELNS1_3repE0EEENS1_30default_config_static_selectorELNS0_4arch9wavefront6targetE0EEEvT1_.has_dyn_sized_stack, 0
	.set _ZN7rocprim17ROCPRIM_400000_NS6detail17trampoline_kernelINS0_14default_configENS1_33run_length_encode_config_selectorIljNS0_4plusIjEEEEZZNS1_33reduce_by_key_impl_wrapped_configILNS1_25lookback_scan_determinismE0ES3_S7_PKlNS0_17constant_iteratorIjlEEPlSE_SE_S6_NS0_8equal_toIlEEEE10hipError_tPvRmT2_T3_mT4_T5_T6_T7_T8_P12ihipStream_tbENKUlT_T0_E_clISt17integral_constantIbLb0EESY_EEDaST_SU_EUlST_E_NS1_11comp_targetILNS1_3genE4ELNS1_11target_archE910ELNS1_3gpuE8ELNS1_3repE0EEENS1_30default_config_static_selectorELNS0_4arch9wavefront6targetE0EEEvT1_.has_recursion, 0
	.set _ZN7rocprim17ROCPRIM_400000_NS6detail17trampoline_kernelINS0_14default_configENS1_33run_length_encode_config_selectorIljNS0_4plusIjEEEEZZNS1_33reduce_by_key_impl_wrapped_configILNS1_25lookback_scan_determinismE0ES3_S7_PKlNS0_17constant_iteratorIjlEEPlSE_SE_S6_NS0_8equal_toIlEEEE10hipError_tPvRmT2_T3_mT4_T5_T6_T7_T8_P12ihipStream_tbENKUlT_T0_E_clISt17integral_constantIbLb0EESY_EEDaST_SU_EUlST_E_NS1_11comp_targetILNS1_3genE4ELNS1_11target_archE910ELNS1_3gpuE8ELNS1_3repE0EEENS1_30default_config_static_selectorELNS0_4arch9wavefront6targetE0EEEvT1_.has_indirect_call, 0
	.section	.AMDGPU.csdata,"",@progbits
; Kernel info:
; codeLenInByte = 0
; TotalNumSgprs: 0
; NumVgprs: 0
; ScratchSize: 0
; MemoryBound: 0
; FloatMode: 240
; IeeeMode: 1
; LDSByteSize: 0 bytes/workgroup (compile time only)
; SGPRBlocks: 0
; VGPRBlocks: 0
; NumSGPRsForWavesPerEU: 1
; NumVGPRsForWavesPerEU: 1
; NamedBarCnt: 0
; Occupancy: 16
; WaveLimiterHint : 0
; COMPUTE_PGM_RSRC2:SCRATCH_EN: 0
; COMPUTE_PGM_RSRC2:USER_SGPR: 2
; COMPUTE_PGM_RSRC2:TRAP_HANDLER: 0
; COMPUTE_PGM_RSRC2:TGID_X_EN: 1
; COMPUTE_PGM_RSRC2:TGID_Y_EN: 0
; COMPUTE_PGM_RSRC2:TGID_Z_EN: 0
; COMPUTE_PGM_RSRC2:TIDIG_COMP_CNT: 0
	.section	.text._ZN7rocprim17ROCPRIM_400000_NS6detail17trampoline_kernelINS0_14default_configENS1_33run_length_encode_config_selectorIljNS0_4plusIjEEEEZZNS1_33reduce_by_key_impl_wrapped_configILNS1_25lookback_scan_determinismE0ES3_S7_PKlNS0_17constant_iteratorIjlEEPlSE_SE_S6_NS0_8equal_toIlEEEE10hipError_tPvRmT2_T3_mT4_T5_T6_T7_T8_P12ihipStream_tbENKUlT_T0_E_clISt17integral_constantIbLb0EESY_EEDaST_SU_EUlST_E_NS1_11comp_targetILNS1_3genE3ELNS1_11target_archE908ELNS1_3gpuE7ELNS1_3repE0EEENS1_30default_config_static_selectorELNS0_4arch9wavefront6targetE0EEEvT1_,"axG",@progbits,_ZN7rocprim17ROCPRIM_400000_NS6detail17trampoline_kernelINS0_14default_configENS1_33run_length_encode_config_selectorIljNS0_4plusIjEEEEZZNS1_33reduce_by_key_impl_wrapped_configILNS1_25lookback_scan_determinismE0ES3_S7_PKlNS0_17constant_iteratorIjlEEPlSE_SE_S6_NS0_8equal_toIlEEEE10hipError_tPvRmT2_T3_mT4_T5_T6_T7_T8_P12ihipStream_tbENKUlT_T0_E_clISt17integral_constantIbLb0EESY_EEDaST_SU_EUlST_E_NS1_11comp_targetILNS1_3genE3ELNS1_11target_archE908ELNS1_3gpuE7ELNS1_3repE0EEENS1_30default_config_static_selectorELNS0_4arch9wavefront6targetE0EEEvT1_,comdat
	.protected	_ZN7rocprim17ROCPRIM_400000_NS6detail17trampoline_kernelINS0_14default_configENS1_33run_length_encode_config_selectorIljNS0_4plusIjEEEEZZNS1_33reduce_by_key_impl_wrapped_configILNS1_25lookback_scan_determinismE0ES3_S7_PKlNS0_17constant_iteratorIjlEEPlSE_SE_S6_NS0_8equal_toIlEEEE10hipError_tPvRmT2_T3_mT4_T5_T6_T7_T8_P12ihipStream_tbENKUlT_T0_E_clISt17integral_constantIbLb0EESY_EEDaST_SU_EUlST_E_NS1_11comp_targetILNS1_3genE3ELNS1_11target_archE908ELNS1_3gpuE7ELNS1_3repE0EEENS1_30default_config_static_selectorELNS0_4arch9wavefront6targetE0EEEvT1_ ; -- Begin function _ZN7rocprim17ROCPRIM_400000_NS6detail17trampoline_kernelINS0_14default_configENS1_33run_length_encode_config_selectorIljNS0_4plusIjEEEEZZNS1_33reduce_by_key_impl_wrapped_configILNS1_25lookback_scan_determinismE0ES3_S7_PKlNS0_17constant_iteratorIjlEEPlSE_SE_S6_NS0_8equal_toIlEEEE10hipError_tPvRmT2_T3_mT4_T5_T6_T7_T8_P12ihipStream_tbENKUlT_T0_E_clISt17integral_constantIbLb0EESY_EEDaST_SU_EUlST_E_NS1_11comp_targetILNS1_3genE3ELNS1_11target_archE908ELNS1_3gpuE7ELNS1_3repE0EEENS1_30default_config_static_selectorELNS0_4arch9wavefront6targetE0EEEvT1_
	.globl	_ZN7rocprim17ROCPRIM_400000_NS6detail17trampoline_kernelINS0_14default_configENS1_33run_length_encode_config_selectorIljNS0_4plusIjEEEEZZNS1_33reduce_by_key_impl_wrapped_configILNS1_25lookback_scan_determinismE0ES3_S7_PKlNS0_17constant_iteratorIjlEEPlSE_SE_S6_NS0_8equal_toIlEEEE10hipError_tPvRmT2_T3_mT4_T5_T6_T7_T8_P12ihipStream_tbENKUlT_T0_E_clISt17integral_constantIbLb0EESY_EEDaST_SU_EUlST_E_NS1_11comp_targetILNS1_3genE3ELNS1_11target_archE908ELNS1_3gpuE7ELNS1_3repE0EEENS1_30default_config_static_selectorELNS0_4arch9wavefront6targetE0EEEvT1_
	.p2align	8
	.type	_ZN7rocprim17ROCPRIM_400000_NS6detail17trampoline_kernelINS0_14default_configENS1_33run_length_encode_config_selectorIljNS0_4plusIjEEEEZZNS1_33reduce_by_key_impl_wrapped_configILNS1_25lookback_scan_determinismE0ES3_S7_PKlNS0_17constant_iteratorIjlEEPlSE_SE_S6_NS0_8equal_toIlEEEE10hipError_tPvRmT2_T3_mT4_T5_T6_T7_T8_P12ihipStream_tbENKUlT_T0_E_clISt17integral_constantIbLb0EESY_EEDaST_SU_EUlST_E_NS1_11comp_targetILNS1_3genE3ELNS1_11target_archE908ELNS1_3gpuE7ELNS1_3repE0EEENS1_30default_config_static_selectorELNS0_4arch9wavefront6targetE0EEEvT1_,@function
_ZN7rocprim17ROCPRIM_400000_NS6detail17trampoline_kernelINS0_14default_configENS1_33run_length_encode_config_selectorIljNS0_4plusIjEEEEZZNS1_33reduce_by_key_impl_wrapped_configILNS1_25lookback_scan_determinismE0ES3_S7_PKlNS0_17constant_iteratorIjlEEPlSE_SE_S6_NS0_8equal_toIlEEEE10hipError_tPvRmT2_T3_mT4_T5_T6_T7_T8_P12ihipStream_tbENKUlT_T0_E_clISt17integral_constantIbLb0EESY_EEDaST_SU_EUlST_E_NS1_11comp_targetILNS1_3genE3ELNS1_11target_archE908ELNS1_3gpuE7ELNS1_3repE0EEENS1_30default_config_static_selectorELNS0_4arch9wavefront6targetE0EEEvT1_: ; @_ZN7rocprim17ROCPRIM_400000_NS6detail17trampoline_kernelINS0_14default_configENS1_33run_length_encode_config_selectorIljNS0_4plusIjEEEEZZNS1_33reduce_by_key_impl_wrapped_configILNS1_25lookback_scan_determinismE0ES3_S7_PKlNS0_17constant_iteratorIjlEEPlSE_SE_S6_NS0_8equal_toIlEEEE10hipError_tPvRmT2_T3_mT4_T5_T6_T7_T8_P12ihipStream_tbENKUlT_T0_E_clISt17integral_constantIbLb0EESY_EEDaST_SU_EUlST_E_NS1_11comp_targetILNS1_3genE3ELNS1_11target_archE908ELNS1_3gpuE7ELNS1_3repE0EEENS1_30default_config_static_selectorELNS0_4arch9wavefront6targetE0EEEvT1_
; %bb.0:
	.section	.rodata,"a",@progbits
	.p2align	6, 0x0
	.amdhsa_kernel _ZN7rocprim17ROCPRIM_400000_NS6detail17trampoline_kernelINS0_14default_configENS1_33run_length_encode_config_selectorIljNS0_4plusIjEEEEZZNS1_33reduce_by_key_impl_wrapped_configILNS1_25lookback_scan_determinismE0ES3_S7_PKlNS0_17constant_iteratorIjlEEPlSE_SE_S6_NS0_8equal_toIlEEEE10hipError_tPvRmT2_T3_mT4_T5_T6_T7_T8_P12ihipStream_tbENKUlT_T0_E_clISt17integral_constantIbLb0EESY_EEDaST_SU_EUlST_E_NS1_11comp_targetILNS1_3genE3ELNS1_11target_archE908ELNS1_3gpuE7ELNS1_3repE0EEENS1_30default_config_static_selectorELNS0_4arch9wavefront6targetE0EEEvT1_
		.amdhsa_group_segment_fixed_size 0
		.amdhsa_private_segment_fixed_size 0
		.amdhsa_kernarg_size 128
		.amdhsa_user_sgpr_count 2
		.amdhsa_user_sgpr_dispatch_ptr 0
		.amdhsa_user_sgpr_queue_ptr 0
		.amdhsa_user_sgpr_kernarg_segment_ptr 1
		.amdhsa_user_sgpr_dispatch_id 0
		.amdhsa_user_sgpr_kernarg_preload_length 0
		.amdhsa_user_sgpr_kernarg_preload_offset 0
		.amdhsa_user_sgpr_private_segment_size 0
		.amdhsa_wavefront_size32 1
		.amdhsa_uses_dynamic_stack 0
		.amdhsa_enable_private_segment 0
		.amdhsa_system_sgpr_workgroup_id_x 1
		.amdhsa_system_sgpr_workgroup_id_y 0
		.amdhsa_system_sgpr_workgroup_id_z 0
		.amdhsa_system_sgpr_workgroup_info 0
		.amdhsa_system_vgpr_workitem_id 0
		.amdhsa_next_free_vgpr 1
		.amdhsa_next_free_sgpr 1
		.amdhsa_named_barrier_count 0
		.amdhsa_reserve_vcc 0
		.amdhsa_float_round_mode_32 0
		.amdhsa_float_round_mode_16_64 0
		.amdhsa_float_denorm_mode_32 3
		.amdhsa_float_denorm_mode_16_64 3
		.amdhsa_fp16_overflow 0
		.amdhsa_memory_ordered 1
		.amdhsa_forward_progress 1
		.amdhsa_inst_pref_size 0
		.amdhsa_round_robin_scheduling 0
		.amdhsa_exception_fp_ieee_invalid_op 0
		.amdhsa_exception_fp_denorm_src 0
		.amdhsa_exception_fp_ieee_div_zero 0
		.amdhsa_exception_fp_ieee_overflow 0
		.amdhsa_exception_fp_ieee_underflow 0
		.amdhsa_exception_fp_ieee_inexact 0
		.amdhsa_exception_int_div_zero 0
	.end_amdhsa_kernel
	.section	.text._ZN7rocprim17ROCPRIM_400000_NS6detail17trampoline_kernelINS0_14default_configENS1_33run_length_encode_config_selectorIljNS0_4plusIjEEEEZZNS1_33reduce_by_key_impl_wrapped_configILNS1_25lookback_scan_determinismE0ES3_S7_PKlNS0_17constant_iteratorIjlEEPlSE_SE_S6_NS0_8equal_toIlEEEE10hipError_tPvRmT2_T3_mT4_T5_T6_T7_T8_P12ihipStream_tbENKUlT_T0_E_clISt17integral_constantIbLb0EESY_EEDaST_SU_EUlST_E_NS1_11comp_targetILNS1_3genE3ELNS1_11target_archE908ELNS1_3gpuE7ELNS1_3repE0EEENS1_30default_config_static_selectorELNS0_4arch9wavefront6targetE0EEEvT1_,"axG",@progbits,_ZN7rocprim17ROCPRIM_400000_NS6detail17trampoline_kernelINS0_14default_configENS1_33run_length_encode_config_selectorIljNS0_4plusIjEEEEZZNS1_33reduce_by_key_impl_wrapped_configILNS1_25lookback_scan_determinismE0ES3_S7_PKlNS0_17constant_iteratorIjlEEPlSE_SE_S6_NS0_8equal_toIlEEEE10hipError_tPvRmT2_T3_mT4_T5_T6_T7_T8_P12ihipStream_tbENKUlT_T0_E_clISt17integral_constantIbLb0EESY_EEDaST_SU_EUlST_E_NS1_11comp_targetILNS1_3genE3ELNS1_11target_archE908ELNS1_3gpuE7ELNS1_3repE0EEENS1_30default_config_static_selectorELNS0_4arch9wavefront6targetE0EEEvT1_,comdat
.Lfunc_end514:
	.size	_ZN7rocprim17ROCPRIM_400000_NS6detail17trampoline_kernelINS0_14default_configENS1_33run_length_encode_config_selectorIljNS0_4plusIjEEEEZZNS1_33reduce_by_key_impl_wrapped_configILNS1_25lookback_scan_determinismE0ES3_S7_PKlNS0_17constant_iteratorIjlEEPlSE_SE_S6_NS0_8equal_toIlEEEE10hipError_tPvRmT2_T3_mT4_T5_T6_T7_T8_P12ihipStream_tbENKUlT_T0_E_clISt17integral_constantIbLb0EESY_EEDaST_SU_EUlST_E_NS1_11comp_targetILNS1_3genE3ELNS1_11target_archE908ELNS1_3gpuE7ELNS1_3repE0EEENS1_30default_config_static_selectorELNS0_4arch9wavefront6targetE0EEEvT1_, .Lfunc_end514-_ZN7rocprim17ROCPRIM_400000_NS6detail17trampoline_kernelINS0_14default_configENS1_33run_length_encode_config_selectorIljNS0_4plusIjEEEEZZNS1_33reduce_by_key_impl_wrapped_configILNS1_25lookback_scan_determinismE0ES3_S7_PKlNS0_17constant_iteratorIjlEEPlSE_SE_S6_NS0_8equal_toIlEEEE10hipError_tPvRmT2_T3_mT4_T5_T6_T7_T8_P12ihipStream_tbENKUlT_T0_E_clISt17integral_constantIbLb0EESY_EEDaST_SU_EUlST_E_NS1_11comp_targetILNS1_3genE3ELNS1_11target_archE908ELNS1_3gpuE7ELNS1_3repE0EEENS1_30default_config_static_selectorELNS0_4arch9wavefront6targetE0EEEvT1_
                                        ; -- End function
	.set _ZN7rocprim17ROCPRIM_400000_NS6detail17trampoline_kernelINS0_14default_configENS1_33run_length_encode_config_selectorIljNS0_4plusIjEEEEZZNS1_33reduce_by_key_impl_wrapped_configILNS1_25lookback_scan_determinismE0ES3_S7_PKlNS0_17constant_iteratorIjlEEPlSE_SE_S6_NS0_8equal_toIlEEEE10hipError_tPvRmT2_T3_mT4_T5_T6_T7_T8_P12ihipStream_tbENKUlT_T0_E_clISt17integral_constantIbLb0EESY_EEDaST_SU_EUlST_E_NS1_11comp_targetILNS1_3genE3ELNS1_11target_archE908ELNS1_3gpuE7ELNS1_3repE0EEENS1_30default_config_static_selectorELNS0_4arch9wavefront6targetE0EEEvT1_.num_vgpr, 0
	.set _ZN7rocprim17ROCPRIM_400000_NS6detail17trampoline_kernelINS0_14default_configENS1_33run_length_encode_config_selectorIljNS0_4plusIjEEEEZZNS1_33reduce_by_key_impl_wrapped_configILNS1_25lookback_scan_determinismE0ES3_S7_PKlNS0_17constant_iteratorIjlEEPlSE_SE_S6_NS0_8equal_toIlEEEE10hipError_tPvRmT2_T3_mT4_T5_T6_T7_T8_P12ihipStream_tbENKUlT_T0_E_clISt17integral_constantIbLb0EESY_EEDaST_SU_EUlST_E_NS1_11comp_targetILNS1_3genE3ELNS1_11target_archE908ELNS1_3gpuE7ELNS1_3repE0EEENS1_30default_config_static_selectorELNS0_4arch9wavefront6targetE0EEEvT1_.num_agpr, 0
	.set _ZN7rocprim17ROCPRIM_400000_NS6detail17trampoline_kernelINS0_14default_configENS1_33run_length_encode_config_selectorIljNS0_4plusIjEEEEZZNS1_33reduce_by_key_impl_wrapped_configILNS1_25lookback_scan_determinismE0ES3_S7_PKlNS0_17constant_iteratorIjlEEPlSE_SE_S6_NS0_8equal_toIlEEEE10hipError_tPvRmT2_T3_mT4_T5_T6_T7_T8_P12ihipStream_tbENKUlT_T0_E_clISt17integral_constantIbLb0EESY_EEDaST_SU_EUlST_E_NS1_11comp_targetILNS1_3genE3ELNS1_11target_archE908ELNS1_3gpuE7ELNS1_3repE0EEENS1_30default_config_static_selectorELNS0_4arch9wavefront6targetE0EEEvT1_.numbered_sgpr, 0
	.set _ZN7rocprim17ROCPRIM_400000_NS6detail17trampoline_kernelINS0_14default_configENS1_33run_length_encode_config_selectorIljNS0_4plusIjEEEEZZNS1_33reduce_by_key_impl_wrapped_configILNS1_25lookback_scan_determinismE0ES3_S7_PKlNS0_17constant_iteratorIjlEEPlSE_SE_S6_NS0_8equal_toIlEEEE10hipError_tPvRmT2_T3_mT4_T5_T6_T7_T8_P12ihipStream_tbENKUlT_T0_E_clISt17integral_constantIbLb0EESY_EEDaST_SU_EUlST_E_NS1_11comp_targetILNS1_3genE3ELNS1_11target_archE908ELNS1_3gpuE7ELNS1_3repE0EEENS1_30default_config_static_selectorELNS0_4arch9wavefront6targetE0EEEvT1_.num_named_barrier, 0
	.set _ZN7rocprim17ROCPRIM_400000_NS6detail17trampoline_kernelINS0_14default_configENS1_33run_length_encode_config_selectorIljNS0_4plusIjEEEEZZNS1_33reduce_by_key_impl_wrapped_configILNS1_25lookback_scan_determinismE0ES3_S7_PKlNS0_17constant_iteratorIjlEEPlSE_SE_S6_NS0_8equal_toIlEEEE10hipError_tPvRmT2_T3_mT4_T5_T6_T7_T8_P12ihipStream_tbENKUlT_T0_E_clISt17integral_constantIbLb0EESY_EEDaST_SU_EUlST_E_NS1_11comp_targetILNS1_3genE3ELNS1_11target_archE908ELNS1_3gpuE7ELNS1_3repE0EEENS1_30default_config_static_selectorELNS0_4arch9wavefront6targetE0EEEvT1_.private_seg_size, 0
	.set _ZN7rocprim17ROCPRIM_400000_NS6detail17trampoline_kernelINS0_14default_configENS1_33run_length_encode_config_selectorIljNS0_4plusIjEEEEZZNS1_33reduce_by_key_impl_wrapped_configILNS1_25lookback_scan_determinismE0ES3_S7_PKlNS0_17constant_iteratorIjlEEPlSE_SE_S6_NS0_8equal_toIlEEEE10hipError_tPvRmT2_T3_mT4_T5_T6_T7_T8_P12ihipStream_tbENKUlT_T0_E_clISt17integral_constantIbLb0EESY_EEDaST_SU_EUlST_E_NS1_11comp_targetILNS1_3genE3ELNS1_11target_archE908ELNS1_3gpuE7ELNS1_3repE0EEENS1_30default_config_static_selectorELNS0_4arch9wavefront6targetE0EEEvT1_.uses_vcc, 0
	.set _ZN7rocprim17ROCPRIM_400000_NS6detail17trampoline_kernelINS0_14default_configENS1_33run_length_encode_config_selectorIljNS0_4plusIjEEEEZZNS1_33reduce_by_key_impl_wrapped_configILNS1_25lookback_scan_determinismE0ES3_S7_PKlNS0_17constant_iteratorIjlEEPlSE_SE_S6_NS0_8equal_toIlEEEE10hipError_tPvRmT2_T3_mT4_T5_T6_T7_T8_P12ihipStream_tbENKUlT_T0_E_clISt17integral_constantIbLb0EESY_EEDaST_SU_EUlST_E_NS1_11comp_targetILNS1_3genE3ELNS1_11target_archE908ELNS1_3gpuE7ELNS1_3repE0EEENS1_30default_config_static_selectorELNS0_4arch9wavefront6targetE0EEEvT1_.uses_flat_scratch, 0
	.set _ZN7rocprim17ROCPRIM_400000_NS6detail17trampoline_kernelINS0_14default_configENS1_33run_length_encode_config_selectorIljNS0_4plusIjEEEEZZNS1_33reduce_by_key_impl_wrapped_configILNS1_25lookback_scan_determinismE0ES3_S7_PKlNS0_17constant_iteratorIjlEEPlSE_SE_S6_NS0_8equal_toIlEEEE10hipError_tPvRmT2_T3_mT4_T5_T6_T7_T8_P12ihipStream_tbENKUlT_T0_E_clISt17integral_constantIbLb0EESY_EEDaST_SU_EUlST_E_NS1_11comp_targetILNS1_3genE3ELNS1_11target_archE908ELNS1_3gpuE7ELNS1_3repE0EEENS1_30default_config_static_selectorELNS0_4arch9wavefront6targetE0EEEvT1_.has_dyn_sized_stack, 0
	.set _ZN7rocprim17ROCPRIM_400000_NS6detail17trampoline_kernelINS0_14default_configENS1_33run_length_encode_config_selectorIljNS0_4plusIjEEEEZZNS1_33reduce_by_key_impl_wrapped_configILNS1_25lookback_scan_determinismE0ES3_S7_PKlNS0_17constant_iteratorIjlEEPlSE_SE_S6_NS0_8equal_toIlEEEE10hipError_tPvRmT2_T3_mT4_T5_T6_T7_T8_P12ihipStream_tbENKUlT_T0_E_clISt17integral_constantIbLb0EESY_EEDaST_SU_EUlST_E_NS1_11comp_targetILNS1_3genE3ELNS1_11target_archE908ELNS1_3gpuE7ELNS1_3repE0EEENS1_30default_config_static_selectorELNS0_4arch9wavefront6targetE0EEEvT1_.has_recursion, 0
	.set _ZN7rocprim17ROCPRIM_400000_NS6detail17trampoline_kernelINS0_14default_configENS1_33run_length_encode_config_selectorIljNS0_4plusIjEEEEZZNS1_33reduce_by_key_impl_wrapped_configILNS1_25lookback_scan_determinismE0ES3_S7_PKlNS0_17constant_iteratorIjlEEPlSE_SE_S6_NS0_8equal_toIlEEEE10hipError_tPvRmT2_T3_mT4_T5_T6_T7_T8_P12ihipStream_tbENKUlT_T0_E_clISt17integral_constantIbLb0EESY_EEDaST_SU_EUlST_E_NS1_11comp_targetILNS1_3genE3ELNS1_11target_archE908ELNS1_3gpuE7ELNS1_3repE0EEENS1_30default_config_static_selectorELNS0_4arch9wavefront6targetE0EEEvT1_.has_indirect_call, 0
	.section	.AMDGPU.csdata,"",@progbits
; Kernel info:
; codeLenInByte = 0
; TotalNumSgprs: 0
; NumVgprs: 0
; ScratchSize: 0
; MemoryBound: 0
; FloatMode: 240
; IeeeMode: 1
; LDSByteSize: 0 bytes/workgroup (compile time only)
; SGPRBlocks: 0
; VGPRBlocks: 0
; NumSGPRsForWavesPerEU: 1
; NumVGPRsForWavesPerEU: 1
; NamedBarCnt: 0
; Occupancy: 16
; WaveLimiterHint : 0
; COMPUTE_PGM_RSRC2:SCRATCH_EN: 0
; COMPUTE_PGM_RSRC2:USER_SGPR: 2
; COMPUTE_PGM_RSRC2:TRAP_HANDLER: 0
; COMPUTE_PGM_RSRC2:TGID_X_EN: 1
; COMPUTE_PGM_RSRC2:TGID_Y_EN: 0
; COMPUTE_PGM_RSRC2:TGID_Z_EN: 0
; COMPUTE_PGM_RSRC2:TIDIG_COMP_CNT: 0
	.section	.text._ZN7rocprim17ROCPRIM_400000_NS6detail17trampoline_kernelINS0_14default_configENS1_33run_length_encode_config_selectorIljNS0_4plusIjEEEEZZNS1_33reduce_by_key_impl_wrapped_configILNS1_25lookback_scan_determinismE0ES3_S7_PKlNS0_17constant_iteratorIjlEEPlSE_SE_S6_NS0_8equal_toIlEEEE10hipError_tPvRmT2_T3_mT4_T5_T6_T7_T8_P12ihipStream_tbENKUlT_T0_E_clISt17integral_constantIbLb0EESY_EEDaST_SU_EUlST_E_NS1_11comp_targetILNS1_3genE2ELNS1_11target_archE906ELNS1_3gpuE6ELNS1_3repE0EEENS1_30default_config_static_selectorELNS0_4arch9wavefront6targetE0EEEvT1_,"axG",@progbits,_ZN7rocprim17ROCPRIM_400000_NS6detail17trampoline_kernelINS0_14default_configENS1_33run_length_encode_config_selectorIljNS0_4plusIjEEEEZZNS1_33reduce_by_key_impl_wrapped_configILNS1_25lookback_scan_determinismE0ES3_S7_PKlNS0_17constant_iteratorIjlEEPlSE_SE_S6_NS0_8equal_toIlEEEE10hipError_tPvRmT2_T3_mT4_T5_T6_T7_T8_P12ihipStream_tbENKUlT_T0_E_clISt17integral_constantIbLb0EESY_EEDaST_SU_EUlST_E_NS1_11comp_targetILNS1_3genE2ELNS1_11target_archE906ELNS1_3gpuE6ELNS1_3repE0EEENS1_30default_config_static_selectorELNS0_4arch9wavefront6targetE0EEEvT1_,comdat
	.protected	_ZN7rocprim17ROCPRIM_400000_NS6detail17trampoline_kernelINS0_14default_configENS1_33run_length_encode_config_selectorIljNS0_4plusIjEEEEZZNS1_33reduce_by_key_impl_wrapped_configILNS1_25lookback_scan_determinismE0ES3_S7_PKlNS0_17constant_iteratorIjlEEPlSE_SE_S6_NS0_8equal_toIlEEEE10hipError_tPvRmT2_T3_mT4_T5_T6_T7_T8_P12ihipStream_tbENKUlT_T0_E_clISt17integral_constantIbLb0EESY_EEDaST_SU_EUlST_E_NS1_11comp_targetILNS1_3genE2ELNS1_11target_archE906ELNS1_3gpuE6ELNS1_3repE0EEENS1_30default_config_static_selectorELNS0_4arch9wavefront6targetE0EEEvT1_ ; -- Begin function _ZN7rocprim17ROCPRIM_400000_NS6detail17trampoline_kernelINS0_14default_configENS1_33run_length_encode_config_selectorIljNS0_4plusIjEEEEZZNS1_33reduce_by_key_impl_wrapped_configILNS1_25lookback_scan_determinismE0ES3_S7_PKlNS0_17constant_iteratorIjlEEPlSE_SE_S6_NS0_8equal_toIlEEEE10hipError_tPvRmT2_T3_mT4_T5_T6_T7_T8_P12ihipStream_tbENKUlT_T0_E_clISt17integral_constantIbLb0EESY_EEDaST_SU_EUlST_E_NS1_11comp_targetILNS1_3genE2ELNS1_11target_archE906ELNS1_3gpuE6ELNS1_3repE0EEENS1_30default_config_static_selectorELNS0_4arch9wavefront6targetE0EEEvT1_
	.globl	_ZN7rocprim17ROCPRIM_400000_NS6detail17trampoline_kernelINS0_14default_configENS1_33run_length_encode_config_selectorIljNS0_4plusIjEEEEZZNS1_33reduce_by_key_impl_wrapped_configILNS1_25lookback_scan_determinismE0ES3_S7_PKlNS0_17constant_iteratorIjlEEPlSE_SE_S6_NS0_8equal_toIlEEEE10hipError_tPvRmT2_T3_mT4_T5_T6_T7_T8_P12ihipStream_tbENKUlT_T0_E_clISt17integral_constantIbLb0EESY_EEDaST_SU_EUlST_E_NS1_11comp_targetILNS1_3genE2ELNS1_11target_archE906ELNS1_3gpuE6ELNS1_3repE0EEENS1_30default_config_static_selectorELNS0_4arch9wavefront6targetE0EEEvT1_
	.p2align	8
	.type	_ZN7rocprim17ROCPRIM_400000_NS6detail17trampoline_kernelINS0_14default_configENS1_33run_length_encode_config_selectorIljNS0_4plusIjEEEEZZNS1_33reduce_by_key_impl_wrapped_configILNS1_25lookback_scan_determinismE0ES3_S7_PKlNS0_17constant_iteratorIjlEEPlSE_SE_S6_NS0_8equal_toIlEEEE10hipError_tPvRmT2_T3_mT4_T5_T6_T7_T8_P12ihipStream_tbENKUlT_T0_E_clISt17integral_constantIbLb0EESY_EEDaST_SU_EUlST_E_NS1_11comp_targetILNS1_3genE2ELNS1_11target_archE906ELNS1_3gpuE6ELNS1_3repE0EEENS1_30default_config_static_selectorELNS0_4arch9wavefront6targetE0EEEvT1_,@function
_ZN7rocprim17ROCPRIM_400000_NS6detail17trampoline_kernelINS0_14default_configENS1_33run_length_encode_config_selectorIljNS0_4plusIjEEEEZZNS1_33reduce_by_key_impl_wrapped_configILNS1_25lookback_scan_determinismE0ES3_S7_PKlNS0_17constant_iteratorIjlEEPlSE_SE_S6_NS0_8equal_toIlEEEE10hipError_tPvRmT2_T3_mT4_T5_T6_T7_T8_P12ihipStream_tbENKUlT_T0_E_clISt17integral_constantIbLb0EESY_EEDaST_SU_EUlST_E_NS1_11comp_targetILNS1_3genE2ELNS1_11target_archE906ELNS1_3gpuE6ELNS1_3repE0EEENS1_30default_config_static_selectorELNS0_4arch9wavefront6targetE0EEEvT1_: ; @_ZN7rocprim17ROCPRIM_400000_NS6detail17trampoline_kernelINS0_14default_configENS1_33run_length_encode_config_selectorIljNS0_4plusIjEEEEZZNS1_33reduce_by_key_impl_wrapped_configILNS1_25lookback_scan_determinismE0ES3_S7_PKlNS0_17constant_iteratorIjlEEPlSE_SE_S6_NS0_8equal_toIlEEEE10hipError_tPvRmT2_T3_mT4_T5_T6_T7_T8_P12ihipStream_tbENKUlT_T0_E_clISt17integral_constantIbLb0EESY_EEDaST_SU_EUlST_E_NS1_11comp_targetILNS1_3genE2ELNS1_11target_archE906ELNS1_3gpuE6ELNS1_3repE0EEENS1_30default_config_static_selectorELNS0_4arch9wavefront6targetE0EEEvT1_
; %bb.0:
	.section	.rodata,"a",@progbits
	.p2align	6, 0x0
	.amdhsa_kernel _ZN7rocprim17ROCPRIM_400000_NS6detail17trampoline_kernelINS0_14default_configENS1_33run_length_encode_config_selectorIljNS0_4plusIjEEEEZZNS1_33reduce_by_key_impl_wrapped_configILNS1_25lookback_scan_determinismE0ES3_S7_PKlNS0_17constant_iteratorIjlEEPlSE_SE_S6_NS0_8equal_toIlEEEE10hipError_tPvRmT2_T3_mT4_T5_T6_T7_T8_P12ihipStream_tbENKUlT_T0_E_clISt17integral_constantIbLb0EESY_EEDaST_SU_EUlST_E_NS1_11comp_targetILNS1_3genE2ELNS1_11target_archE906ELNS1_3gpuE6ELNS1_3repE0EEENS1_30default_config_static_selectorELNS0_4arch9wavefront6targetE0EEEvT1_
		.amdhsa_group_segment_fixed_size 0
		.amdhsa_private_segment_fixed_size 0
		.amdhsa_kernarg_size 128
		.amdhsa_user_sgpr_count 2
		.amdhsa_user_sgpr_dispatch_ptr 0
		.amdhsa_user_sgpr_queue_ptr 0
		.amdhsa_user_sgpr_kernarg_segment_ptr 1
		.amdhsa_user_sgpr_dispatch_id 0
		.amdhsa_user_sgpr_kernarg_preload_length 0
		.amdhsa_user_sgpr_kernarg_preload_offset 0
		.amdhsa_user_sgpr_private_segment_size 0
		.amdhsa_wavefront_size32 1
		.amdhsa_uses_dynamic_stack 0
		.amdhsa_enable_private_segment 0
		.amdhsa_system_sgpr_workgroup_id_x 1
		.amdhsa_system_sgpr_workgroup_id_y 0
		.amdhsa_system_sgpr_workgroup_id_z 0
		.amdhsa_system_sgpr_workgroup_info 0
		.amdhsa_system_vgpr_workitem_id 0
		.amdhsa_next_free_vgpr 1
		.amdhsa_next_free_sgpr 1
		.amdhsa_named_barrier_count 0
		.amdhsa_reserve_vcc 0
		.amdhsa_float_round_mode_32 0
		.amdhsa_float_round_mode_16_64 0
		.amdhsa_float_denorm_mode_32 3
		.amdhsa_float_denorm_mode_16_64 3
		.amdhsa_fp16_overflow 0
		.amdhsa_memory_ordered 1
		.amdhsa_forward_progress 1
		.amdhsa_inst_pref_size 0
		.amdhsa_round_robin_scheduling 0
		.amdhsa_exception_fp_ieee_invalid_op 0
		.amdhsa_exception_fp_denorm_src 0
		.amdhsa_exception_fp_ieee_div_zero 0
		.amdhsa_exception_fp_ieee_overflow 0
		.amdhsa_exception_fp_ieee_underflow 0
		.amdhsa_exception_fp_ieee_inexact 0
		.amdhsa_exception_int_div_zero 0
	.end_amdhsa_kernel
	.section	.text._ZN7rocprim17ROCPRIM_400000_NS6detail17trampoline_kernelINS0_14default_configENS1_33run_length_encode_config_selectorIljNS0_4plusIjEEEEZZNS1_33reduce_by_key_impl_wrapped_configILNS1_25lookback_scan_determinismE0ES3_S7_PKlNS0_17constant_iteratorIjlEEPlSE_SE_S6_NS0_8equal_toIlEEEE10hipError_tPvRmT2_T3_mT4_T5_T6_T7_T8_P12ihipStream_tbENKUlT_T0_E_clISt17integral_constantIbLb0EESY_EEDaST_SU_EUlST_E_NS1_11comp_targetILNS1_3genE2ELNS1_11target_archE906ELNS1_3gpuE6ELNS1_3repE0EEENS1_30default_config_static_selectorELNS0_4arch9wavefront6targetE0EEEvT1_,"axG",@progbits,_ZN7rocprim17ROCPRIM_400000_NS6detail17trampoline_kernelINS0_14default_configENS1_33run_length_encode_config_selectorIljNS0_4plusIjEEEEZZNS1_33reduce_by_key_impl_wrapped_configILNS1_25lookback_scan_determinismE0ES3_S7_PKlNS0_17constant_iteratorIjlEEPlSE_SE_S6_NS0_8equal_toIlEEEE10hipError_tPvRmT2_T3_mT4_T5_T6_T7_T8_P12ihipStream_tbENKUlT_T0_E_clISt17integral_constantIbLb0EESY_EEDaST_SU_EUlST_E_NS1_11comp_targetILNS1_3genE2ELNS1_11target_archE906ELNS1_3gpuE6ELNS1_3repE0EEENS1_30default_config_static_selectorELNS0_4arch9wavefront6targetE0EEEvT1_,comdat
.Lfunc_end515:
	.size	_ZN7rocprim17ROCPRIM_400000_NS6detail17trampoline_kernelINS0_14default_configENS1_33run_length_encode_config_selectorIljNS0_4plusIjEEEEZZNS1_33reduce_by_key_impl_wrapped_configILNS1_25lookback_scan_determinismE0ES3_S7_PKlNS0_17constant_iteratorIjlEEPlSE_SE_S6_NS0_8equal_toIlEEEE10hipError_tPvRmT2_T3_mT4_T5_T6_T7_T8_P12ihipStream_tbENKUlT_T0_E_clISt17integral_constantIbLb0EESY_EEDaST_SU_EUlST_E_NS1_11comp_targetILNS1_3genE2ELNS1_11target_archE906ELNS1_3gpuE6ELNS1_3repE0EEENS1_30default_config_static_selectorELNS0_4arch9wavefront6targetE0EEEvT1_, .Lfunc_end515-_ZN7rocprim17ROCPRIM_400000_NS6detail17trampoline_kernelINS0_14default_configENS1_33run_length_encode_config_selectorIljNS0_4plusIjEEEEZZNS1_33reduce_by_key_impl_wrapped_configILNS1_25lookback_scan_determinismE0ES3_S7_PKlNS0_17constant_iteratorIjlEEPlSE_SE_S6_NS0_8equal_toIlEEEE10hipError_tPvRmT2_T3_mT4_T5_T6_T7_T8_P12ihipStream_tbENKUlT_T0_E_clISt17integral_constantIbLb0EESY_EEDaST_SU_EUlST_E_NS1_11comp_targetILNS1_3genE2ELNS1_11target_archE906ELNS1_3gpuE6ELNS1_3repE0EEENS1_30default_config_static_selectorELNS0_4arch9wavefront6targetE0EEEvT1_
                                        ; -- End function
	.set _ZN7rocprim17ROCPRIM_400000_NS6detail17trampoline_kernelINS0_14default_configENS1_33run_length_encode_config_selectorIljNS0_4plusIjEEEEZZNS1_33reduce_by_key_impl_wrapped_configILNS1_25lookback_scan_determinismE0ES3_S7_PKlNS0_17constant_iteratorIjlEEPlSE_SE_S6_NS0_8equal_toIlEEEE10hipError_tPvRmT2_T3_mT4_T5_T6_T7_T8_P12ihipStream_tbENKUlT_T0_E_clISt17integral_constantIbLb0EESY_EEDaST_SU_EUlST_E_NS1_11comp_targetILNS1_3genE2ELNS1_11target_archE906ELNS1_3gpuE6ELNS1_3repE0EEENS1_30default_config_static_selectorELNS0_4arch9wavefront6targetE0EEEvT1_.num_vgpr, 0
	.set _ZN7rocprim17ROCPRIM_400000_NS6detail17trampoline_kernelINS0_14default_configENS1_33run_length_encode_config_selectorIljNS0_4plusIjEEEEZZNS1_33reduce_by_key_impl_wrapped_configILNS1_25lookback_scan_determinismE0ES3_S7_PKlNS0_17constant_iteratorIjlEEPlSE_SE_S6_NS0_8equal_toIlEEEE10hipError_tPvRmT2_T3_mT4_T5_T6_T7_T8_P12ihipStream_tbENKUlT_T0_E_clISt17integral_constantIbLb0EESY_EEDaST_SU_EUlST_E_NS1_11comp_targetILNS1_3genE2ELNS1_11target_archE906ELNS1_3gpuE6ELNS1_3repE0EEENS1_30default_config_static_selectorELNS0_4arch9wavefront6targetE0EEEvT1_.num_agpr, 0
	.set _ZN7rocprim17ROCPRIM_400000_NS6detail17trampoline_kernelINS0_14default_configENS1_33run_length_encode_config_selectorIljNS0_4plusIjEEEEZZNS1_33reduce_by_key_impl_wrapped_configILNS1_25lookback_scan_determinismE0ES3_S7_PKlNS0_17constant_iteratorIjlEEPlSE_SE_S6_NS0_8equal_toIlEEEE10hipError_tPvRmT2_T3_mT4_T5_T6_T7_T8_P12ihipStream_tbENKUlT_T0_E_clISt17integral_constantIbLb0EESY_EEDaST_SU_EUlST_E_NS1_11comp_targetILNS1_3genE2ELNS1_11target_archE906ELNS1_3gpuE6ELNS1_3repE0EEENS1_30default_config_static_selectorELNS0_4arch9wavefront6targetE0EEEvT1_.numbered_sgpr, 0
	.set _ZN7rocprim17ROCPRIM_400000_NS6detail17trampoline_kernelINS0_14default_configENS1_33run_length_encode_config_selectorIljNS0_4plusIjEEEEZZNS1_33reduce_by_key_impl_wrapped_configILNS1_25lookback_scan_determinismE0ES3_S7_PKlNS0_17constant_iteratorIjlEEPlSE_SE_S6_NS0_8equal_toIlEEEE10hipError_tPvRmT2_T3_mT4_T5_T6_T7_T8_P12ihipStream_tbENKUlT_T0_E_clISt17integral_constantIbLb0EESY_EEDaST_SU_EUlST_E_NS1_11comp_targetILNS1_3genE2ELNS1_11target_archE906ELNS1_3gpuE6ELNS1_3repE0EEENS1_30default_config_static_selectorELNS0_4arch9wavefront6targetE0EEEvT1_.num_named_barrier, 0
	.set _ZN7rocprim17ROCPRIM_400000_NS6detail17trampoline_kernelINS0_14default_configENS1_33run_length_encode_config_selectorIljNS0_4plusIjEEEEZZNS1_33reduce_by_key_impl_wrapped_configILNS1_25lookback_scan_determinismE0ES3_S7_PKlNS0_17constant_iteratorIjlEEPlSE_SE_S6_NS0_8equal_toIlEEEE10hipError_tPvRmT2_T3_mT4_T5_T6_T7_T8_P12ihipStream_tbENKUlT_T0_E_clISt17integral_constantIbLb0EESY_EEDaST_SU_EUlST_E_NS1_11comp_targetILNS1_3genE2ELNS1_11target_archE906ELNS1_3gpuE6ELNS1_3repE0EEENS1_30default_config_static_selectorELNS0_4arch9wavefront6targetE0EEEvT1_.private_seg_size, 0
	.set _ZN7rocprim17ROCPRIM_400000_NS6detail17trampoline_kernelINS0_14default_configENS1_33run_length_encode_config_selectorIljNS0_4plusIjEEEEZZNS1_33reduce_by_key_impl_wrapped_configILNS1_25lookback_scan_determinismE0ES3_S7_PKlNS0_17constant_iteratorIjlEEPlSE_SE_S6_NS0_8equal_toIlEEEE10hipError_tPvRmT2_T3_mT4_T5_T6_T7_T8_P12ihipStream_tbENKUlT_T0_E_clISt17integral_constantIbLb0EESY_EEDaST_SU_EUlST_E_NS1_11comp_targetILNS1_3genE2ELNS1_11target_archE906ELNS1_3gpuE6ELNS1_3repE0EEENS1_30default_config_static_selectorELNS0_4arch9wavefront6targetE0EEEvT1_.uses_vcc, 0
	.set _ZN7rocprim17ROCPRIM_400000_NS6detail17trampoline_kernelINS0_14default_configENS1_33run_length_encode_config_selectorIljNS0_4plusIjEEEEZZNS1_33reduce_by_key_impl_wrapped_configILNS1_25lookback_scan_determinismE0ES3_S7_PKlNS0_17constant_iteratorIjlEEPlSE_SE_S6_NS0_8equal_toIlEEEE10hipError_tPvRmT2_T3_mT4_T5_T6_T7_T8_P12ihipStream_tbENKUlT_T0_E_clISt17integral_constantIbLb0EESY_EEDaST_SU_EUlST_E_NS1_11comp_targetILNS1_3genE2ELNS1_11target_archE906ELNS1_3gpuE6ELNS1_3repE0EEENS1_30default_config_static_selectorELNS0_4arch9wavefront6targetE0EEEvT1_.uses_flat_scratch, 0
	.set _ZN7rocprim17ROCPRIM_400000_NS6detail17trampoline_kernelINS0_14default_configENS1_33run_length_encode_config_selectorIljNS0_4plusIjEEEEZZNS1_33reduce_by_key_impl_wrapped_configILNS1_25lookback_scan_determinismE0ES3_S7_PKlNS0_17constant_iteratorIjlEEPlSE_SE_S6_NS0_8equal_toIlEEEE10hipError_tPvRmT2_T3_mT4_T5_T6_T7_T8_P12ihipStream_tbENKUlT_T0_E_clISt17integral_constantIbLb0EESY_EEDaST_SU_EUlST_E_NS1_11comp_targetILNS1_3genE2ELNS1_11target_archE906ELNS1_3gpuE6ELNS1_3repE0EEENS1_30default_config_static_selectorELNS0_4arch9wavefront6targetE0EEEvT1_.has_dyn_sized_stack, 0
	.set _ZN7rocprim17ROCPRIM_400000_NS6detail17trampoline_kernelINS0_14default_configENS1_33run_length_encode_config_selectorIljNS0_4plusIjEEEEZZNS1_33reduce_by_key_impl_wrapped_configILNS1_25lookback_scan_determinismE0ES3_S7_PKlNS0_17constant_iteratorIjlEEPlSE_SE_S6_NS0_8equal_toIlEEEE10hipError_tPvRmT2_T3_mT4_T5_T6_T7_T8_P12ihipStream_tbENKUlT_T0_E_clISt17integral_constantIbLb0EESY_EEDaST_SU_EUlST_E_NS1_11comp_targetILNS1_3genE2ELNS1_11target_archE906ELNS1_3gpuE6ELNS1_3repE0EEENS1_30default_config_static_selectorELNS0_4arch9wavefront6targetE0EEEvT1_.has_recursion, 0
	.set _ZN7rocprim17ROCPRIM_400000_NS6detail17trampoline_kernelINS0_14default_configENS1_33run_length_encode_config_selectorIljNS0_4plusIjEEEEZZNS1_33reduce_by_key_impl_wrapped_configILNS1_25lookback_scan_determinismE0ES3_S7_PKlNS0_17constant_iteratorIjlEEPlSE_SE_S6_NS0_8equal_toIlEEEE10hipError_tPvRmT2_T3_mT4_T5_T6_T7_T8_P12ihipStream_tbENKUlT_T0_E_clISt17integral_constantIbLb0EESY_EEDaST_SU_EUlST_E_NS1_11comp_targetILNS1_3genE2ELNS1_11target_archE906ELNS1_3gpuE6ELNS1_3repE0EEENS1_30default_config_static_selectorELNS0_4arch9wavefront6targetE0EEEvT1_.has_indirect_call, 0
	.section	.AMDGPU.csdata,"",@progbits
; Kernel info:
; codeLenInByte = 0
; TotalNumSgprs: 0
; NumVgprs: 0
; ScratchSize: 0
; MemoryBound: 0
; FloatMode: 240
; IeeeMode: 1
; LDSByteSize: 0 bytes/workgroup (compile time only)
; SGPRBlocks: 0
; VGPRBlocks: 0
; NumSGPRsForWavesPerEU: 1
; NumVGPRsForWavesPerEU: 1
; NamedBarCnt: 0
; Occupancy: 16
; WaveLimiterHint : 0
; COMPUTE_PGM_RSRC2:SCRATCH_EN: 0
; COMPUTE_PGM_RSRC2:USER_SGPR: 2
; COMPUTE_PGM_RSRC2:TRAP_HANDLER: 0
; COMPUTE_PGM_RSRC2:TGID_X_EN: 1
; COMPUTE_PGM_RSRC2:TGID_Y_EN: 0
; COMPUTE_PGM_RSRC2:TGID_Z_EN: 0
; COMPUTE_PGM_RSRC2:TIDIG_COMP_CNT: 0
	.section	.text._ZN7rocprim17ROCPRIM_400000_NS6detail17trampoline_kernelINS0_14default_configENS1_33run_length_encode_config_selectorIljNS0_4plusIjEEEEZZNS1_33reduce_by_key_impl_wrapped_configILNS1_25lookback_scan_determinismE0ES3_S7_PKlNS0_17constant_iteratorIjlEEPlSE_SE_S6_NS0_8equal_toIlEEEE10hipError_tPvRmT2_T3_mT4_T5_T6_T7_T8_P12ihipStream_tbENKUlT_T0_E_clISt17integral_constantIbLb0EESY_EEDaST_SU_EUlST_E_NS1_11comp_targetILNS1_3genE10ELNS1_11target_archE1201ELNS1_3gpuE5ELNS1_3repE0EEENS1_30default_config_static_selectorELNS0_4arch9wavefront6targetE0EEEvT1_,"axG",@progbits,_ZN7rocprim17ROCPRIM_400000_NS6detail17trampoline_kernelINS0_14default_configENS1_33run_length_encode_config_selectorIljNS0_4plusIjEEEEZZNS1_33reduce_by_key_impl_wrapped_configILNS1_25lookback_scan_determinismE0ES3_S7_PKlNS0_17constant_iteratorIjlEEPlSE_SE_S6_NS0_8equal_toIlEEEE10hipError_tPvRmT2_T3_mT4_T5_T6_T7_T8_P12ihipStream_tbENKUlT_T0_E_clISt17integral_constantIbLb0EESY_EEDaST_SU_EUlST_E_NS1_11comp_targetILNS1_3genE10ELNS1_11target_archE1201ELNS1_3gpuE5ELNS1_3repE0EEENS1_30default_config_static_selectorELNS0_4arch9wavefront6targetE0EEEvT1_,comdat
	.protected	_ZN7rocprim17ROCPRIM_400000_NS6detail17trampoline_kernelINS0_14default_configENS1_33run_length_encode_config_selectorIljNS0_4plusIjEEEEZZNS1_33reduce_by_key_impl_wrapped_configILNS1_25lookback_scan_determinismE0ES3_S7_PKlNS0_17constant_iteratorIjlEEPlSE_SE_S6_NS0_8equal_toIlEEEE10hipError_tPvRmT2_T3_mT4_T5_T6_T7_T8_P12ihipStream_tbENKUlT_T0_E_clISt17integral_constantIbLb0EESY_EEDaST_SU_EUlST_E_NS1_11comp_targetILNS1_3genE10ELNS1_11target_archE1201ELNS1_3gpuE5ELNS1_3repE0EEENS1_30default_config_static_selectorELNS0_4arch9wavefront6targetE0EEEvT1_ ; -- Begin function _ZN7rocprim17ROCPRIM_400000_NS6detail17trampoline_kernelINS0_14default_configENS1_33run_length_encode_config_selectorIljNS0_4plusIjEEEEZZNS1_33reduce_by_key_impl_wrapped_configILNS1_25lookback_scan_determinismE0ES3_S7_PKlNS0_17constant_iteratorIjlEEPlSE_SE_S6_NS0_8equal_toIlEEEE10hipError_tPvRmT2_T3_mT4_T5_T6_T7_T8_P12ihipStream_tbENKUlT_T0_E_clISt17integral_constantIbLb0EESY_EEDaST_SU_EUlST_E_NS1_11comp_targetILNS1_3genE10ELNS1_11target_archE1201ELNS1_3gpuE5ELNS1_3repE0EEENS1_30default_config_static_selectorELNS0_4arch9wavefront6targetE0EEEvT1_
	.globl	_ZN7rocprim17ROCPRIM_400000_NS6detail17trampoline_kernelINS0_14default_configENS1_33run_length_encode_config_selectorIljNS0_4plusIjEEEEZZNS1_33reduce_by_key_impl_wrapped_configILNS1_25lookback_scan_determinismE0ES3_S7_PKlNS0_17constant_iteratorIjlEEPlSE_SE_S6_NS0_8equal_toIlEEEE10hipError_tPvRmT2_T3_mT4_T5_T6_T7_T8_P12ihipStream_tbENKUlT_T0_E_clISt17integral_constantIbLb0EESY_EEDaST_SU_EUlST_E_NS1_11comp_targetILNS1_3genE10ELNS1_11target_archE1201ELNS1_3gpuE5ELNS1_3repE0EEENS1_30default_config_static_selectorELNS0_4arch9wavefront6targetE0EEEvT1_
	.p2align	8
	.type	_ZN7rocprim17ROCPRIM_400000_NS6detail17trampoline_kernelINS0_14default_configENS1_33run_length_encode_config_selectorIljNS0_4plusIjEEEEZZNS1_33reduce_by_key_impl_wrapped_configILNS1_25lookback_scan_determinismE0ES3_S7_PKlNS0_17constant_iteratorIjlEEPlSE_SE_S6_NS0_8equal_toIlEEEE10hipError_tPvRmT2_T3_mT4_T5_T6_T7_T8_P12ihipStream_tbENKUlT_T0_E_clISt17integral_constantIbLb0EESY_EEDaST_SU_EUlST_E_NS1_11comp_targetILNS1_3genE10ELNS1_11target_archE1201ELNS1_3gpuE5ELNS1_3repE0EEENS1_30default_config_static_selectorELNS0_4arch9wavefront6targetE0EEEvT1_,@function
_ZN7rocprim17ROCPRIM_400000_NS6detail17trampoline_kernelINS0_14default_configENS1_33run_length_encode_config_selectorIljNS0_4plusIjEEEEZZNS1_33reduce_by_key_impl_wrapped_configILNS1_25lookback_scan_determinismE0ES3_S7_PKlNS0_17constant_iteratorIjlEEPlSE_SE_S6_NS0_8equal_toIlEEEE10hipError_tPvRmT2_T3_mT4_T5_T6_T7_T8_P12ihipStream_tbENKUlT_T0_E_clISt17integral_constantIbLb0EESY_EEDaST_SU_EUlST_E_NS1_11comp_targetILNS1_3genE10ELNS1_11target_archE1201ELNS1_3gpuE5ELNS1_3repE0EEENS1_30default_config_static_selectorELNS0_4arch9wavefront6targetE0EEEvT1_: ; @_ZN7rocprim17ROCPRIM_400000_NS6detail17trampoline_kernelINS0_14default_configENS1_33run_length_encode_config_selectorIljNS0_4plusIjEEEEZZNS1_33reduce_by_key_impl_wrapped_configILNS1_25lookback_scan_determinismE0ES3_S7_PKlNS0_17constant_iteratorIjlEEPlSE_SE_S6_NS0_8equal_toIlEEEE10hipError_tPvRmT2_T3_mT4_T5_T6_T7_T8_P12ihipStream_tbENKUlT_T0_E_clISt17integral_constantIbLb0EESY_EEDaST_SU_EUlST_E_NS1_11comp_targetILNS1_3genE10ELNS1_11target_archE1201ELNS1_3gpuE5ELNS1_3repE0EEENS1_30default_config_static_selectorELNS0_4arch9wavefront6targetE0EEEvT1_
; %bb.0:
	.section	.rodata,"a",@progbits
	.p2align	6, 0x0
	.amdhsa_kernel _ZN7rocprim17ROCPRIM_400000_NS6detail17trampoline_kernelINS0_14default_configENS1_33run_length_encode_config_selectorIljNS0_4plusIjEEEEZZNS1_33reduce_by_key_impl_wrapped_configILNS1_25lookback_scan_determinismE0ES3_S7_PKlNS0_17constant_iteratorIjlEEPlSE_SE_S6_NS0_8equal_toIlEEEE10hipError_tPvRmT2_T3_mT4_T5_T6_T7_T8_P12ihipStream_tbENKUlT_T0_E_clISt17integral_constantIbLb0EESY_EEDaST_SU_EUlST_E_NS1_11comp_targetILNS1_3genE10ELNS1_11target_archE1201ELNS1_3gpuE5ELNS1_3repE0EEENS1_30default_config_static_selectorELNS0_4arch9wavefront6targetE0EEEvT1_
		.amdhsa_group_segment_fixed_size 0
		.amdhsa_private_segment_fixed_size 0
		.amdhsa_kernarg_size 128
		.amdhsa_user_sgpr_count 2
		.amdhsa_user_sgpr_dispatch_ptr 0
		.amdhsa_user_sgpr_queue_ptr 0
		.amdhsa_user_sgpr_kernarg_segment_ptr 1
		.amdhsa_user_sgpr_dispatch_id 0
		.amdhsa_user_sgpr_kernarg_preload_length 0
		.amdhsa_user_sgpr_kernarg_preload_offset 0
		.amdhsa_user_sgpr_private_segment_size 0
		.amdhsa_wavefront_size32 1
		.amdhsa_uses_dynamic_stack 0
		.amdhsa_enable_private_segment 0
		.amdhsa_system_sgpr_workgroup_id_x 1
		.amdhsa_system_sgpr_workgroup_id_y 0
		.amdhsa_system_sgpr_workgroup_id_z 0
		.amdhsa_system_sgpr_workgroup_info 0
		.amdhsa_system_vgpr_workitem_id 0
		.amdhsa_next_free_vgpr 1
		.amdhsa_next_free_sgpr 1
		.amdhsa_named_barrier_count 0
		.amdhsa_reserve_vcc 0
		.amdhsa_float_round_mode_32 0
		.amdhsa_float_round_mode_16_64 0
		.amdhsa_float_denorm_mode_32 3
		.amdhsa_float_denorm_mode_16_64 3
		.amdhsa_fp16_overflow 0
		.amdhsa_memory_ordered 1
		.amdhsa_forward_progress 1
		.amdhsa_inst_pref_size 0
		.amdhsa_round_robin_scheduling 0
		.amdhsa_exception_fp_ieee_invalid_op 0
		.amdhsa_exception_fp_denorm_src 0
		.amdhsa_exception_fp_ieee_div_zero 0
		.amdhsa_exception_fp_ieee_overflow 0
		.amdhsa_exception_fp_ieee_underflow 0
		.amdhsa_exception_fp_ieee_inexact 0
		.amdhsa_exception_int_div_zero 0
	.end_amdhsa_kernel
	.section	.text._ZN7rocprim17ROCPRIM_400000_NS6detail17trampoline_kernelINS0_14default_configENS1_33run_length_encode_config_selectorIljNS0_4plusIjEEEEZZNS1_33reduce_by_key_impl_wrapped_configILNS1_25lookback_scan_determinismE0ES3_S7_PKlNS0_17constant_iteratorIjlEEPlSE_SE_S6_NS0_8equal_toIlEEEE10hipError_tPvRmT2_T3_mT4_T5_T6_T7_T8_P12ihipStream_tbENKUlT_T0_E_clISt17integral_constantIbLb0EESY_EEDaST_SU_EUlST_E_NS1_11comp_targetILNS1_3genE10ELNS1_11target_archE1201ELNS1_3gpuE5ELNS1_3repE0EEENS1_30default_config_static_selectorELNS0_4arch9wavefront6targetE0EEEvT1_,"axG",@progbits,_ZN7rocprim17ROCPRIM_400000_NS6detail17trampoline_kernelINS0_14default_configENS1_33run_length_encode_config_selectorIljNS0_4plusIjEEEEZZNS1_33reduce_by_key_impl_wrapped_configILNS1_25lookback_scan_determinismE0ES3_S7_PKlNS0_17constant_iteratorIjlEEPlSE_SE_S6_NS0_8equal_toIlEEEE10hipError_tPvRmT2_T3_mT4_T5_T6_T7_T8_P12ihipStream_tbENKUlT_T0_E_clISt17integral_constantIbLb0EESY_EEDaST_SU_EUlST_E_NS1_11comp_targetILNS1_3genE10ELNS1_11target_archE1201ELNS1_3gpuE5ELNS1_3repE0EEENS1_30default_config_static_selectorELNS0_4arch9wavefront6targetE0EEEvT1_,comdat
.Lfunc_end516:
	.size	_ZN7rocprim17ROCPRIM_400000_NS6detail17trampoline_kernelINS0_14default_configENS1_33run_length_encode_config_selectorIljNS0_4plusIjEEEEZZNS1_33reduce_by_key_impl_wrapped_configILNS1_25lookback_scan_determinismE0ES3_S7_PKlNS0_17constant_iteratorIjlEEPlSE_SE_S6_NS0_8equal_toIlEEEE10hipError_tPvRmT2_T3_mT4_T5_T6_T7_T8_P12ihipStream_tbENKUlT_T0_E_clISt17integral_constantIbLb0EESY_EEDaST_SU_EUlST_E_NS1_11comp_targetILNS1_3genE10ELNS1_11target_archE1201ELNS1_3gpuE5ELNS1_3repE0EEENS1_30default_config_static_selectorELNS0_4arch9wavefront6targetE0EEEvT1_, .Lfunc_end516-_ZN7rocprim17ROCPRIM_400000_NS6detail17trampoline_kernelINS0_14default_configENS1_33run_length_encode_config_selectorIljNS0_4plusIjEEEEZZNS1_33reduce_by_key_impl_wrapped_configILNS1_25lookback_scan_determinismE0ES3_S7_PKlNS0_17constant_iteratorIjlEEPlSE_SE_S6_NS0_8equal_toIlEEEE10hipError_tPvRmT2_T3_mT4_T5_T6_T7_T8_P12ihipStream_tbENKUlT_T0_E_clISt17integral_constantIbLb0EESY_EEDaST_SU_EUlST_E_NS1_11comp_targetILNS1_3genE10ELNS1_11target_archE1201ELNS1_3gpuE5ELNS1_3repE0EEENS1_30default_config_static_selectorELNS0_4arch9wavefront6targetE0EEEvT1_
                                        ; -- End function
	.set _ZN7rocprim17ROCPRIM_400000_NS6detail17trampoline_kernelINS0_14default_configENS1_33run_length_encode_config_selectorIljNS0_4plusIjEEEEZZNS1_33reduce_by_key_impl_wrapped_configILNS1_25lookback_scan_determinismE0ES3_S7_PKlNS0_17constant_iteratorIjlEEPlSE_SE_S6_NS0_8equal_toIlEEEE10hipError_tPvRmT2_T3_mT4_T5_T6_T7_T8_P12ihipStream_tbENKUlT_T0_E_clISt17integral_constantIbLb0EESY_EEDaST_SU_EUlST_E_NS1_11comp_targetILNS1_3genE10ELNS1_11target_archE1201ELNS1_3gpuE5ELNS1_3repE0EEENS1_30default_config_static_selectorELNS0_4arch9wavefront6targetE0EEEvT1_.num_vgpr, 0
	.set _ZN7rocprim17ROCPRIM_400000_NS6detail17trampoline_kernelINS0_14default_configENS1_33run_length_encode_config_selectorIljNS0_4plusIjEEEEZZNS1_33reduce_by_key_impl_wrapped_configILNS1_25lookback_scan_determinismE0ES3_S7_PKlNS0_17constant_iteratorIjlEEPlSE_SE_S6_NS0_8equal_toIlEEEE10hipError_tPvRmT2_T3_mT4_T5_T6_T7_T8_P12ihipStream_tbENKUlT_T0_E_clISt17integral_constantIbLb0EESY_EEDaST_SU_EUlST_E_NS1_11comp_targetILNS1_3genE10ELNS1_11target_archE1201ELNS1_3gpuE5ELNS1_3repE0EEENS1_30default_config_static_selectorELNS0_4arch9wavefront6targetE0EEEvT1_.num_agpr, 0
	.set _ZN7rocprim17ROCPRIM_400000_NS6detail17trampoline_kernelINS0_14default_configENS1_33run_length_encode_config_selectorIljNS0_4plusIjEEEEZZNS1_33reduce_by_key_impl_wrapped_configILNS1_25lookback_scan_determinismE0ES3_S7_PKlNS0_17constant_iteratorIjlEEPlSE_SE_S6_NS0_8equal_toIlEEEE10hipError_tPvRmT2_T3_mT4_T5_T6_T7_T8_P12ihipStream_tbENKUlT_T0_E_clISt17integral_constantIbLb0EESY_EEDaST_SU_EUlST_E_NS1_11comp_targetILNS1_3genE10ELNS1_11target_archE1201ELNS1_3gpuE5ELNS1_3repE0EEENS1_30default_config_static_selectorELNS0_4arch9wavefront6targetE0EEEvT1_.numbered_sgpr, 0
	.set _ZN7rocprim17ROCPRIM_400000_NS6detail17trampoline_kernelINS0_14default_configENS1_33run_length_encode_config_selectorIljNS0_4plusIjEEEEZZNS1_33reduce_by_key_impl_wrapped_configILNS1_25lookback_scan_determinismE0ES3_S7_PKlNS0_17constant_iteratorIjlEEPlSE_SE_S6_NS0_8equal_toIlEEEE10hipError_tPvRmT2_T3_mT4_T5_T6_T7_T8_P12ihipStream_tbENKUlT_T0_E_clISt17integral_constantIbLb0EESY_EEDaST_SU_EUlST_E_NS1_11comp_targetILNS1_3genE10ELNS1_11target_archE1201ELNS1_3gpuE5ELNS1_3repE0EEENS1_30default_config_static_selectorELNS0_4arch9wavefront6targetE0EEEvT1_.num_named_barrier, 0
	.set _ZN7rocprim17ROCPRIM_400000_NS6detail17trampoline_kernelINS0_14default_configENS1_33run_length_encode_config_selectorIljNS0_4plusIjEEEEZZNS1_33reduce_by_key_impl_wrapped_configILNS1_25lookback_scan_determinismE0ES3_S7_PKlNS0_17constant_iteratorIjlEEPlSE_SE_S6_NS0_8equal_toIlEEEE10hipError_tPvRmT2_T3_mT4_T5_T6_T7_T8_P12ihipStream_tbENKUlT_T0_E_clISt17integral_constantIbLb0EESY_EEDaST_SU_EUlST_E_NS1_11comp_targetILNS1_3genE10ELNS1_11target_archE1201ELNS1_3gpuE5ELNS1_3repE0EEENS1_30default_config_static_selectorELNS0_4arch9wavefront6targetE0EEEvT1_.private_seg_size, 0
	.set _ZN7rocprim17ROCPRIM_400000_NS6detail17trampoline_kernelINS0_14default_configENS1_33run_length_encode_config_selectorIljNS0_4plusIjEEEEZZNS1_33reduce_by_key_impl_wrapped_configILNS1_25lookback_scan_determinismE0ES3_S7_PKlNS0_17constant_iteratorIjlEEPlSE_SE_S6_NS0_8equal_toIlEEEE10hipError_tPvRmT2_T3_mT4_T5_T6_T7_T8_P12ihipStream_tbENKUlT_T0_E_clISt17integral_constantIbLb0EESY_EEDaST_SU_EUlST_E_NS1_11comp_targetILNS1_3genE10ELNS1_11target_archE1201ELNS1_3gpuE5ELNS1_3repE0EEENS1_30default_config_static_selectorELNS0_4arch9wavefront6targetE0EEEvT1_.uses_vcc, 0
	.set _ZN7rocprim17ROCPRIM_400000_NS6detail17trampoline_kernelINS0_14default_configENS1_33run_length_encode_config_selectorIljNS0_4plusIjEEEEZZNS1_33reduce_by_key_impl_wrapped_configILNS1_25lookback_scan_determinismE0ES3_S7_PKlNS0_17constant_iteratorIjlEEPlSE_SE_S6_NS0_8equal_toIlEEEE10hipError_tPvRmT2_T3_mT4_T5_T6_T7_T8_P12ihipStream_tbENKUlT_T0_E_clISt17integral_constantIbLb0EESY_EEDaST_SU_EUlST_E_NS1_11comp_targetILNS1_3genE10ELNS1_11target_archE1201ELNS1_3gpuE5ELNS1_3repE0EEENS1_30default_config_static_selectorELNS0_4arch9wavefront6targetE0EEEvT1_.uses_flat_scratch, 0
	.set _ZN7rocprim17ROCPRIM_400000_NS6detail17trampoline_kernelINS0_14default_configENS1_33run_length_encode_config_selectorIljNS0_4plusIjEEEEZZNS1_33reduce_by_key_impl_wrapped_configILNS1_25lookback_scan_determinismE0ES3_S7_PKlNS0_17constant_iteratorIjlEEPlSE_SE_S6_NS0_8equal_toIlEEEE10hipError_tPvRmT2_T3_mT4_T5_T6_T7_T8_P12ihipStream_tbENKUlT_T0_E_clISt17integral_constantIbLb0EESY_EEDaST_SU_EUlST_E_NS1_11comp_targetILNS1_3genE10ELNS1_11target_archE1201ELNS1_3gpuE5ELNS1_3repE0EEENS1_30default_config_static_selectorELNS0_4arch9wavefront6targetE0EEEvT1_.has_dyn_sized_stack, 0
	.set _ZN7rocprim17ROCPRIM_400000_NS6detail17trampoline_kernelINS0_14default_configENS1_33run_length_encode_config_selectorIljNS0_4plusIjEEEEZZNS1_33reduce_by_key_impl_wrapped_configILNS1_25lookback_scan_determinismE0ES3_S7_PKlNS0_17constant_iteratorIjlEEPlSE_SE_S6_NS0_8equal_toIlEEEE10hipError_tPvRmT2_T3_mT4_T5_T6_T7_T8_P12ihipStream_tbENKUlT_T0_E_clISt17integral_constantIbLb0EESY_EEDaST_SU_EUlST_E_NS1_11comp_targetILNS1_3genE10ELNS1_11target_archE1201ELNS1_3gpuE5ELNS1_3repE0EEENS1_30default_config_static_selectorELNS0_4arch9wavefront6targetE0EEEvT1_.has_recursion, 0
	.set _ZN7rocprim17ROCPRIM_400000_NS6detail17trampoline_kernelINS0_14default_configENS1_33run_length_encode_config_selectorIljNS0_4plusIjEEEEZZNS1_33reduce_by_key_impl_wrapped_configILNS1_25lookback_scan_determinismE0ES3_S7_PKlNS0_17constant_iteratorIjlEEPlSE_SE_S6_NS0_8equal_toIlEEEE10hipError_tPvRmT2_T3_mT4_T5_T6_T7_T8_P12ihipStream_tbENKUlT_T0_E_clISt17integral_constantIbLb0EESY_EEDaST_SU_EUlST_E_NS1_11comp_targetILNS1_3genE10ELNS1_11target_archE1201ELNS1_3gpuE5ELNS1_3repE0EEENS1_30default_config_static_selectorELNS0_4arch9wavefront6targetE0EEEvT1_.has_indirect_call, 0
	.section	.AMDGPU.csdata,"",@progbits
; Kernel info:
; codeLenInByte = 0
; TotalNumSgprs: 0
; NumVgprs: 0
; ScratchSize: 0
; MemoryBound: 0
; FloatMode: 240
; IeeeMode: 1
; LDSByteSize: 0 bytes/workgroup (compile time only)
; SGPRBlocks: 0
; VGPRBlocks: 0
; NumSGPRsForWavesPerEU: 1
; NumVGPRsForWavesPerEU: 1
; NamedBarCnt: 0
; Occupancy: 16
; WaveLimiterHint : 0
; COMPUTE_PGM_RSRC2:SCRATCH_EN: 0
; COMPUTE_PGM_RSRC2:USER_SGPR: 2
; COMPUTE_PGM_RSRC2:TRAP_HANDLER: 0
; COMPUTE_PGM_RSRC2:TGID_X_EN: 1
; COMPUTE_PGM_RSRC2:TGID_Y_EN: 0
; COMPUTE_PGM_RSRC2:TGID_Z_EN: 0
; COMPUTE_PGM_RSRC2:TIDIG_COMP_CNT: 0
	.section	.text._ZN7rocprim17ROCPRIM_400000_NS6detail17trampoline_kernelINS0_14default_configENS1_33run_length_encode_config_selectorIljNS0_4plusIjEEEEZZNS1_33reduce_by_key_impl_wrapped_configILNS1_25lookback_scan_determinismE0ES3_S7_PKlNS0_17constant_iteratorIjlEEPlSE_SE_S6_NS0_8equal_toIlEEEE10hipError_tPvRmT2_T3_mT4_T5_T6_T7_T8_P12ihipStream_tbENKUlT_T0_E_clISt17integral_constantIbLb0EESY_EEDaST_SU_EUlST_E_NS1_11comp_targetILNS1_3genE10ELNS1_11target_archE1200ELNS1_3gpuE4ELNS1_3repE0EEENS1_30default_config_static_selectorELNS0_4arch9wavefront6targetE0EEEvT1_,"axG",@progbits,_ZN7rocprim17ROCPRIM_400000_NS6detail17trampoline_kernelINS0_14default_configENS1_33run_length_encode_config_selectorIljNS0_4plusIjEEEEZZNS1_33reduce_by_key_impl_wrapped_configILNS1_25lookback_scan_determinismE0ES3_S7_PKlNS0_17constant_iteratorIjlEEPlSE_SE_S6_NS0_8equal_toIlEEEE10hipError_tPvRmT2_T3_mT4_T5_T6_T7_T8_P12ihipStream_tbENKUlT_T0_E_clISt17integral_constantIbLb0EESY_EEDaST_SU_EUlST_E_NS1_11comp_targetILNS1_3genE10ELNS1_11target_archE1200ELNS1_3gpuE4ELNS1_3repE0EEENS1_30default_config_static_selectorELNS0_4arch9wavefront6targetE0EEEvT1_,comdat
	.protected	_ZN7rocprim17ROCPRIM_400000_NS6detail17trampoline_kernelINS0_14default_configENS1_33run_length_encode_config_selectorIljNS0_4plusIjEEEEZZNS1_33reduce_by_key_impl_wrapped_configILNS1_25lookback_scan_determinismE0ES3_S7_PKlNS0_17constant_iteratorIjlEEPlSE_SE_S6_NS0_8equal_toIlEEEE10hipError_tPvRmT2_T3_mT4_T5_T6_T7_T8_P12ihipStream_tbENKUlT_T0_E_clISt17integral_constantIbLb0EESY_EEDaST_SU_EUlST_E_NS1_11comp_targetILNS1_3genE10ELNS1_11target_archE1200ELNS1_3gpuE4ELNS1_3repE0EEENS1_30default_config_static_selectorELNS0_4arch9wavefront6targetE0EEEvT1_ ; -- Begin function _ZN7rocprim17ROCPRIM_400000_NS6detail17trampoline_kernelINS0_14default_configENS1_33run_length_encode_config_selectorIljNS0_4plusIjEEEEZZNS1_33reduce_by_key_impl_wrapped_configILNS1_25lookback_scan_determinismE0ES3_S7_PKlNS0_17constant_iteratorIjlEEPlSE_SE_S6_NS0_8equal_toIlEEEE10hipError_tPvRmT2_T3_mT4_T5_T6_T7_T8_P12ihipStream_tbENKUlT_T0_E_clISt17integral_constantIbLb0EESY_EEDaST_SU_EUlST_E_NS1_11comp_targetILNS1_3genE10ELNS1_11target_archE1200ELNS1_3gpuE4ELNS1_3repE0EEENS1_30default_config_static_selectorELNS0_4arch9wavefront6targetE0EEEvT1_
	.globl	_ZN7rocprim17ROCPRIM_400000_NS6detail17trampoline_kernelINS0_14default_configENS1_33run_length_encode_config_selectorIljNS0_4plusIjEEEEZZNS1_33reduce_by_key_impl_wrapped_configILNS1_25lookback_scan_determinismE0ES3_S7_PKlNS0_17constant_iteratorIjlEEPlSE_SE_S6_NS0_8equal_toIlEEEE10hipError_tPvRmT2_T3_mT4_T5_T6_T7_T8_P12ihipStream_tbENKUlT_T0_E_clISt17integral_constantIbLb0EESY_EEDaST_SU_EUlST_E_NS1_11comp_targetILNS1_3genE10ELNS1_11target_archE1200ELNS1_3gpuE4ELNS1_3repE0EEENS1_30default_config_static_selectorELNS0_4arch9wavefront6targetE0EEEvT1_
	.p2align	8
	.type	_ZN7rocprim17ROCPRIM_400000_NS6detail17trampoline_kernelINS0_14default_configENS1_33run_length_encode_config_selectorIljNS0_4plusIjEEEEZZNS1_33reduce_by_key_impl_wrapped_configILNS1_25lookback_scan_determinismE0ES3_S7_PKlNS0_17constant_iteratorIjlEEPlSE_SE_S6_NS0_8equal_toIlEEEE10hipError_tPvRmT2_T3_mT4_T5_T6_T7_T8_P12ihipStream_tbENKUlT_T0_E_clISt17integral_constantIbLb0EESY_EEDaST_SU_EUlST_E_NS1_11comp_targetILNS1_3genE10ELNS1_11target_archE1200ELNS1_3gpuE4ELNS1_3repE0EEENS1_30default_config_static_selectorELNS0_4arch9wavefront6targetE0EEEvT1_,@function
_ZN7rocprim17ROCPRIM_400000_NS6detail17trampoline_kernelINS0_14default_configENS1_33run_length_encode_config_selectorIljNS0_4plusIjEEEEZZNS1_33reduce_by_key_impl_wrapped_configILNS1_25lookback_scan_determinismE0ES3_S7_PKlNS0_17constant_iteratorIjlEEPlSE_SE_S6_NS0_8equal_toIlEEEE10hipError_tPvRmT2_T3_mT4_T5_T6_T7_T8_P12ihipStream_tbENKUlT_T0_E_clISt17integral_constantIbLb0EESY_EEDaST_SU_EUlST_E_NS1_11comp_targetILNS1_3genE10ELNS1_11target_archE1200ELNS1_3gpuE4ELNS1_3repE0EEENS1_30default_config_static_selectorELNS0_4arch9wavefront6targetE0EEEvT1_: ; @_ZN7rocprim17ROCPRIM_400000_NS6detail17trampoline_kernelINS0_14default_configENS1_33run_length_encode_config_selectorIljNS0_4plusIjEEEEZZNS1_33reduce_by_key_impl_wrapped_configILNS1_25lookback_scan_determinismE0ES3_S7_PKlNS0_17constant_iteratorIjlEEPlSE_SE_S6_NS0_8equal_toIlEEEE10hipError_tPvRmT2_T3_mT4_T5_T6_T7_T8_P12ihipStream_tbENKUlT_T0_E_clISt17integral_constantIbLb0EESY_EEDaST_SU_EUlST_E_NS1_11comp_targetILNS1_3genE10ELNS1_11target_archE1200ELNS1_3gpuE4ELNS1_3repE0EEENS1_30default_config_static_selectorELNS0_4arch9wavefront6targetE0EEEvT1_
; %bb.0:
	.section	.rodata,"a",@progbits
	.p2align	6, 0x0
	.amdhsa_kernel _ZN7rocprim17ROCPRIM_400000_NS6detail17trampoline_kernelINS0_14default_configENS1_33run_length_encode_config_selectorIljNS0_4plusIjEEEEZZNS1_33reduce_by_key_impl_wrapped_configILNS1_25lookback_scan_determinismE0ES3_S7_PKlNS0_17constant_iteratorIjlEEPlSE_SE_S6_NS0_8equal_toIlEEEE10hipError_tPvRmT2_T3_mT4_T5_T6_T7_T8_P12ihipStream_tbENKUlT_T0_E_clISt17integral_constantIbLb0EESY_EEDaST_SU_EUlST_E_NS1_11comp_targetILNS1_3genE10ELNS1_11target_archE1200ELNS1_3gpuE4ELNS1_3repE0EEENS1_30default_config_static_selectorELNS0_4arch9wavefront6targetE0EEEvT1_
		.amdhsa_group_segment_fixed_size 0
		.amdhsa_private_segment_fixed_size 0
		.amdhsa_kernarg_size 128
		.amdhsa_user_sgpr_count 2
		.amdhsa_user_sgpr_dispatch_ptr 0
		.amdhsa_user_sgpr_queue_ptr 0
		.amdhsa_user_sgpr_kernarg_segment_ptr 1
		.amdhsa_user_sgpr_dispatch_id 0
		.amdhsa_user_sgpr_kernarg_preload_length 0
		.amdhsa_user_sgpr_kernarg_preload_offset 0
		.amdhsa_user_sgpr_private_segment_size 0
		.amdhsa_wavefront_size32 1
		.amdhsa_uses_dynamic_stack 0
		.amdhsa_enable_private_segment 0
		.amdhsa_system_sgpr_workgroup_id_x 1
		.amdhsa_system_sgpr_workgroup_id_y 0
		.amdhsa_system_sgpr_workgroup_id_z 0
		.amdhsa_system_sgpr_workgroup_info 0
		.amdhsa_system_vgpr_workitem_id 0
		.amdhsa_next_free_vgpr 1
		.amdhsa_next_free_sgpr 1
		.amdhsa_named_barrier_count 0
		.amdhsa_reserve_vcc 0
		.amdhsa_float_round_mode_32 0
		.amdhsa_float_round_mode_16_64 0
		.amdhsa_float_denorm_mode_32 3
		.amdhsa_float_denorm_mode_16_64 3
		.amdhsa_fp16_overflow 0
		.amdhsa_memory_ordered 1
		.amdhsa_forward_progress 1
		.amdhsa_inst_pref_size 0
		.amdhsa_round_robin_scheduling 0
		.amdhsa_exception_fp_ieee_invalid_op 0
		.amdhsa_exception_fp_denorm_src 0
		.amdhsa_exception_fp_ieee_div_zero 0
		.amdhsa_exception_fp_ieee_overflow 0
		.amdhsa_exception_fp_ieee_underflow 0
		.amdhsa_exception_fp_ieee_inexact 0
		.amdhsa_exception_int_div_zero 0
	.end_amdhsa_kernel
	.section	.text._ZN7rocprim17ROCPRIM_400000_NS6detail17trampoline_kernelINS0_14default_configENS1_33run_length_encode_config_selectorIljNS0_4plusIjEEEEZZNS1_33reduce_by_key_impl_wrapped_configILNS1_25lookback_scan_determinismE0ES3_S7_PKlNS0_17constant_iteratorIjlEEPlSE_SE_S6_NS0_8equal_toIlEEEE10hipError_tPvRmT2_T3_mT4_T5_T6_T7_T8_P12ihipStream_tbENKUlT_T0_E_clISt17integral_constantIbLb0EESY_EEDaST_SU_EUlST_E_NS1_11comp_targetILNS1_3genE10ELNS1_11target_archE1200ELNS1_3gpuE4ELNS1_3repE0EEENS1_30default_config_static_selectorELNS0_4arch9wavefront6targetE0EEEvT1_,"axG",@progbits,_ZN7rocprim17ROCPRIM_400000_NS6detail17trampoline_kernelINS0_14default_configENS1_33run_length_encode_config_selectorIljNS0_4plusIjEEEEZZNS1_33reduce_by_key_impl_wrapped_configILNS1_25lookback_scan_determinismE0ES3_S7_PKlNS0_17constant_iteratorIjlEEPlSE_SE_S6_NS0_8equal_toIlEEEE10hipError_tPvRmT2_T3_mT4_T5_T6_T7_T8_P12ihipStream_tbENKUlT_T0_E_clISt17integral_constantIbLb0EESY_EEDaST_SU_EUlST_E_NS1_11comp_targetILNS1_3genE10ELNS1_11target_archE1200ELNS1_3gpuE4ELNS1_3repE0EEENS1_30default_config_static_selectorELNS0_4arch9wavefront6targetE0EEEvT1_,comdat
.Lfunc_end517:
	.size	_ZN7rocprim17ROCPRIM_400000_NS6detail17trampoline_kernelINS0_14default_configENS1_33run_length_encode_config_selectorIljNS0_4plusIjEEEEZZNS1_33reduce_by_key_impl_wrapped_configILNS1_25lookback_scan_determinismE0ES3_S7_PKlNS0_17constant_iteratorIjlEEPlSE_SE_S6_NS0_8equal_toIlEEEE10hipError_tPvRmT2_T3_mT4_T5_T6_T7_T8_P12ihipStream_tbENKUlT_T0_E_clISt17integral_constantIbLb0EESY_EEDaST_SU_EUlST_E_NS1_11comp_targetILNS1_3genE10ELNS1_11target_archE1200ELNS1_3gpuE4ELNS1_3repE0EEENS1_30default_config_static_selectorELNS0_4arch9wavefront6targetE0EEEvT1_, .Lfunc_end517-_ZN7rocprim17ROCPRIM_400000_NS6detail17trampoline_kernelINS0_14default_configENS1_33run_length_encode_config_selectorIljNS0_4plusIjEEEEZZNS1_33reduce_by_key_impl_wrapped_configILNS1_25lookback_scan_determinismE0ES3_S7_PKlNS0_17constant_iteratorIjlEEPlSE_SE_S6_NS0_8equal_toIlEEEE10hipError_tPvRmT2_T3_mT4_T5_T6_T7_T8_P12ihipStream_tbENKUlT_T0_E_clISt17integral_constantIbLb0EESY_EEDaST_SU_EUlST_E_NS1_11comp_targetILNS1_3genE10ELNS1_11target_archE1200ELNS1_3gpuE4ELNS1_3repE0EEENS1_30default_config_static_selectorELNS0_4arch9wavefront6targetE0EEEvT1_
                                        ; -- End function
	.set _ZN7rocprim17ROCPRIM_400000_NS6detail17trampoline_kernelINS0_14default_configENS1_33run_length_encode_config_selectorIljNS0_4plusIjEEEEZZNS1_33reduce_by_key_impl_wrapped_configILNS1_25lookback_scan_determinismE0ES3_S7_PKlNS0_17constant_iteratorIjlEEPlSE_SE_S6_NS0_8equal_toIlEEEE10hipError_tPvRmT2_T3_mT4_T5_T6_T7_T8_P12ihipStream_tbENKUlT_T0_E_clISt17integral_constantIbLb0EESY_EEDaST_SU_EUlST_E_NS1_11comp_targetILNS1_3genE10ELNS1_11target_archE1200ELNS1_3gpuE4ELNS1_3repE0EEENS1_30default_config_static_selectorELNS0_4arch9wavefront6targetE0EEEvT1_.num_vgpr, 0
	.set _ZN7rocprim17ROCPRIM_400000_NS6detail17trampoline_kernelINS0_14default_configENS1_33run_length_encode_config_selectorIljNS0_4plusIjEEEEZZNS1_33reduce_by_key_impl_wrapped_configILNS1_25lookback_scan_determinismE0ES3_S7_PKlNS0_17constant_iteratorIjlEEPlSE_SE_S6_NS0_8equal_toIlEEEE10hipError_tPvRmT2_T3_mT4_T5_T6_T7_T8_P12ihipStream_tbENKUlT_T0_E_clISt17integral_constantIbLb0EESY_EEDaST_SU_EUlST_E_NS1_11comp_targetILNS1_3genE10ELNS1_11target_archE1200ELNS1_3gpuE4ELNS1_3repE0EEENS1_30default_config_static_selectorELNS0_4arch9wavefront6targetE0EEEvT1_.num_agpr, 0
	.set _ZN7rocprim17ROCPRIM_400000_NS6detail17trampoline_kernelINS0_14default_configENS1_33run_length_encode_config_selectorIljNS0_4plusIjEEEEZZNS1_33reduce_by_key_impl_wrapped_configILNS1_25lookback_scan_determinismE0ES3_S7_PKlNS0_17constant_iteratorIjlEEPlSE_SE_S6_NS0_8equal_toIlEEEE10hipError_tPvRmT2_T3_mT4_T5_T6_T7_T8_P12ihipStream_tbENKUlT_T0_E_clISt17integral_constantIbLb0EESY_EEDaST_SU_EUlST_E_NS1_11comp_targetILNS1_3genE10ELNS1_11target_archE1200ELNS1_3gpuE4ELNS1_3repE0EEENS1_30default_config_static_selectorELNS0_4arch9wavefront6targetE0EEEvT1_.numbered_sgpr, 0
	.set _ZN7rocprim17ROCPRIM_400000_NS6detail17trampoline_kernelINS0_14default_configENS1_33run_length_encode_config_selectorIljNS0_4plusIjEEEEZZNS1_33reduce_by_key_impl_wrapped_configILNS1_25lookback_scan_determinismE0ES3_S7_PKlNS0_17constant_iteratorIjlEEPlSE_SE_S6_NS0_8equal_toIlEEEE10hipError_tPvRmT2_T3_mT4_T5_T6_T7_T8_P12ihipStream_tbENKUlT_T0_E_clISt17integral_constantIbLb0EESY_EEDaST_SU_EUlST_E_NS1_11comp_targetILNS1_3genE10ELNS1_11target_archE1200ELNS1_3gpuE4ELNS1_3repE0EEENS1_30default_config_static_selectorELNS0_4arch9wavefront6targetE0EEEvT1_.num_named_barrier, 0
	.set _ZN7rocprim17ROCPRIM_400000_NS6detail17trampoline_kernelINS0_14default_configENS1_33run_length_encode_config_selectorIljNS0_4plusIjEEEEZZNS1_33reduce_by_key_impl_wrapped_configILNS1_25lookback_scan_determinismE0ES3_S7_PKlNS0_17constant_iteratorIjlEEPlSE_SE_S6_NS0_8equal_toIlEEEE10hipError_tPvRmT2_T3_mT4_T5_T6_T7_T8_P12ihipStream_tbENKUlT_T0_E_clISt17integral_constantIbLb0EESY_EEDaST_SU_EUlST_E_NS1_11comp_targetILNS1_3genE10ELNS1_11target_archE1200ELNS1_3gpuE4ELNS1_3repE0EEENS1_30default_config_static_selectorELNS0_4arch9wavefront6targetE0EEEvT1_.private_seg_size, 0
	.set _ZN7rocprim17ROCPRIM_400000_NS6detail17trampoline_kernelINS0_14default_configENS1_33run_length_encode_config_selectorIljNS0_4plusIjEEEEZZNS1_33reduce_by_key_impl_wrapped_configILNS1_25lookback_scan_determinismE0ES3_S7_PKlNS0_17constant_iteratorIjlEEPlSE_SE_S6_NS0_8equal_toIlEEEE10hipError_tPvRmT2_T3_mT4_T5_T6_T7_T8_P12ihipStream_tbENKUlT_T0_E_clISt17integral_constantIbLb0EESY_EEDaST_SU_EUlST_E_NS1_11comp_targetILNS1_3genE10ELNS1_11target_archE1200ELNS1_3gpuE4ELNS1_3repE0EEENS1_30default_config_static_selectorELNS0_4arch9wavefront6targetE0EEEvT1_.uses_vcc, 0
	.set _ZN7rocprim17ROCPRIM_400000_NS6detail17trampoline_kernelINS0_14default_configENS1_33run_length_encode_config_selectorIljNS0_4plusIjEEEEZZNS1_33reduce_by_key_impl_wrapped_configILNS1_25lookback_scan_determinismE0ES3_S7_PKlNS0_17constant_iteratorIjlEEPlSE_SE_S6_NS0_8equal_toIlEEEE10hipError_tPvRmT2_T3_mT4_T5_T6_T7_T8_P12ihipStream_tbENKUlT_T0_E_clISt17integral_constantIbLb0EESY_EEDaST_SU_EUlST_E_NS1_11comp_targetILNS1_3genE10ELNS1_11target_archE1200ELNS1_3gpuE4ELNS1_3repE0EEENS1_30default_config_static_selectorELNS0_4arch9wavefront6targetE0EEEvT1_.uses_flat_scratch, 0
	.set _ZN7rocprim17ROCPRIM_400000_NS6detail17trampoline_kernelINS0_14default_configENS1_33run_length_encode_config_selectorIljNS0_4plusIjEEEEZZNS1_33reduce_by_key_impl_wrapped_configILNS1_25lookback_scan_determinismE0ES3_S7_PKlNS0_17constant_iteratorIjlEEPlSE_SE_S6_NS0_8equal_toIlEEEE10hipError_tPvRmT2_T3_mT4_T5_T6_T7_T8_P12ihipStream_tbENKUlT_T0_E_clISt17integral_constantIbLb0EESY_EEDaST_SU_EUlST_E_NS1_11comp_targetILNS1_3genE10ELNS1_11target_archE1200ELNS1_3gpuE4ELNS1_3repE0EEENS1_30default_config_static_selectorELNS0_4arch9wavefront6targetE0EEEvT1_.has_dyn_sized_stack, 0
	.set _ZN7rocprim17ROCPRIM_400000_NS6detail17trampoline_kernelINS0_14default_configENS1_33run_length_encode_config_selectorIljNS0_4plusIjEEEEZZNS1_33reduce_by_key_impl_wrapped_configILNS1_25lookback_scan_determinismE0ES3_S7_PKlNS0_17constant_iteratorIjlEEPlSE_SE_S6_NS0_8equal_toIlEEEE10hipError_tPvRmT2_T3_mT4_T5_T6_T7_T8_P12ihipStream_tbENKUlT_T0_E_clISt17integral_constantIbLb0EESY_EEDaST_SU_EUlST_E_NS1_11comp_targetILNS1_3genE10ELNS1_11target_archE1200ELNS1_3gpuE4ELNS1_3repE0EEENS1_30default_config_static_selectorELNS0_4arch9wavefront6targetE0EEEvT1_.has_recursion, 0
	.set _ZN7rocprim17ROCPRIM_400000_NS6detail17trampoline_kernelINS0_14default_configENS1_33run_length_encode_config_selectorIljNS0_4plusIjEEEEZZNS1_33reduce_by_key_impl_wrapped_configILNS1_25lookback_scan_determinismE0ES3_S7_PKlNS0_17constant_iteratorIjlEEPlSE_SE_S6_NS0_8equal_toIlEEEE10hipError_tPvRmT2_T3_mT4_T5_T6_T7_T8_P12ihipStream_tbENKUlT_T0_E_clISt17integral_constantIbLb0EESY_EEDaST_SU_EUlST_E_NS1_11comp_targetILNS1_3genE10ELNS1_11target_archE1200ELNS1_3gpuE4ELNS1_3repE0EEENS1_30default_config_static_selectorELNS0_4arch9wavefront6targetE0EEEvT1_.has_indirect_call, 0
	.section	.AMDGPU.csdata,"",@progbits
; Kernel info:
; codeLenInByte = 0
; TotalNumSgprs: 0
; NumVgprs: 0
; ScratchSize: 0
; MemoryBound: 0
; FloatMode: 240
; IeeeMode: 1
; LDSByteSize: 0 bytes/workgroup (compile time only)
; SGPRBlocks: 0
; VGPRBlocks: 0
; NumSGPRsForWavesPerEU: 1
; NumVGPRsForWavesPerEU: 1
; NamedBarCnt: 0
; Occupancy: 16
; WaveLimiterHint : 0
; COMPUTE_PGM_RSRC2:SCRATCH_EN: 0
; COMPUTE_PGM_RSRC2:USER_SGPR: 2
; COMPUTE_PGM_RSRC2:TRAP_HANDLER: 0
; COMPUTE_PGM_RSRC2:TGID_X_EN: 1
; COMPUTE_PGM_RSRC2:TGID_Y_EN: 0
; COMPUTE_PGM_RSRC2:TGID_Z_EN: 0
; COMPUTE_PGM_RSRC2:TIDIG_COMP_CNT: 0
	.section	.text._ZN7rocprim17ROCPRIM_400000_NS6detail17trampoline_kernelINS0_14default_configENS1_33run_length_encode_config_selectorIljNS0_4plusIjEEEEZZNS1_33reduce_by_key_impl_wrapped_configILNS1_25lookback_scan_determinismE0ES3_S7_PKlNS0_17constant_iteratorIjlEEPlSE_SE_S6_NS0_8equal_toIlEEEE10hipError_tPvRmT2_T3_mT4_T5_T6_T7_T8_P12ihipStream_tbENKUlT_T0_E_clISt17integral_constantIbLb0EESY_EEDaST_SU_EUlST_E_NS1_11comp_targetILNS1_3genE9ELNS1_11target_archE1100ELNS1_3gpuE3ELNS1_3repE0EEENS1_30default_config_static_selectorELNS0_4arch9wavefront6targetE0EEEvT1_,"axG",@progbits,_ZN7rocprim17ROCPRIM_400000_NS6detail17trampoline_kernelINS0_14default_configENS1_33run_length_encode_config_selectorIljNS0_4plusIjEEEEZZNS1_33reduce_by_key_impl_wrapped_configILNS1_25lookback_scan_determinismE0ES3_S7_PKlNS0_17constant_iteratorIjlEEPlSE_SE_S6_NS0_8equal_toIlEEEE10hipError_tPvRmT2_T3_mT4_T5_T6_T7_T8_P12ihipStream_tbENKUlT_T0_E_clISt17integral_constantIbLb0EESY_EEDaST_SU_EUlST_E_NS1_11comp_targetILNS1_3genE9ELNS1_11target_archE1100ELNS1_3gpuE3ELNS1_3repE0EEENS1_30default_config_static_selectorELNS0_4arch9wavefront6targetE0EEEvT1_,comdat
	.protected	_ZN7rocprim17ROCPRIM_400000_NS6detail17trampoline_kernelINS0_14default_configENS1_33run_length_encode_config_selectorIljNS0_4plusIjEEEEZZNS1_33reduce_by_key_impl_wrapped_configILNS1_25lookback_scan_determinismE0ES3_S7_PKlNS0_17constant_iteratorIjlEEPlSE_SE_S6_NS0_8equal_toIlEEEE10hipError_tPvRmT2_T3_mT4_T5_T6_T7_T8_P12ihipStream_tbENKUlT_T0_E_clISt17integral_constantIbLb0EESY_EEDaST_SU_EUlST_E_NS1_11comp_targetILNS1_3genE9ELNS1_11target_archE1100ELNS1_3gpuE3ELNS1_3repE0EEENS1_30default_config_static_selectorELNS0_4arch9wavefront6targetE0EEEvT1_ ; -- Begin function _ZN7rocprim17ROCPRIM_400000_NS6detail17trampoline_kernelINS0_14default_configENS1_33run_length_encode_config_selectorIljNS0_4plusIjEEEEZZNS1_33reduce_by_key_impl_wrapped_configILNS1_25lookback_scan_determinismE0ES3_S7_PKlNS0_17constant_iteratorIjlEEPlSE_SE_S6_NS0_8equal_toIlEEEE10hipError_tPvRmT2_T3_mT4_T5_T6_T7_T8_P12ihipStream_tbENKUlT_T0_E_clISt17integral_constantIbLb0EESY_EEDaST_SU_EUlST_E_NS1_11comp_targetILNS1_3genE9ELNS1_11target_archE1100ELNS1_3gpuE3ELNS1_3repE0EEENS1_30default_config_static_selectorELNS0_4arch9wavefront6targetE0EEEvT1_
	.globl	_ZN7rocprim17ROCPRIM_400000_NS6detail17trampoline_kernelINS0_14default_configENS1_33run_length_encode_config_selectorIljNS0_4plusIjEEEEZZNS1_33reduce_by_key_impl_wrapped_configILNS1_25lookback_scan_determinismE0ES3_S7_PKlNS0_17constant_iteratorIjlEEPlSE_SE_S6_NS0_8equal_toIlEEEE10hipError_tPvRmT2_T3_mT4_T5_T6_T7_T8_P12ihipStream_tbENKUlT_T0_E_clISt17integral_constantIbLb0EESY_EEDaST_SU_EUlST_E_NS1_11comp_targetILNS1_3genE9ELNS1_11target_archE1100ELNS1_3gpuE3ELNS1_3repE0EEENS1_30default_config_static_selectorELNS0_4arch9wavefront6targetE0EEEvT1_
	.p2align	8
	.type	_ZN7rocprim17ROCPRIM_400000_NS6detail17trampoline_kernelINS0_14default_configENS1_33run_length_encode_config_selectorIljNS0_4plusIjEEEEZZNS1_33reduce_by_key_impl_wrapped_configILNS1_25lookback_scan_determinismE0ES3_S7_PKlNS0_17constant_iteratorIjlEEPlSE_SE_S6_NS0_8equal_toIlEEEE10hipError_tPvRmT2_T3_mT4_T5_T6_T7_T8_P12ihipStream_tbENKUlT_T0_E_clISt17integral_constantIbLb0EESY_EEDaST_SU_EUlST_E_NS1_11comp_targetILNS1_3genE9ELNS1_11target_archE1100ELNS1_3gpuE3ELNS1_3repE0EEENS1_30default_config_static_selectorELNS0_4arch9wavefront6targetE0EEEvT1_,@function
_ZN7rocprim17ROCPRIM_400000_NS6detail17trampoline_kernelINS0_14default_configENS1_33run_length_encode_config_selectorIljNS0_4plusIjEEEEZZNS1_33reduce_by_key_impl_wrapped_configILNS1_25lookback_scan_determinismE0ES3_S7_PKlNS0_17constant_iteratorIjlEEPlSE_SE_S6_NS0_8equal_toIlEEEE10hipError_tPvRmT2_T3_mT4_T5_T6_T7_T8_P12ihipStream_tbENKUlT_T0_E_clISt17integral_constantIbLb0EESY_EEDaST_SU_EUlST_E_NS1_11comp_targetILNS1_3genE9ELNS1_11target_archE1100ELNS1_3gpuE3ELNS1_3repE0EEENS1_30default_config_static_selectorELNS0_4arch9wavefront6targetE0EEEvT1_: ; @_ZN7rocprim17ROCPRIM_400000_NS6detail17trampoline_kernelINS0_14default_configENS1_33run_length_encode_config_selectorIljNS0_4plusIjEEEEZZNS1_33reduce_by_key_impl_wrapped_configILNS1_25lookback_scan_determinismE0ES3_S7_PKlNS0_17constant_iteratorIjlEEPlSE_SE_S6_NS0_8equal_toIlEEEE10hipError_tPvRmT2_T3_mT4_T5_T6_T7_T8_P12ihipStream_tbENKUlT_T0_E_clISt17integral_constantIbLb0EESY_EEDaST_SU_EUlST_E_NS1_11comp_targetILNS1_3genE9ELNS1_11target_archE1100ELNS1_3gpuE3ELNS1_3repE0EEENS1_30default_config_static_selectorELNS0_4arch9wavefront6targetE0EEEvT1_
; %bb.0:
	.section	.rodata,"a",@progbits
	.p2align	6, 0x0
	.amdhsa_kernel _ZN7rocprim17ROCPRIM_400000_NS6detail17trampoline_kernelINS0_14default_configENS1_33run_length_encode_config_selectorIljNS0_4plusIjEEEEZZNS1_33reduce_by_key_impl_wrapped_configILNS1_25lookback_scan_determinismE0ES3_S7_PKlNS0_17constant_iteratorIjlEEPlSE_SE_S6_NS0_8equal_toIlEEEE10hipError_tPvRmT2_T3_mT4_T5_T6_T7_T8_P12ihipStream_tbENKUlT_T0_E_clISt17integral_constantIbLb0EESY_EEDaST_SU_EUlST_E_NS1_11comp_targetILNS1_3genE9ELNS1_11target_archE1100ELNS1_3gpuE3ELNS1_3repE0EEENS1_30default_config_static_selectorELNS0_4arch9wavefront6targetE0EEEvT1_
		.amdhsa_group_segment_fixed_size 0
		.amdhsa_private_segment_fixed_size 0
		.amdhsa_kernarg_size 128
		.amdhsa_user_sgpr_count 2
		.amdhsa_user_sgpr_dispatch_ptr 0
		.amdhsa_user_sgpr_queue_ptr 0
		.amdhsa_user_sgpr_kernarg_segment_ptr 1
		.amdhsa_user_sgpr_dispatch_id 0
		.amdhsa_user_sgpr_kernarg_preload_length 0
		.amdhsa_user_sgpr_kernarg_preload_offset 0
		.amdhsa_user_sgpr_private_segment_size 0
		.amdhsa_wavefront_size32 1
		.amdhsa_uses_dynamic_stack 0
		.amdhsa_enable_private_segment 0
		.amdhsa_system_sgpr_workgroup_id_x 1
		.amdhsa_system_sgpr_workgroup_id_y 0
		.amdhsa_system_sgpr_workgroup_id_z 0
		.amdhsa_system_sgpr_workgroup_info 0
		.amdhsa_system_vgpr_workitem_id 0
		.amdhsa_next_free_vgpr 1
		.amdhsa_next_free_sgpr 1
		.amdhsa_named_barrier_count 0
		.amdhsa_reserve_vcc 0
		.amdhsa_float_round_mode_32 0
		.amdhsa_float_round_mode_16_64 0
		.amdhsa_float_denorm_mode_32 3
		.amdhsa_float_denorm_mode_16_64 3
		.amdhsa_fp16_overflow 0
		.amdhsa_memory_ordered 1
		.amdhsa_forward_progress 1
		.amdhsa_inst_pref_size 0
		.amdhsa_round_robin_scheduling 0
		.amdhsa_exception_fp_ieee_invalid_op 0
		.amdhsa_exception_fp_denorm_src 0
		.amdhsa_exception_fp_ieee_div_zero 0
		.amdhsa_exception_fp_ieee_overflow 0
		.amdhsa_exception_fp_ieee_underflow 0
		.amdhsa_exception_fp_ieee_inexact 0
		.amdhsa_exception_int_div_zero 0
	.end_amdhsa_kernel
	.section	.text._ZN7rocprim17ROCPRIM_400000_NS6detail17trampoline_kernelINS0_14default_configENS1_33run_length_encode_config_selectorIljNS0_4plusIjEEEEZZNS1_33reduce_by_key_impl_wrapped_configILNS1_25lookback_scan_determinismE0ES3_S7_PKlNS0_17constant_iteratorIjlEEPlSE_SE_S6_NS0_8equal_toIlEEEE10hipError_tPvRmT2_T3_mT4_T5_T6_T7_T8_P12ihipStream_tbENKUlT_T0_E_clISt17integral_constantIbLb0EESY_EEDaST_SU_EUlST_E_NS1_11comp_targetILNS1_3genE9ELNS1_11target_archE1100ELNS1_3gpuE3ELNS1_3repE0EEENS1_30default_config_static_selectorELNS0_4arch9wavefront6targetE0EEEvT1_,"axG",@progbits,_ZN7rocprim17ROCPRIM_400000_NS6detail17trampoline_kernelINS0_14default_configENS1_33run_length_encode_config_selectorIljNS0_4plusIjEEEEZZNS1_33reduce_by_key_impl_wrapped_configILNS1_25lookback_scan_determinismE0ES3_S7_PKlNS0_17constant_iteratorIjlEEPlSE_SE_S6_NS0_8equal_toIlEEEE10hipError_tPvRmT2_T3_mT4_T5_T6_T7_T8_P12ihipStream_tbENKUlT_T0_E_clISt17integral_constantIbLb0EESY_EEDaST_SU_EUlST_E_NS1_11comp_targetILNS1_3genE9ELNS1_11target_archE1100ELNS1_3gpuE3ELNS1_3repE0EEENS1_30default_config_static_selectorELNS0_4arch9wavefront6targetE0EEEvT1_,comdat
.Lfunc_end518:
	.size	_ZN7rocprim17ROCPRIM_400000_NS6detail17trampoline_kernelINS0_14default_configENS1_33run_length_encode_config_selectorIljNS0_4plusIjEEEEZZNS1_33reduce_by_key_impl_wrapped_configILNS1_25lookback_scan_determinismE0ES3_S7_PKlNS0_17constant_iteratorIjlEEPlSE_SE_S6_NS0_8equal_toIlEEEE10hipError_tPvRmT2_T3_mT4_T5_T6_T7_T8_P12ihipStream_tbENKUlT_T0_E_clISt17integral_constantIbLb0EESY_EEDaST_SU_EUlST_E_NS1_11comp_targetILNS1_3genE9ELNS1_11target_archE1100ELNS1_3gpuE3ELNS1_3repE0EEENS1_30default_config_static_selectorELNS0_4arch9wavefront6targetE0EEEvT1_, .Lfunc_end518-_ZN7rocprim17ROCPRIM_400000_NS6detail17trampoline_kernelINS0_14default_configENS1_33run_length_encode_config_selectorIljNS0_4plusIjEEEEZZNS1_33reduce_by_key_impl_wrapped_configILNS1_25lookback_scan_determinismE0ES3_S7_PKlNS0_17constant_iteratorIjlEEPlSE_SE_S6_NS0_8equal_toIlEEEE10hipError_tPvRmT2_T3_mT4_T5_T6_T7_T8_P12ihipStream_tbENKUlT_T0_E_clISt17integral_constantIbLb0EESY_EEDaST_SU_EUlST_E_NS1_11comp_targetILNS1_3genE9ELNS1_11target_archE1100ELNS1_3gpuE3ELNS1_3repE0EEENS1_30default_config_static_selectorELNS0_4arch9wavefront6targetE0EEEvT1_
                                        ; -- End function
	.set _ZN7rocprim17ROCPRIM_400000_NS6detail17trampoline_kernelINS0_14default_configENS1_33run_length_encode_config_selectorIljNS0_4plusIjEEEEZZNS1_33reduce_by_key_impl_wrapped_configILNS1_25lookback_scan_determinismE0ES3_S7_PKlNS0_17constant_iteratorIjlEEPlSE_SE_S6_NS0_8equal_toIlEEEE10hipError_tPvRmT2_T3_mT4_T5_T6_T7_T8_P12ihipStream_tbENKUlT_T0_E_clISt17integral_constantIbLb0EESY_EEDaST_SU_EUlST_E_NS1_11comp_targetILNS1_3genE9ELNS1_11target_archE1100ELNS1_3gpuE3ELNS1_3repE0EEENS1_30default_config_static_selectorELNS0_4arch9wavefront6targetE0EEEvT1_.num_vgpr, 0
	.set _ZN7rocprim17ROCPRIM_400000_NS6detail17trampoline_kernelINS0_14default_configENS1_33run_length_encode_config_selectorIljNS0_4plusIjEEEEZZNS1_33reduce_by_key_impl_wrapped_configILNS1_25lookback_scan_determinismE0ES3_S7_PKlNS0_17constant_iteratorIjlEEPlSE_SE_S6_NS0_8equal_toIlEEEE10hipError_tPvRmT2_T3_mT4_T5_T6_T7_T8_P12ihipStream_tbENKUlT_T0_E_clISt17integral_constantIbLb0EESY_EEDaST_SU_EUlST_E_NS1_11comp_targetILNS1_3genE9ELNS1_11target_archE1100ELNS1_3gpuE3ELNS1_3repE0EEENS1_30default_config_static_selectorELNS0_4arch9wavefront6targetE0EEEvT1_.num_agpr, 0
	.set _ZN7rocprim17ROCPRIM_400000_NS6detail17trampoline_kernelINS0_14default_configENS1_33run_length_encode_config_selectorIljNS0_4plusIjEEEEZZNS1_33reduce_by_key_impl_wrapped_configILNS1_25lookback_scan_determinismE0ES3_S7_PKlNS0_17constant_iteratorIjlEEPlSE_SE_S6_NS0_8equal_toIlEEEE10hipError_tPvRmT2_T3_mT4_T5_T6_T7_T8_P12ihipStream_tbENKUlT_T0_E_clISt17integral_constantIbLb0EESY_EEDaST_SU_EUlST_E_NS1_11comp_targetILNS1_3genE9ELNS1_11target_archE1100ELNS1_3gpuE3ELNS1_3repE0EEENS1_30default_config_static_selectorELNS0_4arch9wavefront6targetE0EEEvT1_.numbered_sgpr, 0
	.set _ZN7rocprim17ROCPRIM_400000_NS6detail17trampoline_kernelINS0_14default_configENS1_33run_length_encode_config_selectorIljNS0_4plusIjEEEEZZNS1_33reduce_by_key_impl_wrapped_configILNS1_25lookback_scan_determinismE0ES3_S7_PKlNS0_17constant_iteratorIjlEEPlSE_SE_S6_NS0_8equal_toIlEEEE10hipError_tPvRmT2_T3_mT4_T5_T6_T7_T8_P12ihipStream_tbENKUlT_T0_E_clISt17integral_constantIbLb0EESY_EEDaST_SU_EUlST_E_NS1_11comp_targetILNS1_3genE9ELNS1_11target_archE1100ELNS1_3gpuE3ELNS1_3repE0EEENS1_30default_config_static_selectorELNS0_4arch9wavefront6targetE0EEEvT1_.num_named_barrier, 0
	.set _ZN7rocprim17ROCPRIM_400000_NS6detail17trampoline_kernelINS0_14default_configENS1_33run_length_encode_config_selectorIljNS0_4plusIjEEEEZZNS1_33reduce_by_key_impl_wrapped_configILNS1_25lookback_scan_determinismE0ES3_S7_PKlNS0_17constant_iteratorIjlEEPlSE_SE_S6_NS0_8equal_toIlEEEE10hipError_tPvRmT2_T3_mT4_T5_T6_T7_T8_P12ihipStream_tbENKUlT_T0_E_clISt17integral_constantIbLb0EESY_EEDaST_SU_EUlST_E_NS1_11comp_targetILNS1_3genE9ELNS1_11target_archE1100ELNS1_3gpuE3ELNS1_3repE0EEENS1_30default_config_static_selectorELNS0_4arch9wavefront6targetE0EEEvT1_.private_seg_size, 0
	.set _ZN7rocprim17ROCPRIM_400000_NS6detail17trampoline_kernelINS0_14default_configENS1_33run_length_encode_config_selectorIljNS0_4plusIjEEEEZZNS1_33reduce_by_key_impl_wrapped_configILNS1_25lookback_scan_determinismE0ES3_S7_PKlNS0_17constant_iteratorIjlEEPlSE_SE_S6_NS0_8equal_toIlEEEE10hipError_tPvRmT2_T3_mT4_T5_T6_T7_T8_P12ihipStream_tbENKUlT_T0_E_clISt17integral_constantIbLb0EESY_EEDaST_SU_EUlST_E_NS1_11comp_targetILNS1_3genE9ELNS1_11target_archE1100ELNS1_3gpuE3ELNS1_3repE0EEENS1_30default_config_static_selectorELNS0_4arch9wavefront6targetE0EEEvT1_.uses_vcc, 0
	.set _ZN7rocprim17ROCPRIM_400000_NS6detail17trampoline_kernelINS0_14default_configENS1_33run_length_encode_config_selectorIljNS0_4plusIjEEEEZZNS1_33reduce_by_key_impl_wrapped_configILNS1_25lookback_scan_determinismE0ES3_S7_PKlNS0_17constant_iteratorIjlEEPlSE_SE_S6_NS0_8equal_toIlEEEE10hipError_tPvRmT2_T3_mT4_T5_T6_T7_T8_P12ihipStream_tbENKUlT_T0_E_clISt17integral_constantIbLb0EESY_EEDaST_SU_EUlST_E_NS1_11comp_targetILNS1_3genE9ELNS1_11target_archE1100ELNS1_3gpuE3ELNS1_3repE0EEENS1_30default_config_static_selectorELNS0_4arch9wavefront6targetE0EEEvT1_.uses_flat_scratch, 0
	.set _ZN7rocprim17ROCPRIM_400000_NS6detail17trampoline_kernelINS0_14default_configENS1_33run_length_encode_config_selectorIljNS0_4plusIjEEEEZZNS1_33reduce_by_key_impl_wrapped_configILNS1_25lookback_scan_determinismE0ES3_S7_PKlNS0_17constant_iteratorIjlEEPlSE_SE_S6_NS0_8equal_toIlEEEE10hipError_tPvRmT2_T3_mT4_T5_T6_T7_T8_P12ihipStream_tbENKUlT_T0_E_clISt17integral_constantIbLb0EESY_EEDaST_SU_EUlST_E_NS1_11comp_targetILNS1_3genE9ELNS1_11target_archE1100ELNS1_3gpuE3ELNS1_3repE0EEENS1_30default_config_static_selectorELNS0_4arch9wavefront6targetE0EEEvT1_.has_dyn_sized_stack, 0
	.set _ZN7rocprim17ROCPRIM_400000_NS6detail17trampoline_kernelINS0_14default_configENS1_33run_length_encode_config_selectorIljNS0_4plusIjEEEEZZNS1_33reduce_by_key_impl_wrapped_configILNS1_25lookback_scan_determinismE0ES3_S7_PKlNS0_17constant_iteratorIjlEEPlSE_SE_S6_NS0_8equal_toIlEEEE10hipError_tPvRmT2_T3_mT4_T5_T6_T7_T8_P12ihipStream_tbENKUlT_T0_E_clISt17integral_constantIbLb0EESY_EEDaST_SU_EUlST_E_NS1_11comp_targetILNS1_3genE9ELNS1_11target_archE1100ELNS1_3gpuE3ELNS1_3repE0EEENS1_30default_config_static_selectorELNS0_4arch9wavefront6targetE0EEEvT1_.has_recursion, 0
	.set _ZN7rocprim17ROCPRIM_400000_NS6detail17trampoline_kernelINS0_14default_configENS1_33run_length_encode_config_selectorIljNS0_4plusIjEEEEZZNS1_33reduce_by_key_impl_wrapped_configILNS1_25lookback_scan_determinismE0ES3_S7_PKlNS0_17constant_iteratorIjlEEPlSE_SE_S6_NS0_8equal_toIlEEEE10hipError_tPvRmT2_T3_mT4_T5_T6_T7_T8_P12ihipStream_tbENKUlT_T0_E_clISt17integral_constantIbLb0EESY_EEDaST_SU_EUlST_E_NS1_11comp_targetILNS1_3genE9ELNS1_11target_archE1100ELNS1_3gpuE3ELNS1_3repE0EEENS1_30default_config_static_selectorELNS0_4arch9wavefront6targetE0EEEvT1_.has_indirect_call, 0
	.section	.AMDGPU.csdata,"",@progbits
; Kernel info:
; codeLenInByte = 0
; TotalNumSgprs: 0
; NumVgprs: 0
; ScratchSize: 0
; MemoryBound: 0
; FloatMode: 240
; IeeeMode: 1
; LDSByteSize: 0 bytes/workgroup (compile time only)
; SGPRBlocks: 0
; VGPRBlocks: 0
; NumSGPRsForWavesPerEU: 1
; NumVGPRsForWavesPerEU: 1
; NamedBarCnt: 0
; Occupancy: 16
; WaveLimiterHint : 0
; COMPUTE_PGM_RSRC2:SCRATCH_EN: 0
; COMPUTE_PGM_RSRC2:USER_SGPR: 2
; COMPUTE_PGM_RSRC2:TRAP_HANDLER: 0
; COMPUTE_PGM_RSRC2:TGID_X_EN: 1
; COMPUTE_PGM_RSRC2:TGID_Y_EN: 0
; COMPUTE_PGM_RSRC2:TGID_Z_EN: 0
; COMPUTE_PGM_RSRC2:TIDIG_COMP_CNT: 0
	.section	.text._ZN7rocprim17ROCPRIM_400000_NS6detail17trampoline_kernelINS0_14default_configENS1_33run_length_encode_config_selectorIljNS0_4plusIjEEEEZZNS1_33reduce_by_key_impl_wrapped_configILNS1_25lookback_scan_determinismE0ES3_S7_PKlNS0_17constant_iteratorIjlEEPlSE_SE_S6_NS0_8equal_toIlEEEE10hipError_tPvRmT2_T3_mT4_T5_T6_T7_T8_P12ihipStream_tbENKUlT_T0_E_clISt17integral_constantIbLb0EESY_EEDaST_SU_EUlST_E_NS1_11comp_targetILNS1_3genE8ELNS1_11target_archE1030ELNS1_3gpuE2ELNS1_3repE0EEENS1_30default_config_static_selectorELNS0_4arch9wavefront6targetE0EEEvT1_,"axG",@progbits,_ZN7rocprim17ROCPRIM_400000_NS6detail17trampoline_kernelINS0_14default_configENS1_33run_length_encode_config_selectorIljNS0_4plusIjEEEEZZNS1_33reduce_by_key_impl_wrapped_configILNS1_25lookback_scan_determinismE0ES3_S7_PKlNS0_17constant_iteratorIjlEEPlSE_SE_S6_NS0_8equal_toIlEEEE10hipError_tPvRmT2_T3_mT4_T5_T6_T7_T8_P12ihipStream_tbENKUlT_T0_E_clISt17integral_constantIbLb0EESY_EEDaST_SU_EUlST_E_NS1_11comp_targetILNS1_3genE8ELNS1_11target_archE1030ELNS1_3gpuE2ELNS1_3repE0EEENS1_30default_config_static_selectorELNS0_4arch9wavefront6targetE0EEEvT1_,comdat
	.protected	_ZN7rocprim17ROCPRIM_400000_NS6detail17trampoline_kernelINS0_14default_configENS1_33run_length_encode_config_selectorIljNS0_4plusIjEEEEZZNS1_33reduce_by_key_impl_wrapped_configILNS1_25lookback_scan_determinismE0ES3_S7_PKlNS0_17constant_iteratorIjlEEPlSE_SE_S6_NS0_8equal_toIlEEEE10hipError_tPvRmT2_T3_mT4_T5_T6_T7_T8_P12ihipStream_tbENKUlT_T0_E_clISt17integral_constantIbLb0EESY_EEDaST_SU_EUlST_E_NS1_11comp_targetILNS1_3genE8ELNS1_11target_archE1030ELNS1_3gpuE2ELNS1_3repE0EEENS1_30default_config_static_selectorELNS0_4arch9wavefront6targetE0EEEvT1_ ; -- Begin function _ZN7rocprim17ROCPRIM_400000_NS6detail17trampoline_kernelINS0_14default_configENS1_33run_length_encode_config_selectorIljNS0_4plusIjEEEEZZNS1_33reduce_by_key_impl_wrapped_configILNS1_25lookback_scan_determinismE0ES3_S7_PKlNS0_17constant_iteratorIjlEEPlSE_SE_S6_NS0_8equal_toIlEEEE10hipError_tPvRmT2_T3_mT4_T5_T6_T7_T8_P12ihipStream_tbENKUlT_T0_E_clISt17integral_constantIbLb0EESY_EEDaST_SU_EUlST_E_NS1_11comp_targetILNS1_3genE8ELNS1_11target_archE1030ELNS1_3gpuE2ELNS1_3repE0EEENS1_30default_config_static_selectorELNS0_4arch9wavefront6targetE0EEEvT1_
	.globl	_ZN7rocprim17ROCPRIM_400000_NS6detail17trampoline_kernelINS0_14default_configENS1_33run_length_encode_config_selectorIljNS0_4plusIjEEEEZZNS1_33reduce_by_key_impl_wrapped_configILNS1_25lookback_scan_determinismE0ES3_S7_PKlNS0_17constant_iteratorIjlEEPlSE_SE_S6_NS0_8equal_toIlEEEE10hipError_tPvRmT2_T3_mT4_T5_T6_T7_T8_P12ihipStream_tbENKUlT_T0_E_clISt17integral_constantIbLb0EESY_EEDaST_SU_EUlST_E_NS1_11comp_targetILNS1_3genE8ELNS1_11target_archE1030ELNS1_3gpuE2ELNS1_3repE0EEENS1_30default_config_static_selectorELNS0_4arch9wavefront6targetE0EEEvT1_
	.p2align	8
	.type	_ZN7rocprim17ROCPRIM_400000_NS6detail17trampoline_kernelINS0_14default_configENS1_33run_length_encode_config_selectorIljNS0_4plusIjEEEEZZNS1_33reduce_by_key_impl_wrapped_configILNS1_25lookback_scan_determinismE0ES3_S7_PKlNS0_17constant_iteratorIjlEEPlSE_SE_S6_NS0_8equal_toIlEEEE10hipError_tPvRmT2_T3_mT4_T5_T6_T7_T8_P12ihipStream_tbENKUlT_T0_E_clISt17integral_constantIbLb0EESY_EEDaST_SU_EUlST_E_NS1_11comp_targetILNS1_3genE8ELNS1_11target_archE1030ELNS1_3gpuE2ELNS1_3repE0EEENS1_30default_config_static_selectorELNS0_4arch9wavefront6targetE0EEEvT1_,@function
_ZN7rocprim17ROCPRIM_400000_NS6detail17trampoline_kernelINS0_14default_configENS1_33run_length_encode_config_selectorIljNS0_4plusIjEEEEZZNS1_33reduce_by_key_impl_wrapped_configILNS1_25lookback_scan_determinismE0ES3_S7_PKlNS0_17constant_iteratorIjlEEPlSE_SE_S6_NS0_8equal_toIlEEEE10hipError_tPvRmT2_T3_mT4_T5_T6_T7_T8_P12ihipStream_tbENKUlT_T0_E_clISt17integral_constantIbLb0EESY_EEDaST_SU_EUlST_E_NS1_11comp_targetILNS1_3genE8ELNS1_11target_archE1030ELNS1_3gpuE2ELNS1_3repE0EEENS1_30default_config_static_selectorELNS0_4arch9wavefront6targetE0EEEvT1_: ; @_ZN7rocprim17ROCPRIM_400000_NS6detail17trampoline_kernelINS0_14default_configENS1_33run_length_encode_config_selectorIljNS0_4plusIjEEEEZZNS1_33reduce_by_key_impl_wrapped_configILNS1_25lookback_scan_determinismE0ES3_S7_PKlNS0_17constant_iteratorIjlEEPlSE_SE_S6_NS0_8equal_toIlEEEE10hipError_tPvRmT2_T3_mT4_T5_T6_T7_T8_P12ihipStream_tbENKUlT_T0_E_clISt17integral_constantIbLb0EESY_EEDaST_SU_EUlST_E_NS1_11comp_targetILNS1_3genE8ELNS1_11target_archE1030ELNS1_3gpuE2ELNS1_3repE0EEENS1_30default_config_static_selectorELNS0_4arch9wavefront6targetE0EEEvT1_
; %bb.0:
	.section	.rodata,"a",@progbits
	.p2align	6, 0x0
	.amdhsa_kernel _ZN7rocprim17ROCPRIM_400000_NS6detail17trampoline_kernelINS0_14default_configENS1_33run_length_encode_config_selectorIljNS0_4plusIjEEEEZZNS1_33reduce_by_key_impl_wrapped_configILNS1_25lookback_scan_determinismE0ES3_S7_PKlNS0_17constant_iteratorIjlEEPlSE_SE_S6_NS0_8equal_toIlEEEE10hipError_tPvRmT2_T3_mT4_T5_T6_T7_T8_P12ihipStream_tbENKUlT_T0_E_clISt17integral_constantIbLb0EESY_EEDaST_SU_EUlST_E_NS1_11comp_targetILNS1_3genE8ELNS1_11target_archE1030ELNS1_3gpuE2ELNS1_3repE0EEENS1_30default_config_static_selectorELNS0_4arch9wavefront6targetE0EEEvT1_
		.amdhsa_group_segment_fixed_size 0
		.amdhsa_private_segment_fixed_size 0
		.amdhsa_kernarg_size 128
		.amdhsa_user_sgpr_count 2
		.amdhsa_user_sgpr_dispatch_ptr 0
		.amdhsa_user_sgpr_queue_ptr 0
		.amdhsa_user_sgpr_kernarg_segment_ptr 1
		.amdhsa_user_sgpr_dispatch_id 0
		.amdhsa_user_sgpr_kernarg_preload_length 0
		.amdhsa_user_sgpr_kernarg_preload_offset 0
		.amdhsa_user_sgpr_private_segment_size 0
		.amdhsa_wavefront_size32 1
		.amdhsa_uses_dynamic_stack 0
		.amdhsa_enable_private_segment 0
		.amdhsa_system_sgpr_workgroup_id_x 1
		.amdhsa_system_sgpr_workgroup_id_y 0
		.amdhsa_system_sgpr_workgroup_id_z 0
		.amdhsa_system_sgpr_workgroup_info 0
		.amdhsa_system_vgpr_workitem_id 0
		.amdhsa_next_free_vgpr 1
		.amdhsa_next_free_sgpr 1
		.amdhsa_named_barrier_count 0
		.amdhsa_reserve_vcc 0
		.amdhsa_float_round_mode_32 0
		.amdhsa_float_round_mode_16_64 0
		.amdhsa_float_denorm_mode_32 3
		.amdhsa_float_denorm_mode_16_64 3
		.amdhsa_fp16_overflow 0
		.amdhsa_memory_ordered 1
		.amdhsa_forward_progress 1
		.amdhsa_inst_pref_size 0
		.amdhsa_round_robin_scheduling 0
		.amdhsa_exception_fp_ieee_invalid_op 0
		.amdhsa_exception_fp_denorm_src 0
		.amdhsa_exception_fp_ieee_div_zero 0
		.amdhsa_exception_fp_ieee_overflow 0
		.amdhsa_exception_fp_ieee_underflow 0
		.amdhsa_exception_fp_ieee_inexact 0
		.amdhsa_exception_int_div_zero 0
	.end_amdhsa_kernel
	.section	.text._ZN7rocprim17ROCPRIM_400000_NS6detail17trampoline_kernelINS0_14default_configENS1_33run_length_encode_config_selectorIljNS0_4plusIjEEEEZZNS1_33reduce_by_key_impl_wrapped_configILNS1_25lookback_scan_determinismE0ES3_S7_PKlNS0_17constant_iteratorIjlEEPlSE_SE_S6_NS0_8equal_toIlEEEE10hipError_tPvRmT2_T3_mT4_T5_T6_T7_T8_P12ihipStream_tbENKUlT_T0_E_clISt17integral_constantIbLb0EESY_EEDaST_SU_EUlST_E_NS1_11comp_targetILNS1_3genE8ELNS1_11target_archE1030ELNS1_3gpuE2ELNS1_3repE0EEENS1_30default_config_static_selectorELNS0_4arch9wavefront6targetE0EEEvT1_,"axG",@progbits,_ZN7rocprim17ROCPRIM_400000_NS6detail17trampoline_kernelINS0_14default_configENS1_33run_length_encode_config_selectorIljNS0_4plusIjEEEEZZNS1_33reduce_by_key_impl_wrapped_configILNS1_25lookback_scan_determinismE0ES3_S7_PKlNS0_17constant_iteratorIjlEEPlSE_SE_S6_NS0_8equal_toIlEEEE10hipError_tPvRmT2_T3_mT4_T5_T6_T7_T8_P12ihipStream_tbENKUlT_T0_E_clISt17integral_constantIbLb0EESY_EEDaST_SU_EUlST_E_NS1_11comp_targetILNS1_3genE8ELNS1_11target_archE1030ELNS1_3gpuE2ELNS1_3repE0EEENS1_30default_config_static_selectorELNS0_4arch9wavefront6targetE0EEEvT1_,comdat
.Lfunc_end519:
	.size	_ZN7rocprim17ROCPRIM_400000_NS6detail17trampoline_kernelINS0_14default_configENS1_33run_length_encode_config_selectorIljNS0_4plusIjEEEEZZNS1_33reduce_by_key_impl_wrapped_configILNS1_25lookback_scan_determinismE0ES3_S7_PKlNS0_17constant_iteratorIjlEEPlSE_SE_S6_NS0_8equal_toIlEEEE10hipError_tPvRmT2_T3_mT4_T5_T6_T7_T8_P12ihipStream_tbENKUlT_T0_E_clISt17integral_constantIbLb0EESY_EEDaST_SU_EUlST_E_NS1_11comp_targetILNS1_3genE8ELNS1_11target_archE1030ELNS1_3gpuE2ELNS1_3repE0EEENS1_30default_config_static_selectorELNS0_4arch9wavefront6targetE0EEEvT1_, .Lfunc_end519-_ZN7rocprim17ROCPRIM_400000_NS6detail17trampoline_kernelINS0_14default_configENS1_33run_length_encode_config_selectorIljNS0_4plusIjEEEEZZNS1_33reduce_by_key_impl_wrapped_configILNS1_25lookback_scan_determinismE0ES3_S7_PKlNS0_17constant_iteratorIjlEEPlSE_SE_S6_NS0_8equal_toIlEEEE10hipError_tPvRmT2_T3_mT4_T5_T6_T7_T8_P12ihipStream_tbENKUlT_T0_E_clISt17integral_constantIbLb0EESY_EEDaST_SU_EUlST_E_NS1_11comp_targetILNS1_3genE8ELNS1_11target_archE1030ELNS1_3gpuE2ELNS1_3repE0EEENS1_30default_config_static_selectorELNS0_4arch9wavefront6targetE0EEEvT1_
                                        ; -- End function
	.set _ZN7rocprim17ROCPRIM_400000_NS6detail17trampoline_kernelINS0_14default_configENS1_33run_length_encode_config_selectorIljNS0_4plusIjEEEEZZNS1_33reduce_by_key_impl_wrapped_configILNS1_25lookback_scan_determinismE0ES3_S7_PKlNS0_17constant_iteratorIjlEEPlSE_SE_S6_NS0_8equal_toIlEEEE10hipError_tPvRmT2_T3_mT4_T5_T6_T7_T8_P12ihipStream_tbENKUlT_T0_E_clISt17integral_constantIbLb0EESY_EEDaST_SU_EUlST_E_NS1_11comp_targetILNS1_3genE8ELNS1_11target_archE1030ELNS1_3gpuE2ELNS1_3repE0EEENS1_30default_config_static_selectorELNS0_4arch9wavefront6targetE0EEEvT1_.num_vgpr, 0
	.set _ZN7rocprim17ROCPRIM_400000_NS6detail17trampoline_kernelINS0_14default_configENS1_33run_length_encode_config_selectorIljNS0_4plusIjEEEEZZNS1_33reduce_by_key_impl_wrapped_configILNS1_25lookback_scan_determinismE0ES3_S7_PKlNS0_17constant_iteratorIjlEEPlSE_SE_S6_NS0_8equal_toIlEEEE10hipError_tPvRmT2_T3_mT4_T5_T6_T7_T8_P12ihipStream_tbENKUlT_T0_E_clISt17integral_constantIbLb0EESY_EEDaST_SU_EUlST_E_NS1_11comp_targetILNS1_3genE8ELNS1_11target_archE1030ELNS1_3gpuE2ELNS1_3repE0EEENS1_30default_config_static_selectorELNS0_4arch9wavefront6targetE0EEEvT1_.num_agpr, 0
	.set _ZN7rocprim17ROCPRIM_400000_NS6detail17trampoline_kernelINS0_14default_configENS1_33run_length_encode_config_selectorIljNS0_4plusIjEEEEZZNS1_33reduce_by_key_impl_wrapped_configILNS1_25lookback_scan_determinismE0ES3_S7_PKlNS0_17constant_iteratorIjlEEPlSE_SE_S6_NS0_8equal_toIlEEEE10hipError_tPvRmT2_T3_mT4_T5_T6_T7_T8_P12ihipStream_tbENKUlT_T0_E_clISt17integral_constantIbLb0EESY_EEDaST_SU_EUlST_E_NS1_11comp_targetILNS1_3genE8ELNS1_11target_archE1030ELNS1_3gpuE2ELNS1_3repE0EEENS1_30default_config_static_selectorELNS0_4arch9wavefront6targetE0EEEvT1_.numbered_sgpr, 0
	.set _ZN7rocprim17ROCPRIM_400000_NS6detail17trampoline_kernelINS0_14default_configENS1_33run_length_encode_config_selectorIljNS0_4plusIjEEEEZZNS1_33reduce_by_key_impl_wrapped_configILNS1_25lookback_scan_determinismE0ES3_S7_PKlNS0_17constant_iteratorIjlEEPlSE_SE_S6_NS0_8equal_toIlEEEE10hipError_tPvRmT2_T3_mT4_T5_T6_T7_T8_P12ihipStream_tbENKUlT_T0_E_clISt17integral_constantIbLb0EESY_EEDaST_SU_EUlST_E_NS1_11comp_targetILNS1_3genE8ELNS1_11target_archE1030ELNS1_3gpuE2ELNS1_3repE0EEENS1_30default_config_static_selectorELNS0_4arch9wavefront6targetE0EEEvT1_.num_named_barrier, 0
	.set _ZN7rocprim17ROCPRIM_400000_NS6detail17trampoline_kernelINS0_14default_configENS1_33run_length_encode_config_selectorIljNS0_4plusIjEEEEZZNS1_33reduce_by_key_impl_wrapped_configILNS1_25lookback_scan_determinismE0ES3_S7_PKlNS0_17constant_iteratorIjlEEPlSE_SE_S6_NS0_8equal_toIlEEEE10hipError_tPvRmT2_T3_mT4_T5_T6_T7_T8_P12ihipStream_tbENKUlT_T0_E_clISt17integral_constantIbLb0EESY_EEDaST_SU_EUlST_E_NS1_11comp_targetILNS1_3genE8ELNS1_11target_archE1030ELNS1_3gpuE2ELNS1_3repE0EEENS1_30default_config_static_selectorELNS0_4arch9wavefront6targetE0EEEvT1_.private_seg_size, 0
	.set _ZN7rocprim17ROCPRIM_400000_NS6detail17trampoline_kernelINS0_14default_configENS1_33run_length_encode_config_selectorIljNS0_4plusIjEEEEZZNS1_33reduce_by_key_impl_wrapped_configILNS1_25lookback_scan_determinismE0ES3_S7_PKlNS0_17constant_iteratorIjlEEPlSE_SE_S6_NS0_8equal_toIlEEEE10hipError_tPvRmT2_T3_mT4_T5_T6_T7_T8_P12ihipStream_tbENKUlT_T0_E_clISt17integral_constantIbLb0EESY_EEDaST_SU_EUlST_E_NS1_11comp_targetILNS1_3genE8ELNS1_11target_archE1030ELNS1_3gpuE2ELNS1_3repE0EEENS1_30default_config_static_selectorELNS0_4arch9wavefront6targetE0EEEvT1_.uses_vcc, 0
	.set _ZN7rocprim17ROCPRIM_400000_NS6detail17trampoline_kernelINS0_14default_configENS1_33run_length_encode_config_selectorIljNS0_4plusIjEEEEZZNS1_33reduce_by_key_impl_wrapped_configILNS1_25lookback_scan_determinismE0ES3_S7_PKlNS0_17constant_iteratorIjlEEPlSE_SE_S6_NS0_8equal_toIlEEEE10hipError_tPvRmT2_T3_mT4_T5_T6_T7_T8_P12ihipStream_tbENKUlT_T0_E_clISt17integral_constantIbLb0EESY_EEDaST_SU_EUlST_E_NS1_11comp_targetILNS1_3genE8ELNS1_11target_archE1030ELNS1_3gpuE2ELNS1_3repE0EEENS1_30default_config_static_selectorELNS0_4arch9wavefront6targetE0EEEvT1_.uses_flat_scratch, 0
	.set _ZN7rocprim17ROCPRIM_400000_NS6detail17trampoline_kernelINS0_14default_configENS1_33run_length_encode_config_selectorIljNS0_4plusIjEEEEZZNS1_33reduce_by_key_impl_wrapped_configILNS1_25lookback_scan_determinismE0ES3_S7_PKlNS0_17constant_iteratorIjlEEPlSE_SE_S6_NS0_8equal_toIlEEEE10hipError_tPvRmT2_T3_mT4_T5_T6_T7_T8_P12ihipStream_tbENKUlT_T0_E_clISt17integral_constantIbLb0EESY_EEDaST_SU_EUlST_E_NS1_11comp_targetILNS1_3genE8ELNS1_11target_archE1030ELNS1_3gpuE2ELNS1_3repE0EEENS1_30default_config_static_selectorELNS0_4arch9wavefront6targetE0EEEvT1_.has_dyn_sized_stack, 0
	.set _ZN7rocprim17ROCPRIM_400000_NS6detail17trampoline_kernelINS0_14default_configENS1_33run_length_encode_config_selectorIljNS0_4plusIjEEEEZZNS1_33reduce_by_key_impl_wrapped_configILNS1_25lookback_scan_determinismE0ES3_S7_PKlNS0_17constant_iteratorIjlEEPlSE_SE_S6_NS0_8equal_toIlEEEE10hipError_tPvRmT2_T3_mT4_T5_T6_T7_T8_P12ihipStream_tbENKUlT_T0_E_clISt17integral_constantIbLb0EESY_EEDaST_SU_EUlST_E_NS1_11comp_targetILNS1_3genE8ELNS1_11target_archE1030ELNS1_3gpuE2ELNS1_3repE0EEENS1_30default_config_static_selectorELNS0_4arch9wavefront6targetE0EEEvT1_.has_recursion, 0
	.set _ZN7rocprim17ROCPRIM_400000_NS6detail17trampoline_kernelINS0_14default_configENS1_33run_length_encode_config_selectorIljNS0_4plusIjEEEEZZNS1_33reduce_by_key_impl_wrapped_configILNS1_25lookback_scan_determinismE0ES3_S7_PKlNS0_17constant_iteratorIjlEEPlSE_SE_S6_NS0_8equal_toIlEEEE10hipError_tPvRmT2_T3_mT4_T5_T6_T7_T8_P12ihipStream_tbENKUlT_T0_E_clISt17integral_constantIbLb0EESY_EEDaST_SU_EUlST_E_NS1_11comp_targetILNS1_3genE8ELNS1_11target_archE1030ELNS1_3gpuE2ELNS1_3repE0EEENS1_30default_config_static_selectorELNS0_4arch9wavefront6targetE0EEEvT1_.has_indirect_call, 0
	.section	.AMDGPU.csdata,"",@progbits
; Kernel info:
; codeLenInByte = 0
; TotalNumSgprs: 0
; NumVgprs: 0
; ScratchSize: 0
; MemoryBound: 0
; FloatMode: 240
; IeeeMode: 1
; LDSByteSize: 0 bytes/workgroup (compile time only)
; SGPRBlocks: 0
; VGPRBlocks: 0
; NumSGPRsForWavesPerEU: 1
; NumVGPRsForWavesPerEU: 1
; NamedBarCnt: 0
; Occupancy: 16
; WaveLimiterHint : 0
; COMPUTE_PGM_RSRC2:SCRATCH_EN: 0
; COMPUTE_PGM_RSRC2:USER_SGPR: 2
; COMPUTE_PGM_RSRC2:TRAP_HANDLER: 0
; COMPUTE_PGM_RSRC2:TGID_X_EN: 1
; COMPUTE_PGM_RSRC2:TGID_Y_EN: 0
; COMPUTE_PGM_RSRC2:TGID_Z_EN: 0
; COMPUTE_PGM_RSRC2:TIDIG_COMP_CNT: 0
	.section	.text._ZN7rocprim17ROCPRIM_400000_NS6detail17trampoline_kernelINS0_14default_configENS1_33run_length_encode_config_selectorIljNS0_4plusIjEEEEZZNS1_33reduce_by_key_impl_wrapped_configILNS1_25lookback_scan_determinismE0ES3_S7_PKlNS0_17constant_iteratorIjlEEPlSE_SE_S6_NS0_8equal_toIlEEEE10hipError_tPvRmT2_T3_mT4_T5_T6_T7_T8_P12ihipStream_tbENKUlT_T0_E_clISt17integral_constantIbLb1EESY_EEDaST_SU_EUlST_E_NS1_11comp_targetILNS1_3genE0ELNS1_11target_archE4294967295ELNS1_3gpuE0ELNS1_3repE0EEENS1_30default_config_static_selectorELNS0_4arch9wavefront6targetE0EEEvT1_,"axG",@progbits,_ZN7rocprim17ROCPRIM_400000_NS6detail17trampoline_kernelINS0_14default_configENS1_33run_length_encode_config_selectorIljNS0_4plusIjEEEEZZNS1_33reduce_by_key_impl_wrapped_configILNS1_25lookback_scan_determinismE0ES3_S7_PKlNS0_17constant_iteratorIjlEEPlSE_SE_S6_NS0_8equal_toIlEEEE10hipError_tPvRmT2_T3_mT4_T5_T6_T7_T8_P12ihipStream_tbENKUlT_T0_E_clISt17integral_constantIbLb1EESY_EEDaST_SU_EUlST_E_NS1_11comp_targetILNS1_3genE0ELNS1_11target_archE4294967295ELNS1_3gpuE0ELNS1_3repE0EEENS1_30default_config_static_selectorELNS0_4arch9wavefront6targetE0EEEvT1_,comdat
	.protected	_ZN7rocprim17ROCPRIM_400000_NS6detail17trampoline_kernelINS0_14default_configENS1_33run_length_encode_config_selectorIljNS0_4plusIjEEEEZZNS1_33reduce_by_key_impl_wrapped_configILNS1_25lookback_scan_determinismE0ES3_S7_PKlNS0_17constant_iteratorIjlEEPlSE_SE_S6_NS0_8equal_toIlEEEE10hipError_tPvRmT2_T3_mT4_T5_T6_T7_T8_P12ihipStream_tbENKUlT_T0_E_clISt17integral_constantIbLb1EESY_EEDaST_SU_EUlST_E_NS1_11comp_targetILNS1_3genE0ELNS1_11target_archE4294967295ELNS1_3gpuE0ELNS1_3repE0EEENS1_30default_config_static_selectorELNS0_4arch9wavefront6targetE0EEEvT1_ ; -- Begin function _ZN7rocprim17ROCPRIM_400000_NS6detail17trampoline_kernelINS0_14default_configENS1_33run_length_encode_config_selectorIljNS0_4plusIjEEEEZZNS1_33reduce_by_key_impl_wrapped_configILNS1_25lookback_scan_determinismE0ES3_S7_PKlNS0_17constant_iteratorIjlEEPlSE_SE_S6_NS0_8equal_toIlEEEE10hipError_tPvRmT2_T3_mT4_T5_T6_T7_T8_P12ihipStream_tbENKUlT_T0_E_clISt17integral_constantIbLb1EESY_EEDaST_SU_EUlST_E_NS1_11comp_targetILNS1_3genE0ELNS1_11target_archE4294967295ELNS1_3gpuE0ELNS1_3repE0EEENS1_30default_config_static_selectorELNS0_4arch9wavefront6targetE0EEEvT1_
	.globl	_ZN7rocprim17ROCPRIM_400000_NS6detail17trampoline_kernelINS0_14default_configENS1_33run_length_encode_config_selectorIljNS0_4plusIjEEEEZZNS1_33reduce_by_key_impl_wrapped_configILNS1_25lookback_scan_determinismE0ES3_S7_PKlNS0_17constant_iteratorIjlEEPlSE_SE_S6_NS0_8equal_toIlEEEE10hipError_tPvRmT2_T3_mT4_T5_T6_T7_T8_P12ihipStream_tbENKUlT_T0_E_clISt17integral_constantIbLb1EESY_EEDaST_SU_EUlST_E_NS1_11comp_targetILNS1_3genE0ELNS1_11target_archE4294967295ELNS1_3gpuE0ELNS1_3repE0EEENS1_30default_config_static_selectorELNS0_4arch9wavefront6targetE0EEEvT1_
	.p2align	8
	.type	_ZN7rocprim17ROCPRIM_400000_NS6detail17trampoline_kernelINS0_14default_configENS1_33run_length_encode_config_selectorIljNS0_4plusIjEEEEZZNS1_33reduce_by_key_impl_wrapped_configILNS1_25lookback_scan_determinismE0ES3_S7_PKlNS0_17constant_iteratorIjlEEPlSE_SE_S6_NS0_8equal_toIlEEEE10hipError_tPvRmT2_T3_mT4_T5_T6_T7_T8_P12ihipStream_tbENKUlT_T0_E_clISt17integral_constantIbLb1EESY_EEDaST_SU_EUlST_E_NS1_11comp_targetILNS1_3genE0ELNS1_11target_archE4294967295ELNS1_3gpuE0ELNS1_3repE0EEENS1_30default_config_static_selectorELNS0_4arch9wavefront6targetE0EEEvT1_,@function
_ZN7rocprim17ROCPRIM_400000_NS6detail17trampoline_kernelINS0_14default_configENS1_33run_length_encode_config_selectorIljNS0_4plusIjEEEEZZNS1_33reduce_by_key_impl_wrapped_configILNS1_25lookback_scan_determinismE0ES3_S7_PKlNS0_17constant_iteratorIjlEEPlSE_SE_S6_NS0_8equal_toIlEEEE10hipError_tPvRmT2_T3_mT4_T5_T6_T7_T8_P12ihipStream_tbENKUlT_T0_E_clISt17integral_constantIbLb1EESY_EEDaST_SU_EUlST_E_NS1_11comp_targetILNS1_3genE0ELNS1_11target_archE4294967295ELNS1_3gpuE0ELNS1_3repE0EEENS1_30default_config_static_selectorELNS0_4arch9wavefront6targetE0EEEvT1_: ; @_ZN7rocprim17ROCPRIM_400000_NS6detail17trampoline_kernelINS0_14default_configENS1_33run_length_encode_config_selectorIljNS0_4plusIjEEEEZZNS1_33reduce_by_key_impl_wrapped_configILNS1_25lookback_scan_determinismE0ES3_S7_PKlNS0_17constant_iteratorIjlEEPlSE_SE_S6_NS0_8equal_toIlEEEE10hipError_tPvRmT2_T3_mT4_T5_T6_T7_T8_P12ihipStream_tbENKUlT_T0_E_clISt17integral_constantIbLb1EESY_EEDaST_SU_EUlST_E_NS1_11comp_targetILNS1_3genE0ELNS1_11target_archE4294967295ELNS1_3gpuE0ELNS1_3repE0EEENS1_30default_config_static_selectorELNS0_4arch9wavefront6targetE0EEEvT1_
; %bb.0:
	s_endpgm
	.section	.rodata,"a",@progbits
	.p2align	6, 0x0
	.amdhsa_kernel _ZN7rocprim17ROCPRIM_400000_NS6detail17trampoline_kernelINS0_14default_configENS1_33run_length_encode_config_selectorIljNS0_4plusIjEEEEZZNS1_33reduce_by_key_impl_wrapped_configILNS1_25lookback_scan_determinismE0ES3_S7_PKlNS0_17constant_iteratorIjlEEPlSE_SE_S6_NS0_8equal_toIlEEEE10hipError_tPvRmT2_T3_mT4_T5_T6_T7_T8_P12ihipStream_tbENKUlT_T0_E_clISt17integral_constantIbLb1EESY_EEDaST_SU_EUlST_E_NS1_11comp_targetILNS1_3genE0ELNS1_11target_archE4294967295ELNS1_3gpuE0ELNS1_3repE0EEENS1_30default_config_static_selectorELNS0_4arch9wavefront6targetE0EEEvT1_
		.amdhsa_group_segment_fixed_size 0
		.amdhsa_private_segment_fixed_size 0
		.amdhsa_kernarg_size 128
		.amdhsa_user_sgpr_count 2
		.amdhsa_user_sgpr_dispatch_ptr 0
		.amdhsa_user_sgpr_queue_ptr 0
		.amdhsa_user_sgpr_kernarg_segment_ptr 1
		.amdhsa_user_sgpr_dispatch_id 0
		.amdhsa_user_sgpr_kernarg_preload_length 0
		.amdhsa_user_sgpr_kernarg_preload_offset 0
		.amdhsa_user_sgpr_private_segment_size 0
		.amdhsa_wavefront_size32 1
		.amdhsa_uses_dynamic_stack 0
		.amdhsa_enable_private_segment 0
		.amdhsa_system_sgpr_workgroup_id_x 1
		.amdhsa_system_sgpr_workgroup_id_y 0
		.amdhsa_system_sgpr_workgroup_id_z 0
		.amdhsa_system_sgpr_workgroup_info 0
		.amdhsa_system_vgpr_workitem_id 0
		.amdhsa_next_free_vgpr 1
		.amdhsa_next_free_sgpr 1
		.amdhsa_named_barrier_count 0
		.amdhsa_reserve_vcc 0
		.amdhsa_float_round_mode_32 0
		.amdhsa_float_round_mode_16_64 0
		.amdhsa_float_denorm_mode_32 3
		.amdhsa_float_denorm_mode_16_64 3
		.amdhsa_fp16_overflow 0
		.amdhsa_memory_ordered 1
		.amdhsa_forward_progress 1
		.amdhsa_inst_pref_size 1
		.amdhsa_round_robin_scheduling 0
		.amdhsa_exception_fp_ieee_invalid_op 0
		.amdhsa_exception_fp_denorm_src 0
		.amdhsa_exception_fp_ieee_div_zero 0
		.amdhsa_exception_fp_ieee_overflow 0
		.amdhsa_exception_fp_ieee_underflow 0
		.amdhsa_exception_fp_ieee_inexact 0
		.amdhsa_exception_int_div_zero 0
	.end_amdhsa_kernel
	.section	.text._ZN7rocprim17ROCPRIM_400000_NS6detail17trampoline_kernelINS0_14default_configENS1_33run_length_encode_config_selectorIljNS0_4plusIjEEEEZZNS1_33reduce_by_key_impl_wrapped_configILNS1_25lookback_scan_determinismE0ES3_S7_PKlNS0_17constant_iteratorIjlEEPlSE_SE_S6_NS0_8equal_toIlEEEE10hipError_tPvRmT2_T3_mT4_T5_T6_T7_T8_P12ihipStream_tbENKUlT_T0_E_clISt17integral_constantIbLb1EESY_EEDaST_SU_EUlST_E_NS1_11comp_targetILNS1_3genE0ELNS1_11target_archE4294967295ELNS1_3gpuE0ELNS1_3repE0EEENS1_30default_config_static_selectorELNS0_4arch9wavefront6targetE0EEEvT1_,"axG",@progbits,_ZN7rocprim17ROCPRIM_400000_NS6detail17trampoline_kernelINS0_14default_configENS1_33run_length_encode_config_selectorIljNS0_4plusIjEEEEZZNS1_33reduce_by_key_impl_wrapped_configILNS1_25lookback_scan_determinismE0ES3_S7_PKlNS0_17constant_iteratorIjlEEPlSE_SE_S6_NS0_8equal_toIlEEEE10hipError_tPvRmT2_T3_mT4_T5_T6_T7_T8_P12ihipStream_tbENKUlT_T0_E_clISt17integral_constantIbLb1EESY_EEDaST_SU_EUlST_E_NS1_11comp_targetILNS1_3genE0ELNS1_11target_archE4294967295ELNS1_3gpuE0ELNS1_3repE0EEENS1_30default_config_static_selectorELNS0_4arch9wavefront6targetE0EEEvT1_,comdat
.Lfunc_end520:
	.size	_ZN7rocprim17ROCPRIM_400000_NS6detail17trampoline_kernelINS0_14default_configENS1_33run_length_encode_config_selectorIljNS0_4plusIjEEEEZZNS1_33reduce_by_key_impl_wrapped_configILNS1_25lookback_scan_determinismE0ES3_S7_PKlNS0_17constant_iteratorIjlEEPlSE_SE_S6_NS0_8equal_toIlEEEE10hipError_tPvRmT2_T3_mT4_T5_T6_T7_T8_P12ihipStream_tbENKUlT_T0_E_clISt17integral_constantIbLb1EESY_EEDaST_SU_EUlST_E_NS1_11comp_targetILNS1_3genE0ELNS1_11target_archE4294967295ELNS1_3gpuE0ELNS1_3repE0EEENS1_30default_config_static_selectorELNS0_4arch9wavefront6targetE0EEEvT1_, .Lfunc_end520-_ZN7rocprim17ROCPRIM_400000_NS6detail17trampoline_kernelINS0_14default_configENS1_33run_length_encode_config_selectorIljNS0_4plusIjEEEEZZNS1_33reduce_by_key_impl_wrapped_configILNS1_25lookback_scan_determinismE0ES3_S7_PKlNS0_17constant_iteratorIjlEEPlSE_SE_S6_NS0_8equal_toIlEEEE10hipError_tPvRmT2_T3_mT4_T5_T6_T7_T8_P12ihipStream_tbENKUlT_T0_E_clISt17integral_constantIbLb1EESY_EEDaST_SU_EUlST_E_NS1_11comp_targetILNS1_3genE0ELNS1_11target_archE4294967295ELNS1_3gpuE0ELNS1_3repE0EEENS1_30default_config_static_selectorELNS0_4arch9wavefront6targetE0EEEvT1_
                                        ; -- End function
	.set _ZN7rocprim17ROCPRIM_400000_NS6detail17trampoline_kernelINS0_14default_configENS1_33run_length_encode_config_selectorIljNS0_4plusIjEEEEZZNS1_33reduce_by_key_impl_wrapped_configILNS1_25lookback_scan_determinismE0ES3_S7_PKlNS0_17constant_iteratorIjlEEPlSE_SE_S6_NS0_8equal_toIlEEEE10hipError_tPvRmT2_T3_mT4_T5_T6_T7_T8_P12ihipStream_tbENKUlT_T0_E_clISt17integral_constantIbLb1EESY_EEDaST_SU_EUlST_E_NS1_11comp_targetILNS1_3genE0ELNS1_11target_archE4294967295ELNS1_3gpuE0ELNS1_3repE0EEENS1_30default_config_static_selectorELNS0_4arch9wavefront6targetE0EEEvT1_.num_vgpr, 0
	.set _ZN7rocprim17ROCPRIM_400000_NS6detail17trampoline_kernelINS0_14default_configENS1_33run_length_encode_config_selectorIljNS0_4plusIjEEEEZZNS1_33reduce_by_key_impl_wrapped_configILNS1_25lookback_scan_determinismE0ES3_S7_PKlNS0_17constant_iteratorIjlEEPlSE_SE_S6_NS0_8equal_toIlEEEE10hipError_tPvRmT2_T3_mT4_T5_T6_T7_T8_P12ihipStream_tbENKUlT_T0_E_clISt17integral_constantIbLb1EESY_EEDaST_SU_EUlST_E_NS1_11comp_targetILNS1_3genE0ELNS1_11target_archE4294967295ELNS1_3gpuE0ELNS1_3repE0EEENS1_30default_config_static_selectorELNS0_4arch9wavefront6targetE0EEEvT1_.num_agpr, 0
	.set _ZN7rocprim17ROCPRIM_400000_NS6detail17trampoline_kernelINS0_14default_configENS1_33run_length_encode_config_selectorIljNS0_4plusIjEEEEZZNS1_33reduce_by_key_impl_wrapped_configILNS1_25lookback_scan_determinismE0ES3_S7_PKlNS0_17constant_iteratorIjlEEPlSE_SE_S6_NS0_8equal_toIlEEEE10hipError_tPvRmT2_T3_mT4_T5_T6_T7_T8_P12ihipStream_tbENKUlT_T0_E_clISt17integral_constantIbLb1EESY_EEDaST_SU_EUlST_E_NS1_11comp_targetILNS1_3genE0ELNS1_11target_archE4294967295ELNS1_3gpuE0ELNS1_3repE0EEENS1_30default_config_static_selectorELNS0_4arch9wavefront6targetE0EEEvT1_.numbered_sgpr, 0
	.set _ZN7rocprim17ROCPRIM_400000_NS6detail17trampoline_kernelINS0_14default_configENS1_33run_length_encode_config_selectorIljNS0_4plusIjEEEEZZNS1_33reduce_by_key_impl_wrapped_configILNS1_25lookback_scan_determinismE0ES3_S7_PKlNS0_17constant_iteratorIjlEEPlSE_SE_S6_NS0_8equal_toIlEEEE10hipError_tPvRmT2_T3_mT4_T5_T6_T7_T8_P12ihipStream_tbENKUlT_T0_E_clISt17integral_constantIbLb1EESY_EEDaST_SU_EUlST_E_NS1_11comp_targetILNS1_3genE0ELNS1_11target_archE4294967295ELNS1_3gpuE0ELNS1_3repE0EEENS1_30default_config_static_selectorELNS0_4arch9wavefront6targetE0EEEvT1_.num_named_barrier, 0
	.set _ZN7rocprim17ROCPRIM_400000_NS6detail17trampoline_kernelINS0_14default_configENS1_33run_length_encode_config_selectorIljNS0_4plusIjEEEEZZNS1_33reduce_by_key_impl_wrapped_configILNS1_25lookback_scan_determinismE0ES3_S7_PKlNS0_17constant_iteratorIjlEEPlSE_SE_S6_NS0_8equal_toIlEEEE10hipError_tPvRmT2_T3_mT4_T5_T6_T7_T8_P12ihipStream_tbENKUlT_T0_E_clISt17integral_constantIbLb1EESY_EEDaST_SU_EUlST_E_NS1_11comp_targetILNS1_3genE0ELNS1_11target_archE4294967295ELNS1_3gpuE0ELNS1_3repE0EEENS1_30default_config_static_selectorELNS0_4arch9wavefront6targetE0EEEvT1_.private_seg_size, 0
	.set _ZN7rocprim17ROCPRIM_400000_NS6detail17trampoline_kernelINS0_14default_configENS1_33run_length_encode_config_selectorIljNS0_4plusIjEEEEZZNS1_33reduce_by_key_impl_wrapped_configILNS1_25lookback_scan_determinismE0ES3_S7_PKlNS0_17constant_iteratorIjlEEPlSE_SE_S6_NS0_8equal_toIlEEEE10hipError_tPvRmT2_T3_mT4_T5_T6_T7_T8_P12ihipStream_tbENKUlT_T0_E_clISt17integral_constantIbLb1EESY_EEDaST_SU_EUlST_E_NS1_11comp_targetILNS1_3genE0ELNS1_11target_archE4294967295ELNS1_3gpuE0ELNS1_3repE0EEENS1_30default_config_static_selectorELNS0_4arch9wavefront6targetE0EEEvT1_.uses_vcc, 0
	.set _ZN7rocprim17ROCPRIM_400000_NS6detail17trampoline_kernelINS0_14default_configENS1_33run_length_encode_config_selectorIljNS0_4plusIjEEEEZZNS1_33reduce_by_key_impl_wrapped_configILNS1_25lookback_scan_determinismE0ES3_S7_PKlNS0_17constant_iteratorIjlEEPlSE_SE_S6_NS0_8equal_toIlEEEE10hipError_tPvRmT2_T3_mT4_T5_T6_T7_T8_P12ihipStream_tbENKUlT_T0_E_clISt17integral_constantIbLb1EESY_EEDaST_SU_EUlST_E_NS1_11comp_targetILNS1_3genE0ELNS1_11target_archE4294967295ELNS1_3gpuE0ELNS1_3repE0EEENS1_30default_config_static_selectorELNS0_4arch9wavefront6targetE0EEEvT1_.uses_flat_scratch, 0
	.set _ZN7rocprim17ROCPRIM_400000_NS6detail17trampoline_kernelINS0_14default_configENS1_33run_length_encode_config_selectorIljNS0_4plusIjEEEEZZNS1_33reduce_by_key_impl_wrapped_configILNS1_25lookback_scan_determinismE0ES3_S7_PKlNS0_17constant_iteratorIjlEEPlSE_SE_S6_NS0_8equal_toIlEEEE10hipError_tPvRmT2_T3_mT4_T5_T6_T7_T8_P12ihipStream_tbENKUlT_T0_E_clISt17integral_constantIbLb1EESY_EEDaST_SU_EUlST_E_NS1_11comp_targetILNS1_3genE0ELNS1_11target_archE4294967295ELNS1_3gpuE0ELNS1_3repE0EEENS1_30default_config_static_selectorELNS0_4arch9wavefront6targetE0EEEvT1_.has_dyn_sized_stack, 0
	.set _ZN7rocprim17ROCPRIM_400000_NS6detail17trampoline_kernelINS0_14default_configENS1_33run_length_encode_config_selectorIljNS0_4plusIjEEEEZZNS1_33reduce_by_key_impl_wrapped_configILNS1_25lookback_scan_determinismE0ES3_S7_PKlNS0_17constant_iteratorIjlEEPlSE_SE_S6_NS0_8equal_toIlEEEE10hipError_tPvRmT2_T3_mT4_T5_T6_T7_T8_P12ihipStream_tbENKUlT_T0_E_clISt17integral_constantIbLb1EESY_EEDaST_SU_EUlST_E_NS1_11comp_targetILNS1_3genE0ELNS1_11target_archE4294967295ELNS1_3gpuE0ELNS1_3repE0EEENS1_30default_config_static_selectorELNS0_4arch9wavefront6targetE0EEEvT1_.has_recursion, 0
	.set _ZN7rocprim17ROCPRIM_400000_NS6detail17trampoline_kernelINS0_14default_configENS1_33run_length_encode_config_selectorIljNS0_4plusIjEEEEZZNS1_33reduce_by_key_impl_wrapped_configILNS1_25lookback_scan_determinismE0ES3_S7_PKlNS0_17constant_iteratorIjlEEPlSE_SE_S6_NS0_8equal_toIlEEEE10hipError_tPvRmT2_T3_mT4_T5_T6_T7_T8_P12ihipStream_tbENKUlT_T0_E_clISt17integral_constantIbLb1EESY_EEDaST_SU_EUlST_E_NS1_11comp_targetILNS1_3genE0ELNS1_11target_archE4294967295ELNS1_3gpuE0ELNS1_3repE0EEENS1_30default_config_static_selectorELNS0_4arch9wavefront6targetE0EEEvT1_.has_indirect_call, 0
	.section	.AMDGPU.csdata,"",@progbits
; Kernel info:
; codeLenInByte = 4
; TotalNumSgprs: 0
; NumVgprs: 0
; ScratchSize: 0
; MemoryBound: 0
; FloatMode: 240
; IeeeMode: 1
; LDSByteSize: 0 bytes/workgroup (compile time only)
; SGPRBlocks: 0
; VGPRBlocks: 0
; NumSGPRsForWavesPerEU: 1
; NumVGPRsForWavesPerEU: 1
; NamedBarCnt: 0
; Occupancy: 16
; WaveLimiterHint : 0
; COMPUTE_PGM_RSRC2:SCRATCH_EN: 0
; COMPUTE_PGM_RSRC2:USER_SGPR: 2
; COMPUTE_PGM_RSRC2:TRAP_HANDLER: 0
; COMPUTE_PGM_RSRC2:TGID_X_EN: 1
; COMPUTE_PGM_RSRC2:TGID_Y_EN: 0
; COMPUTE_PGM_RSRC2:TGID_Z_EN: 0
; COMPUTE_PGM_RSRC2:TIDIG_COMP_CNT: 0
	.section	.text._ZN7rocprim17ROCPRIM_400000_NS6detail17trampoline_kernelINS0_14default_configENS1_33run_length_encode_config_selectorIljNS0_4plusIjEEEEZZNS1_33reduce_by_key_impl_wrapped_configILNS1_25lookback_scan_determinismE0ES3_S7_PKlNS0_17constant_iteratorIjlEEPlSE_SE_S6_NS0_8equal_toIlEEEE10hipError_tPvRmT2_T3_mT4_T5_T6_T7_T8_P12ihipStream_tbENKUlT_T0_E_clISt17integral_constantIbLb1EESY_EEDaST_SU_EUlST_E_NS1_11comp_targetILNS1_3genE5ELNS1_11target_archE942ELNS1_3gpuE9ELNS1_3repE0EEENS1_30default_config_static_selectorELNS0_4arch9wavefront6targetE0EEEvT1_,"axG",@progbits,_ZN7rocprim17ROCPRIM_400000_NS6detail17trampoline_kernelINS0_14default_configENS1_33run_length_encode_config_selectorIljNS0_4plusIjEEEEZZNS1_33reduce_by_key_impl_wrapped_configILNS1_25lookback_scan_determinismE0ES3_S7_PKlNS0_17constant_iteratorIjlEEPlSE_SE_S6_NS0_8equal_toIlEEEE10hipError_tPvRmT2_T3_mT4_T5_T6_T7_T8_P12ihipStream_tbENKUlT_T0_E_clISt17integral_constantIbLb1EESY_EEDaST_SU_EUlST_E_NS1_11comp_targetILNS1_3genE5ELNS1_11target_archE942ELNS1_3gpuE9ELNS1_3repE0EEENS1_30default_config_static_selectorELNS0_4arch9wavefront6targetE0EEEvT1_,comdat
	.protected	_ZN7rocprim17ROCPRIM_400000_NS6detail17trampoline_kernelINS0_14default_configENS1_33run_length_encode_config_selectorIljNS0_4plusIjEEEEZZNS1_33reduce_by_key_impl_wrapped_configILNS1_25lookback_scan_determinismE0ES3_S7_PKlNS0_17constant_iteratorIjlEEPlSE_SE_S6_NS0_8equal_toIlEEEE10hipError_tPvRmT2_T3_mT4_T5_T6_T7_T8_P12ihipStream_tbENKUlT_T0_E_clISt17integral_constantIbLb1EESY_EEDaST_SU_EUlST_E_NS1_11comp_targetILNS1_3genE5ELNS1_11target_archE942ELNS1_3gpuE9ELNS1_3repE0EEENS1_30default_config_static_selectorELNS0_4arch9wavefront6targetE0EEEvT1_ ; -- Begin function _ZN7rocprim17ROCPRIM_400000_NS6detail17trampoline_kernelINS0_14default_configENS1_33run_length_encode_config_selectorIljNS0_4plusIjEEEEZZNS1_33reduce_by_key_impl_wrapped_configILNS1_25lookback_scan_determinismE0ES3_S7_PKlNS0_17constant_iteratorIjlEEPlSE_SE_S6_NS0_8equal_toIlEEEE10hipError_tPvRmT2_T3_mT4_T5_T6_T7_T8_P12ihipStream_tbENKUlT_T0_E_clISt17integral_constantIbLb1EESY_EEDaST_SU_EUlST_E_NS1_11comp_targetILNS1_3genE5ELNS1_11target_archE942ELNS1_3gpuE9ELNS1_3repE0EEENS1_30default_config_static_selectorELNS0_4arch9wavefront6targetE0EEEvT1_
	.globl	_ZN7rocprim17ROCPRIM_400000_NS6detail17trampoline_kernelINS0_14default_configENS1_33run_length_encode_config_selectorIljNS0_4plusIjEEEEZZNS1_33reduce_by_key_impl_wrapped_configILNS1_25lookback_scan_determinismE0ES3_S7_PKlNS0_17constant_iteratorIjlEEPlSE_SE_S6_NS0_8equal_toIlEEEE10hipError_tPvRmT2_T3_mT4_T5_T6_T7_T8_P12ihipStream_tbENKUlT_T0_E_clISt17integral_constantIbLb1EESY_EEDaST_SU_EUlST_E_NS1_11comp_targetILNS1_3genE5ELNS1_11target_archE942ELNS1_3gpuE9ELNS1_3repE0EEENS1_30default_config_static_selectorELNS0_4arch9wavefront6targetE0EEEvT1_
	.p2align	8
	.type	_ZN7rocprim17ROCPRIM_400000_NS6detail17trampoline_kernelINS0_14default_configENS1_33run_length_encode_config_selectorIljNS0_4plusIjEEEEZZNS1_33reduce_by_key_impl_wrapped_configILNS1_25lookback_scan_determinismE0ES3_S7_PKlNS0_17constant_iteratorIjlEEPlSE_SE_S6_NS0_8equal_toIlEEEE10hipError_tPvRmT2_T3_mT4_T5_T6_T7_T8_P12ihipStream_tbENKUlT_T0_E_clISt17integral_constantIbLb1EESY_EEDaST_SU_EUlST_E_NS1_11comp_targetILNS1_3genE5ELNS1_11target_archE942ELNS1_3gpuE9ELNS1_3repE0EEENS1_30default_config_static_selectorELNS0_4arch9wavefront6targetE0EEEvT1_,@function
_ZN7rocprim17ROCPRIM_400000_NS6detail17trampoline_kernelINS0_14default_configENS1_33run_length_encode_config_selectorIljNS0_4plusIjEEEEZZNS1_33reduce_by_key_impl_wrapped_configILNS1_25lookback_scan_determinismE0ES3_S7_PKlNS0_17constant_iteratorIjlEEPlSE_SE_S6_NS0_8equal_toIlEEEE10hipError_tPvRmT2_T3_mT4_T5_T6_T7_T8_P12ihipStream_tbENKUlT_T0_E_clISt17integral_constantIbLb1EESY_EEDaST_SU_EUlST_E_NS1_11comp_targetILNS1_3genE5ELNS1_11target_archE942ELNS1_3gpuE9ELNS1_3repE0EEENS1_30default_config_static_selectorELNS0_4arch9wavefront6targetE0EEEvT1_: ; @_ZN7rocprim17ROCPRIM_400000_NS6detail17trampoline_kernelINS0_14default_configENS1_33run_length_encode_config_selectorIljNS0_4plusIjEEEEZZNS1_33reduce_by_key_impl_wrapped_configILNS1_25lookback_scan_determinismE0ES3_S7_PKlNS0_17constant_iteratorIjlEEPlSE_SE_S6_NS0_8equal_toIlEEEE10hipError_tPvRmT2_T3_mT4_T5_T6_T7_T8_P12ihipStream_tbENKUlT_T0_E_clISt17integral_constantIbLb1EESY_EEDaST_SU_EUlST_E_NS1_11comp_targetILNS1_3genE5ELNS1_11target_archE942ELNS1_3gpuE9ELNS1_3repE0EEENS1_30default_config_static_selectorELNS0_4arch9wavefront6targetE0EEEvT1_
; %bb.0:
	.section	.rodata,"a",@progbits
	.p2align	6, 0x0
	.amdhsa_kernel _ZN7rocprim17ROCPRIM_400000_NS6detail17trampoline_kernelINS0_14default_configENS1_33run_length_encode_config_selectorIljNS0_4plusIjEEEEZZNS1_33reduce_by_key_impl_wrapped_configILNS1_25lookback_scan_determinismE0ES3_S7_PKlNS0_17constant_iteratorIjlEEPlSE_SE_S6_NS0_8equal_toIlEEEE10hipError_tPvRmT2_T3_mT4_T5_T6_T7_T8_P12ihipStream_tbENKUlT_T0_E_clISt17integral_constantIbLb1EESY_EEDaST_SU_EUlST_E_NS1_11comp_targetILNS1_3genE5ELNS1_11target_archE942ELNS1_3gpuE9ELNS1_3repE0EEENS1_30default_config_static_selectorELNS0_4arch9wavefront6targetE0EEEvT1_
		.amdhsa_group_segment_fixed_size 0
		.amdhsa_private_segment_fixed_size 0
		.amdhsa_kernarg_size 128
		.amdhsa_user_sgpr_count 2
		.amdhsa_user_sgpr_dispatch_ptr 0
		.amdhsa_user_sgpr_queue_ptr 0
		.amdhsa_user_sgpr_kernarg_segment_ptr 1
		.amdhsa_user_sgpr_dispatch_id 0
		.amdhsa_user_sgpr_kernarg_preload_length 0
		.amdhsa_user_sgpr_kernarg_preload_offset 0
		.amdhsa_user_sgpr_private_segment_size 0
		.amdhsa_wavefront_size32 1
		.amdhsa_uses_dynamic_stack 0
		.amdhsa_enable_private_segment 0
		.amdhsa_system_sgpr_workgroup_id_x 1
		.amdhsa_system_sgpr_workgroup_id_y 0
		.amdhsa_system_sgpr_workgroup_id_z 0
		.amdhsa_system_sgpr_workgroup_info 0
		.amdhsa_system_vgpr_workitem_id 0
		.amdhsa_next_free_vgpr 1
		.amdhsa_next_free_sgpr 1
		.amdhsa_named_barrier_count 0
		.amdhsa_reserve_vcc 0
		.amdhsa_float_round_mode_32 0
		.amdhsa_float_round_mode_16_64 0
		.amdhsa_float_denorm_mode_32 3
		.amdhsa_float_denorm_mode_16_64 3
		.amdhsa_fp16_overflow 0
		.amdhsa_memory_ordered 1
		.amdhsa_forward_progress 1
		.amdhsa_inst_pref_size 0
		.amdhsa_round_robin_scheduling 0
		.amdhsa_exception_fp_ieee_invalid_op 0
		.amdhsa_exception_fp_denorm_src 0
		.amdhsa_exception_fp_ieee_div_zero 0
		.amdhsa_exception_fp_ieee_overflow 0
		.amdhsa_exception_fp_ieee_underflow 0
		.amdhsa_exception_fp_ieee_inexact 0
		.amdhsa_exception_int_div_zero 0
	.end_amdhsa_kernel
	.section	.text._ZN7rocprim17ROCPRIM_400000_NS6detail17trampoline_kernelINS0_14default_configENS1_33run_length_encode_config_selectorIljNS0_4plusIjEEEEZZNS1_33reduce_by_key_impl_wrapped_configILNS1_25lookback_scan_determinismE0ES3_S7_PKlNS0_17constant_iteratorIjlEEPlSE_SE_S6_NS0_8equal_toIlEEEE10hipError_tPvRmT2_T3_mT4_T5_T6_T7_T8_P12ihipStream_tbENKUlT_T0_E_clISt17integral_constantIbLb1EESY_EEDaST_SU_EUlST_E_NS1_11comp_targetILNS1_3genE5ELNS1_11target_archE942ELNS1_3gpuE9ELNS1_3repE0EEENS1_30default_config_static_selectorELNS0_4arch9wavefront6targetE0EEEvT1_,"axG",@progbits,_ZN7rocprim17ROCPRIM_400000_NS6detail17trampoline_kernelINS0_14default_configENS1_33run_length_encode_config_selectorIljNS0_4plusIjEEEEZZNS1_33reduce_by_key_impl_wrapped_configILNS1_25lookback_scan_determinismE0ES3_S7_PKlNS0_17constant_iteratorIjlEEPlSE_SE_S6_NS0_8equal_toIlEEEE10hipError_tPvRmT2_T3_mT4_T5_T6_T7_T8_P12ihipStream_tbENKUlT_T0_E_clISt17integral_constantIbLb1EESY_EEDaST_SU_EUlST_E_NS1_11comp_targetILNS1_3genE5ELNS1_11target_archE942ELNS1_3gpuE9ELNS1_3repE0EEENS1_30default_config_static_selectorELNS0_4arch9wavefront6targetE0EEEvT1_,comdat
.Lfunc_end521:
	.size	_ZN7rocprim17ROCPRIM_400000_NS6detail17trampoline_kernelINS0_14default_configENS1_33run_length_encode_config_selectorIljNS0_4plusIjEEEEZZNS1_33reduce_by_key_impl_wrapped_configILNS1_25lookback_scan_determinismE0ES3_S7_PKlNS0_17constant_iteratorIjlEEPlSE_SE_S6_NS0_8equal_toIlEEEE10hipError_tPvRmT2_T3_mT4_T5_T6_T7_T8_P12ihipStream_tbENKUlT_T0_E_clISt17integral_constantIbLb1EESY_EEDaST_SU_EUlST_E_NS1_11comp_targetILNS1_3genE5ELNS1_11target_archE942ELNS1_3gpuE9ELNS1_3repE0EEENS1_30default_config_static_selectorELNS0_4arch9wavefront6targetE0EEEvT1_, .Lfunc_end521-_ZN7rocprim17ROCPRIM_400000_NS6detail17trampoline_kernelINS0_14default_configENS1_33run_length_encode_config_selectorIljNS0_4plusIjEEEEZZNS1_33reduce_by_key_impl_wrapped_configILNS1_25lookback_scan_determinismE0ES3_S7_PKlNS0_17constant_iteratorIjlEEPlSE_SE_S6_NS0_8equal_toIlEEEE10hipError_tPvRmT2_T3_mT4_T5_T6_T7_T8_P12ihipStream_tbENKUlT_T0_E_clISt17integral_constantIbLb1EESY_EEDaST_SU_EUlST_E_NS1_11comp_targetILNS1_3genE5ELNS1_11target_archE942ELNS1_3gpuE9ELNS1_3repE0EEENS1_30default_config_static_selectorELNS0_4arch9wavefront6targetE0EEEvT1_
                                        ; -- End function
	.set _ZN7rocprim17ROCPRIM_400000_NS6detail17trampoline_kernelINS0_14default_configENS1_33run_length_encode_config_selectorIljNS0_4plusIjEEEEZZNS1_33reduce_by_key_impl_wrapped_configILNS1_25lookback_scan_determinismE0ES3_S7_PKlNS0_17constant_iteratorIjlEEPlSE_SE_S6_NS0_8equal_toIlEEEE10hipError_tPvRmT2_T3_mT4_T5_T6_T7_T8_P12ihipStream_tbENKUlT_T0_E_clISt17integral_constantIbLb1EESY_EEDaST_SU_EUlST_E_NS1_11comp_targetILNS1_3genE5ELNS1_11target_archE942ELNS1_3gpuE9ELNS1_3repE0EEENS1_30default_config_static_selectorELNS0_4arch9wavefront6targetE0EEEvT1_.num_vgpr, 0
	.set _ZN7rocprim17ROCPRIM_400000_NS6detail17trampoline_kernelINS0_14default_configENS1_33run_length_encode_config_selectorIljNS0_4plusIjEEEEZZNS1_33reduce_by_key_impl_wrapped_configILNS1_25lookback_scan_determinismE0ES3_S7_PKlNS0_17constant_iteratorIjlEEPlSE_SE_S6_NS0_8equal_toIlEEEE10hipError_tPvRmT2_T3_mT4_T5_T6_T7_T8_P12ihipStream_tbENKUlT_T0_E_clISt17integral_constantIbLb1EESY_EEDaST_SU_EUlST_E_NS1_11comp_targetILNS1_3genE5ELNS1_11target_archE942ELNS1_3gpuE9ELNS1_3repE0EEENS1_30default_config_static_selectorELNS0_4arch9wavefront6targetE0EEEvT1_.num_agpr, 0
	.set _ZN7rocprim17ROCPRIM_400000_NS6detail17trampoline_kernelINS0_14default_configENS1_33run_length_encode_config_selectorIljNS0_4plusIjEEEEZZNS1_33reduce_by_key_impl_wrapped_configILNS1_25lookback_scan_determinismE0ES3_S7_PKlNS0_17constant_iteratorIjlEEPlSE_SE_S6_NS0_8equal_toIlEEEE10hipError_tPvRmT2_T3_mT4_T5_T6_T7_T8_P12ihipStream_tbENKUlT_T0_E_clISt17integral_constantIbLb1EESY_EEDaST_SU_EUlST_E_NS1_11comp_targetILNS1_3genE5ELNS1_11target_archE942ELNS1_3gpuE9ELNS1_3repE0EEENS1_30default_config_static_selectorELNS0_4arch9wavefront6targetE0EEEvT1_.numbered_sgpr, 0
	.set _ZN7rocprim17ROCPRIM_400000_NS6detail17trampoline_kernelINS0_14default_configENS1_33run_length_encode_config_selectorIljNS0_4plusIjEEEEZZNS1_33reduce_by_key_impl_wrapped_configILNS1_25lookback_scan_determinismE0ES3_S7_PKlNS0_17constant_iteratorIjlEEPlSE_SE_S6_NS0_8equal_toIlEEEE10hipError_tPvRmT2_T3_mT4_T5_T6_T7_T8_P12ihipStream_tbENKUlT_T0_E_clISt17integral_constantIbLb1EESY_EEDaST_SU_EUlST_E_NS1_11comp_targetILNS1_3genE5ELNS1_11target_archE942ELNS1_3gpuE9ELNS1_3repE0EEENS1_30default_config_static_selectorELNS0_4arch9wavefront6targetE0EEEvT1_.num_named_barrier, 0
	.set _ZN7rocprim17ROCPRIM_400000_NS6detail17trampoline_kernelINS0_14default_configENS1_33run_length_encode_config_selectorIljNS0_4plusIjEEEEZZNS1_33reduce_by_key_impl_wrapped_configILNS1_25lookback_scan_determinismE0ES3_S7_PKlNS0_17constant_iteratorIjlEEPlSE_SE_S6_NS0_8equal_toIlEEEE10hipError_tPvRmT2_T3_mT4_T5_T6_T7_T8_P12ihipStream_tbENKUlT_T0_E_clISt17integral_constantIbLb1EESY_EEDaST_SU_EUlST_E_NS1_11comp_targetILNS1_3genE5ELNS1_11target_archE942ELNS1_3gpuE9ELNS1_3repE0EEENS1_30default_config_static_selectorELNS0_4arch9wavefront6targetE0EEEvT1_.private_seg_size, 0
	.set _ZN7rocprim17ROCPRIM_400000_NS6detail17trampoline_kernelINS0_14default_configENS1_33run_length_encode_config_selectorIljNS0_4plusIjEEEEZZNS1_33reduce_by_key_impl_wrapped_configILNS1_25lookback_scan_determinismE0ES3_S7_PKlNS0_17constant_iteratorIjlEEPlSE_SE_S6_NS0_8equal_toIlEEEE10hipError_tPvRmT2_T3_mT4_T5_T6_T7_T8_P12ihipStream_tbENKUlT_T0_E_clISt17integral_constantIbLb1EESY_EEDaST_SU_EUlST_E_NS1_11comp_targetILNS1_3genE5ELNS1_11target_archE942ELNS1_3gpuE9ELNS1_3repE0EEENS1_30default_config_static_selectorELNS0_4arch9wavefront6targetE0EEEvT1_.uses_vcc, 0
	.set _ZN7rocprim17ROCPRIM_400000_NS6detail17trampoline_kernelINS0_14default_configENS1_33run_length_encode_config_selectorIljNS0_4plusIjEEEEZZNS1_33reduce_by_key_impl_wrapped_configILNS1_25lookback_scan_determinismE0ES3_S7_PKlNS0_17constant_iteratorIjlEEPlSE_SE_S6_NS0_8equal_toIlEEEE10hipError_tPvRmT2_T3_mT4_T5_T6_T7_T8_P12ihipStream_tbENKUlT_T0_E_clISt17integral_constantIbLb1EESY_EEDaST_SU_EUlST_E_NS1_11comp_targetILNS1_3genE5ELNS1_11target_archE942ELNS1_3gpuE9ELNS1_3repE0EEENS1_30default_config_static_selectorELNS0_4arch9wavefront6targetE0EEEvT1_.uses_flat_scratch, 0
	.set _ZN7rocprim17ROCPRIM_400000_NS6detail17trampoline_kernelINS0_14default_configENS1_33run_length_encode_config_selectorIljNS0_4plusIjEEEEZZNS1_33reduce_by_key_impl_wrapped_configILNS1_25lookback_scan_determinismE0ES3_S7_PKlNS0_17constant_iteratorIjlEEPlSE_SE_S6_NS0_8equal_toIlEEEE10hipError_tPvRmT2_T3_mT4_T5_T6_T7_T8_P12ihipStream_tbENKUlT_T0_E_clISt17integral_constantIbLb1EESY_EEDaST_SU_EUlST_E_NS1_11comp_targetILNS1_3genE5ELNS1_11target_archE942ELNS1_3gpuE9ELNS1_3repE0EEENS1_30default_config_static_selectorELNS0_4arch9wavefront6targetE0EEEvT1_.has_dyn_sized_stack, 0
	.set _ZN7rocprim17ROCPRIM_400000_NS6detail17trampoline_kernelINS0_14default_configENS1_33run_length_encode_config_selectorIljNS0_4plusIjEEEEZZNS1_33reduce_by_key_impl_wrapped_configILNS1_25lookback_scan_determinismE0ES3_S7_PKlNS0_17constant_iteratorIjlEEPlSE_SE_S6_NS0_8equal_toIlEEEE10hipError_tPvRmT2_T3_mT4_T5_T6_T7_T8_P12ihipStream_tbENKUlT_T0_E_clISt17integral_constantIbLb1EESY_EEDaST_SU_EUlST_E_NS1_11comp_targetILNS1_3genE5ELNS1_11target_archE942ELNS1_3gpuE9ELNS1_3repE0EEENS1_30default_config_static_selectorELNS0_4arch9wavefront6targetE0EEEvT1_.has_recursion, 0
	.set _ZN7rocprim17ROCPRIM_400000_NS6detail17trampoline_kernelINS0_14default_configENS1_33run_length_encode_config_selectorIljNS0_4plusIjEEEEZZNS1_33reduce_by_key_impl_wrapped_configILNS1_25lookback_scan_determinismE0ES3_S7_PKlNS0_17constant_iteratorIjlEEPlSE_SE_S6_NS0_8equal_toIlEEEE10hipError_tPvRmT2_T3_mT4_T5_T6_T7_T8_P12ihipStream_tbENKUlT_T0_E_clISt17integral_constantIbLb1EESY_EEDaST_SU_EUlST_E_NS1_11comp_targetILNS1_3genE5ELNS1_11target_archE942ELNS1_3gpuE9ELNS1_3repE0EEENS1_30default_config_static_selectorELNS0_4arch9wavefront6targetE0EEEvT1_.has_indirect_call, 0
	.section	.AMDGPU.csdata,"",@progbits
; Kernel info:
; codeLenInByte = 0
; TotalNumSgprs: 0
; NumVgprs: 0
; ScratchSize: 0
; MemoryBound: 0
; FloatMode: 240
; IeeeMode: 1
; LDSByteSize: 0 bytes/workgroup (compile time only)
; SGPRBlocks: 0
; VGPRBlocks: 0
; NumSGPRsForWavesPerEU: 1
; NumVGPRsForWavesPerEU: 1
; NamedBarCnt: 0
; Occupancy: 16
; WaveLimiterHint : 0
; COMPUTE_PGM_RSRC2:SCRATCH_EN: 0
; COMPUTE_PGM_RSRC2:USER_SGPR: 2
; COMPUTE_PGM_RSRC2:TRAP_HANDLER: 0
; COMPUTE_PGM_RSRC2:TGID_X_EN: 1
; COMPUTE_PGM_RSRC2:TGID_Y_EN: 0
; COMPUTE_PGM_RSRC2:TGID_Z_EN: 0
; COMPUTE_PGM_RSRC2:TIDIG_COMP_CNT: 0
	.section	.text._ZN7rocprim17ROCPRIM_400000_NS6detail17trampoline_kernelINS0_14default_configENS1_33run_length_encode_config_selectorIljNS0_4plusIjEEEEZZNS1_33reduce_by_key_impl_wrapped_configILNS1_25lookback_scan_determinismE0ES3_S7_PKlNS0_17constant_iteratorIjlEEPlSE_SE_S6_NS0_8equal_toIlEEEE10hipError_tPvRmT2_T3_mT4_T5_T6_T7_T8_P12ihipStream_tbENKUlT_T0_E_clISt17integral_constantIbLb1EESY_EEDaST_SU_EUlST_E_NS1_11comp_targetILNS1_3genE4ELNS1_11target_archE910ELNS1_3gpuE8ELNS1_3repE0EEENS1_30default_config_static_selectorELNS0_4arch9wavefront6targetE0EEEvT1_,"axG",@progbits,_ZN7rocprim17ROCPRIM_400000_NS6detail17trampoline_kernelINS0_14default_configENS1_33run_length_encode_config_selectorIljNS0_4plusIjEEEEZZNS1_33reduce_by_key_impl_wrapped_configILNS1_25lookback_scan_determinismE0ES3_S7_PKlNS0_17constant_iteratorIjlEEPlSE_SE_S6_NS0_8equal_toIlEEEE10hipError_tPvRmT2_T3_mT4_T5_T6_T7_T8_P12ihipStream_tbENKUlT_T0_E_clISt17integral_constantIbLb1EESY_EEDaST_SU_EUlST_E_NS1_11comp_targetILNS1_3genE4ELNS1_11target_archE910ELNS1_3gpuE8ELNS1_3repE0EEENS1_30default_config_static_selectorELNS0_4arch9wavefront6targetE0EEEvT1_,comdat
	.protected	_ZN7rocprim17ROCPRIM_400000_NS6detail17trampoline_kernelINS0_14default_configENS1_33run_length_encode_config_selectorIljNS0_4plusIjEEEEZZNS1_33reduce_by_key_impl_wrapped_configILNS1_25lookback_scan_determinismE0ES3_S7_PKlNS0_17constant_iteratorIjlEEPlSE_SE_S6_NS0_8equal_toIlEEEE10hipError_tPvRmT2_T3_mT4_T5_T6_T7_T8_P12ihipStream_tbENKUlT_T0_E_clISt17integral_constantIbLb1EESY_EEDaST_SU_EUlST_E_NS1_11comp_targetILNS1_3genE4ELNS1_11target_archE910ELNS1_3gpuE8ELNS1_3repE0EEENS1_30default_config_static_selectorELNS0_4arch9wavefront6targetE0EEEvT1_ ; -- Begin function _ZN7rocprim17ROCPRIM_400000_NS6detail17trampoline_kernelINS0_14default_configENS1_33run_length_encode_config_selectorIljNS0_4plusIjEEEEZZNS1_33reduce_by_key_impl_wrapped_configILNS1_25lookback_scan_determinismE0ES3_S7_PKlNS0_17constant_iteratorIjlEEPlSE_SE_S6_NS0_8equal_toIlEEEE10hipError_tPvRmT2_T3_mT4_T5_T6_T7_T8_P12ihipStream_tbENKUlT_T0_E_clISt17integral_constantIbLb1EESY_EEDaST_SU_EUlST_E_NS1_11comp_targetILNS1_3genE4ELNS1_11target_archE910ELNS1_3gpuE8ELNS1_3repE0EEENS1_30default_config_static_selectorELNS0_4arch9wavefront6targetE0EEEvT1_
	.globl	_ZN7rocprim17ROCPRIM_400000_NS6detail17trampoline_kernelINS0_14default_configENS1_33run_length_encode_config_selectorIljNS0_4plusIjEEEEZZNS1_33reduce_by_key_impl_wrapped_configILNS1_25lookback_scan_determinismE0ES3_S7_PKlNS0_17constant_iteratorIjlEEPlSE_SE_S6_NS0_8equal_toIlEEEE10hipError_tPvRmT2_T3_mT4_T5_T6_T7_T8_P12ihipStream_tbENKUlT_T0_E_clISt17integral_constantIbLb1EESY_EEDaST_SU_EUlST_E_NS1_11comp_targetILNS1_3genE4ELNS1_11target_archE910ELNS1_3gpuE8ELNS1_3repE0EEENS1_30default_config_static_selectorELNS0_4arch9wavefront6targetE0EEEvT1_
	.p2align	8
	.type	_ZN7rocprim17ROCPRIM_400000_NS6detail17trampoline_kernelINS0_14default_configENS1_33run_length_encode_config_selectorIljNS0_4plusIjEEEEZZNS1_33reduce_by_key_impl_wrapped_configILNS1_25lookback_scan_determinismE0ES3_S7_PKlNS0_17constant_iteratorIjlEEPlSE_SE_S6_NS0_8equal_toIlEEEE10hipError_tPvRmT2_T3_mT4_T5_T6_T7_T8_P12ihipStream_tbENKUlT_T0_E_clISt17integral_constantIbLb1EESY_EEDaST_SU_EUlST_E_NS1_11comp_targetILNS1_3genE4ELNS1_11target_archE910ELNS1_3gpuE8ELNS1_3repE0EEENS1_30default_config_static_selectorELNS0_4arch9wavefront6targetE0EEEvT1_,@function
_ZN7rocprim17ROCPRIM_400000_NS6detail17trampoline_kernelINS0_14default_configENS1_33run_length_encode_config_selectorIljNS0_4plusIjEEEEZZNS1_33reduce_by_key_impl_wrapped_configILNS1_25lookback_scan_determinismE0ES3_S7_PKlNS0_17constant_iteratorIjlEEPlSE_SE_S6_NS0_8equal_toIlEEEE10hipError_tPvRmT2_T3_mT4_T5_T6_T7_T8_P12ihipStream_tbENKUlT_T0_E_clISt17integral_constantIbLb1EESY_EEDaST_SU_EUlST_E_NS1_11comp_targetILNS1_3genE4ELNS1_11target_archE910ELNS1_3gpuE8ELNS1_3repE0EEENS1_30default_config_static_selectorELNS0_4arch9wavefront6targetE0EEEvT1_: ; @_ZN7rocprim17ROCPRIM_400000_NS6detail17trampoline_kernelINS0_14default_configENS1_33run_length_encode_config_selectorIljNS0_4plusIjEEEEZZNS1_33reduce_by_key_impl_wrapped_configILNS1_25lookback_scan_determinismE0ES3_S7_PKlNS0_17constant_iteratorIjlEEPlSE_SE_S6_NS0_8equal_toIlEEEE10hipError_tPvRmT2_T3_mT4_T5_T6_T7_T8_P12ihipStream_tbENKUlT_T0_E_clISt17integral_constantIbLb1EESY_EEDaST_SU_EUlST_E_NS1_11comp_targetILNS1_3genE4ELNS1_11target_archE910ELNS1_3gpuE8ELNS1_3repE0EEENS1_30default_config_static_selectorELNS0_4arch9wavefront6targetE0EEEvT1_
; %bb.0:
	.section	.rodata,"a",@progbits
	.p2align	6, 0x0
	.amdhsa_kernel _ZN7rocprim17ROCPRIM_400000_NS6detail17trampoline_kernelINS0_14default_configENS1_33run_length_encode_config_selectorIljNS0_4plusIjEEEEZZNS1_33reduce_by_key_impl_wrapped_configILNS1_25lookback_scan_determinismE0ES3_S7_PKlNS0_17constant_iteratorIjlEEPlSE_SE_S6_NS0_8equal_toIlEEEE10hipError_tPvRmT2_T3_mT4_T5_T6_T7_T8_P12ihipStream_tbENKUlT_T0_E_clISt17integral_constantIbLb1EESY_EEDaST_SU_EUlST_E_NS1_11comp_targetILNS1_3genE4ELNS1_11target_archE910ELNS1_3gpuE8ELNS1_3repE0EEENS1_30default_config_static_selectorELNS0_4arch9wavefront6targetE0EEEvT1_
		.amdhsa_group_segment_fixed_size 0
		.amdhsa_private_segment_fixed_size 0
		.amdhsa_kernarg_size 128
		.amdhsa_user_sgpr_count 2
		.amdhsa_user_sgpr_dispatch_ptr 0
		.amdhsa_user_sgpr_queue_ptr 0
		.amdhsa_user_sgpr_kernarg_segment_ptr 1
		.amdhsa_user_sgpr_dispatch_id 0
		.amdhsa_user_sgpr_kernarg_preload_length 0
		.amdhsa_user_sgpr_kernarg_preload_offset 0
		.amdhsa_user_sgpr_private_segment_size 0
		.amdhsa_wavefront_size32 1
		.amdhsa_uses_dynamic_stack 0
		.amdhsa_enable_private_segment 0
		.amdhsa_system_sgpr_workgroup_id_x 1
		.amdhsa_system_sgpr_workgroup_id_y 0
		.amdhsa_system_sgpr_workgroup_id_z 0
		.amdhsa_system_sgpr_workgroup_info 0
		.amdhsa_system_vgpr_workitem_id 0
		.amdhsa_next_free_vgpr 1
		.amdhsa_next_free_sgpr 1
		.amdhsa_named_barrier_count 0
		.amdhsa_reserve_vcc 0
		.amdhsa_float_round_mode_32 0
		.amdhsa_float_round_mode_16_64 0
		.amdhsa_float_denorm_mode_32 3
		.amdhsa_float_denorm_mode_16_64 3
		.amdhsa_fp16_overflow 0
		.amdhsa_memory_ordered 1
		.amdhsa_forward_progress 1
		.amdhsa_inst_pref_size 0
		.amdhsa_round_robin_scheduling 0
		.amdhsa_exception_fp_ieee_invalid_op 0
		.amdhsa_exception_fp_denorm_src 0
		.amdhsa_exception_fp_ieee_div_zero 0
		.amdhsa_exception_fp_ieee_overflow 0
		.amdhsa_exception_fp_ieee_underflow 0
		.amdhsa_exception_fp_ieee_inexact 0
		.amdhsa_exception_int_div_zero 0
	.end_amdhsa_kernel
	.section	.text._ZN7rocprim17ROCPRIM_400000_NS6detail17trampoline_kernelINS0_14default_configENS1_33run_length_encode_config_selectorIljNS0_4plusIjEEEEZZNS1_33reduce_by_key_impl_wrapped_configILNS1_25lookback_scan_determinismE0ES3_S7_PKlNS0_17constant_iteratorIjlEEPlSE_SE_S6_NS0_8equal_toIlEEEE10hipError_tPvRmT2_T3_mT4_T5_T6_T7_T8_P12ihipStream_tbENKUlT_T0_E_clISt17integral_constantIbLb1EESY_EEDaST_SU_EUlST_E_NS1_11comp_targetILNS1_3genE4ELNS1_11target_archE910ELNS1_3gpuE8ELNS1_3repE0EEENS1_30default_config_static_selectorELNS0_4arch9wavefront6targetE0EEEvT1_,"axG",@progbits,_ZN7rocprim17ROCPRIM_400000_NS6detail17trampoline_kernelINS0_14default_configENS1_33run_length_encode_config_selectorIljNS0_4plusIjEEEEZZNS1_33reduce_by_key_impl_wrapped_configILNS1_25lookback_scan_determinismE0ES3_S7_PKlNS0_17constant_iteratorIjlEEPlSE_SE_S6_NS0_8equal_toIlEEEE10hipError_tPvRmT2_T3_mT4_T5_T6_T7_T8_P12ihipStream_tbENKUlT_T0_E_clISt17integral_constantIbLb1EESY_EEDaST_SU_EUlST_E_NS1_11comp_targetILNS1_3genE4ELNS1_11target_archE910ELNS1_3gpuE8ELNS1_3repE0EEENS1_30default_config_static_selectorELNS0_4arch9wavefront6targetE0EEEvT1_,comdat
.Lfunc_end522:
	.size	_ZN7rocprim17ROCPRIM_400000_NS6detail17trampoline_kernelINS0_14default_configENS1_33run_length_encode_config_selectorIljNS0_4plusIjEEEEZZNS1_33reduce_by_key_impl_wrapped_configILNS1_25lookback_scan_determinismE0ES3_S7_PKlNS0_17constant_iteratorIjlEEPlSE_SE_S6_NS0_8equal_toIlEEEE10hipError_tPvRmT2_T3_mT4_T5_T6_T7_T8_P12ihipStream_tbENKUlT_T0_E_clISt17integral_constantIbLb1EESY_EEDaST_SU_EUlST_E_NS1_11comp_targetILNS1_3genE4ELNS1_11target_archE910ELNS1_3gpuE8ELNS1_3repE0EEENS1_30default_config_static_selectorELNS0_4arch9wavefront6targetE0EEEvT1_, .Lfunc_end522-_ZN7rocprim17ROCPRIM_400000_NS6detail17trampoline_kernelINS0_14default_configENS1_33run_length_encode_config_selectorIljNS0_4plusIjEEEEZZNS1_33reduce_by_key_impl_wrapped_configILNS1_25lookback_scan_determinismE0ES3_S7_PKlNS0_17constant_iteratorIjlEEPlSE_SE_S6_NS0_8equal_toIlEEEE10hipError_tPvRmT2_T3_mT4_T5_T6_T7_T8_P12ihipStream_tbENKUlT_T0_E_clISt17integral_constantIbLb1EESY_EEDaST_SU_EUlST_E_NS1_11comp_targetILNS1_3genE4ELNS1_11target_archE910ELNS1_3gpuE8ELNS1_3repE0EEENS1_30default_config_static_selectorELNS0_4arch9wavefront6targetE0EEEvT1_
                                        ; -- End function
	.set _ZN7rocprim17ROCPRIM_400000_NS6detail17trampoline_kernelINS0_14default_configENS1_33run_length_encode_config_selectorIljNS0_4plusIjEEEEZZNS1_33reduce_by_key_impl_wrapped_configILNS1_25lookback_scan_determinismE0ES3_S7_PKlNS0_17constant_iteratorIjlEEPlSE_SE_S6_NS0_8equal_toIlEEEE10hipError_tPvRmT2_T3_mT4_T5_T6_T7_T8_P12ihipStream_tbENKUlT_T0_E_clISt17integral_constantIbLb1EESY_EEDaST_SU_EUlST_E_NS1_11comp_targetILNS1_3genE4ELNS1_11target_archE910ELNS1_3gpuE8ELNS1_3repE0EEENS1_30default_config_static_selectorELNS0_4arch9wavefront6targetE0EEEvT1_.num_vgpr, 0
	.set _ZN7rocprim17ROCPRIM_400000_NS6detail17trampoline_kernelINS0_14default_configENS1_33run_length_encode_config_selectorIljNS0_4plusIjEEEEZZNS1_33reduce_by_key_impl_wrapped_configILNS1_25lookback_scan_determinismE0ES3_S7_PKlNS0_17constant_iteratorIjlEEPlSE_SE_S6_NS0_8equal_toIlEEEE10hipError_tPvRmT2_T3_mT4_T5_T6_T7_T8_P12ihipStream_tbENKUlT_T0_E_clISt17integral_constantIbLb1EESY_EEDaST_SU_EUlST_E_NS1_11comp_targetILNS1_3genE4ELNS1_11target_archE910ELNS1_3gpuE8ELNS1_3repE0EEENS1_30default_config_static_selectorELNS0_4arch9wavefront6targetE0EEEvT1_.num_agpr, 0
	.set _ZN7rocprim17ROCPRIM_400000_NS6detail17trampoline_kernelINS0_14default_configENS1_33run_length_encode_config_selectorIljNS0_4plusIjEEEEZZNS1_33reduce_by_key_impl_wrapped_configILNS1_25lookback_scan_determinismE0ES3_S7_PKlNS0_17constant_iteratorIjlEEPlSE_SE_S6_NS0_8equal_toIlEEEE10hipError_tPvRmT2_T3_mT4_T5_T6_T7_T8_P12ihipStream_tbENKUlT_T0_E_clISt17integral_constantIbLb1EESY_EEDaST_SU_EUlST_E_NS1_11comp_targetILNS1_3genE4ELNS1_11target_archE910ELNS1_3gpuE8ELNS1_3repE0EEENS1_30default_config_static_selectorELNS0_4arch9wavefront6targetE0EEEvT1_.numbered_sgpr, 0
	.set _ZN7rocprim17ROCPRIM_400000_NS6detail17trampoline_kernelINS0_14default_configENS1_33run_length_encode_config_selectorIljNS0_4plusIjEEEEZZNS1_33reduce_by_key_impl_wrapped_configILNS1_25lookback_scan_determinismE0ES3_S7_PKlNS0_17constant_iteratorIjlEEPlSE_SE_S6_NS0_8equal_toIlEEEE10hipError_tPvRmT2_T3_mT4_T5_T6_T7_T8_P12ihipStream_tbENKUlT_T0_E_clISt17integral_constantIbLb1EESY_EEDaST_SU_EUlST_E_NS1_11comp_targetILNS1_3genE4ELNS1_11target_archE910ELNS1_3gpuE8ELNS1_3repE0EEENS1_30default_config_static_selectorELNS0_4arch9wavefront6targetE0EEEvT1_.num_named_barrier, 0
	.set _ZN7rocprim17ROCPRIM_400000_NS6detail17trampoline_kernelINS0_14default_configENS1_33run_length_encode_config_selectorIljNS0_4plusIjEEEEZZNS1_33reduce_by_key_impl_wrapped_configILNS1_25lookback_scan_determinismE0ES3_S7_PKlNS0_17constant_iteratorIjlEEPlSE_SE_S6_NS0_8equal_toIlEEEE10hipError_tPvRmT2_T3_mT4_T5_T6_T7_T8_P12ihipStream_tbENKUlT_T0_E_clISt17integral_constantIbLb1EESY_EEDaST_SU_EUlST_E_NS1_11comp_targetILNS1_3genE4ELNS1_11target_archE910ELNS1_3gpuE8ELNS1_3repE0EEENS1_30default_config_static_selectorELNS0_4arch9wavefront6targetE0EEEvT1_.private_seg_size, 0
	.set _ZN7rocprim17ROCPRIM_400000_NS6detail17trampoline_kernelINS0_14default_configENS1_33run_length_encode_config_selectorIljNS0_4plusIjEEEEZZNS1_33reduce_by_key_impl_wrapped_configILNS1_25lookback_scan_determinismE0ES3_S7_PKlNS0_17constant_iteratorIjlEEPlSE_SE_S6_NS0_8equal_toIlEEEE10hipError_tPvRmT2_T3_mT4_T5_T6_T7_T8_P12ihipStream_tbENKUlT_T0_E_clISt17integral_constantIbLb1EESY_EEDaST_SU_EUlST_E_NS1_11comp_targetILNS1_3genE4ELNS1_11target_archE910ELNS1_3gpuE8ELNS1_3repE0EEENS1_30default_config_static_selectorELNS0_4arch9wavefront6targetE0EEEvT1_.uses_vcc, 0
	.set _ZN7rocprim17ROCPRIM_400000_NS6detail17trampoline_kernelINS0_14default_configENS1_33run_length_encode_config_selectorIljNS0_4plusIjEEEEZZNS1_33reduce_by_key_impl_wrapped_configILNS1_25lookback_scan_determinismE0ES3_S7_PKlNS0_17constant_iteratorIjlEEPlSE_SE_S6_NS0_8equal_toIlEEEE10hipError_tPvRmT2_T3_mT4_T5_T6_T7_T8_P12ihipStream_tbENKUlT_T0_E_clISt17integral_constantIbLb1EESY_EEDaST_SU_EUlST_E_NS1_11comp_targetILNS1_3genE4ELNS1_11target_archE910ELNS1_3gpuE8ELNS1_3repE0EEENS1_30default_config_static_selectorELNS0_4arch9wavefront6targetE0EEEvT1_.uses_flat_scratch, 0
	.set _ZN7rocprim17ROCPRIM_400000_NS6detail17trampoline_kernelINS0_14default_configENS1_33run_length_encode_config_selectorIljNS0_4plusIjEEEEZZNS1_33reduce_by_key_impl_wrapped_configILNS1_25lookback_scan_determinismE0ES3_S7_PKlNS0_17constant_iteratorIjlEEPlSE_SE_S6_NS0_8equal_toIlEEEE10hipError_tPvRmT2_T3_mT4_T5_T6_T7_T8_P12ihipStream_tbENKUlT_T0_E_clISt17integral_constantIbLb1EESY_EEDaST_SU_EUlST_E_NS1_11comp_targetILNS1_3genE4ELNS1_11target_archE910ELNS1_3gpuE8ELNS1_3repE0EEENS1_30default_config_static_selectorELNS0_4arch9wavefront6targetE0EEEvT1_.has_dyn_sized_stack, 0
	.set _ZN7rocprim17ROCPRIM_400000_NS6detail17trampoline_kernelINS0_14default_configENS1_33run_length_encode_config_selectorIljNS0_4plusIjEEEEZZNS1_33reduce_by_key_impl_wrapped_configILNS1_25lookback_scan_determinismE0ES3_S7_PKlNS0_17constant_iteratorIjlEEPlSE_SE_S6_NS0_8equal_toIlEEEE10hipError_tPvRmT2_T3_mT4_T5_T6_T7_T8_P12ihipStream_tbENKUlT_T0_E_clISt17integral_constantIbLb1EESY_EEDaST_SU_EUlST_E_NS1_11comp_targetILNS1_3genE4ELNS1_11target_archE910ELNS1_3gpuE8ELNS1_3repE0EEENS1_30default_config_static_selectorELNS0_4arch9wavefront6targetE0EEEvT1_.has_recursion, 0
	.set _ZN7rocprim17ROCPRIM_400000_NS6detail17trampoline_kernelINS0_14default_configENS1_33run_length_encode_config_selectorIljNS0_4plusIjEEEEZZNS1_33reduce_by_key_impl_wrapped_configILNS1_25lookback_scan_determinismE0ES3_S7_PKlNS0_17constant_iteratorIjlEEPlSE_SE_S6_NS0_8equal_toIlEEEE10hipError_tPvRmT2_T3_mT4_T5_T6_T7_T8_P12ihipStream_tbENKUlT_T0_E_clISt17integral_constantIbLb1EESY_EEDaST_SU_EUlST_E_NS1_11comp_targetILNS1_3genE4ELNS1_11target_archE910ELNS1_3gpuE8ELNS1_3repE0EEENS1_30default_config_static_selectorELNS0_4arch9wavefront6targetE0EEEvT1_.has_indirect_call, 0
	.section	.AMDGPU.csdata,"",@progbits
; Kernel info:
; codeLenInByte = 0
; TotalNumSgprs: 0
; NumVgprs: 0
; ScratchSize: 0
; MemoryBound: 0
; FloatMode: 240
; IeeeMode: 1
; LDSByteSize: 0 bytes/workgroup (compile time only)
; SGPRBlocks: 0
; VGPRBlocks: 0
; NumSGPRsForWavesPerEU: 1
; NumVGPRsForWavesPerEU: 1
; NamedBarCnt: 0
; Occupancy: 16
; WaveLimiterHint : 0
; COMPUTE_PGM_RSRC2:SCRATCH_EN: 0
; COMPUTE_PGM_RSRC2:USER_SGPR: 2
; COMPUTE_PGM_RSRC2:TRAP_HANDLER: 0
; COMPUTE_PGM_RSRC2:TGID_X_EN: 1
; COMPUTE_PGM_RSRC2:TGID_Y_EN: 0
; COMPUTE_PGM_RSRC2:TGID_Z_EN: 0
; COMPUTE_PGM_RSRC2:TIDIG_COMP_CNT: 0
	.section	.text._ZN7rocprim17ROCPRIM_400000_NS6detail17trampoline_kernelINS0_14default_configENS1_33run_length_encode_config_selectorIljNS0_4plusIjEEEEZZNS1_33reduce_by_key_impl_wrapped_configILNS1_25lookback_scan_determinismE0ES3_S7_PKlNS0_17constant_iteratorIjlEEPlSE_SE_S6_NS0_8equal_toIlEEEE10hipError_tPvRmT2_T3_mT4_T5_T6_T7_T8_P12ihipStream_tbENKUlT_T0_E_clISt17integral_constantIbLb1EESY_EEDaST_SU_EUlST_E_NS1_11comp_targetILNS1_3genE3ELNS1_11target_archE908ELNS1_3gpuE7ELNS1_3repE0EEENS1_30default_config_static_selectorELNS0_4arch9wavefront6targetE0EEEvT1_,"axG",@progbits,_ZN7rocprim17ROCPRIM_400000_NS6detail17trampoline_kernelINS0_14default_configENS1_33run_length_encode_config_selectorIljNS0_4plusIjEEEEZZNS1_33reduce_by_key_impl_wrapped_configILNS1_25lookback_scan_determinismE0ES3_S7_PKlNS0_17constant_iteratorIjlEEPlSE_SE_S6_NS0_8equal_toIlEEEE10hipError_tPvRmT2_T3_mT4_T5_T6_T7_T8_P12ihipStream_tbENKUlT_T0_E_clISt17integral_constantIbLb1EESY_EEDaST_SU_EUlST_E_NS1_11comp_targetILNS1_3genE3ELNS1_11target_archE908ELNS1_3gpuE7ELNS1_3repE0EEENS1_30default_config_static_selectorELNS0_4arch9wavefront6targetE0EEEvT1_,comdat
	.protected	_ZN7rocprim17ROCPRIM_400000_NS6detail17trampoline_kernelINS0_14default_configENS1_33run_length_encode_config_selectorIljNS0_4plusIjEEEEZZNS1_33reduce_by_key_impl_wrapped_configILNS1_25lookback_scan_determinismE0ES3_S7_PKlNS0_17constant_iteratorIjlEEPlSE_SE_S6_NS0_8equal_toIlEEEE10hipError_tPvRmT2_T3_mT4_T5_T6_T7_T8_P12ihipStream_tbENKUlT_T0_E_clISt17integral_constantIbLb1EESY_EEDaST_SU_EUlST_E_NS1_11comp_targetILNS1_3genE3ELNS1_11target_archE908ELNS1_3gpuE7ELNS1_3repE0EEENS1_30default_config_static_selectorELNS0_4arch9wavefront6targetE0EEEvT1_ ; -- Begin function _ZN7rocprim17ROCPRIM_400000_NS6detail17trampoline_kernelINS0_14default_configENS1_33run_length_encode_config_selectorIljNS0_4plusIjEEEEZZNS1_33reduce_by_key_impl_wrapped_configILNS1_25lookback_scan_determinismE0ES3_S7_PKlNS0_17constant_iteratorIjlEEPlSE_SE_S6_NS0_8equal_toIlEEEE10hipError_tPvRmT2_T3_mT4_T5_T6_T7_T8_P12ihipStream_tbENKUlT_T0_E_clISt17integral_constantIbLb1EESY_EEDaST_SU_EUlST_E_NS1_11comp_targetILNS1_3genE3ELNS1_11target_archE908ELNS1_3gpuE7ELNS1_3repE0EEENS1_30default_config_static_selectorELNS0_4arch9wavefront6targetE0EEEvT1_
	.globl	_ZN7rocprim17ROCPRIM_400000_NS6detail17trampoline_kernelINS0_14default_configENS1_33run_length_encode_config_selectorIljNS0_4plusIjEEEEZZNS1_33reduce_by_key_impl_wrapped_configILNS1_25lookback_scan_determinismE0ES3_S7_PKlNS0_17constant_iteratorIjlEEPlSE_SE_S6_NS0_8equal_toIlEEEE10hipError_tPvRmT2_T3_mT4_T5_T6_T7_T8_P12ihipStream_tbENKUlT_T0_E_clISt17integral_constantIbLb1EESY_EEDaST_SU_EUlST_E_NS1_11comp_targetILNS1_3genE3ELNS1_11target_archE908ELNS1_3gpuE7ELNS1_3repE0EEENS1_30default_config_static_selectorELNS0_4arch9wavefront6targetE0EEEvT1_
	.p2align	8
	.type	_ZN7rocprim17ROCPRIM_400000_NS6detail17trampoline_kernelINS0_14default_configENS1_33run_length_encode_config_selectorIljNS0_4plusIjEEEEZZNS1_33reduce_by_key_impl_wrapped_configILNS1_25lookback_scan_determinismE0ES3_S7_PKlNS0_17constant_iteratorIjlEEPlSE_SE_S6_NS0_8equal_toIlEEEE10hipError_tPvRmT2_T3_mT4_T5_T6_T7_T8_P12ihipStream_tbENKUlT_T0_E_clISt17integral_constantIbLb1EESY_EEDaST_SU_EUlST_E_NS1_11comp_targetILNS1_3genE3ELNS1_11target_archE908ELNS1_3gpuE7ELNS1_3repE0EEENS1_30default_config_static_selectorELNS0_4arch9wavefront6targetE0EEEvT1_,@function
_ZN7rocprim17ROCPRIM_400000_NS6detail17trampoline_kernelINS0_14default_configENS1_33run_length_encode_config_selectorIljNS0_4plusIjEEEEZZNS1_33reduce_by_key_impl_wrapped_configILNS1_25lookback_scan_determinismE0ES3_S7_PKlNS0_17constant_iteratorIjlEEPlSE_SE_S6_NS0_8equal_toIlEEEE10hipError_tPvRmT2_T3_mT4_T5_T6_T7_T8_P12ihipStream_tbENKUlT_T0_E_clISt17integral_constantIbLb1EESY_EEDaST_SU_EUlST_E_NS1_11comp_targetILNS1_3genE3ELNS1_11target_archE908ELNS1_3gpuE7ELNS1_3repE0EEENS1_30default_config_static_selectorELNS0_4arch9wavefront6targetE0EEEvT1_: ; @_ZN7rocprim17ROCPRIM_400000_NS6detail17trampoline_kernelINS0_14default_configENS1_33run_length_encode_config_selectorIljNS0_4plusIjEEEEZZNS1_33reduce_by_key_impl_wrapped_configILNS1_25lookback_scan_determinismE0ES3_S7_PKlNS0_17constant_iteratorIjlEEPlSE_SE_S6_NS0_8equal_toIlEEEE10hipError_tPvRmT2_T3_mT4_T5_T6_T7_T8_P12ihipStream_tbENKUlT_T0_E_clISt17integral_constantIbLb1EESY_EEDaST_SU_EUlST_E_NS1_11comp_targetILNS1_3genE3ELNS1_11target_archE908ELNS1_3gpuE7ELNS1_3repE0EEENS1_30default_config_static_selectorELNS0_4arch9wavefront6targetE0EEEvT1_
; %bb.0:
	.section	.rodata,"a",@progbits
	.p2align	6, 0x0
	.amdhsa_kernel _ZN7rocprim17ROCPRIM_400000_NS6detail17trampoline_kernelINS0_14default_configENS1_33run_length_encode_config_selectorIljNS0_4plusIjEEEEZZNS1_33reduce_by_key_impl_wrapped_configILNS1_25lookback_scan_determinismE0ES3_S7_PKlNS0_17constant_iteratorIjlEEPlSE_SE_S6_NS0_8equal_toIlEEEE10hipError_tPvRmT2_T3_mT4_T5_T6_T7_T8_P12ihipStream_tbENKUlT_T0_E_clISt17integral_constantIbLb1EESY_EEDaST_SU_EUlST_E_NS1_11comp_targetILNS1_3genE3ELNS1_11target_archE908ELNS1_3gpuE7ELNS1_3repE0EEENS1_30default_config_static_selectorELNS0_4arch9wavefront6targetE0EEEvT1_
		.amdhsa_group_segment_fixed_size 0
		.amdhsa_private_segment_fixed_size 0
		.amdhsa_kernarg_size 128
		.amdhsa_user_sgpr_count 2
		.amdhsa_user_sgpr_dispatch_ptr 0
		.amdhsa_user_sgpr_queue_ptr 0
		.amdhsa_user_sgpr_kernarg_segment_ptr 1
		.amdhsa_user_sgpr_dispatch_id 0
		.amdhsa_user_sgpr_kernarg_preload_length 0
		.amdhsa_user_sgpr_kernarg_preload_offset 0
		.amdhsa_user_sgpr_private_segment_size 0
		.amdhsa_wavefront_size32 1
		.amdhsa_uses_dynamic_stack 0
		.amdhsa_enable_private_segment 0
		.amdhsa_system_sgpr_workgroup_id_x 1
		.amdhsa_system_sgpr_workgroup_id_y 0
		.amdhsa_system_sgpr_workgroup_id_z 0
		.amdhsa_system_sgpr_workgroup_info 0
		.amdhsa_system_vgpr_workitem_id 0
		.amdhsa_next_free_vgpr 1
		.amdhsa_next_free_sgpr 1
		.amdhsa_named_barrier_count 0
		.amdhsa_reserve_vcc 0
		.amdhsa_float_round_mode_32 0
		.amdhsa_float_round_mode_16_64 0
		.amdhsa_float_denorm_mode_32 3
		.amdhsa_float_denorm_mode_16_64 3
		.amdhsa_fp16_overflow 0
		.amdhsa_memory_ordered 1
		.amdhsa_forward_progress 1
		.amdhsa_inst_pref_size 0
		.amdhsa_round_robin_scheduling 0
		.amdhsa_exception_fp_ieee_invalid_op 0
		.amdhsa_exception_fp_denorm_src 0
		.amdhsa_exception_fp_ieee_div_zero 0
		.amdhsa_exception_fp_ieee_overflow 0
		.amdhsa_exception_fp_ieee_underflow 0
		.amdhsa_exception_fp_ieee_inexact 0
		.amdhsa_exception_int_div_zero 0
	.end_amdhsa_kernel
	.section	.text._ZN7rocprim17ROCPRIM_400000_NS6detail17trampoline_kernelINS0_14default_configENS1_33run_length_encode_config_selectorIljNS0_4plusIjEEEEZZNS1_33reduce_by_key_impl_wrapped_configILNS1_25lookback_scan_determinismE0ES3_S7_PKlNS0_17constant_iteratorIjlEEPlSE_SE_S6_NS0_8equal_toIlEEEE10hipError_tPvRmT2_T3_mT4_T5_T6_T7_T8_P12ihipStream_tbENKUlT_T0_E_clISt17integral_constantIbLb1EESY_EEDaST_SU_EUlST_E_NS1_11comp_targetILNS1_3genE3ELNS1_11target_archE908ELNS1_3gpuE7ELNS1_3repE0EEENS1_30default_config_static_selectorELNS0_4arch9wavefront6targetE0EEEvT1_,"axG",@progbits,_ZN7rocprim17ROCPRIM_400000_NS6detail17trampoline_kernelINS0_14default_configENS1_33run_length_encode_config_selectorIljNS0_4plusIjEEEEZZNS1_33reduce_by_key_impl_wrapped_configILNS1_25lookback_scan_determinismE0ES3_S7_PKlNS0_17constant_iteratorIjlEEPlSE_SE_S6_NS0_8equal_toIlEEEE10hipError_tPvRmT2_T3_mT4_T5_T6_T7_T8_P12ihipStream_tbENKUlT_T0_E_clISt17integral_constantIbLb1EESY_EEDaST_SU_EUlST_E_NS1_11comp_targetILNS1_3genE3ELNS1_11target_archE908ELNS1_3gpuE7ELNS1_3repE0EEENS1_30default_config_static_selectorELNS0_4arch9wavefront6targetE0EEEvT1_,comdat
.Lfunc_end523:
	.size	_ZN7rocprim17ROCPRIM_400000_NS6detail17trampoline_kernelINS0_14default_configENS1_33run_length_encode_config_selectorIljNS0_4plusIjEEEEZZNS1_33reduce_by_key_impl_wrapped_configILNS1_25lookback_scan_determinismE0ES3_S7_PKlNS0_17constant_iteratorIjlEEPlSE_SE_S6_NS0_8equal_toIlEEEE10hipError_tPvRmT2_T3_mT4_T5_T6_T7_T8_P12ihipStream_tbENKUlT_T0_E_clISt17integral_constantIbLb1EESY_EEDaST_SU_EUlST_E_NS1_11comp_targetILNS1_3genE3ELNS1_11target_archE908ELNS1_3gpuE7ELNS1_3repE0EEENS1_30default_config_static_selectorELNS0_4arch9wavefront6targetE0EEEvT1_, .Lfunc_end523-_ZN7rocprim17ROCPRIM_400000_NS6detail17trampoline_kernelINS0_14default_configENS1_33run_length_encode_config_selectorIljNS0_4plusIjEEEEZZNS1_33reduce_by_key_impl_wrapped_configILNS1_25lookback_scan_determinismE0ES3_S7_PKlNS0_17constant_iteratorIjlEEPlSE_SE_S6_NS0_8equal_toIlEEEE10hipError_tPvRmT2_T3_mT4_T5_T6_T7_T8_P12ihipStream_tbENKUlT_T0_E_clISt17integral_constantIbLb1EESY_EEDaST_SU_EUlST_E_NS1_11comp_targetILNS1_3genE3ELNS1_11target_archE908ELNS1_3gpuE7ELNS1_3repE0EEENS1_30default_config_static_selectorELNS0_4arch9wavefront6targetE0EEEvT1_
                                        ; -- End function
	.set _ZN7rocprim17ROCPRIM_400000_NS6detail17trampoline_kernelINS0_14default_configENS1_33run_length_encode_config_selectorIljNS0_4plusIjEEEEZZNS1_33reduce_by_key_impl_wrapped_configILNS1_25lookback_scan_determinismE0ES3_S7_PKlNS0_17constant_iteratorIjlEEPlSE_SE_S6_NS0_8equal_toIlEEEE10hipError_tPvRmT2_T3_mT4_T5_T6_T7_T8_P12ihipStream_tbENKUlT_T0_E_clISt17integral_constantIbLb1EESY_EEDaST_SU_EUlST_E_NS1_11comp_targetILNS1_3genE3ELNS1_11target_archE908ELNS1_3gpuE7ELNS1_3repE0EEENS1_30default_config_static_selectorELNS0_4arch9wavefront6targetE0EEEvT1_.num_vgpr, 0
	.set _ZN7rocprim17ROCPRIM_400000_NS6detail17trampoline_kernelINS0_14default_configENS1_33run_length_encode_config_selectorIljNS0_4plusIjEEEEZZNS1_33reduce_by_key_impl_wrapped_configILNS1_25lookback_scan_determinismE0ES3_S7_PKlNS0_17constant_iteratorIjlEEPlSE_SE_S6_NS0_8equal_toIlEEEE10hipError_tPvRmT2_T3_mT4_T5_T6_T7_T8_P12ihipStream_tbENKUlT_T0_E_clISt17integral_constantIbLb1EESY_EEDaST_SU_EUlST_E_NS1_11comp_targetILNS1_3genE3ELNS1_11target_archE908ELNS1_3gpuE7ELNS1_3repE0EEENS1_30default_config_static_selectorELNS0_4arch9wavefront6targetE0EEEvT1_.num_agpr, 0
	.set _ZN7rocprim17ROCPRIM_400000_NS6detail17trampoline_kernelINS0_14default_configENS1_33run_length_encode_config_selectorIljNS0_4plusIjEEEEZZNS1_33reduce_by_key_impl_wrapped_configILNS1_25lookback_scan_determinismE0ES3_S7_PKlNS0_17constant_iteratorIjlEEPlSE_SE_S6_NS0_8equal_toIlEEEE10hipError_tPvRmT2_T3_mT4_T5_T6_T7_T8_P12ihipStream_tbENKUlT_T0_E_clISt17integral_constantIbLb1EESY_EEDaST_SU_EUlST_E_NS1_11comp_targetILNS1_3genE3ELNS1_11target_archE908ELNS1_3gpuE7ELNS1_3repE0EEENS1_30default_config_static_selectorELNS0_4arch9wavefront6targetE0EEEvT1_.numbered_sgpr, 0
	.set _ZN7rocprim17ROCPRIM_400000_NS6detail17trampoline_kernelINS0_14default_configENS1_33run_length_encode_config_selectorIljNS0_4plusIjEEEEZZNS1_33reduce_by_key_impl_wrapped_configILNS1_25lookback_scan_determinismE0ES3_S7_PKlNS0_17constant_iteratorIjlEEPlSE_SE_S6_NS0_8equal_toIlEEEE10hipError_tPvRmT2_T3_mT4_T5_T6_T7_T8_P12ihipStream_tbENKUlT_T0_E_clISt17integral_constantIbLb1EESY_EEDaST_SU_EUlST_E_NS1_11comp_targetILNS1_3genE3ELNS1_11target_archE908ELNS1_3gpuE7ELNS1_3repE0EEENS1_30default_config_static_selectorELNS0_4arch9wavefront6targetE0EEEvT1_.num_named_barrier, 0
	.set _ZN7rocprim17ROCPRIM_400000_NS6detail17trampoline_kernelINS0_14default_configENS1_33run_length_encode_config_selectorIljNS0_4plusIjEEEEZZNS1_33reduce_by_key_impl_wrapped_configILNS1_25lookback_scan_determinismE0ES3_S7_PKlNS0_17constant_iteratorIjlEEPlSE_SE_S6_NS0_8equal_toIlEEEE10hipError_tPvRmT2_T3_mT4_T5_T6_T7_T8_P12ihipStream_tbENKUlT_T0_E_clISt17integral_constantIbLb1EESY_EEDaST_SU_EUlST_E_NS1_11comp_targetILNS1_3genE3ELNS1_11target_archE908ELNS1_3gpuE7ELNS1_3repE0EEENS1_30default_config_static_selectorELNS0_4arch9wavefront6targetE0EEEvT1_.private_seg_size, 0
	.set _ZN7rocprim17ROCPRIM_400000_NS6detail17trampoline_kernelINS0_14default_configENS1_33run_length_encode_config_selectorIljNS0_4plusIjEEEEZZNS1_33reduce_by_key_impl_wrapped_configILNS1_25lookback_scan_determinismE0ES3_S7_PKlNS0_17constant_iteratorIjlEEPlSE_SE_S6_NS0_8equal_toIlEEEE10hipError_tPvRmT2_T3_mT4_T5_T6_T7_T8_P12ihipStream_tbENKUlT_T0_E_clISt17integral_constantIbLb1EESY_EEDaST_SU_EUlST_E_NS1_11comp_targetILNS1_3genE3ELNS1_11target_archE908ELNS1_3gpuE7ELNS1_3repE0EEENS1_30default_config_static_selectorELNS0_4arch9wavefront6targetE0EEEvT1_.uses_vcc, 0
	.set _ZN7rocprim17ROCPRIM_400000_NS6detail17trampoline_kernelINS0_14default_configENS1_33run_length_encode_config_selectorIljNS0_4plusIjEEEEZZNS1_33reduce_by_key_impl_wrapped_configILNS1_25lookback_scan_determinismE0ES3_S7_PKlNS0_17constant_iteratorIjlEEPlSE_SE_S6_NS0_8equal_toIlEEEE10hipError_tPvRmT2_T3_mT4_T5_T6_T7_T8_P12ihipStream_tbENKUlT_T0_E_clISt17integral_constantIbLb1EESY_EEDaST_SU_EUlST_E_NS1_11comp_targetILNS1_3genE3ELNS1_11target_archE908ELNS1_3gpuE7ELNS1_3repE0EEENS1_30default_config_static_selectorELNS0_4arch9wavefront6targetE0EEEvT1_.uses_flat_scratch, 0
	.set _ZN7rocprim17ROCPRIM_400000_NS6detail17trampoline_kernelINS0_14default_configENS1_33run_length_encode_config_selectorIljNS0_4plusIjEEEEZZNS1_33reduce_by_key_impl_wrapped_configILNS1_25lookback_scan_determinismE0ES3_S7_PKlNS0_17constant_iteratorIjlEEPlSE_SE_S6_NS0_8equal_toIlEEEE10hipError_tPvRmT2_T3_mT4_T5_T6_T7_T8_P12ihipStream_tbENKUlT_T0_E_clISt17integral_constantIbLb1EESY_EEDaST_SU_EUlST_E_NS1_11comp_targetILNS1_3genE3ELNS1_11target_archE908ELNS1_3gpuE7ELNS1_3repE0EEENS1_30default_config_static_selectorELNS0_4arch9wavefront6targetE0EEEvT1_.has_dyn_sized_stack, 0
	.set _ZN7rocprim17ROCPRIM_400000_NS6detail17trampoline_kernelINS0_14default_configENS1_33run_length_encode_config_selectorIljNS0_4plusIjEEEEZZNS1_33reduce_by_key_impl_wrapped_configILNS1_25lookback_scan_determinismE0ES3_S7_PKlNS0_17constant_iteratorIjlEEPlSE_SE_S6_NS0_8equal_toIlEEEE10hipError_tPvRmT2_T3_mT4_T5_T6_T7_T8_P12ihipStream_tbENKUlT_T0_E_clISt17integral_constantIbLb1EESY_EEDaST_SU_EUlST_E_NS1_11comp_targetILNS1_3genE3ELNS1_11target_archE908ELNS1_3gpuE7ELNS1_3repE0EEENS1_30default_config_static_selectorELNS0_4arch9wavefront6targetE0EEEvT1_.has_recursion, 0
	.set _ZN7rocprim17ROCPRIM_400000_NS6detail17trampoline_kernelINS0_14default_configENS1_33run_length_encode_config_selectorIljNS0_4plusIjEEEEZZNS1_33reduce_by_key_impl_wrapped_configILNS1_25lookback_scan_determinismE0ES3_S7_PKlNS0_17constant_iteratorIjlEEPlSE_SE_S6_NS0_8equal_toIlEEEE10hipError_tPvRmT2_T3_mT4_T5_T6_T7_T8_P12ihipStream_tbENKUlT_T0_E_clISt17integral_constantIbLb1EESY_EEDaST_SU_EUlST_E_NS1_11comp_targetILNS1_3genE3ELNS1_11target_archE908ELNS1_3gpuE7ELNS1_3repE0EEENS1_30default_config_static_selectorELNS0_4arch9wavefront6targetE0EEEvT1_.has_indirect_call, 0
	.section	.AMDGPU.csdata,"",@progbits
; Kernel info:
; codeLenInByte = 0
; TotalNumSgprs: 0
; NumVgprs: 0
; ScratchSize: 0
; MemoryBound: 0
; FloatMode: 240
; IeeeMode: 1
; LDSByteSize: 0 bytes/workgroup (compile time only)
; SGPRBlocks: 0
; VGPRBlocks: 0
; NumSGPRsForWavesPerEU: 1
; NumVGPRsForWavesPerEU: 1
; NamedBarCnt: 0
; Occupancy: 16
; WaveLimiterHint : 0
; COMPUTE_PGM_RSRC2:SCRATCH_EN: 0
; COMPUTE_PGM_RSRC2:USER_SGPR: 2
; COMPUTE_PGM_RSRC2:TRAP_HANDLER: 0
; COMPUTE_PGM_RSRC2:TGID_X_EN: 1
; COMPUTE_PGM_RSRC2:TGID_Y_EN: 0
; COMPUTE_PGM_RSRC2:TGID_Z_EN: 0
; COMPUTE_PGM_RSRC2:TIDIG_COMP_CNT: 0
	.section	.text._ZN7rocprim17ROCPRIM_400000_NS6detail17trampoline_kernelINS0_14default_configENS1_33run_length_encode_config_selectorIljNS0_4plusIjEEEEZZNS1_33reduce_by_key_impl_wrapped_configILNS1_25lookback_scan_determinismE0ES3_S7_PKlNS0_17constant_iteratorIjlEEPlSE_SE_S6_NS0_8equal_toIlEEEE10hipError_tPvRmT2_T3_mT4_T5_T6_T7_T8_P12ihipStream_tbENKUlT_T0_E_clISt17integral_constantIbLb1EESY_EEDaST_SU_EUlST_E_NS1_11comp_targetILNS1_3genE2ELNS1_11target_archE906ELNS1_3gpuE6ELNS1_3repE0EEENS1_30default_config_static_selectorELNS0_4arch9wavefront6targetE0EEEvT1_,"axG",@progbits,_ZN7rocprim17ROCPRIM_400000_NS6detail17trampoline_kernelINS0_14default_configENS1_33run_length_encode_config_selectorIljNS0_4plusIjEEEEZZNS1_33reduce_by_key_impl_wrapped_configILNS1_25lookback_scan_determinismE0ES3_S7_PKlNS0_17constant_iteratorIjlEEPlSE_SE_S6_NS0_8equal_toIlEEEE10hipError_tPvRmT2_T3_mT4_T5_T6_T7_T8_P12ihipStream_tbENKUlT_T0_E_clISt17integral_constantIbLb1EESY_EEDaST_SU_EUlST_E_NS1_11comp_targetILNS1_3genE2ELNS1_11target_archE906ELNS1_3gpuE6ELNS1_3repE0EEENS1_30default_config_static_selectorELNS0_4arch9wavefront6targetE0EEEvT1_,comdat
	.protected	_ZN7rocprim17ROCPRIM_400000_NS6detail17trampoline_kernelINS0_14default_configENS1_33run_length_encode_config_selectorIljNS0_4plusIjEEEEZZNS1_33reduce_by_key_impl_wrapped_configILNS1_25lookback_scan_determinismE0ES3_S7_PKlNS0_17constant_iteratorIjlEEPlSE_SE_S6_NS0_8equal_toIlEEEE10hipError_tPvRmT2_T3_mT4_T5_T6_T7_T8_P12ihipStream_tbENKUlT_T0_E_clISt17integral_constantIbLb1EESY_EEDaST_SU_EUlST_E_NS1_11comp_targetILNS1_3genE2ELNS1_11target_archE906ELNS1_3gpuE6ELNS1_3repE0EEENS1_30default_config_static_selectorELNS0_4arch9wavefront6targetE0EEEvT1_ ; -- Begin function _ZN7rocprim17ROCPRIM_400000_NS6detail17trampoline_kernelINS0_14default_configENS1_33run_length_encode_config_selectorIljNS0_4plusIjEEEEZZNS1_33reduce_by_key_impl_wrapped_configILNS1_25lookback_scan_determinismE0ES3_S7_PKlNS0_17constant_iteratorIjlEEPlSE_SE_S6_NS0_8equal_toIlEEEE10hipError_tPvRmT2_T3_mT4_T5_T6_T7_T8_P12ihipStream_tbENKUlT_T0_E_clISt17integral_constantIbLb1EESY_EEDaST_SU_EUlST_E_NS1_11comp_targetILNS1_3genE2ELNS1_11target_archE906ELNS1_3gpuE6ELNS1_3repE0EEENS1_30default_config_static_selectorELNS0_4arch9wavefront6targetE0EEEvT1_
	.globl	_ZN7rocprim17ROCPRIM_400000_NS6detail17trampoline_kernelINS0_14default_configENS1_33run_length_encode_config_selectorIljNS0_4plusIjEEEEZZNS1_33reduce_by_key_impl_wrapped_configILNS1_25lookback_scan_determinismE0ES3_S7_PKlNS0_17constant_iteratorIjlEEPlSE_SE_S6_NS0_8equal_toIlEEEE10hipError_tPvRmT2_T3_mT4_T5_T6_T7_T8_P12ihipStream_tbENKUlT_T0_E_clISt17integral_constantIbLb1EESY_EEDaST_SU_EUlST_E_NS1_11comp_targetILNS1_3genE2ELNS1_11target_archE906ELNS1_3gpuE6ELNS1_3repE0EEENS1_30default_config_static_selectorELNS0_4arch9wavefront6targetE0EEEvT1_
	.p2align	8
	.type	_ZN7rocprim17ROCPRIM_400000_NS6detail17trampoline_kernelINS0_14default_configENS1_33run_length_encode_config_selectorIljNS0_4plusIjEEEEZZNS1_33reduce_by_key_impl_wrapped_configILNS1_25lookback_scan_determinismE0ES3_S7_PKlNS0_17constant_iteratorIjlEEPlSE_SE_S6_NS0_8equal_toIlEEEE10hipError_tPvRmT2_T3_mT4_T5_T6_T7_T8_P12ihipStream_tbENKUlT_T0_E_clISt17integral_constantIbLb1EESY_EEDaST_SU_EUlST_E_NS1_11comp_targetILNS1_3genE2ELNS1_11target_archE906ELNS1_3gpuE6ELNS1_3repE0EEENS1_30default_config_static_selectorELNS0_4arch9wavefront6targetE0EEEvT1_,@function
_ZN7rocprim17ROCPRIM_400000_NS6detail17trampoline_kernelINS0_14default_configENS1_33run_length_encode_config_selectorIljNS0_4plusIjEEEEZZNS1_33reduce_by_key_impl_wrapped_configILNS1_25lookback_scan_determinismE0ES3_S7_PKlNS0_17constant_iteratorIjlEEPlSE_SE_S6_NS0_8equal_toIlEEEE10hipError_tPvRmT2_T3_mT4_T5_T6_T7_T8_P12ihipStream_tbENKUlT_T0_E_clISt17integral_constantIbLb1EESY_EEDaST_SU_EUlST_E_NS1_11comp_targetILNS1_3genE2ELNS1_11target_archE906ELNS1_3gpuE6ELNS1_3repE0EEENS1_30default_config_static_selectorELNS0_4arch9wavefront6targetE0EEEvT1_: ; @_ZN7rocprim17ROCPRIM_400000_NS6detail17trampoline_kernelINS0_14default_configENS1_33run_length_encode_config_selectorIljNS0_4plusIjEEEEZZNS1_33reduce_by_key_impl_wrapped_configILNS1_25lookback_scan_determinismE0ES3_S7_PKlNS0_17constant_iteratorIjlEEPlSE_SE_S6_NS0_8equal_toIlEEEE10hipError_tPvRmT2_T3_mT4_T5_T6_T7_T8_P12ihipStream_tbENKUlT_T0_E_clISt17integral_constantIbLb1EESY_EEDaST_SU_EUlST_E_NS1_11comp_targetILNS1_3genE2ELNS1_11target_archE906ELNS1_3gpuE6ELNS1_3repE0EEENS1_30default_config_static_selectorELNS0_4arch9wavefront6targetE0EEEvT1_
; %bb.0:
	.section	.rodata,"a",@progbits
	.p2align	6, 0x0
	.amdhsa_kernel _ZN7rocprim17ROCPRIM_400000_NS6detail17trampoline_kernelINS0_14default_configENS1_33run_length_encode_config_selectorIljNS0_4plusIjEEEEZZNS1_33reduce_by_key_impl_wrapped_configILNS1_25lookback_scan_determinismE0ES3_S7_PKlNS0_17constant_iteratorIjlEEPlSE_SE_S6_NS0_8equal_toIlEEEE10hipError_tPvRmT2_T3_mT4_T5_T6_T7_T8_P12ihipStream_tbENKUlT_T0_E_clISt17integral_constantIbLb1EESY_EEDaST_SU_EUlST_E_NS1_11comp_targetILNS1_3genE2ELNS1_11target_archE906ELNS1_3gpuE6ELNS1_3repE0EEENS1_30default_config_static_selectorELNS0_4arch9wavefront6targetE0EEEvT1_
		.amdhsa_group_segment_fixed_size 0
		.amdhsa_private_segment_fixed_size 0
		.amdhsa_kernarg_size 128
		.amdhsa_user_sgpr_count 2
		.amdhsa_user_sgpr_dispatch_ptr 0
		.amdhsa_user_sgpr_queue_ptr 0
		.amdhsa_user_sgpr_kernarg_segment_ptr 1
		.amdhsa_user_sgpr_dispatch_id 0
		.amdhsa_user_sgpr_kernarg_preload_length 0
		.amdhsa_user_sgpr_kernarg_preload_offset 0
		.amdhsa_user_sgpr_private_segment_size 0
		.amdhsa_wavefront_size32 1
		.amdhsa_uses_dynamic_stack 0
		.amdhsa_enable_private_segment 0
		.amdhsa_system_sgpr_workgroup_id_x 1
		.amdhsa_system_sgpr_workgroup_id_y 0
		.amdhsa_system_sgpr_workgroup_id_z 0
		.amdhsa_system_sgpr_workgroup_info 0
		.amdhsa_system_vgpr_workitem_id 0
		.amdhsa_next_free_vgpr 1
		.amdhsa_next_free_sgpr 1
		.amdhsa_named_barrier_count 0
		.amdhsa_reserve_vcc 0
		.amdhsa_float_round_mode_32 0
		.amdhsa_float_round_mode_16_64 0
		.amdhsa_float_denorm_mode_32 3
		.amdhsa_float_denorm_mode_16_64 3
		.amdhsa_fp16_overflow 0
		.amdhsa_memory_ordered 1
		.amdhsa_forward_progress 1
		.amdhsa_inst_pref_size 0
		.amdhsa_round_robin_scheduling 0
		.amdhsa_exception_fp_ieee_invalid_op 0
		.amdhsa_exception_fp_denorm_src 0
		.amdhsa_exception_fp_ieee_div_zero 0
		.amdhsa_exception_fp_ieee_overflow 0
		.amdhsa_exception_fp_ieee_underflow 0
		.amdhsa_exception_fp_ieee_inexact 0
		.amdhsa_exception_int_div_zero 0
	.end_amdhsa_kernel
	.section	.text._ZN7rocprim17ROCPRIM_400000_NS6detail17trampoline_kernelINS0_14default_configENS1_33run_length_encode_config_selectorIljNS0_4plusIjEEEEZZNS1_33reduce_by_key_impl_wrapped_configILNS1_25lookback_scan_determinismE0ES3_S7_PKlNS0_17constant_iteratorIjlEEPlSE_SE_S6_NS0_8equal_toIlEEEE10hipError_tPvRmT2_T3_mT4_T5_T6_T7_T8_P12ihipStream_tbENKUlT_T0_E_clISt17integral_constantIbLb1EESY_EEDaST_SU_EUlST_E_NS1_11comp_targetILNS1_3genE2ELNS1_11target_archE906ELNS1_3gpuE6ELNS1_3repE0EEENS1_30default_config_static_selectorELNS0_4arch9wavefront6targetE0EEEvT1_,"axG",@progbits,_ZN7rocprim17ROCPRIM_400000_NS6detail17trampoline_kernelINS0_14default_configENS1_33run_length_encode_config_selectorIljNS0_4plusIjEEEEZZNS1_33reduce_by_key_impl_wrapped_configILNS1_25lookback_scan_determinismE0ES3_S7_PKlNS0_17constant_iteratorIjlEEPlSE_SE_S6_NS0_8equal_toIlEEEE10hipError_tPvRmT2_T3_mT4_T5_T6_T7_T8_P12ihipStream_tbENKUlT_T0_E_clISt17integral_constantIbLb1EESY_EEDaST_SU_EUlST_E_NS1_11comp_targetILNS1_3genE2ELNS1_11target_archE906ELNS1_3gpuE6ELNS1_3repE0EEENS1_30default_config_static_selectorELNS0_4arch9wavefront6targetE0EEEvT1_,comdat
.Lfunc_end524:
	.size	_ZN7rocprim17ROCPRIM_400000_NS6detail17trampoline_kernelINS0_14default_configENS1_33run_length_encode_config_selectorIljNS0_4plusIjEEEEZZNS1_33reduce_by_key_impl_wrapped_configILNS1_25lookback_scan_determinismE0ES3_S7_PKlNS0_17constant_iteratorIjlEEPlSE_SE_S6_NS0_8equal_toIlEEEE10hipError_tPvRmT2_T3_mT4_T5_T6_T7_T8_P12ihipStream_tbENKUlT_T0_E_clISt17integral_constantIbLb1EESY_EEDaST_SU_EUlST_E_NS1_11comp_targetILNS1_3genE2ELNS1_11target_archE906ELNS1_3gpuE6ELNS1_3repE0EEENS1_30default_config_static_selectorELNS0_4arch9wavefront6targetE0EEEvT1_, .Lfunc_end524-_ZN7rocprim17ROCPRIM_400000_NS6detail17trampoline_kernelINS0_14default_configENS1_33run_length_encode_config_selectorIljNS0_4plusIjEEEEZZNS1_33reduce_by_key_impl_wrapped_configILNS1_25lookback_scan_determinismE0ES3_S7_PKlNS0_17constant_iteratorIjlEEPlSE_SE_S6_NS0_8equal_toIlEEEE10hipError_tPvRmT2_T3_mT4_T5_T6_T7_T8_P12ihipStream_tbENKUlT_T0_E_clISt17integral_constantIbLb1EESY_EEDaST_SU_EUlST_E_NS1_11comp_targetILNS1_3genE2ELNS1_11target_archE906ELNS1_3gpuE6ELNS1_3repE0EEENS1_30default_config_static_selectorELNS0_4arch9wavefront6targetE0EEEvT1_
                                        ; -- End function
	.set _ZN7rocprim17ROCPRIM_400000_NS6detail17trampoline_kernelINS0_14default_configENS1_33run_length_encode_config_selectorIljNS0_4plusIjEEEEZZNS1_33reduce_by_key_impl_wrapped_configILNS1_25lookback_scan_determinismE0ES3_S7_PKlNS0_17constant_iteratorIjlEEPlSE_SE_S6_NS0_8equal_toIlEEEE10hipError_tPvRmT2_T3_mT4_T5_T6_T7_T8_P12ihipStream_tbENKUlT_T0_E_clISt17integral_constantIbLb1EESY_EEDaST_SU_EUlST_E_NS1_11comp_targetILNS1_3genE2ELNS1_11target_archE906ELNS1_3gpuE6ELNS1_3repE0EEENS1_30default_config_static_selectorELNS0_4arch9wavefront6targetE0EEEvT1_.num_vgpr, 0
	.set _ZN7rocprim17ROCPRIM_400000_NS6detail17trampoline_kernelINS0_14default_configENS1_33run_length_encode_config_selectorIljNS0_4plusIjEEEEZZNS1_33reduce_by_key_impl_wrapped_configILNS1_25lookback_scan_determinismE0ES3_S7_PKlNS0_17constant_iteratorIjlEEPlSE_SE_S6_NS0_8equal_toIlEEEE10hipError_tPvRmT2_T3_mT4_T5_T6_T7_T8_P12ihipStream_tbENKUlT_T0_E_clISt17integral_constantIbLb1EESY_EEDaST_SU_EUlST_E_NS1_11comp_targetILNS1_3genE2ELNS1_11target_archE906ELNS1_3gpuE6ELNS1_3repE0EEENS1_30default_config_static_selectorELNS0_4arch9wavefront6targetE0EEEvT1_.num_agpr, 0
	.set _ZN7rocprim17ROCPRIM_400000_NS6detail17trampoline_kernelINS0_14default_configENS1_33run_length_encode_config_selectorIljNS0_4plusIjEEEEZZNS1_33reduce_by_key_impl_wrapped_configILNS1_25lookback_scan_determinismE0ES3_S7_PKlNS0_17constant_iteratorIjlEEPlSE_SE_S6_NS0_8equal_toIlEEEE10hipError_tPvRmT2_T3_mT4_T5_T6_T7_T8_P12ihipStream_tbENKUlT_T0_E_clISt17integral_constantIbLb1EESY_EEDaST_SU_EUlST_E_NS1_11comp_targetILNS1_3genE2ELNS1_11target_archE906ELNS1_3gpuE6ELNS1_3repE0EEENS1_30default_config_static_selectorELNS0_4arch9wavefront6targetE0EEEvT1_.numbered_sgpr, 0
	.set _ZN7rocprim17ROCPRIM_400000_NS6detail17trampoline_kernelINS0_14default_configENS1_33run_length_encode_config_selectorIljNS0_4plusIjEEEEZZNS1_33reduce_by_key_impl_wrapped_configILNS1_25lookback_scan_determinismE0ES3_S7_PKlNS0_17constant_iteratorIjlEEPlSE_SE_S6_NS0_8equal_toIlEEEE10hipError_tPvRmT2_T3_mT4_T5_T6_T7_T8_P12ihipStream_tbENKUlT_T0_E_clISt17integral_constantIbLb1EESY_EEDaST_SU_EUlST_E_NS1_11comp_targetILNS1_3genE2ELNS1_11target_archE906ELNS1_3gpuE6ELNS1_3repE0EEENS1_30default_config_static_selectorELNS0_4arch9wavefront6targetE0EEEvT1_.num_named_barrier, 0
	.set _ZN7rocprim17ROCPRIM_400000_NS6detail17trampoline_kernelINS0_14default_configENS1_33run_length_encode_config_selectorIljNS0_4plusIjEEEEZZNS1_33reduce_by_key_impl_wrapped_configILNS1_25lookback_scan_determinismE0ES3_S7_PKlNS0_17constant_iteratorIjlEEPlSE_SE_S6_NS0_8equal_toIlEEEE10hipError_tPvRmT2_T3_mT4_T5_T6_T7_T8_P12ihipStream_tbENKUlT_T0_E_clISt17integral_constantIbLb1EESY_EEDaST_SU_EUlST_E_NS1_11comp_targetILNS1_3genE2ELNS1_11target_archE906ELNS1_3gpuE6ELNS1_3repE0EEENS1_30default_config_static_selectorELNS0_4arch9wavefront6targetE0EEEvT1_.private_seg_size, 0
	.set _ZN7rocprim17ROCPRIM_400000_NS6detail17trampoline_kernelINS0_14default_configENS1_33run_length_encode_config_selectorIljNS0_4plusIjEEEEZZNS1_33reduce_by_key_impl_wrapped_configILNS1_25lookback_scan_determinismE0ES3_S7_PKlNS0_17constant_iteratorIjlEEPlSE_SE_S6_NS0_8equal_toIlEEEE10hipError_tPvRmT2_T3_mT4_T5_T6_T7_T8_P12ihipStream_tbENKUlT_T0_E_clISt17integral_constantIbLb1EESY_EEDaST_SU_EUlST_E_NS1_11comp_targetILNS1_3genE2ELNS1_11target_archE906ELNS1_3gpuE6ELNS1_3repE0EEENS1_30default_config_static_selectorELNS0_4arch9wavefront6targetE0EEEvT1_.uses_vcc, 0
	.set _ZN7rocprim17ROCPRIM_400000_NS6detail17trampoline_kernelINS0_14default_configENS1_33run_length_encode_config_selectorIljNS0_4plusIjEEEEZZNS1_33reduce_by_key_impl_wrapped_configILNS1_25lookback_scan_determinismE0ES3_S7_PKlNS0_17constant_iteratorIjlEEPlSE_SE_S6_NS0_8equal_toIlEEEE10hipError_tPvRmT2_T3_mT4_T5_T6_T7_T8_P12ihipStream_tbENKUlT_T0_E_clISt17integral_constantIbLb1EESY_EEDaST_SU_EUlST_E_NS1_11comp_targetILNS1_3genE2ELNS1_11target_archE906ELNS1_3gpuE6ELNS1_3repE0EEENS1_30default_config_static_selectorELNS0_4arch9wavefront6targetE0EEEvT1_.uses_flat_scratch, 0
	.set _ZN7rocprim17ROCPRIM_400000_NS6detail17trampoline_kernelINS0_14default_configENS1_33run_length_encode_config_selectorIljNS0_4plusIjEEEEZZNS1_33reduce_by_key_impl_wrapped_configILNS1_25lookback_scan_determinismE0ES3_S7_PKlNS0_17constant_iteratorIjlEEPlSE_SE_S6_NS0_8equal_toIlEEEE10hipError_tPvRmT2_T3_mT4_T5_T6_T7_T8_P12ihipStream_tbENKUlT_T0_E_clISt17integral_constantIbLb1EESY_EEDaST_SU_EUlST_E_NS1_11comp_targetILNS1_3genE2ELNS1_11target_archE906ELNS1_3gpuE6ELNS1_3repE0EEENS1_30default_config_static_selectorELNS0_4arch9wavefront6targetE0EEEvT1_.has_dyn_sized_stack, 0
	.set _ZN7rocprim17ROCPRIM_400000_NS6detail17trampoline_kernelINS0_14default_configENS1_33run_length_encode_config_selectorIljNS0_4plusIjEEEEZZNS1_33reduce_by_key_impl_wrapped_configILNS1_25lookback_scan_determinismE0ES3_S7_PKlNS0_17constant_iteratorIjlEEPlSE_SE_S6_NS0_8equal_toIlEEEE10hipError_tPvRmT2_T3_mT4_T5_T6_T7_T8_P12ihipStream_tbENKUlT_T0_E_clISt17integral_constantIbLb1EESY_EEDaST_SU_EUlST_E_NS1_11comp_targetILNS1_3genE2ELNS1_11target_archE906ELNS1_3gpuE6ELNS1_3repE0EEENS1_30default_config_static_selectorELNS0_4arch9wavefront6targetE0EEEvT1_.has_recursion, 0
	.set _ZN7rocprim17ROCPRIM_400000_NS6detail17trampoline_kernelINS0_14default_configENS1_33run_length_encode_config_selectorIljNS0_4plusIjEEEEZZNS1_33reduce_by_key_impl_wrapped_configILNS1_25lookback_scan_determinismE0ES3_S7_PKlNS0_17constant_iteratorIjlEEPlSE_SE_S6_NS0_8equal_toIlEEEE10hipError_tPvRmT2_T3_mT4_T5_T6_T7_T8_P12ihipStream_tbENKUlT_T0_E_clISt17integral_constantIbLb1EESY_EEDaST_SU_EUlST_E_NS1_11comp_targetILNS1_3genE2ELNS1_11target_archE906ELNS1_3gpuE6ELNS1_3repE0EEENS1_30default_config_static_selectorELNS0_4arch9wavefront6targetE0EEEvT1_.has_indirect_call, 0
	.section	.AMDGPU.csdata,"",@progbits
; Kernel info:
; codeLenInByte = 0
; TotalNumSgprs: 0
; NumVgprs: 0
; ScratchSize: 0
; MemoryBound: 0
; FloatMode: 240
; IeeeMode: 1
; LDSByteSize: 0 bytes/workgroup (compile time only)
; SGPRBlocks: 0
; VGPRBlocks: 0
; NumSGPRsForWavesPerEU: 1
; NumVGPRsForWavesPerEU: 1
; NamedBarCnt: 0
; Occupancy: 16
; WaveLimiterHint : 0
; COMPUTE_PGM_RSRC2:SCRATCH_EN: 0
; COMPUTE_PGM_RSRC2:USER_SGPR: 2
; COMPUTE_PGM_RSRC2:TRAP_HANDLER: 0
; COMPUTE_PGM_RSRC2:TGID_X_EN: 1
; COMPUTE_PGM_RSRC2:TGID_Y_EN: 0
; COMPUTE_PGM_RSRC2:TGID_Z_EN: 0
; COMPUTE_PGM_RSRC2:TIDIG_COMP_CNT: 0
	.section	.text._ZN7rocprim17ROCPRIM_400000_NS6detail17trampoline_kernelINS0_14default_configENS1_33run_length_encode_config_selectorIljNS0_4plusIjEEEEZZNS1_33reduce_by_key_impl_wrapped_configILNS1_25lookback_scan_determinismE0ES3_S7_PKlNS0_17constant_iteratorIjlEEPlSE_SE_S6_NS0_8equal_toIlEEEE10hipError_tPvRmT2_T3_mT4_T5_T6_T7_T8_P12ihipStream_tbENKUlT_T0_E_clISt17integral_constantIbLb1EESY_EEDaST_SU_EUlST_E_NS1_11comp_targetILNS1_3genE10ELNS1_11target_archE1201ELNS1_3gpuE5ELNS1_3repE0EEENS1_30default_config_static_selectorELNS0_4arch9wavefront6targetE0EEEvT1_,"axG",@progbits,_ZN7rocprim17ROCPRIM_400000_NS6detail17trampoline_kernelINS0_14default_configENS1_33run_length_encode_config_selectorIljNS0_4plusIjEEEEZZNS1_33reduce_by_key_impl_wrapped_configILNS1_25lookback_scan_determinismE0ES3_S7_PKlNS0_17constant_iteratorIjlEEPlSE_SE_S6_NS0_8equal_toIlEEEE10hipError_tPvRmT2_T3_mT4_T5_T6_T7_T8_P12ihipStream_tbENKUlT_T0_E_clISt17integral_constantIbLb1EESY_EEDaST_SU_EUlST_E_NS1_11comp_targetILNS1_3genE10ELNS1_11target_archE1201ELNS1_3gpuE5ELNS1_3repE0EEENS1_30default_config_static_selectorELNS0_4arch9wavefront6targetE0EEEvT1_,comdat
	.protected	_ZN7rocprim17ROCPRIM_400000_NS6detail17trampoline_kernelINS0_14default_configENS1_33run_length_encode_config_selectorIljNS0_4plusIjEEEEZZNS1_33reduce_by_key_impl_wrapped_configILNS1_25lookback_scan_determinismE0ES3_S7_PKlNS0_17constant_iteratorIjlEEPlSE_SE_S6_NS0_8equal_toIlEEEE10hipError_tPvRmT2_T3_mT4_T5_T6_T7_T8_P12ihipStream_tbENKUlT_T0_E_clISt17integral_constantIbLb1EESY_EEDaST_SU_EUlST_E_NS1_11comp_targetILNS1_3genE10ELNS1_11target_archE1201ELNS1_3gpuE5ELNS1_3repE0EEENS1_30default_config_static_selectorELNS0_4arch9wavefront6targetE0EEEvT1_ ; -- Begin function _ZN7rocprim17ROCPRIM_400000_NS6detail17trampoline_kernelINS0_14default_configENS1_33run_length_encode_config_selectorIljNS0_4plusIjEEEEZZNS1_33reduce_by_key_impl_wrapped_configILNS1_25lookback_scan_determinismE0ES3_S7_PKlNS0_17constant_iteratorIjlEEPlSE_SE_S6_NS0_8equal_toIlEEEE10hipError_tPvRmT2_T3_mT4_T5_T6_T7_T8_P12ihipStream_tbENKUlT_T0_E_clISt17integral_constantIbLb1EESY_EEDaST_SU_EUlST_E_NS1_11comp_targetILNS1_3genE10ELNS1_11target_archE1201ELNS1_3gpuE5ELNS1_3repE0EEENS1_30default_config_static_selectorELNS0_4arch9wavefront6targetE0EEEvT1_
	.globl	_ZN7rocprim17ROCPRIM_400000_NS6detail17trampoline_kernelINS0_14default_configENS1_33run_length_encode_config_selectorIljNS0_4plusIjEEEEZZNS1_33reduce_by_key_impl_wrapped_configILNS1_25lookback_scan_determinismE0ES3_S7_PKlNS0_17constant_iteratorIjlEEPlSE_SE_S6_NS0_8equal_toIlEEEE10hipError_tPvRmT2_T3_mT4_T5_T6_T7_T8_P12ihipStream_tbENKUlT_T0_E_clISt17integral_constantIbLb1EESY_EEDaST_SU_EUlST_E_NS1_11comp_targetILNS1_3genE10ELNS1_11target_archE1201ELNS1_3gpuE5ELNS1_3repE0EEENS1_30default_config_static_selectorELNS0_4arch9wavefront6targetE0EEEvT1_
	.p2align	8
	.type	_ZN7rocprim17ROCPRIM_400000_NS6detail17trampoline_kernelINS0_14default_configENS1_33run_length_encode_config_selectorIljNS0_4plusIjEEEEZZNS1_33reduce_by_key_impl_wrapped_configILNS1_25lookback_scan_determinismE0ES3_S7_PKlNS0_17constant_iteratorIjlEEPlSE_SE_S6_NS0_8equal_toIlEEEE10hipError_tPvRmT2_T3_mT4_T5_T6_T7_T8_P12ihipStream_tbENKUlT_T0_E_clISt17integral_constantIbLb1EESY_EEDaST_SU_EUlST_E_NS1_11comp_targetILNS1_3genE10ELNS1_11target_archE1201ELNS1_3gpuE5ELNS1_3repE0EEENS1_30default_config_static_selectorELNS0_4arch9wavefront6targetE0EEEvT1_,@function
_ZN7rocprim17ROCPRIM_400000_NS6detail17trampoline_kernelINS0_14default_configENS1_33run_length_encode_config_selectorIljNS0_4plusIjEEEEZZNS1_33reduce_by_key_impl_wrapped_configILNS1_25lookback_scan_determinismE0ES3_S7_PKlNS0_17constant_iteratorIjlEEPlSE_SE_S6_NS0_8equal_toIlEEEE10hipError_tPvRmT2_T3_mT4_T5_T6_T7_T8_P12ihipStream_tbENKUlT_T0_E_clISt17integral_constantIbLb1EESY_EEDaST_SU_EUlST_E_NS1_11comp_targetILNS1_3genE10ELNS1_11target_archE1201ELNS1_3gpuE5ELNS1_3repE0EEENS1_30default_config_static_selectorELNS0_4arch9wavefront6targetE0EEEvT1_: ; @_ZN7rocprim17ROCPRIM_400000_NS6detail17trampoline_kernelINS0_14default_configENS1_33run_length_encode_config_selectorIljNS0_4plusIjEEEEZZNS1_33reduce_by_key_impl_wrapped_configILNS1_25lookback_scan_determinismE0ES3_S7_PKlNS0_17constant_iteratorIjlEEPlSE_SE_S6_NS0_8equal_toIlEEEE10hipError_tPvRmT2_T3_mT4_T5_T6_T7_T8_P12ihipStream_tbENKUlT_T0_E_clISt17integral_constantIbLb1EESY_EEDaST_SU_EUlST_E_NS1_11comp_targetILNS1_3genE10ELNS1_11target_archE1201ELNS1_3gpuE5ELNS1_3repE0EEENS1_30default_config_static_selectorELNS0_4arch9wavefront6targetE0EEEvT1_
; %bb.0:
	.section	.rodata,"a",@progbits
	.p2align	6, 0x0
	.amdhsa_kernel _ZN7rocprim17ROCPRIM_400000_NS6detail17trampoline_kernelINS0_14default_configENS1_33run_length_encode_config_selectorIljNS0_4plusIjEEEEZZNS1_33reduce_by_key_impl_wrapped_configILNS1_25lookback_scan_determinismE0ES3_S7_PKlNS0_17constant_iteratorIjlEEPlSE_SE_S6_NS0_8equal_toIlEEEE10hipError_tPvRmT2_T3_mT4_T5_T6_T7_T8_P12ihipStream_tbENKUlT_T0_E_clISt17integral_constantIbLb1EESY_EEDaST_SU_EUlST_E_NS1_11comp_targetILNS1_3genE10ELNS1_11target_archE1201ELNS1_3gpuE5ELNS1_3repE0EEENS1_30default_config_static_selectorELNS0_4arch9wavefront6targetE0EEEvT1_
		.amdhsa_group_segment_fixed_size 0
		.amdhsa_private_segment_fixed_size 0
		.amdhsa_kernarg_size 128
		.amdhsa_user_sgpr_count 2
		.amdhsa_user_sgpr_dispatch_ptr 0
		.amdhsa_user_sgpr_queue_ptr 0
		.amdhsa_user_sgpr_kernarg_segment_ptr 1
		.amdhsa_user_sgpr_dispatch_id 0
		.amdhsa_user_sgpr_kernarg_preload_length 0
		.amdhsa_user_sgpr_kernarg_preload_offset 0
		.amdhsa_user_sgpr_private_segment_size 0
		.amdhsa_wavefront_size32 1
		.amdhsa_uses_dynamic_stack 0
		.amdhsa_enable_private_segment 0
		.amdhsa_system_sgpr_workgroup_id_x 1
		.amdhsa_system_sgpr_workgroup_id_y 0
		.amdhsa_system_sgpr_workgroup_id_z 0
		.amdhsa_system_sgpr_workgroup_info 0
		.amdhsa_system_vgpr_workitem_id 0
		.amdhsa_next_free_vgpr 1
		.amdhsa_next_free_sgpr 1
		.amdhsa_named_barrier_count 0
		.amdhsa_reserve_vcc 0
		.amdhsa_float_round_mode_32 0
		.amdhsa_float_round_mode_16_64 0
		.amdhsa_float_denorm_mode_32 3
		.amdhsa_float_denorm_mode_16_64 3
		.amdhsa_fp16_overflow 0
		.amdhsa_memory_ordered 1
		.amdhsa_forward_progress 1
		.amdhsa_inst_pref_size 0
		.amdhsa_round_robin_scheduling 0
		.amdhsa_exception_fp_ieee_invalid_op 0
		.amdhsa_exception_fp_denorm_src 0
		.amdhsa_exception_fp_ieee_div_zero 0
		.amdhsa_exception_fp_ieee_overflow 0
		.amdhsa_exception_fp_ieee_underflow 0
		.amdhsa_exception_fp_ieee_inexact 0
		.amdhsa_exception_int_div_zero 0
	.end_amdhsa_kernel
	.section	.text._ZN7rocprim17ROCPRIM_400000_NS6detail17trampoline_kernelINS0_14default_configENS1_33run_length_encode_config_selectorIljNS0_4plusIjEEEEZZNS1_33reduce_by_key_impl_wrapped_configILNS1_25lookback_scan_determinismE0ES3_S7_PKlNS0_17constant_iteratorIjlEEPlSE_SE_S6_NS0_8equal_toIlEEEE10hipError_tPvRmT2_T3_mT4_T5_T6_T7_T8_P12ihipStream_tbENKUlT_T0_E_clISt17integral_constantIbLb1EESY_EEDaST_SU_EUlST_E_NS1_11comp_targetILNS1_3genE10ELNS1_11target_archE1201ELNS1_3gpuE5ELNS1_3repE0EEENS1_30default_config_static_selectorELNS0_4arch9wavefront6targetE0EEEvT1_,"axG",@progbits,_ZN7rocprim17ROCPRIM_400000_NS6detail17trampoline_kernelINS0_14default_configENS1_33run_length_encode_config_selectorIljNS0_4plusIjEEEEZZNS1_33reduce_by_key_impl_wrapped_configILNS1_25lookback_scan_determinismE0ES3_S7_PKlNS0_17constant_iteratorIjlEEPlSE_SE_S6_NS0_8equal_toIlEEEE10hipError_tPvRmT2_T3_mT4_T5_T6_T7_T8_P12ihipStream_tbENKUlT_T0_E_clISt17integral_constantIbLb1EESY_EEDaST_SU_EUlST_E_NS1_11comp_targetILNS1_3genE10ELNS1_11target_archE1201ELNS1_3gpuE5ELNS1_3repE0EEENS1_30default_config_static_selectorELNS0_4arch9wavefront6targetE0EEEvT1_,comdat
.Lfunc_end525:
	.size	_ZN7rocprim17ROCPRIM_400000_NS6detail17trampoline_kernelINS0_14default_configENS1_33run_length_encode_config_selectorIljNS0_4plusIjEEEEZZNS1_33reduce_by_key_impl_wrapped_configILNS1_25lookback_scan_determinismE0ES3_S7_PKlNS0_17constant_iteratorIjlEEPlSE_SE_S6_NS0_8equal_toIlEEEE10hipError_tPvRmT2_T3_mT4_T5_T6_T7_T8_P12ihipStream_tbENKUlT_T0_E_clISt17integral_constantIbLb1EESY_EEDaST_SU_EUlST_E_NS1_11comp_targetILNS1_3genE10ELNS1_11target_archE1201ELNS1_3gpuE5ELNS1_3repE0EEENS1_30default_config_static_selectorELNS0_4arch9wavefront6targetE0EEEvT1_, .Lfunc_end525-_ZN7rocprim17ROCPRIM_400000_NS6detail17trampoline_kernelINS0_14default_configENS1_33run_length_encode_config_selectorIljNS0_4plusIjEEEEZZNS1_33reduce_by_key_impl_wrapped_configILNS1_25lookback_scan_determinismE0ES3_S7_PKlNS0_17constant_iteratorIjlEEPlSE_SE_S6_NS0_8equal_toIlEEEE10hipError_tPvRmT2_T3_mT4_T5_T6_T7_T8_P12ihipStream_tbENKUlT_T0_E_clISt17integral_constantIbLb1EESY_EEDaST_SU_EUlST_E_NS1_11comp_targetILNS1_3genE10ELNS1_11target_archE1201ELNS1_3gpuE5ELNS1_3repE0EEENS1_30default_config_static_selectorELNS0_4arch9wavefront6targetE0EEEvT1_
                                        ; -- End function
	.set _ZN7rocprim17ROCPRIM_400000_NS6detail17trampoline_kernelINS0_14default_configENS1_33run_length_encode_config_selectorIljNS0_4plusIjEEEEZZNS1_33reduce_by_key_impl_wrapped_configILNS1_25lookback_scan_determinismE0ES3_S7_PKlNS0_17constant_iteratorIjlEEPlSE_SE_S6_NS0_8equal_toIlEEEE10hipError_tPvRmT2_T3_mT4_T5_T6_T7_T8_P12ihipStream_tbENKUlT_T0_E_clISt17integral_constantIbLb1EESY_EEDaST_SU_EUlST_E_NS1_11comp_targetILNS1_3genE10ELNS1_11target_archE1201ELNS1_3gpuE5ELNS1_3repE0EEENS1_30default_config_static_selectorELNS0_4arch9wavefront6targetE0EEEvT1_.num_vgpr, 0
	.set _ZN7rocprim17ROCPRIM_400000_NS6detail17trampoline_kernelINS0_14default_configENS1_33run_length_encode_config_selectorIljNS0_4plusIjEEEEZZNS1_33reduce_by_key_impl_wrapped_configILNS1_25lookback_scan_determinismE0ES3_S7_PKlNS0_17constant_iteratorIjlEEPlSE_SE_S6_NS0_8equal_toIlEEEE10hipError_tPvRmT2_T3_mT4_T5_T6_T7_T8_P12ihipStream_tbENKUlT_T0_E_clISt17integral_constantIbLb1EESY_EEDaST_SU_EUlST_E_NS1_11comp_targetILNS1_3genE10ELNS1_11target_archE1201ELNS1_3gpuE5ELNS1_3repE0EEENS1_30default_config_static_selectorELNS0_4arch9wavefront6targetE0EEEvT1_.num_agpr, 0
	.set _ZN7rocprim17ROCPRIM_400000_NS6detail17trampoline_kernelINS0_14default_configENS1_33run_length_encode_config_selectorIljNS0_4plusIjEEEEZZNS1_33reduce_by_key_impl_wrapped_configILNS1_25lookback_scan_determinismE0ES3_S7_PKlNS0_17constant_iteratorIjlEEPlSE_SE_S6_NS0_8equal_toIlEEEE10hipError_tPvRmT2_T3_mT4_T5_T6_T7_T8_P12ihipStream_tbENKUlT_T0_E_clISt17integral_constantIbLb1EESY_EEDaST_SU_EUlST_E_NS1_11comp_targetILNS1_3genE10ELNS1_11target_archE1201ELNS1_3gpuE5ELNS1_3repE0EEENS1_30default_config_static_selectorELNS0_4arch9wavefront6targetE0EEEvT1_.numbered_sgpr, 0
	.set _ZN7rocprim17ROCPRIM_400000_NS6detail17trampoline_kernelINS0_14default_configENS1_33run_length_encode_config_selectorIljNS0_4plusIjEEEEZZNS1_33reduce_by_key_impl_wrapped_configILNS1_25lookback_scan_determinismE0ES3_S7_PKlNS0_17constant_iteratorIjlEEPlSE_SE_S6_NS0_8equal_toIlEEEE10hipError_tPvRmT2_T3_mT4_T5_T6_T7_T8_P12ihipStream_tbENKUlT_T0_E_clISt17integral_constantIbLb1EESY_EEDaST_SU_EUlST_E_NS1_11comp_targetILNS1_3genE10ELNS1_11target_archE1201ELNS1_3gpuE5ELNS1_3repE0EEENS1_30default_config_static_selectorELNS0_4arch9wavefront6targetE0EEEvT1_.num_named_barrier, 0
	.set _ZN7rocprim17ROCPRIM_400000_NS6detail17trampoline_kernelINS0_14default_configENS1_33run_length_encode_config_selectorIljNS0_4plusIjEEEEZZNS1_33reduce_by_key_impl_wrapped_configILNS1_25lookback_scan_determinismE0ES3_S7_PKlNS0_17constant_iteratorIjlEEPlSE_SE_S6_NS0_8equal_toIlEEEE10hipError_tPvRmT2_T3_mT4_T5_T6_T7_T8_P12ihipStream_tbENKUlT_T0_E_clISt17integral_constantIbLb1EESY_EEDaST_SU_EUlST_E_NS1_11comp_targetILNS1_3genE10ELNS1_11target_archE1201ELNS1_3gpuE5ELNS1_3repE0EEENS1_30default_config_static_selectorELNS0_4arch9wavefront6targetE0EEEvT1_.private_seg_size, 0
	.set _ZN7rocprim17ROCPRIM_400000_NS6detail17trampoline_kernelINS0_14default_configENS1_33run_length_encode_config_selectorIljNS0_4plusIjEEEEZZNS1_33reduce_by_key_impl_wrapped_configILNS1_25lookback_scan_determinismE0ES3_S7_PKlNS0_17constant_iteratorIjlEEPlSE_SE_S6_NS0_8equal_toIlEEEE10hipError_tPvRmT2_T3_mT4_T5_T6_T7_T8_P12ihipStream_tbENKUlT_T0_E_clISt17integral_constantIbLb1EESY_EEDaST_SU_EUlST_E_NS1_11comp_targetILNS1_3genE10ELNS1_11target_archE1201ELNS1_3gpuE5ELNS1_3repE0EEENS1_30default_config_static_selectorELNS0_4arch9wavefront6targetE0EEEvT1_.uses_vcc, 0
	.set _ZN7rocprim17ROCPRIM_400000_NS6detail17trampoline_kernelINS0_14default_configENS1_33run_length_encode_config_selectorIljNS0_4plusIjEEEEZZNS1_33reduce_by_key_impl_wrapped_configILNS1_25lookback_scan_determinismE0ES3_S7_PKlNS0_17constant_iteratorIjlEEPlSE_SE_S6_NS0_8equal_toIlEEEE10hipError_tPvRmT2_T3_mT4_T5_T6_T7_T8_P12ihipStream_tbENKUlT_T0_E_clISt17integral_constantIbLb1EESY_EEDaST_SU_EUlST_E_NS1_11comp_targetILNS1_3genE10ELNS1_11target_archE1201ELNS1_3gpuE5ELNS1_3repE0EEENS1_30default_config_static_selectorELNS0_4arch9wavefront6targetE0EEEvT1_.uses_flat_scratch, 0
	.set _ZN7rocprim17ROCPRIM_400000_NS6detail17trampoline_kernelINS0_14default_configENS1_33run_length_encode_config_selectorIljNS0_4plusIjEEEEZZNS1_33reduce_by_key_impl_wrapped_configILNS1_25lookback_scan_determinismE0ES3_S7_PKlNS0_17constant_iteratorIjlEEPlSE_SE_S6_NS0_8equal_toIlEEEE10hipError_tPvRmT2_T3_mT4_T5_T6_T7_T8_P12ihipStream_tbENKUlT_T0_E_clISt17integral_constantIbLb1EESY_EEDaST_SU_EUlST_E_NS1_11comp_targetILNS1_3genE10ELNS1_11target_archE1201ELNS1_3gpuE5ELNS1_3repE0EEENS1_30default_config_static_selectorELNS0_4arch9wavefront6targetE0EEEvT1_.has_dyn_sized_stack, 0
	.set _ZN7rocprim17ROCPRIM_400000_NS6detail17trampoline_kernelINS0_14default_configENS1_33run_length_encode_config_selectorIljNS0_4plusIjEEEEZZNS1_33reduce_by_key_impl_wrapped_configILNS1_25lookback_scan_determinismE0ES3_S7_PKlNS0_17constant_iteratorIjlEEPlSE_SE_S6_NS0_8equal_toIlEEEE10hipError_tPvRmT2_T3_mT4_T5_T6_T7_T8_P12ihipStream_tbENKUlT_T0_E_clISt17integral_constantIbLb1EESY_EEDaST_SU_EUlST_E_NS1_11comp_targetILNS1_3genE10ELNS1_11target_archE1201ELNS1_3gpuE5ELNS1_3repE0EEENS1_30default_config_static_selectorELNS0_4arch9wavefront6targetE0EEEvT1_.has_recursion, 0
	.set _ZN7rocprim17ROCPRIM_400000_NS6detail17trampoline_kernelINS0_14default_configENS1_33run_length_encode_config_selectorIljNS0_4plusIjEEEEZZNS1_33reduce_by_key_impl_wrapped_configILNS1_25lookback_scan_determinismE0ES3_S7_PKlNS0_17constant_iteratorIjlEEPlSE_SE_S6_NS0_8equal_toIlEEEE10hipError_tPvRmT2_T3_mT4_T5_T6_T7_T8_P12ihipStream_tbENKUlT_T0_E_clISt17integral_constantIbLb1EESY_EEDaST_SU_EUlST_E_NS1_11comp_targetILNS1_3genE10ELNS1_11target_archE1201ELNS1_3gpuE5ELNS1_3repE0EEENS1_30default_config_static_selectorELNS0_4arch9wavefront6targetE0EEEvT1_.has_indirect_call, 0
	.section	.AMDGPU.csdata,"",@progbits
; Kernel info:
; codeLenInByte = 0
; TotalNumSgprs: 0
; NumVgprs: 0
; ScratchSize: 0
; MemoryBound: 0
; FloatMode: 240
; IeeeMode: 1
; LDSByteSize: 0 bytes/workgroup (compile time only)
; SGPRBlocks: 0
; VGPRBlocks: 0
; NumSGPRsForWavesPerEU: 1
; NumVGPRsForWavesPerEU: 1
; NamedBarCnt: 0
; Occupancy: 16
; WaveLimiterHint : 0
; COMPUTE_PGM_RSRC2:SCRATCH_EN: 0
; COMPUTE_PGM_RSRC2:USER_SGPR: 2
; COMPUTE_PGM_RSRC2:TRAP_HANDLER: 0
; COMPUTE_PGM_RSRC2:TGID_X_EN: 1
; COMPUTE_PGM_RSRC2:TGID_Y_EN: 0
; COMPUTE_PGM_RSRC2:TGID_Z_EN: 0
; COMPUTE_PGM_RSRC2:TIDIG_COMP_CNT: 0
	.section	.text._ZN7rocprim17ROCPRIM_400000_NS6detail17trampoline_kernelINS0_14default_configENS1_33run_length_encode_config_selectorIljNS0_4plusIjEEEEZZNS1_33reduce_by_key_impl_wrapped_configILNS1_25lookback_scan_determinismE0ES3_S7_PKlNS0_17constant_iteratorIjlEEPlSE_SE_S6_NS0_8equal_toIlEEEE10hipError_tPvRmT2_T3_mT4_T5_T6_T7_T8_P12ihipStream_tbENKUlT_T0_E_clISt17integral_constantIbLb1EESY_EEDaST_SU_EUlST_E_NS1_11comp_targetILNS1_3genE10ELNS1_11target_archE1200ELNS1_3gpuE4ELNS1_3repE0EEENS1_30default_config_static_selectorELNS0_4arch9wavefront6targetE0EEEvT1_,"axG",@progbits,_ZN7rocprim17ROCPRIM_400000_NS6detail17trampoline_kernelINS0_14default_configENS1_33run_length_encode_config_selectorIljNS0_4plusIjEEEEZZNS1_33reduce_by_key_impl_wrapped_configILNS1_25lookback_scan_determinismE0ES3_S7_PKlNS0_17constant_iteratorIjlEEPlSE_SE_S6_NS0_8equal_toIlEEEE10hipError_tPvRmT2_T3_mT4_T5_T6_T7_T8_P12ihipStream_tbENKUlT_T0_E_clISt17integral_constantIbLb1EESY_EEDaST_SU_EUlST_E_NS1_11comp_targetILNS1_3genE10ELNS1_11target_archE1200ELNS1_3gpuE4ELNS1_3repE0EEENS1_30default_config_static_selectorELNS0_4arch9wavefront6targetE0EEEvT1_,comdat
	.protected	_ZN7rocprim17ROCPRIM_400000_NS6detail17trampoline_kernelINS0_14default_configENS1_33run_length_encode_config_selectorIljNS0_4plusIjEEEEZZNS1_33reduce_by_key_impl_wrapped_configILNS1_25lookback_scan_determinismE0ES3_S7_PKlNS0_17constant_iteratorIjlEEPlSE_SE_S6_NS0_8equal_toIlEEEE10hipError_tPvRmT2_T3_mT4_T5_T6_T7_T8_P12ihipStream_tbENKUlT_T0_E_clISt17integral_constantIbLb1EESY_EEDaST_SU_EUlST_E_NS1_11comp_targetILNS1_3genE10ELNS1_11target_archE1200ELNS1_3gpuE4ELNS1_3repE0EEENS1_30default_config_static_selectorELNS0_4arch9wavefront6targetE0EEEvT1_ ; -- Begin function _ZN7rocprim17ROCPRIM_400000_NS6detail17trampoline_kernelINS0_14default_configENS1_33run_length_encode_config_selectorIljNS0_4plusIjEEEEZZNS1_33reduce_by_key_impl_wrapped_configILNS1_25lookback_scan_determinismE0ES3_S7_PKlNS0_17constant_iteratorIjlEEPlSE_SE_S6_NS0_8equal_toIlEEEE10hipError_tPvRmT2_T3_mT4_T5_T6_T7_T8_P12ihipStream_tbENKUlT_T0_E_clISt17integral_constantIbLb1EESY_EEDaST_SU_EUlST_E_NS1_11comp_targetILNS1_3genE10ELNS1_11target_archE1200ELNS1_3gpuE4ELNS1_3repE0EEENS1_30default_config_static_selectorELNS0_4arch9wavefront6targetE0EEEvT1_
	.globl	_ZN7rocprim17ROCPRIM_400000_NS6detail17trampoline_kernelINS0_14default_configENS1_33run_length_encode_config_selectorIljNS0_4plusIjEEEEZZNS1_33reduce_by_key_impl_wrapped_configILNS1_25lookback_scan_determinismE0ES3_S7_PKlNS0_17constant_iteratorIjlEEPlSE_SE_S6_NS0_8equal_toIlEEEE10hipError_tPvRmT2_T3_mT4_T5_T6_T7_T8_P12ihipStream_tbENKUlT_T0_E_clISt17integral_constantIbLb1EESY_EEDaST_SU_EUlST_E_NS1_11comp_targetILNS1_3genE10ELNS1_11target_archE1200ELNS1_3gpuE4ELNS1_3repE0EEENS1_30default_config_static_selectorELNS0_4arch9wavefront6targetE0EEEvT1_
	.p2align	8
	.type	_ZN7rocprim17ROCPRIM_400000_NS6detail17trampoline_kernelINS0_14default_configENS1_33run_length_encode_config_selectorIljNS0_4plusIjEEEEZZNS1_33reduce_by_key_impl_wrapped_configILNS1_25lookback_scan_determinismE0ES3_S7_PKlNS0_17constant_iteratorIjlEEPlSE_SE_S6_NS0_8equal_toIlEEEE10hipError_tPvRmT2_T3_mT4_T5_T6_T7_T8_P12ihipStream_tbENKUlT_T0_E_clISt17integral_constantIbLb1EESY_EEDaST_SU_EUlST_E_NS1_11comp_targetILNS1_3genE10ELNS1_11target_archE1200ELNS1_3gpuE4ELNS1_3repE0EEENS1_30default_config_static_selectorELNS0_4arch9wavefront6targetE0EEEvT1_,@function
_ZN7rocprim17ROCPRIM_400000_NS6detail17trampoline_kernelINS0_14default_configENS1_33run_length_encode_config_selectorIljNS0_4plusIjEEEEZZNS1_33reduce_by_key_impl_wrapped_configILNS1_25lookback_scan_determinismE0ES3_S7_PKlNS0_17constant_iteratorIjlEEPlSE_SE_S6_NS0_8equal_toIlEEEE10hipError_tPvRmT2_T3_mT4_T5_T6_T7_T8_P12ihipStream_tbENKUlT_T0_E_clISt17integral_constantIbLb1EESY_EEDaST_SU_EUlST_E_NS1_11comp_targetILNS1_3genE10ELNS1_11target_archE1200ELNS1_3gpuE4ELNS1_3repE0EEENS1_30default_config_static_selectorELNS0_4arch9wavefront6targetE0EEEvT1_: ; @_ZN7rocprim17ROCPRIM_400000_NS6detail17trampoline_kernelINS0_14default_configENS1_33run_length_encode_config_selectorIljNS0_4plusIjEEEEZZNS1_33reduce_by_key_impl_wrapped_configILNS1_25lookback_scan_determinismE0ES3_S7_PKlNS0_17constant_iteratorIjlEEPlSE_SE_S6_NS0_8equal_toIlEEEE10hipError_tPvRmT2_T3_mT4_T5_T6_T7_T8_P12ihipStream_tbENKUlT_T0_E_clISt17integral_constantIbLb1EESY_EEDaST_SU_EUlST_E_NS1_11comp_targetILNS1_3genE10ELNS1_11target_archE1200ELNS1_3gpuE4ELNS1_3repE0EEENS1_30default_config_static_selectorELNS0_4arch9wavefront6targetE0EEEvT1_
; %bb.0:
	.section	.rodata,"a",@progbits
	.p2align	6, 0x0
	.amdhsa_kernel _ZN7rocprim17ROCPRIM_400000_NS6detail17trampoline_kernelINS0_14default_configENS1_33run_length_encode_config_selectorIljNS0_4plusIjEEEEZZNS1_33reduce_by_key_impl_wrapped_configILNS1_25lookback_scan_determinismE0ES3_S7_PKlNS0_17constant_iteratorIjlEEPlSE_SE_S6_NS0_8equal_toIlEEEE10hipError_tPvRmT2_T3_mT4_T5_T6_T7_T8_P12ihipStream_tbENKUlT_T0_E_clISt17integral_constantIbLb1EESY_EEDaST_SU_EUlST_E_NS1_11comp_targetILNS1_3genE10ELNS1_11target_archE1200ELNS1_3gpuE4ELNS1_3repE0EEENS1_30default_config_static_selectorELNS0_4arch9wavefront6targetE0EEEvT1_
		.amdhsa_group_segment_fixed_size 0
		.amdhsa_private_segment_fixed_size 0
		.amdhsa_kernarg_size 128
		.amdhsa_user_sgpr_count 2
		.amdhsa_user_sgpr_dispatch_ptr 0
		.amdhsa_user_sgpr_queue_ptr 0
		.amdhsa_user_sgpr_kernarg_segment_ptr 1
		.amdhsa_user_sgpr_dispatch_id 0
		.amdhsa_user_sgpr_kernarg_preload_length 0
		.amdhsa_user_sgpr_kernarg_preload_offset 0
		.amdhsa_user_sgpr_private_segment_size 0
		.amdhsa_wavefront_size32 1
		.amdhsa_uses_dynamic_stack 0
		.amdhsa_enable_private_segment 0
		.amdhsa_system_sgpr_workgroup_id_x 1
		.amdhsa_system_sgpr_workgroup_id_y 0
		.amdhsa_system_sgpr_workgroup_id_z 0
		.amdhsa_system_sgpr_workgroup_info 0
		.amdhsa_system_vgpr_workitem_id 0
		.amdhsa_next_free_vgpr 1
		.amdhsa_next_free_sgpr 1
		.amdhsa_named_barrier_count 0
		.amdhsa_reserve_vcc 0
		.amdhsa_float_round_mode_32 0
		.amdhsa_float_round_mode_16_64 0
		.amdhsa_float_denorm_mode_32 3
		.amdhsa_float_denorm_mode_16_64 3
		.amdhsa_fp16_overflow 0
		.amdhsa_memory_ordered 1
		.amdhsa_forward_progress 1
		.amdhsa_inst_pref_size 0
		.amdhsa_round_robin_scheduling 0
		.amdhsa_exception_fp_ieee_invalid_op 0
		.amdhsa_exception_fp_denorm_src 0
		.amdhsa_exception_fp_ieee_div_zero 0
		.amdhsa_exception_fp_ieee_overflow 0
		.amdhsa_exception_fp_ieee_underflow 0
		.amdhsa_exception_fp_ieee_inexact 0
		.amdhsa_exception_int_div_zero 0
	.end_amdhsa_kernel
	.section	.text._ZN7rocprim17ROCPRIM_400000_NS6detail17trampoline_kernelINS0_14default_configENS1_33run_length_encode_config_selectorIljNS0_4plusIjEEEEZZNS1_33reduce_by_key_impl_wrapped_configILNS1_25lookback_scan_determinismE0ES3_S7_PKlNS0_17constant_iteratorIjlEEPlSE_SE_S6_NS0_8equal_toIlEEEE10hipError_tPvRmT2_T3_mT4_T5_T6_T7_T8_P12ihipStream_tbENKUlT_T0_E_clISt17integral_constantIbLb1EESY_EEDaST_SU_EUlST_E_NS1_11comp_targetILNS1_3genE10ELNS1_11target_archE1200ELNS1_3gpuE4ELNS1_3repE0EEENS1_30default_config_static_selectorELNS0_4arch9wavefront6targetE0EEEvT1_,"axG",@progbits,_ZN7rocprim17ROCPRIM_400000_NS6detail17trampoline_kernelINS0_14default_configENS1_33run_length_encode_config_selectorIljNS0_4plusIjEEEEZZNS1_33reduce_by_key_impl_wrapped_configILNS1_25lookback_scan_determinismE0ES3_S7_PKlNS0_17constant_iteratorIjlEEPlSE_SE_S6_NS0_8equal_toIlEEEE10hipError_tPvRmT2_T3_mT4_T5_T6_T7_T8_P12ihipStream_tbENKUlT_T0_E_clISt17integral_constantIbLb1EESY_EEDaST_SU_EUlST_E_NS1_11comp_targetILNS1_3genE10ELNS1_11target_archE1200ELNS1_3gpuE4ELNS1_3repE0EEENS1_30default_config_static_selectorELNS0_4arch9wavefront6targetE0EEEvT1_,comdat
.Lfunc_end526:
	.size	_ZN7rocprim17ROCPRIM_400000_NS6detail17trampoline_kernelINS0_14default_configENS1_33run_length_encode_config_selectorIljNS0_4plusIjEEEEZZNS1_33reduce_by_key_impl_wrapped_configILNS1_25lookback_scan_determinismE0ES3_S7_PKlNS0_17constant_iteratorIjlEEPlSE_SE_S6_NS0_8equal_toIlEEEE10hipError_tPvRmT2_T3_mT4_T5_T6_T7_T8_P12ihipStream_tbENKUlT_T0_E_clISt17integral_constantIbLb1EESY_EEDaST_SU_EUlST_E_NS1_11comp_targetILNS1_3genE10ELNS1_11target_archE1200ELNS1_3gpuE4ELNS1_3repE0EEENS1_30default_config_static_selectorELNS0_4arch9wavefront6targetE0EEEvT1_, .Lfunc_end526-_ZN7rocprim17ROCPRIM_400000_NS6detail17trampoline_kernelINS0_14default_configENS1_33run_length_encode_config_selectorIljNS0_4plusIjEEEEZZNS1_33reduce_by_key_impl_wrapped_configILNS1_25lookback_scan_determinismE0ES3_S7_PKlNS0_17constant_iteratorIjlEEPlSE_SE_S6_NS0_8equal_toIlEEEE10hipError_tPvRmT2_T3_mT4_T5_T6_T7_T8_P12ihipStream_tbENKUlT_T0_E_clISt17integral_constantIbLb1EESY_EEDaST_SU_EUlST_E_NS1_11comp_targetILNS1_3genE10ELNS1_11target_archE1200ELNS1_3gpuE4ELNS1_3repE0EEENS1_30default_config_static_selectorELNS0_4arch9wavefront6targetE0EEEvT1_
                                        ; -- End function
	.set _ZN7rocprim17ROCPRIM_400000_NS6detail17trampoline_kernelINS0_14default_configENS1_33run_length_encode_config_selectorIljNS0_4plusIjEEEEZZNS1_33reduce_by_key_impl_wrapped_configILNS1_25lookback_scan_determinismE0ES3_S7_PKlNS0_17constant_iteratorIjlEEPlSE_SE_S6_NS0_8equal_toIlEEEE10hipError_tPvRmT2_T3_mT4_T5_T6_T7_T8_P12ihipStream_tbENKUlT_T0_E_clISt17integral_constantIbLb1EESY_EEDaST_SU_EUlST_E_NS1_11comp_targetILNS1_3genE10ELNS1_11target_archE1200ELNS1_3gpuE4ELNS1_3repE0EEENS1_30default_config_static_selectorELNS0_4arch9wavefront6targetE0EEEvT1_.num_vgpr, 0
	.set _ZN7rocprim17ROCPRIM_400000_NS6detail17trampoline_kernelINS0_14default_configENS1_33run_length_encode_config_selectorIljNS0_4plusIjEEEEZZNS1_33reduce_by_key_impl_wrapped_configILNS1_25lookback_scan_determinismE0ES3_S7_PKlNS0_17constant_iteratorIjlEEPlSE_SE_S6_NS0_8equal_toIlEEEE10hipError_tPvRmT2_T3_mT4_T5_T6_T7_T8_P12ihipStream_tbENKUlT_T0_E_clISt17integral_constantIbLb1EESY_EEDaST_SU_EUlST_E_NS1_11comp_targetILNS1_3genE10ELNS1_11target_archE1200ELNS1_3gpuE4ELNS1_3repE0EEENS1_30default_config_static_selectorELNS0_4arch9wavefront6targetE0EEEvT1_.num_agpr, 0
	.set _ZN7rocprim17ROCPRIM_400000_NS6detail17trampoline_kernelINS0_14default_configENS1_33run_length_encode_config_selectorIljNS0_4plusIjEEEEZZNS1_33reduce_by_key_impl_wrapped_configILNS1_25lookback_scan_determinismE0ES3_S7_PKlNS0_17constant_iteratorIjlEEPlSE_SE_S6_NS0_8equal_toIlEEEE10hipError_tPvRmT2_T3_mT4_T5_T6_T7_T8_P12ihipStream_tbENKUlT_T0_E_clISt17integral_constantIbLb1EESY_EEDaST_SU_EUlST_E_NS1_11comp_targetILNS1_3genE10ELNS1_11target_archE1200ELNS1_3gpuE4ELNS1_3repE0EEENS1_30default_config_static_selectorELNS0_4arch9wavefront6targetE0EEEvT1_.numbered_sgpr, 0
	.set _ZN7rocprim17ROCPRIM_400000_NS6detail17trampoline_kernelINS0_14default_configENS1_33run_length_encode_config_selectorIljNS0_4plusIjEEEEZZNS1_33reduce_by_key_impl_wrapped_configILNS1_25lookback_scan_determinismE0ES3_S7_PKlNS0_17constant_iteratorIjlEEPlSE_SE_S6_NS0_8equal_toIlEEEE10hipError_tPvRmT2_T3_mT4_T5_T6_T7_T8_P12ihipStream_tbENKUlT_T0_E_clISt17integral_constantIbLb1EESY_EEDaST_SU_EUlST_E_NS1_11comp_targetILNS1_3genE10ELNS1_11target_archE1200ELNS1_3gpuE4ELNS1_3repE0EEENS1_30default_config_static_selectorELNS0_4arch9wavefront6targetE0EEEvT1_.num_named_barrier, 0
	.set _ZN7rocprim17ROCPRIM_400000_NS6detail17trampoline_kernelINS0_14default_configENS1_33run_length_encode_config_selectorIljNS0_4plusIjEEEEZZNS1_33reduce_by_key_impl_wrapped_configILNS1_25lookback_scan_determinismE0ES3_S7_PKlNS0_17constant_iteratorIjlEEPlSE_SE_S6_NS0_8equal_toIlEEEE10hipError_tPvRmT2_T3_mT4_T5_T6_T7_T8_P12ihipStream_tbENKUlT_T0_E_clISt17integral_constantIbLb1EESY_EEDaST_SU_EUlST_E_NS1_11comp_targetILNS1_3genE10ELNS1_11target_archE1200ELNS1_3gpuE4ELNS1_3repE0EEENS1_30default_config_static_selectorELNS0_4arch9wavefront6targetE0EEEvT1_.private_seg_size, 0
	.set _ZN7rocprim17ROCPRIM_400000_NS6detail17trampoline_kernelINS0_14default_configENS1_33run_length_encode_config_selectorIljNS0_4plusIjEEEEZZNS1_33reduce_by_key_impl_wrapped_configILNS1_25lookback_scan_determinismE0ES3_S7_PKlNS0_17constant_iteratorIjlEEPlSE_SE_S6_NS0_8equal_toIlEEEE10hipError_tPvRmT2_T3_mT4_T5_T6_T7_T8_P12ihipStream_tbENKUlT_T0_E_clISt17integral_constantIbLb1EESY_EEDaST_SU_EUlST_E_NS1_11comp_targetILNS1_3genE10ELNS1_11target_archE1200ELNS1_3gpuE4ELNS1_3repE0EEENS1_30default_config_static_selectorELNS0_4arch9wavefront6targetE0EEEvT1_.uses_vcc, 0
	.set _ZN7rocprim17ROCPRIM_400000_NS6detail17trampoline_kernelINS0_14default_configENS1_33run_length_encode_config_selectorIljNS0_4plusIjEEEEZZNS1_33reduce_by_key_impl_wrapped_configILNS1_25lookback_scan_determinismE0ES3_S7_PKlNS0_17constant_iteratorIjlEEPlSE_SE_S6_NS0_8equal_toIlEEEE10hipError_tPvRmT2_T3_mT4_T5_T6_T7_T8_P12ihipStream_tbENKUlT_T0_E_clISt17integral_constantIbLb1EESY_EEDaST_SU_EUlST_E_NS1_11comp_targetILNS1_3genE10ELNS1_11target_archE1200ELNS1_3gpuE4ELNS1_3repE0EEENS1_30default_config_static_selectorELNS0_4arch9wavefront6targetE0EEEvT1_.uses_flat_scratch, 0
	.set _ZN7rocprim17ROCPRIM_400000_NS6detail17trampoline_kernelINS0_14default_configENS1_33run_length_encode_config_selectorIljNS0_4plusIjEEEEZZNS1_33reduce_by_key_impl_wrapped_configILNS1_25lookback_scan_determinismE0ES3_S7_PKlNS0_17constant_iteratorIjlEEPlSE_SE_S6_NS0_8equal_toIlEEEE10hipError_tPvRmT2_T3_mT4_T5_T6_T7_T8_P12ihipStream_tbENKUlT_T0_E_clISt17integral_constantIbLb1EESY_EEDaST_SU_EUlST_E_NS1_11comp_targetILNS1_3genE10ELNS1_11target_archE1200ELNS1_3gpuE4ELNS1_3repE0EEENS1_30default_config_static_selectorELNS0_4arch9wavefront6targetE0EEEvT1_.has_dyn_sized_stack, 0
	.set _ZN7rocprim17ROCPRIM_400000_NS6detail17trampoline_kernelINS0_14default_configENS1_33run_length_encode_config_selectorIljNS0_4plusIjEEEEZZNS1_33reduce_by_key_impl_wrapped_configILNS1_25lookback_scan_determinismE0ES3_S7_PKlNS0_17constant_iteratorIjlEEPlSE_SE_S6_NS0_8equal_toIlEEEE10hipError_tPvRmT2_T3_mT4_T5_T6_T7_T8_P12ihipStream_tbENKUlT_T0_E_clISt17integral_constantIbLb1EESY_EEDaST_SU_EUlST_E_NS1_11comp_targetILNS1_3genE10ELNS1_11target_archE1200ELNS1_3gpuE4ELNS1_3repE0EEENS1_30default_config_static_selectorELNS0_4arch9wavefront6targetE0EEEvT1_.has_recursion, 0
	.set _ZN7rocprim17ROCPRIM_400000_NS6detail17trampoline_kernelINS0_14default_configENS1_33run_length_encode_config_selectorIljNS0_4plusIjEEEEZZNS1_33reduce_by_key_impl_wrapped_configILNS1_25lookback_scan_determinismE0ES3_S7_PKlNS0_17constant_iteratorIjlEEPlSE_SE_S6_NS0_8equal_toIlEEEE10hipError_tPvRmT2_T3_mT4_T5_T6_T7_T8_P12ihipStream_tbENKUlT_T0_E_clISt17integral_constantIbLb1EESY_EEDaST_SU_EUlST_E_NS1_11comp_targetILNS1_3genE10ELNS1_11target_archE1200ELNS1_3gpuE4ELNS1_3repE0EEENS1_30default_config_static_selectorELNS0_4arch9wavefront6targetE0EEEvT1_.has_indirect_call, 0
	.section	.AMDGPU.csdata,"",@progbits
; Kernel info:
; codeLenInByte = 0
; TotalNumSgprs: 0
; NumVgprs: 0
; ScratchSize: 0
; MemoryBound: 0
; FloatMode: 240
; IeeeMode: 1
; LDSByteSize: 0 bytes/workgroup (compile time only)
; SGPRBlocks: 0
; VGPRBlocks: 0
; NumSGPRsForWavesPerEU: 1
; NumVGPRsForWavesPerEU: 1
; NamedBarCnt: 0
; Occupancy: 16
; WaveLimiterHint : 0
; COMPUTE_PGM_RSRC2:SCRATCH_EN: 0
; COMPUTE_PGM_RSRC2:USER_SGPR: 2
; COMPUTE_PGM_RSRC2:TRAP_HANDLER: 0
; COMPUTE_PGM_RSRC2:TGID_X_EN: 1
; COMPUTE_PGM_RSRC2:TGID_Y_EN: 0
; COMPUTE_PGM_RSRC2:TGID_Z_EN: 0
; COMPUTE_PGM_RSRC2:TIDIG_COMP_CNT: 0
	.section	.text._ZN7rocprim17ROCPRIM_400000_NS6detail17trampoline_kernelINS0_14default_configENS1_33run_length_encode_config_selectorIljNS0_4plusIjEEEEZZNS1_33reduce_by_key_impl_wrapped_configILNS1_25lookback_scan_determinismE0ES3_S7_PKlNS0_17constant_iteratorIjlEEPlSE_SE_S6_NS0_8equal_toIlEEEE10hipError_tPvRmT2_T3_mT4_T5_T6_T7_T8_P12ihipStream_tbENKUlT_T0_E_clISt17integral_constantIbLb1EESY_EEDaST_SU_EUlST_E_NS1_11comp_targetILNS1_3genE9ELNS1_11target_archE1100ELNS1_3gpuE3ELNS1_3repE0EEENS1_30default_config_static_selectorELNS0_4arch9wavefront6targetE0EEEvT1_,"axG",@progbits,_ZN7rocprim17ROCPRIM_400000_NS6detail17trampoline_kernelINS0_14default_configENS1_33run_length_encode_config_selectorIljNS0_4plusIjEEEEZZNS1_33reduce_by_key_impl_wrapped_configILNS1_25lookback_scan_determinismE0ES3_S7_PKlNS0_17constant_iteratorIjlEEPlSE_SE_S6_NS0_8equal_toIlEEEE10hipError_tPvRmT2_T3_mT4_T5_T6_T7_T8_P12ihipStream_tbENKUlT_T0_E_clISt17integral_constantIbLb1EESY_EEDaST_SU_EUlST_E_NS1_11comp_targetILNS1_3genE9ELNS1_11target_archE1100ELNS1_3gpuE3ELNS1_3repE0EEENS1_30default_config_static_selectorELNS0_4arch9wavefront6targetE0EEEvT1_,comdat
	.protected	_ZN7rocprim17ROCPRIM_400000_NS6detail17trampoline_kernelINS0_14default_configENS1_33run_length_encode_config_selectorIljNS0_4plusIjEEEEZZNS1_33reduce_by_key_impl_wrapped_configILNS1_25lookback_scan_determinismE0ES3_S7_PKlNS0_17constant_iteratorIjlEEPlSE_SE_S6_NS0_8equal_toIlEEEE10hipError_tPvRmT2_T3_mT4_T5_T6_T7_T8_P12ihipStream_tbENKUlT_T0_E_clISt17integral_constantIbLb1EESY_EEDaST_SU_EUlST_E_NS1_11comp_targetILNS1_3genE9ELNS1_11target_archE1100ELNS1_3gpuE3ELNS1_3repE0EEENS1_30default_config_static_selectorELNS0_4arch9wavefront6targetE0EEEvT1_ ; -- Begin function _ZN7rocprim17ROCPRIM_400000_NS6detail17trampoline_kernelINS0_14default_configENS1_33run_length_encode_config_selectorIljNS0_4plusIjEEEEZZNS1_33reduce_by_key_impl_wrapped_configILNS1_25lookback_scan_determinismE0ES3_S7_PKlNS0_17constant_iteratorIjlEEPlSE_SE_S6_NS0_8equal_toIlEEEE10hipError_tPvRmT2_T3_mT4_T5_T6_T7_T8_P12ihipStream_tbENKUlT_T0_E_clISt17integral_constantIbLb1EESY_EEDaST_SU_EUlST_E_NS1_11comp_targetILNS1_3genE9ELNS1_11target_archE1100ELNS1_3gpuE3ELNS1_3repE0EEENS1_30default_config_static_selectorELNS0_4arch9wavefront6targetE0EEEvT1_
	.globl	_ZN7rocprim17ROCPRIM_400000_NS6detail17trampoline_kernelINS0_14default_configENS1_33run_length_encode_config_selectorIljNS0_4plusIjEEEEZZNS1_33reduce_by_key_impl_wrapped_configILNS1_25lookback_scan_determinismE0ES3_S7_PKlNS0_17constant_iteratorIjlEEPlSE_SE_S6_NS0_8equal_toIlEEEE10hipError_tPvRmT2_T3_mT4_T5_T6_T7_T8_P12ihipStream_tbENKUlT_T0_E_clISt17integral_constantIbLb1EESY_EEDaST_SU_EUlST_E_NS1_11comp_targetILNS1_3genE9ELNS1_11target_archE1100ELNS1_3gpuE3ELNS1_3repE0EEENS1_30default_config_static_selectorELNS0_4arch9wavefront6targetE0EEEvT1_
	.p2align	8
	.type	_ZN7rocprim17ROCPRIM_400000_NS6detail17trampoline_kernelINS0_14default_configENS1_33run_length_encode_config_selectorIljNS0_4plusIjEEEEZZNS1_33reduce_by_key_impl_wrapped_configILNS1_25lookback_scan_determinismE0ES3_S7_PKlNS0_17constant_iteratorIjlEEPlSE_SE_S6_NS0_8equal_toIlEEEE10hipError_tPvRmT2_T3_mT4_T5_T6_T7_T8_P12ihipStream_tbENKUlT_T0_E_clISt17integral_constantIbLb1EESY_EEDaST_SU_EUlST_E_NS1_11comp_targetILNS1_3genE9ELNS1_11target_archE1100ELNS1_3gpuE3ELNS1_3repE0EEENS1_30default_config_static_selectorELNS0_4arch9wavefront6targetE0EEEvT1_,@function
_ZN7rocprim17ROCPRIM_400000_NS6detail17trampoline_kernelINS0_14default_configENS1_33run_length_encode_config_selectorIljNS0_4plusIjEEEEZZNS1_33reduce_by_key_impl_wrapped_configILNS1_25lookback_scan_determinismE0ES3_S7_PKlNS0_17constant_iteratorIjlEEPlSE_SE_S6_NS0_8equal_toIlEEEE10hipError_tPvRmT2_T3_mT4_T5_T6_T7_T8_P12ihipStream_tbENKUlT_T0_E_clISt17integral_constantIbLb1EESY_EEDaST_SU_EUlST_E_NS1_11comp_targetILNS1_3genE9ELNS1_11target_archE1100ELNS1_3gpuE3ELNS1_3repE0EEENS1_30default_config_static_selectorELNS0_4arch9wavefront6targetE0EEEvT1_: ; @_ZN7rocprim17ROCPRIM_400000_NS6detail17trampoline_kernelINS0_14default_configENS1_33run_length_encode_config_selectorIljNS0_4plusIjEEEEZZNS1_33reduce_by_key_impl_wrapped_configILNS1_25lookback_scan_determinismE0ES3_S7_PKlNS0_17constant_iteratorIjlEEPlSE_SE_S6_NS0_8equal_toIlEEEE10hipError_tPvRmT2_T3_mT4_T5_T6_T7_T8_P12ihipStream_tbENKUlT_T0_E_clISt17integral_constantIbLb1EESY_EEDaST_SU_EUlST_E_NS1_11comp_targetILNS1_3genE9ELNS1_11target_archE1100ELNS1_3gpuE3ELNS1_3repE0EEENS1_30default_config_static_selectorELNS0_4arch9wavefront6targetE0EEEvT1_
; %bb.0:
	.section	.rodata,"a",@progbits
	.p2align	6, 0x0
	.amdhsa_kernel _ZN7rocprim17ROCPRIM_400000_NS6detail17trampoline_kernelINS0_14default_configENS1_33run_length_encode_config_selectorIljNS0_4plusIjEEEEZZNS1_33reduce_by_key_impl_wrapped_configILNS1_25lookback_scan_determinismE0ES3_S7_PKlNS0_17constant_iteratorIjlEEPlSE_SE_S6_NS0_8equal_toIlEEEE10hipError_tPvRmT2_T3_mT4_T5_T6_T7_T8_P12ihipStream_tbENKUlT_T0_E_clISt17integral_constantIbLb1EESY_EEDaST_SU_EUlST_E_NS1_11comp_targetILNS1_3genE9ELNS1_11target_archE1100ELNS1_3gpuE3ELNS1_3repE0EEENS1_30default_config_static_selectorELNS0_4arch9wavefront6targetE0EEEvT1_
		.amdhsa_group_segment_fixed_size 0
		.amdhsa_private_segment_fixed_size 0
		.amdhsa_kernarg_size 128
		.amdhsa_user_sgpr_count 2
		.amdhsa_user_sgpr_dispatch_ptr 0
		.amdhsa_user_sgpr_queue_ptr 0
		.amdhsa_user_sgpr_kernarg_segment_ptr 1
		.amdhsa_user_sgpr_dispatch_id 0
		.amdhsa_user_sgpr_kernarg_preload_length 0
		.amdhsa_user_sgpr_kernarg_preload_offset 0
		.amdhsa_user_sgpr_private_segment_size 0
		.amdhsa_wavefront_size32 1
		.amdhsa_uses_dynamic_stack 0
		.amdhsa_enable_private_segment 0
		.amdhsa_system_sgpr_workgroup_id_x 1
		.amdhsa_system_sgpr_workgroup_id_y 0
		.amdhsa_system_sgpr_workgroup_id_z 0
		.amdhsa_system_sgpr_workgroup_info 0
		.amdhsa_system_vgpr_workitem_id 0
		.amdhsa_next_free_vgpr 1
		.amdhsa_next_free_sgpr 1
		.amdhsa_named_barrier_count 0
		.amdhsa_reserve_vcc 0
		.amdhsa_float_round_mode_32 0
		.amdhsa_float_round_mode_16_64 0
		.amdhsa_float_denorm_mode_32 3
		.amdhsa_float_denorm_mode_16_64 3
		.amdhsa_fp16_overflow 0
		.amdhsa_memory_ordered 1
		.amdhsa_forward_progress 1
		.amdhsa_inst_pref_size 0
		.amdhsa_round_robin_scheduling 0
		.amdhsa_exception_fp_ieee_invalid_op 0
		.amdhsa_exception_fp_denorm_src 0
		.amdhsa_exception_fp_ieee_div_zero 0
		.amdhsa_exception_fp_ieee_overflow 0
		.amdhsa_exception_fp_ieee_underflow 0
		.amdhsa_exception_fp_ieee_inexact 0
		.amdhsa_exception_int_div_zero 0
	.end_amdhsa_kernel
	.section	.text._ZN7rocprim17ROCPRIM_400000_NS6detail17trampoline_kernelINS0_14default_configENS1_33run_length_encode_config_selectorIljNS0_4plusIjEEEEZZNS1_33reduce_by_key_impl_wrapped_configILNS1_25lookback_scan_determinismE0ES3_S7_PKlNS0_17constant_iteratorIjlEEPlSE_SE_S6_NS0_8equal_toIlEEEE10hipError_tPvRmT2_T3_mT4_T5_T6_T7_T8_P12ihipStream_tbENKUlT_T0_E_clISt17integral_constantIbLb1EESY_EEDaST_SU_EUlST_E_NS1_11comp_targetILNS1_3genE9ELNS1_11target_archE1100ELNS1_3gpuE3ELNS1_3repE0EEENS1_30default_config_static_selectorELNS0_4arch9wavefront6targetE0EEEvT1_,"axG",@progbits,_ZN7rocprim17ROCPRIM_400000_NS6detail17trampoline_kernelINS0_14default_configENS1_33run_length_encode_config_selectorIljNS0_4plusIjEEEEZZNS1_33reduce_by_key_impl_wrapped_configILNS1_25lookback_scan_determinismE0ES3_S7_PKlNS0_17constant_iteratorIjlEEPlSE_SE_S6_NS0_8equal_toIlEEEE10hipError_tPvRmT2_T3_mT4_T5_T6_T7_T8_P12ihipStream_tbENKUlT_T0_E_clISt17integral_constantIbLb1EESY_EEDaST_SU_EUlST_E_NS1_11comp_targetILNS1_3genE9ELNS1_11target_archE1100ELNS1_3gpuE3ELNS1_3repE0EEENS1_30default_config_static_selectorELNS0_4arch9wavefront6targetE0EEEvT1_,comdat
.Lfunc_end527:
	.size	_ZN7rocprim17ROCPRIM_400000_NS6detail17trampoline_kernelINS0_14default_configENS1_33run_length_encode_config_selectorIljNS0_4plusIjEEEEZZNS1_33reduce_by_key_impl_wrapped_configILNS1_25lookback_scan_determinismE0ES3_S7_PKlNS0_17constant_iteratorIjlEEPlSE_SE_S6_NS0_8equal_toIlEEEE10hipError_tPvRmT2_T3_mT4_T5_T6_T7_T8_P12ihipStream_tbENKUlT_T0_E_clISt17integral_constantIbLb1EESY_EEDaST_SU_EUlST_E_NS1_11comp_targetILNS1_3genE9ELNS1_11target_archE1100ELNS1_3gpuE3ELNS1_3repE0EEENS1_30default_config_static_selectorELNS0_4arch9wavefront6targetE0EEEvT1_, .Lfunc_end527-_ZN7rocprim17ROCPRIM_400000_NS6detail17trampoline_kernelINS0_14default_configENS1_33run_length_encode_config_selectorIljNS0_4plusIjEEEEZZNS1_33reduce_by_key_impl_wrapped_configILNS1_25lookback_scan_determinismE0ES3_S7_PKlNS0_17constant_iteratorIjlEEPlSE_SE_S6_NS0_8equal_toIlEEEE10hipError_tPvRmT2_T3_mT4_T5_T6_T7_T8_P12ihipStream_tbENKUlT_T0_E_clISt17integral_constantIbLb1EESY_EEDaST_SU_EUlST_E_NS1_11comp_targetILNS1_3genE9ELNS1_11target_archE1100ELNS1_3gpuE3ELNS1_3repE0EEENS1_30default_config_static_selectorELNS0_4arch9wavefront6targetE0EEEvT1_
                                        ; -- End function
	.set _ZN7rocprim17ROCPRIM_400000_NS6detail17trampoline_kernelINS0_14default_configENS1_33run_length_encode_config_selectorIljNS0_4plusIjEEEEZZNS1_33reduce_by_key_impl_wrapped_configILNS1_25lookback_scan_determinismE0ES3_S7_PKlNS0_17constant_iteratorIjlEEPlSE_SE_S6_NS0_8equal_toIlEEEE10hipError_tPvRmT2_T3_mT4_T5_T6_T7_T8_P12ihipStream_tbENKUlT_T0_E_clISt17integral_constantIbLb1EESY_EEDaST_SU_EUlST_E_NS1_11comp_targetILNS1_3genE9ELNS1_11target_archE1100ELNS1_3gpuE3ELNS1_3repE0EEENS1_30default_config_static_selectorELNS0_4arch9wavefront6targetE0EEEvT1_.num_vgpr, 0
	.set _ZN7rocprim17ROCPRIM_400000_NS6detail17trampoline_kernelINS0_14default_configENS1_33run_length_encode_config_selectorIljNS0_4plusIjEEEEZZNS1_33reduce_by_key_impl_wrapped_configILNS1_25lookback_scan_determinismE0ES3_S7_PKlNS0_17constant_iteratorIjlEEPlSE_SE_S6_NS0_8equal_toIlEEEE10hipError_tPvRmT2_T3_mT4_T5_T6_T7_T8_P12ihipStream_tbENKUlT_T0_E_clISt17integral_constantIbLb1EESY_EEDaST_SU_EUlST_E_NS1_11comp_targetILNS1_3genE9ELNS1_11target_archE1100ELNS1_3gpuE3ELNS1_3repE0EEENS1_30default_config_static_selectorELNS0_4arch9wavefront6targetE0EEEvT1_.num_agpr, 0
	.set _ZN7rocprim17ROCPRIM_400000_NS6detail17trampoline_kernelINS0_14default_configENS1_33run_length_encode_config_selectorIljNS0_4plusIjEEEEZZNS1_33reduce_by_key_impl_wrapped_configILNS1_25lookback_scan_determinismE0ES3_S7_PKlNS0_17constant_iteratorIjlEEPlSE_SE_S6_NS0_8equal_toIlEEEE10hipError_tPvRmT2_T3_mT4_T5_T6_T7_T8_P12ihipStream_tbENKUlT_T0_E_clISt17integral_constantIbLb1EESY_EEDaST_SU_EUlST_E_NS1_11comp_targetILNS1_3genE9ELNS1_11target_archE1100ELNS1_3gpuE3ELNS1_3repE0EEENS1_30default_config_static_selectorELNS0_4arch9wavefront6targetE0EEEvT1_.numbered_sgpr, 0
	.set _ZN7rocprim17ROCPRIM_400000_NS6detail17trampoline_kernelINS0_14default_configENS1_33run_length_encode_config_selectorIljNS0_4plusIjEEEEZZNS1_33reduce_by_key_impl_wrapped_configILNS1_25lookback_scan_determinismE0ES3_S7_PKlNS0_17constant_iteratorIjlEEPlSE_SE_S6_NS0_8equal_toIlEEEE10hipError_tPvRmT2_T3_mT4_T5_T6_T7_T8_P12ihipStream_tbENKUlT_T0_E_clISt17integral_constantIbLb1EESY_EEDaST_SU_EUlST_E_NS1_11comp_targetILNS1_3genE9ELNS1_11target_archE1100ELNS1_3gpuE3ELNS1_3repE0EEENS1_30default_config_static_selectorELNS0_4arch9wavefront6targetE0EEEvT1_.num_named_barrier, 0
	.set _ZN7rocprim17ROCPRIM_400000_NS6detail17trampoline_kernelINS0_14default_configENS1_33run_length_encode_config_selectorIljNS0_4plusIjEEEEZZNS1_33reduce_by_key_impl_wrapped_configILNS1_25lookback_scan_determinismE0ES3_S7_PKlNS0_17constant_iteratorIjlEEPlSE_SE_S6_NS0_8equal_toIlEEEE10hipError_tPvRmT2_T3_mT4_T5_T6_T7_T8_P12ihipStream_tbENKUlT_T0_E_clISt17integral_constantIbLb1EESY_EEDaST_SU_EUlST_E_NS1_11comp_targetILNS1_3genE9ELNS1_11target_archE1100ELNS1_3gpuE3ELNS1_3repE0EEENS1_30default_config_static_selectorELNS0_4arch9wavefront6targetE0EEEvT1_.private_seg_size, 0
	.set _ZN7rocprim17ROCPRIM_400000_NS6detail17trampoline_kernelINS0_14default_configENS1_33run_length_encode_config_selectorIljNS0_4plusIjEEEEZZNS1_33reduce_by_key_impl_wrapped_configILNS1_25lookback_scan_determinismE0ES3_S7_PKlNS0_17constant_iteratorIjlEEPlSE_SE_S6_NS0_8equal_toIlEEEE10hipError_tPvRmT2_T3_mT4_T5_T6_T7_T8_P12ihipStream_tbENKUlT_T0_E_clISt17integral_constantIbLb1EESY_EEDaST_SU_EUlST_E_NS1_11comp_targetILNS1_3genE9ELNS1_11target_archE1100ELNS1_3gpuE3ELNS1_3repE0EEENS1_30default_config_static_selectorELNS0_4arch9wavefront6targetE0EEEvT1_.uses_vcc, 0
	.set _ZN7rocprim17ROCPRIM_400000_NS6detail17trampoline_kernelINS0_14default_configENS1_33run_length_encode_config_selectorIljNS0_4plusIjEEEEZZNS1_33reduce_by_key_impl_wrapped_configILNS1_25lookback_scan_determinismE0ES3_S7_PKlNS0_17constant_iteratorIjlEEPlSE_SE_S6_NS0_8equal_toIlEEEE10hipError_tPvRmT2_T3_mT4_T5_T6_T7_T8_P12ihipStream_tbENKUlT_T0_E_clISt17integral_constantIbLb1EESY_EEDaST_SU_EUlST_E_NS1_11comp_targetILNS1_3genE9ELNS1_11target_archE1100ELNS1_3gpuE3ELNS1_3repE0EEENS1_30default_config_static_selectorELNS0_4arch9wavefront6targetE0EEEvT1_.uses_flat_scratch, 0
	.set _ZN7rocprim17ROCPRIM_400000_NS6detail17trampoline_kernelINS0_14default_configENS1_33run_length_encode_config_selectorIljNS0_4plusIjEEEEZZNS1_33reduce_by_key_impl_wrapped_configILNS1_25lookback_scan_determinismE0ES3_S7_PKlNS0_17constant_iteratorIjlEEPlSE_SE_S6_NS0_8equal_toIlEEEE10hipError_tPvRmT2_T3_mT4_T5_T6_T7_T8_P12ihipStream_tbENKUlT_T0_E_clISt17integral_constantIbLb1EESY_EEDaST_SU_EUlST_E_NS1_11comp_targetILNS1_3genE9ELNS1_11target_archE1100ELNS1_3gpuE3ELNS1_3repE0EEENS1_30default_config_static_selectorELNS0_4arch9wavefront6targetE0EEEvT1_.has_dyn_sized_stack, 0
	.set _ZN7rocprim17ROCPRIM_400000_NS6detail17trampoline_kernelINS0_14default_configENS1_33run_length_encode_config_selectorIljNS0_4plusIjEEEEZZNS1_33reduce_by_key_impl_wrapped_configILNS1_25lookback_scan_determinismE0ES3_S7_PKlNS0_17constant_iteratorIjlEEPlSE_SE_S6_NS0_8equal_toIlEEEE10hipError_tPvRmT2_T3_mT4_T5_T6_T7_T8_P12ihipStream_tbENKUlT_T0_E_clISt17integral_constantIbLb1EESY_EEDaST_SU_EUlST_E_NS1_11comp_targetILNS1_3genE9ELNS1_11target_archE1100ELNS1_3gpuE3ELNS1_3repE0EEENS1_30default_config_static_selectorELNS0_4arch9wavefront6targetE0EEEvT1_.has_recursion, 0
	.set _ZN7rocprim17ROCPRIM_400000_NS6detail17trampoline_kernelINS0_14default_configENS1_33run_length_encode_config_selectorIljNS0_4plusIjEEEEZZNS1_33reduce_by_key_impl_wrapped_configILNS1_25lookback_scan_determinismE0ES3_S7_PKlNS0_17constant_iteratorIjlEEPlSE_SE_S6_NS0_8equal_toIlEEEE10hipError_tPvRmT2_T3_mT4_T5_T6_T7_T8_P12ihipStream_tbENKUlT_T0_E_clISt17integral_constantIbLb1EESY_EEDaST_SU_EUlST_E_NS1_11comp_targetILNS1_3genE9ELNS1_11target_archE1100ELNS1_3gpuE3ELNS1_3repE0EEENS1_30default_config_static_selectorELNS0_4arch9wavefront6targetE0EEEvT1_.has_indirect_call, 0
	.section	.AMDGPU.csdata,"",@progbits
; Kernel info:
; codeLenInByte = 0
; TotalNumSgprs: 0
; NumVgprs: 0
; ScratchSize: 0
; MemoryBound: 0
; FloatMode: 240
; IeeeMode: 1
; LDSByteSize: 0 bytes/workgroup (compile time only)
; SGPRBlocks: 0
; VGPRBlocks: 0
; NumSGPRsForWavesPerEU: 1
; NumVGPRsForWavesPerEU: 1
; NamedBarCnt: 0
; Occupancy: 16
; WaveLimiterHint : 0
; COMPUTE_PGM_RSRC2:SCRATCH_EN: 0
; COMPUTE_PGM_RSRC2:USER_SGPR: 2
; COMPUTE_PGM_RSRC2:TRAP_HANDLER: 0
; COMPUTE_PGM_RSRC2:TGID_X_EN: 1
; COMPUTE_PGM_RSRC2:TGID_Y_EN: 0
; COMPUTE_PGM_RSRC2:TGID_Z_EN: 0
; COMPUTE_PGM_RSRC2:TIDIG_COMP_CNT: 0
	.section	.text._ZN7rocprim17ROCPRIM_400000_NS6detail17trampoline_kernelINS0_14default_configENS1_33run_length_encode_config_selectorIljNS0_4plusIjEEEEZZNS1_33reduce_by_key_impl_wrapped_configILNS1_25lookback_scan_determinismE0ES3_S7_PKlNS0_17constant_iteratorIjlEEPlSE_SE_S6_NS0_8equal_toIlEEEE10hipError_tPvRmT2_T3_mT4_T5_T6_T7_T8_P12ihipStream_tbENKUlT_T0_E_clISt17integral_constantIbLb1EESY_EEDaST_SU_EUlST_E_NS1_11comp_targetILNS1_3genE8ELNS1_11target_archE1030ELNS1_3gpuE2ELNS1_3repE0EEENS1_30default_config_static_selectorELNS0_4arch9wavefront6targetE0EEEvT1_,"axG",@progbits,_ZN7rocprim17ROCPRIM_400000_NS6detail17trampoline_kernelINS0_14default_configENS1_33run_length_encode_config_selectorIljNS0_4plusIjEEEEZZNS1_33reduce_by_key_impl_wrapped_configILNS1_25lookback_scan_determinismE0ES3_S7_PKlNS0_17constant_iteratorIjlEEPlSE_SE_S6_NS0_8equal_toIlEEEE10hipError_tPvRmT2_T3_mT4_T5_T6_T7_T8_P12ihipStream_tbENKUlT_T0_E_clISt17integral_constantIbLb1EESY_EEDaST_SU_EUlST_E_NS1_11comp_targetILNS1_3genE8ELNS1_11target_archE1030ELNS1_3gpuE2ELNS1_3repE0EEENS1_30default_config_static_selectorELNS0_4arch9wavefront6targetE0EEEvT1_,comdat
	.protected	_ZN7rocprim17ROCPRIM_400000_NS6detail17trampoline_kernelINS0_14default_configENS1_33run_length_encode_config_selectorIljNS0_4plusIjEEEEZZNS1_33reduce_by_key_impl_wrapped_configILNS1_25lookback_scan_determinismE0ES3_S7_PKlNS0_17constant_iteratorIjlEEPlSE_SE_S6_NS0_8equal_toIlEEEE10hipError_tPvRmT2_T3_mT4_T5_T6_T7_T8_P12ihipStream_tbENKUlT_T0_E_clISt17integral_constantIbLb1EESY_EEDaST_SU_EUlST_E_NS1_11comp_targetILNS1_3genE8ELNS1_11target_archE1030ELNS1_3gpuE2ELNS1_3repE0EEENS1_30default_config_static_selectorELNS0_4arch9wavefront6targetE0EEEvT1_ ; -- Begin function _ZN7rocprim17ROCPRIM_400000_NS6detail17trampoline_kernelINS0_14default_configENS1_33run_length_encode_config_selectorIljNS0_4plusIjEEEEZZNS1_33reduce_by_key_impl_wrapped_configILNS1_25lookback_scan_determinismE0ES3_S7_PKlNS0_17constant_iteratorIjlEEPlSE_SE_S6_NS0_8equal_toIlEEEE10hipError_tPvRmT2_T3_mT4_T5_T6_T7_T8_P12ihipStream_tbENKUlT_T0_E_clISt17integral_constantIbLb1EESY_EEDaST_SU_EUlST_E_NS1_11comp_targetILNS1_3genE8ELNS1_11target_archE1030ELNS1_3gpuE2ELNS1_3repE0EEENS1_30default_config_static_selectorELNS0_4arch9wavefront6targetE0EEEvT1_
	.globl	_ZN7rocprim17ROCPRIM_400000_NS6detail17trampoline_kernelINS0_14default_configENS1_33run_length_encode_config_selectorIljNS0_4plusIjEEEEZZNS1_33reduce_by_key_impl_wrapped_configILNS1_25lookback_scan_determinismE0ES3_S7_PKlNS0_17constant_iteratorIjlEEPlSE_SE_S6_NS0_8equal_toIlEEEE10hipError_tPvRmT2_T3_mT4_T5_T6_T7_T8_P12ihipStream_tbENKUlT_T0_E_clISt17integral_constantIbLb1EESY_EEDaST_SU_EUlST_E_NS1_11comp_targetILNS1_3genE8ELNS1_11target_archE1030ELNS1_3gpuE2ELNS1_3repE0EEENS1_30default_config_static_selectorELNS0_4arch9wavefront6targetE0EEEvT1_
	.p2align	8
	.type	_ZN7rocprim17ROCPRIM_400000_NS6detail17trampoline_kernelINS0_14default_configENS1_33run_length_encode_config_selectorIljNS0_4plusIjEEEEZZNS1_33reduce_by_key_impl_wrapped_configILNS1_25lookback_scan_determinismE0ES3_S7_PKlNS0_17constant_iteratorIjlEEPlSE_SE_S6_NS0_8equal_toIlEEEE10hipError_tPvRmT2_T3_mT4_T5_T6_T7_T8_P12ihipStream_tbENKUlT_T0_E_clISt17integral_constantIbLb1EESY_EEDaST_SU_EUlST_E_NS1_11comp_targetILNS1_3genE8ELNS1_11target_archE1030ELNS1_3gpuE2ELNS1_3repE0EEENS1_30default_config_static_selectorELNS0_4arch9wavefront6targetE0EEEvT1_,@function
_ZN7rocprim17ROCPRIM_400000_NS6detail17trampoline_kernelINS0_14default_configENS1_33run_length_encode_config_selectorIljNS0_4plusIjEEEEZZNS1_33reduce_by_key_impl_wrapped_configILNS1_25lookback_scan_determinismE0ES3_S7_PKlNS0_17constant_iteratorIjlEEPlSE_SE_S6_NS0_8equal_toIlEEEE10hipError_tPvRmT2_T3_mT4_T5_T6_T7_T8_P12ihipStream_tbENKUlT_T0_E_clISt17integral_constantIbLb1EESY_EEDaST_SU_EUlST_E_NS1_11comp_targetILNS1_3genE8ELNS1_11target_archE1030ELNS1_3gpuE2ELNS1_3repE0EEENS1_30default_config_static_selectorELNS0_4arch9wavefront6targetE0EEEvT1_: ; @_ZN7rocprim17ROCPRIM_400000_NS6detail17trampoline_kernelINS0_14default_configENS1_33run_length_encode_config_selectorIljNS0_4plusIjEEEEZZNS1_33reduce_by_key_impl_wrapped_configILNS1_25lookback_scan_determinismE0ES3_S7_PKlNS0_17constant_iteratorIjlEEPlSE_SE_S6_NS0_8equal_toIlEEEE10hipError_tPvRmT2_T3_mT4_T5_T6_T7_T8_P12ihipStream_tbENKUlT_T0_E_clISt17integral_constantIbLb1EESY_EEDaST_SU_EUlST_E_NS1_11comp_targetILNS1_3genE8ELNS1_11target_archE1030ELNS1_3gpuE2ELNS1_3repE0EEENS1_30default_config_static_selectorELNS0_4arch9wavefront6targetE0EEEvT1_
; %bb.0:
	.section	.rodata,"a",@progbits
	.p2align	6, 0x0
	.amdhsa_kernel _ZN7rocprim17ROCPRIM_400000_NS6detail17trampoline_kernelINS0_14default_configENS1_33run_length_encode_config_selectorIljNS0_4plusIjEEEEZZNS1_33reduce_by_key_impl_wrapped_configILNS1_25lookback_scan_determinismE0ES3_S7_PKlNS0_17constant_iteratorIjlEEPlSE_SE_S6_NS0_8equal_toIlEEEE10hipError_tPvRmT2_T3_mT4_T5_T6_T7_T8_P12ihipStream_tbENKUlT_T0_E_clISt17integral_constantIbLb1EESY_EEDaST_SU_EUlST_E_NS1_11comp_targetILNS1_3genE8ELNS1_11target_archE1030ELNS1_3gpuE2ELNS1_3repE0EEENS1_30default_config_static_selectorELNS0_4arch9wavefront6targetE0EEEvT1_
		.amdhsa_group_segment_fixed_size 0
		.amdhsa_private_segment_fixed_size 0
		.amdhsa_kernarg_size 128
		.amdhsa_user_sgpr_count 2
		.amdhsa_user_sgpr_dispatch_ptr 0
		.amdhsa_user_sgpr_queue_ptr 0
		.amdhsa_user_sgpr_kernarg_segment_ptr 1
		.amdhsa_user_sgpr_dispatch_id 0
		.amdhsa_user_sgpr_kernarg_preload_length 0
		.amdhsa_user_sgpr_kernarg_preload_offset 0
		.amdhsa_user_sgpr_private_segment_size 0
		.amdhsa_wavefront_size32 1
		.amdhsa_uses_dynamic_stack 0
		.amdhsa_enable_private_segment 0
		.amdhsa_system_sgpr_workgroup_id_x 1
		.amdhsa_system_sgpr_workgroup_id_y 0
		.amdhsa_system_sgpr_workgroup_id_z 0
		.amdhsa_system_sgpr_workgroup_info 0
		.amdhsa_system_vgpr_workitem_id 0
		.amdhsa_next_free_vgpr 1
		.amdhsa_next_free_sgpr 1
		.amdhsa_named_barrier_count 0
		.amdhsa_reserve_vcc 0
		.amdhsa_float_round_mode_32 0
		.amdhsa_float_round_mode_16_64 0
		.amdhsa_float_denorm_mode_32 3
		.amdhsa_float_denorm_mode_16_64 3
		.amdhsa_fp16_overflow 0
		.amdhsa_memory_ordered 1
		.amdhsa_forward_progress 1
		.amdhsa_inst_pref_size 0
		.amdhsa_round_robin_scheduling 0
		.amdhsa_exception_fp_ieee_invalid_op 0
		.amdhsa_exception_fp_denorm_src 0
		.amdhsa_exception_fp_ieee_div_zero 0
		.amdhsa_exception_fp_ieee_overflow 0
		.amdhsa_exception_fp_ieee_underflow 0
		.amdhsa_exception_fp_ieee_inexact 0
		.amdhsa_exception_int_div_zero 0
	.end_amdhsa_kernel
	.section	.text._ZN7rocprim17ROCPRIM_400000_NS6detail17trampoline_kernelINS0_14default_configENS1_33run_length_encode_config_selectorIljNS0_4plusIjEEEEZZNS1_33reduce_by_key_impl_wrapped_configILNS1_25lookback_scan_determinismE0ES3_S7_PKlNS0_17constant_iteratorIjlEEPlSE_SE_S6_NS0_8equal_toIlEEEE10hipError_tPvRmT2_T3_mT4_T5_T6_T7_T8_P12ihipStream_tbENKUlT_T0_E_clISt17integral_constantIbLb1EESY_EEDaST_SU_EUlST_E_NS1_11comp_targetILNS1_3genE8ELNS1_11target_archE1030ELNS1_3gpuE2ELNS1_3repE0EEENS1_30default_config_static_selectorELNS0_4arch9wavefront6targetE0EEEvT1_,"axG",@progbits,_ZN7rocprim17ROCPRIM_400000_NS6detail17trampoline_kernelINS0_14default_configENS1_33run_length_encode_config_selectorIljNS0_4plusIjEEEEZZNS1_33reduce_by_key_impl_wrapped_configILNS1_25lookback_scan_determinismE0ES3_S7_PKlNS0_17constant_iteratorIjlEEPlSE_SE_S6_NS0_8equal_toIlEEEE10hipError_tPvRmT2_T3_mT4_T5_T6_T7_T8_P12ihipStream_tbENKUlT_T0_E_clISt17integral_constantIbLb1EESY_EEDaST_SU_EUlST_E_NS1_11comp_targetILNS1_3genE8ELNS1_11target_archE1030ELNS1_3gpuE2ELNS1_3repE0EEENS1_30default_config_static_selectorELNS0_4arch9wavefront6targetE0EEEvT1_,comdat
.Lfunc_end528:
	.size	_ZN7rocprim17ROCPRIM_400000_NS6detail17trampoline_kernelINS0_14default_configENS1_33run_length_encode_config_selectorIljNS0_4plusIjEEEEZZNS1_33reduce_by_key_impl_wrapped_configILNS1_25lookback_scan_determinismE0ES3_S7_PKlNS0_17constant_iteratorIjlEEPlSE_SE_S6_NS0_8equal_toIlEEEE10hipError_tPvRmT2_T3_mT4_T5_T6_T7_T8_P12ihipStream_tbENKUlT_T0_E_clISt17integral_constantIbLb1EESY_EEDaST_SU_EUlST_E_NS1_11comp_targetILNS1_3genE8ELNS1_11target_archE1030ELNS1_3gpuE2ELNS1_3repE0EEENS1_30default_config_static_selectorELNS0_4arch9wavefront6targetE0EEEvT1_, .Lfunc_end528-_ZN7rocprim17ROCPRIM_400000_NS6detail17trampoline_kernelINS0_14default_configENS1_33run_length_encode_config_selectorIljNS0_4plusIjEEEEZZNS1_33reduce_by_key_impl_wrapped_configILNS1_25lookback_scan_determinismE0ES3_S7_PKlNS0_17constant_iteratorIjlEEPlSE_SE_S6_NS0_8equal_toIlEEEE10hipError_tPvRmT2_T3_mT4_T5_T6_T7_T8_P12ihipStream_tbENKUlT_T0_E_clISt17integral_constantIbLb1EESY_EEDaST_SU_EUlST_E_NS1_11comp_targetILNS1_3genE8ELNS1_11target_archE1030ELNS1_3gpuE2ELNS1_3repE0EEENS1_30default_config_static_selectorELNS0_4arch9wavefront6targetE0EEEvT1_
                                        ; -- End function
	.set _ZN7rocprim17ROCPRIM_400000_NS6detail17trampoline_kernelINS0_14default_configENS1_33run_length_encode_config_selectorIljNS0_4plusIjEEEEZZNS1_33reduce_by_key_impl_wrapped_configILNS1_25lookback_scan_determinismE0ES3_S7_PKlNS0_17constant_iteratorIjlEEPlSE_SE_S6_NS0_8equal_toIlEEEE10hipError_tPvRmT2_T3_mT4_T5_T6_T7_T8_P12ihipStream_tbENKUlT_T0_E_clISt17integral_constantIbLb1EESY_EEDaST_SU_EUlST_E_NS1_11comp_targetILNS1_3genE8ELNS1_11target_archE1030ELNS1_3gpuE2ELNS1_3repE0EEENS1_30default_config_static_selectorELNS0_4arch9wavefront6targetE0EEEvT1_.num_vgpr, 0
	.set _ZN7rocprim17ROCPRIM_400000_NS6detail17trampoline_kernelINS0_14default_configENS1_33run_length_encode_config_selectorIljNS0_4plusIjEEEEZZNS1_33reduce_by_key_impl_wrapped_configILNS1_25lookback_scan_determinismE0ES3_S7_PKlNS0_17constant_iteratorIjlEEPlSE_SE_S6_NS0_8equal_toIlEEEE10hipError_tPvRmT2_T3_mT4_T5_T6_T7_T8_P12ihipStream_tbENKUlT_T0_E_clISt17integral_constantIbLb1EESY_EEDaST_SU_EUlST_E_NS1_11comp_targetILNS1_3genE8ELNS1_11target_archE1030ELNS1_3gpuE2ELNS1_3repE0EEENS1_30default_config_static_selectorELNS0_4arch9wavefront6targetE0EEEvT1_.num_agpr, 0
	.set _ZN7rocprim17ROCPRIM_400000_NS6detail17trampoline_kernelINS0_14default_configENS1_33run_length_encode_config_selectorIljNS0_4plusIjEEEEZZNS1_33reduce_by_key_impl_wrapped_configILNS1_25lookback_scan_determinismE0ES3_S7_PKlNS0_17constant_iteratorIjlEEPlSE_SE_S6_NS0_8equal_toIlEEEE10hipError_tPvRmT2_T3_mT4_T5_T6_T7_T8_P12ihipStream_tbENKUlT_T0_E_clISt17integral_constantIbLb1EESY_EEDaST_SU_EUlST_E_NS1_11comp_targetILNS1_3genE8ELNS1_11target_archE1030ELNS1_3gpuE2ELNS1_3repE0EEENS1_30default_config_static_selectorELNS0_4arch9wavefront6targetE0EEEvT1_.numbered_sgpr, 0
	.set _ZN7rocprim17ROCPRIM_400000_NS6detail17trampoline_kernelINS0_14default_configENS1_33run_length_encode_config_selectorIljNS0_4plusIjEEEEZZNS1_33reduce_by_key_impl_wrapped_configILNS1_25lookback_scan_determinismE0ES3_S7_PKlNS0_17constant_iteratorIjlEEPlSE_SE_S6_NS0_8equal_toIlEEEE10hipError_tPvRmT2_T3_mT4_T5_T6_T7_T8_P12ihipStream_tbENKUlT_T0_E_clISt17integral_constantIbLb1EESY_EEDaST_SU_EUlST_E_NS1_11comp_targetILNS1_3genE8ELNS1_11target_archE1030ELNS1_3gpuE2ELNS1_3repE0EEENS1_30default_config_static_selectorELNS0_4arch9wavefront6targetE0EEEvT1_.num_named_barrier, 0
	.set _ZN7rocprim17ROCPRIM_400000_NS6detail17trampoline_kernelINS0_14default_configENS1_33run_length_encode_config_selectorIljNS0_4plusIjEEEEZZNS1_33reduce_by_key_impl_wrapped_configILNS1_25lookback_scan_determinismE0ES3_S7_PKlNS0_17constant_iteratorIjlEEPlSE_SE_S6_NS0_8equal_toIlEEEE10hipError_tPvRmT2_T3_mT4_T5_T6_T7_T8_P12ihipStream_tbENKUlT_T0_E_clISt17integral_constantIbLb1EESY_EEDaST_SU_EUlST_E_NS1_11comp_targetILNS1_3genE8ELNS1_11target_archE1030ELNS1_3gpuE2ELNS1_3repE0EEENS1_30default_config_static_selectorELNS0_4arch9wavefront6targetE0EEEvT1_.private_seg_size, 0
	.set _ZN7rocprim17ROCPRIM_400000_NS6detail17trampoline_kernelINS0_14default_configENS1_33run_length_encode_config_selectorIljNS0_4plusIjEEEEZZNS1_33reduce_by_key_impl_wrapped_configILNS1_25lookback_scan_determinismE0ES3_S7_PKlNS0_17constant_iteratorIjlEEPlSE_SE_S6_NS0_8equal_toIlEEEE10hipError_tPvRmT2_T3_mT4_T5_T6_T7_T8_P12ihipStream_tbENKUlT_T0_E_clISt17integral_constantIbLb1EESY_EEDaST_SU_EUlST_E_NS1_11comp_targetILNS1_3genE8ELNS1_11target_archE1030ELNS1_3gpuE2ELNS1_3repE0EEENS1_30default_config_static_selectorELNS0_4arch9wavefront6targetE0EEEvT1_.uses_vcc, 0
	.set _ZN7rocprim17ROCPRIM_400000_NS6detail17trampoline_kernelINS0_14default_configENS1_33run_length_encode_config_selectorIljNS0_4plusIjEEEEZZNS1_33reduce_by_key_impl_wrapped_configILNS1_25lookback_scan_determinismE0ES3_S7_PKlNS0_17constant_iteratorIjlEEPlSE_SE_S6_NS0_8equal_toIlEEEE10hipError_tPvRmT2_T3_mT4_T5_T6_T7_T8_P12ihipStream_tbENKUlT_T0_E_clISt17integral_constantIbLb1EESY_EEDaST_SU_EUlST_E_NS1_11comp_targetILNS1_3genE8ELNS1_11target_archE1030ELNS1_3gpuE2ELNS1_3repE0EEENS1_30default_config_static_selectorELNS0_4arch9wavefront6targetE0EEEvT1_.uses_flat_scratch, 0
	.set _ZN7rocprim17ROCPRIM_400000_NS6detail17trampoline_kernelINS0_14default_configENS1_33run_length_encode_config_selectorIljNS0_4plusIjEEEEZZNS1_33reduce_by_key_impl_wrapped_configILNS1_25lookback_scan_determinismE0ES3_S7_PKlNS0_17constant_iteratorIjlEEPlSE_SE_S6_NS0_8equal_toIlEEEE10hipError_tPvRmT2_T3_mT4_T5_T6_T7_T8_P12ihipStream_tbENKUlT_T0_E_clISt17integral_constantIbLb1EESY_EEDaST_SU_EUlST_E_NS1_11comp_targetILNS1_3genE8ELNS1_11target_archE1030ELNS1_3gpuE2ELNS1_3repE0EEENS1_30default_config_static_selectorELNS0_4arch9wavefront6targetE0EEEvT1_.has_dyn_sized_stack, 0
	.set _ZN7rocprim17ROCPRIM_400000_NS6detail17trampoline_kernelINS0_14default_configENS1_33run_length_encode_config_selectorIljNS0_4plusIjEEEEZZNS1_33reduce_by_key_impl_wrapped_configILNS1_25lookback_scan_determinismE0ES3_S7_PKlNS0_17constant_iteratorIjlEEPlSE_SE_S6_NS0_8equal_toIlEEEE10hipError_tPvRmT2_T3_mT4_T5_T6_T7_T8_P12ihipStream_tbENKUlT_T0_E_clISt17integral_constantIbLb1EESY_EEDaST_SU_EUlST_E_NS1_11comp_targetILNS1_3genE8ELNS1_11target_archE1030ELNS1_3gpuE2ELNS1_3repE0EEENS1_30default_config_static_selectorELNS0_4arch9wavefront6targetE0EEEvT1_.has_recursion, 0
	.set _ZN7rocprim17ROCPRIM_400000_NS6detail17trampoline_kernelINS0_14default_configENS1_33run_length_encode_config_selectorIljNS0_4plusIjEEEEZZNS1_33reduce_by_key_impl_wrapped_configILNS1_25lookback_scan_determinismE0ES3_S7_PKlNS0_17constant_iteratorIjlEEPlSE_SE_S6_NS0_8equal_toIlEEEE10hipError_tPvRmT2_T3_mT4_T5_T6_T7_T8_P12ihipStream_tbENKUlT_T0_E_clISt17integral_constantIbLb1EESY_EEDaST_SU_EUlST_E_NS1_11comp_targetILNS1_3genE8ELNS1_11target_archE1030ELNS1_3gpuE2ELNS1_3repE0EEENS1_30default_config_static_selectorELNS0_4arch9wavefront6targetE0EEEvT1_.has_indirect_call, 0
	.section	.AMDGPU.csdata,"",@progbits
; Kernel info:
; codeLenInByte = 0
; TotalNumSgprs: 0
; NumVgprs: 0
; ScratchSize: 0
; MemoryBound: 0
; FloatMode: 240
; IeeeMode: 1
; LDSByteSize: 0 bytes/workgroup (compile time only)
; SGPRBlocks: 0
; VGPRBlocks: 0
; NumSGPRsForWavesPerEU: 1
; NumVGPRsForWavesPerEU: 1
; NamedBarCnt: 0
; Occupancy: 16
; WaveLimiterHint : 0
; COMPUTE_PGM_RSRC2:SCRATCH_EN: 0
; COMPUTE_PGM_RSRC2:USER_SGPR: 2
; COMPUTE_PGM_RSRC2:TRAP_HANDLER: 0
; COMPUTE_PGM_RSRC2:TGID_X_EN: 1
; COMPUTE_PGM_RSRC2:TGID_Y_EN: 0
; COMPUTE_PGM_RSRC2:TGID_Z_EN: 0
; COMPUTE_PGM_RSRC2:TIDIG_COMP_CNT: 0
	.section	.text._ZN7rocprim17ROCPRIM_400000_NS6detail17trampoline_kernelINS0_14default_configENS1_33run_length_encode_config_selectorIljNS0_4plusIjEEEEZZNS1_33reduce_by_key_impl_wrapped_configILNS1_25lookback_scan_determinismE0ES3_S7_PKlNS0_17constant_iteratorIjlEEPlSE_SE_S6_NS0_8equal_toIlEEEE10hipError_tPvRmT2_T3_mT4_T5_T6_T7_T8_P12ihipStream_tbENKUlT_T0_E_clISt17integral_constantIbLb1EESX_IbLb0EEEEDaST_SU_EUlST_E_NS1_11comp_targetILNS1_3genE0ELNS1_11target_archE4294967295ELNS1_3gpuE0ELNS1_3repE0EEENS1_30default_config_static_selectorELNS0_4arch9wavefront6targetE0EEEvT1_,"axG",@progbits,_ZN7rocprim17ROCPRIM_400000_NS6detail17trampoline_kernelINS0_14default_configENS1_33run_length_encode_config_selectorIljNS0_4plusIjEEEEZZNS1_33reduce_by_key_impl_wrapped_configILNS1_25lookback_scan_determinismE0ES3_S7_PKlNS0_17constant_iteratorIjlEEPlSE_SE_S6_NS0_8equal_toIlEEEE10hipError_tPvRmT2_T3_mT4_T5_T6_T7_T8_P12ihipStream_tbENKUlT_T0_E_clISt17integral_constantIbLb1EESX_IbLb0EEEEDaST_SU_EUlST_E_NS1_11comp_targetILNS1_3genE0ELNS1_11target_archE4294967295ELNS1_3gpuE0ELNS1_3repE0EEENS1_30default_config_static_selectorELNS0_4arch9wavefront6targetE0EEEvT1_,comdat
	.protected	_ZN7rocprim17ROCPRIM_400000_NS6detail17trampoline_kernelINS0_14default_configENS1_33run_length_encode_config_selectorIljNS0_4plusIjEEEEZZNS1_33reduce_by_key_impl_wrapped_configILNS1_25lookback_scan_determinismE0ES3_S7_PKlNS0_17constant_iteratorIjlEEPlSE_SE_S6_NS0_8equal_toIlEEEE10hipError_tPvRmT2_T3_mT4_T5_T6_T7_T8_P12ihipStream_tbENKUlT_T0_E_clISt17integral_constantIbLb1EESX_IbLb0EEEEDaST_SU_EUlST_E_NS1_11comp_targetILNS1_3genE0ELNS1_11target_archE4294967295ELNS1_3gpuE0ELNS1_3repE0EEENS1_30default_config_static_selectorELNS0_4arch9wavefront6targetE0EEEvT1_ ; -- Begin function _ZN7rocprim17ROCPRIM_400000_NS6detail17trampoline_kernelINS0_14default_configENS1_33run_length_encode_config_selectorIljNS0_4plusIjEEEEZZNS1_33reduce_by_key_impl_wrapped_configILNS1_25lookback_scan_determinismE0ES3_S7_PKlNS0_17constant_iteratorIjlEEPlSE_SE_S6_NS0_8equal_toIlEEEE10hipError_tPvRmT2_T3_mT4_T5_T6_T7_T8_P12ihipStream_tbENKUlT_T0_E_clISt17integral_constantIbLb1EESX_IbLb0EEEEDaST_SU_EUlST_E_NS1_11comp_targetILNS1_3genE0ELNS1_11target_archE4294967295ELNS1_3gpuE0ELNS1_3repE0EEENS1_30default_config_static_selectorELNS0_4arch9wavefront6targetE0EEEvT1_
	.globl	_ZN7rocprim17ROCPRIM_400000_NS6detail17trampoline_kernelINS0_14default_configENS1_33run_length_encode_config_selectorIljNS0_4plusIjEEEEZZNS1_33reduce_by_key_impl_wrapped_configILNS1_25lookback_scan_determinismE0ES3_S7_PKlNS0_17constant_iteratorIjlEEPlSE_SE_S6_NS0_8equal_toIlEEEE10hipError_tPvRmT2_T3_mT4_T5_T6_T7_T8_P12ihipStream_tbENKUlT_T0_E_clISt17integral_constantIbLb1EESX_IbLb0EEEEDaST_SU_EUlST_E_NS1_11comp_targetILNS1_3genE0ELNS1_11target_archE4294967295ELNS1_3gpuE0ELNS1_3repE0EEENS1_30default_config_static_selectorELNS0_4arch9wavefront6targetE0EEEvT1_
	.p2align	8
	.type	_ZN7rocprim17ROCPRIM_400000_NS6detail17trampoline_kernelINS0_14default_configENS1_33run_length_encode_config_selectorIljNS0_4plusIjEEEEZZNS1_33reduce_by_key_impl_wrapped_configILNS1_25lookback_scan_determinismE0ES3_S7_PKlNS0_17constant_iteratorIjlEEPlSE_SE_S6_NS0_8equal_toIlEEEE10hipError_tPvRmT2_T3_mT4_T5_T6_T7_T8_P12ihipStream_tbENKUlT_T0_E_clISt17integral_constantIbLb1EESX_IbLb0EEEEDaST_SU_EUlST_E_NS1_11comp_targetILNS1_3genE0ELNS1_11target_archE4294967295ELNS1_3gpuE0ELNS1_3repE0EEENS1_30default_config_static_selectorELNS0_4arch9wavefront6targetE0EEEvT1_,@function
_ZN7rocprim17ROCPRIM_400000_NS6detail17trampoline_kernelINS0_14default_configENS1_33run_length_encode_config_selectorIljNS0_4plusIjEEEEZZNS1_33reduce_by_key_impl_wrapped_configILNS1_25lookback_scan_determinismE0ES3_S7_PKlNS0_17constant_iteratorIjlEEPlSE_SE_S6_NS0_8equal_toIlEEEE10hipError_tPvRmT2_T3_mT4_T5_T6_T7_T8_P12ihipStream_tbENKUlT_T0_E_clISt17integral_constantIbLb1EESX_IbLb0EEEEDaST_SU_EUlST_E_NS1_11comp_targetILNS1_3genE0ELNS1_11target_archE4294967295ELNS1_3gpuE0ELNS1_3repE0EEENS1_30default_config_static_selectorELNS0_4arch9wavefront6targetE0EEEvT1_: ; @_ZN7rocprim17ROCPRIM_400000_NS6detail17trampoline_kernelINS0_14default_configENS1_33run_length_encode_config_selectorIljNS0_4plusIjEEEEZZNS1_33reduce_by_key_impl_wrapped_configILNS1_25lookback_scan_determinismE0ES3_S7_PKlNS0_17constant_iteratorIjlEEPlSE_SE_S6_NS0_8equal_toIlEEEE10hipError_tPvRmT2_T3_mT4_T5_T6_T7_T8_P12ihipStream_tbENKUlT_T0_E_clISt17integral_constantIbLb1EESX_IbLb0EEEEDaST_SU_EUlST_E_NS1_11comp_targetILNS1_3genE0ELNS1_11target_archE4294967295ELNS1_3gpuE0ELNS1_3repE0EEENS1_30default_config_static_selectorELNS0_4arch9wavefront6targetE0EEEvT1_
; %bb.0:
	s_endpgm
	.section	.rodata,"a",@progbits
	.p2align	6, 0x0
	.amdhsa_kernel _ZN7rocprim17ROCPRIM_400000_NS6detail17trampoline_kernelINS0_14default_configENS1_33run_length_encode_config_selectorIljNS0_4plusIjEEEEZZNS1_33reduce_by_key_impl_wrapped_configILNS1_25lookback_scan_determinismE0ES3_S7_PKlNS0_17constant_iteratorIjlEEPlSE_SE_S6_NS0_8equal_toIlEEEE10hipError_tPvRmT2_T3_mT4_T5_T6_T7_T8_P12ihipStream_tbENKUlT_T0_E_clISt17integral_constantIbLb1EESX_IbLb0EEEEDaST_SU_EUlST_E_NS1_11comp_targetILNS1_3genE0ELNS1_11target_archE4294967295ELNS1_3gpuE0ELNS1_3repE0EEENS1_30default_config_static_selectorELNS0_4arch9wavefront6targetE0EEEvT1_
		.amdhsa_group_segment_fixed_size 0
		.amdhsa_private_segment_fixed_size 0
		.amdhsa_kernarg_size 128
		.amdhsa_user_sgpr_count 2
		.amdhsa_user_sgpr_dispatch_ptr 0
		.amdhsa_user_sgpr_queue_ptr 0
		.amdhsa_user_sgpr_kernarg_segment_ptr 1
		.amdhsa_user_sgpr_dispatch_id 0
		.amdhsa_user_sgpr_kernarg_preload_length 0
		.amdhsa_user_sgpr_kernarg_preload_offset 0
		.amdhsa_user_sgpr_private_segment_size 0
		.amdhsa_wavefront_size32 1
		.amdhsa_uses_dynamic_stack 0
		.amdhsa_enable_private_segment 0
		.amdhsa_system_sgpr_workgroup_id_x 1
		.amdhsa_system_sgpr_workgroup_id_y 0
		.amdhsa_system_sgpr_workgroup_id_z 0
		.amdhsa_system_sgpr_workgroup_info 0
		.amdhsa_system_vgpr_workitem_id 0
		.amdhsa_next_free_vgpr 1
		.amdhsa_next_free_sgpr 1
		.amdhsa_named_barrier_count 0
		.amdhsa_reserve_vcc 0
		.amdhsa_float_round_mode_32 0
		.amdhsa_float_round_mode_16_64 0
		.amdhsa_float_denorm_mode_32 3
		.amdhsa_float_denorm_mode_16_64 3
		.amdhsa_fp16_overflow 0
		.amdhsa_memory_ordered 1
		.amdhsa_forward_progress 1
		.amdhsa_inst_pref_size 1
		.amdhsa_round_robin_scheduling 0
		.amdhsa_exception_fp_ieee_invalid_op 0
		.amdhsa_exception_fp_denorm_src 0
		.amdhsa_exception_fp_ieee_div_zero 0
		.amdhsa_exception_fp_ieee_overflow 0
		.amdhsa_exception_fp_ieee_underflow 0
		.amdhsa_exception_fp_ieee_inexact 0
		.amdhsa_exception_int_div_zero 0
	.end_amdhsa_kernel
	.section	.text._ZN7rocprim17ROCPRIM_400000_NS6detail17trampoline_kernelINS0_14default_configENS1_33run_length_encode_config_selectorIljNS0_4plusIjEEEEZZNS1_33reduce_by_key_impl_wrapped_configILNS1_25lookback_scan_determinismE0ES3_S7_PKlNS0_17constant_iteratorIjlEEPlSE_SE_S6_NS0_8equal_toIlEEEE10hipError_tPvRmT2_T3_mT4_T5_T6_T7_T8_P12ihipStream_tbENKUlT_T0_E_clISt17integral_constantIbLb1EESX_IbLb0EEEEDaST_SU_EUlST_E_NS1_11comp_targetILNS1_3genE0ELNS1_11target_archE4294967295ELNS1_3gpuE0ELNS1_3repE0EEENS1_30default_config_static_selectorELNS0_4arch9wavefront6targetE0EEEvT1_,"axG",@progbits,_ZN7rocprim17ROCPRIM_400000_NS6detail17trampoline_kernelINS0_14default_configENS1_33run_length_encode_config_selectorIljNS0_4plusIjEEEEZZNS1_33reduce_by_key_impl_wrapped_configILNS1_25lookback_scan_determinismE0ES3_S7_PKlNS0_17constant_iteratorIjlEEPlSE_SE_S6_NS0_8equal_toIlEEEE10hipError_tPvRmT2_T3_mT4_T5_T6_T7_T8_P12ihipStream_tbENKUlT_T0_E_clISt17integral_constantIbLb1EESX_IbLb0EEEEDaST_SU_EUlST_E_NS1_11comp_targetILNS1_3genE0ELNS1_11target_archE4294967295ELNS1_3gpuE0ELNS1_3repE0EEENS1_30default_config_static_selectorELNS0_4arch9wavefront6targetE0EEEvT1_,comdat
.Lfunc_end529:
	.size	_ZN7rocprim17ROCPRIM_400000_NS6detail17trampoline_kernelINS0_14default_configENS1_33run_length_encode_config_selectorIljNS0_4plusIjEEEEZZNS1_33reduce_by_key_impl_wrapped_configILNS1_25lookback_scan_determinismE0ES3_S7_PKlNS0_17constant_iteratorIjlEEPlSE_SE_S6_NS0_8equal_toIlEEEE10hipError_tPvRmT2_T3_mT4_T5_T6_T7_T8_P12ihipStream_tbENKUlT_T0_E_clISt17integral_constantIbLb1EESX_IbLb0EEEEDaST_SU_EUlST_E_NS1_11comp_targetILNS1_3genE0ELNS1_11target_archE4294967295ELNS1_3gpuE0ELNS1_3repE0EEENS1_30default_config_static_selectorELNS0_4arch9wavefront6targetE0EEEvT1_, .Lfunc_end529-_ZN7rocprim17ROCPRIM_400000_NS6detail17trampoline_kernelINS0_14default_configENS1_33run_length_encode_config_selectorIljNS0_4plusIjEEEEZZNS1_33reduce_by_key_impl_wrapped_configILNS1_25lookback_scan_determinismE0ES3_S7_PKlNS0_17constant_iteratorIjlEEPlSE_SE_S6_NS0_8equal_toIlEEEE10hipError_tPvRmT2_T3_mT4_T5_T6_T7_T8_P12ihipStream_tbENKUlT_T0_E_clISt17integral_constantIbLb1EESX_IbLb0EEEEDaST_SU_EUlST_E_NS1_11comp_targetILNS1_3genE0ELNS1_11target_archE4294967295ELNS1_3gpuE0ELNS1_3repE0EEENS1_30default_config_static_selectorELNS0_4arch9wavefront6targetE0EEEvT1_
                                        ; -- End function
	.set _ZN7rocprim17ROCPRIM_400000_NS6detail17trampoline_kernelINS0_14default_configENS1_33run_length_encode_config_selectorIljNS0_4plusIjEEEEZZNS1_33reduce_by_key_impl_wrapped_configILNS1_25lookback_scan_determinismE0ES3_S7_PKlNS0_17constant_iteratorIjlEEPlSE_SE_S6_NS0_8equal_toIlEEEE10hipError_tPvRmT2_T3_mT4_T5_T6_T7_T8_P12ihipStream_tbENKUlT_T0_E_clISt17integral_constantIbLb1EESX_IbLb0EEEEDaST_SU_EUlST_E_NS1_11comp_targetILNS1_3genE0ELNS1_11target_archE4294967295ELNS1_3gpuE0ELNS1_3repE0EEENS1_30default_config_static_selectorELNS0_4arch9wavefront6targetE0EEEvT1_.num_vgpr, 0
	.set _ZN7rocprim17ROCPRIM_400000_NS6detail17trampoline_kernelINS0_14default_configENS1_33run_length_encode_config_selectorIljNS0_4plusIjEEEEZZNS1_33reduce_by_key_impl_wrapped_configILNS1_25lookback_scan_determinismE0ES3_S7_PKlNS0_17constant_iteratorIjlEEPlSE_SE_S6_NS0_8equal_toIlEEEE10hipError_tPvRmT2_T3_mT4_T5_T6_T7_T8_P12ihipStream_tbENKUlT_T0_E_clISt17integral_constantIbLb1EESX_IbLb0EEEEDaST_SU_EUlST_E_NS1_11comp_targetILNS1_3genE0ELNS1_11target_archE4294967295ELNS1_3gpuE0ELNS1_3repE0EEENS1_30default_config_static_selectorELNS0_4arch9wavefront6targetE0EEEvT1_.num_agpr, 0
	.set _ZN7rocprim17ROCPRIM_400000_NS6detail17trampoline_kernelINS0_14default_configENS1_33run_length_encode_config_selectorIljNS0_4plusIjEEEEZZNS1_33reduce_by_key_impl_wrapped_configILNS1_25lookback_scan_determinismE0ES3_S7_PKlNS0_17constant_iteratorIjlEEPlSE_SE_S6_NS0_8equal_toIlEEEE10hipError_tPvRmT2_T3_mT4_T5_T6_T7_T8_P12ihipStream_tbENKUlT_T0_E_clISt17integral_constantIbLb1EESX_IbLb0EEEEDaST_SU_EUlST_E_NS1_11comp_targetILNS1_3genE0ELNS1_11target_archE4294967295ELNS1_3gpuE0ELNS1_3repE0EEENS1_30default_config_static_selectorELNS0_4arch9wavefront6targetE0EEEvT1_.numbered_sgpr, 0
	.set _ZN7rocprim17ROCPRIM_400000_NS6detail17trampoline_kernelINS0_14default_configENS1_33run_length_encode_config_selectorIljNS0_4plusIjEEEEZZNS1_33reduce_by_key_impl_wrapped_configILNS1_25lookback_scan_determinismE0ES3_S7_PKlNS0_17constant_iteratorIjlEEPlSE_SE_S6_NS0_8equal_toIlEEEE10hipError_tPvRmT2_T3_mT4_T5_T6_T7_T8_P12ihipStream_tbENKUlT_T0_E_clISt17integral_constantIbLb1EESX_IbLb0EEEEDaST_SU_EUlST_E_NS1_11comp_targetILNS1_3genE0ELNS1_11target_archE4294967295ELNS1_3gpuE0ELNS1_3repE0EEENS1_30default_config_static_selectorELNS0_4arch9wavefront6targetE0EEEvT1_.num_named_barrier, 0
	.set _ZN7rocprim17ROCPRIM_400000_NS6detail17trampoline_kernelINS0_14default_configENS1_33run_length_encode_config_selectorIljNS0_4plusIjEEEEZZNS1_33reduce_by_key_impl_wrapped_configILNS1_25lookback_scan_determinismE0ES3_S7_PKlNS0_17constant_iteratorIjlEEPlSE_SE_S6_NS0_8equal_toIlEEEE10hipError_tPvRmT2_T3_mT4_T5_T6_T7_T8_P12ihipStream_tbENKUlT_T0_E_clISt17integral_constantIbLb1EESX_IbLb0EEEEDaST_SU_EUlST_E_NS1_11comp_targetILNS1_3genE0ELNS1_11target_archE4294967295ELNS1_3gpuE0ELNS1_3repE0EEENS1_30default_config_static_selectorELNS0_4arch9wavefront6targetE0EEEvT1_.private_seg_size, 0
	.set _ZN7rocprim17ROCPRIM_400000_NS6detail17trampoline_kernelINS0_14default_configENS1_33run_length_encode_config_selectorIljNS0_4plusIjEEEEZZNS1_33reduce_by_key_impl_wrapped_configILNS1_25lookback_scan_determinismE0ES3_S7_PKlNS0_17constant_iteratorIjlEEPlSE_SE_S6_NS0_8equal_toIlEEEE10hipError_tPvRmT2_T3_mT4_T5_T6_T7_T8_P12ihipStream_tbENKUlT_T0_E_clISt17integral_constantIbLb1EESX_IbLb0EEEEDaST_SU_EUlST_E_NS1_11comp_targetILNS1_3genE0ELNS1_11target_archE4294967295ELNS1_3gpuE0ELNS1_3repE0EEENS1_30default_config_static_selectorELNS0_4arch9wavefront6targetE0EEEvT1_.uses_vcc, 0
	.set _ZN7rocprim17ROCPRIM_400000_NS6detail17trampoline_kernelINS0_14default_configENS1_33run_length_encode_config_selectorIljNS0_4plusIjEEEEZZNS1_33reduce_by_key_impl_wrapped_configILNS1_25lookback_scan_determinismE0ES3_S7_PKlNS0_17constant_iteratorIjlEEPlSE_SE_S6_NS0_8equal_toIlEEEE10hipError_tPvRmT2_T3_mT4_T5_T6_T7_T8_P12ihipStream_tbENKUlT_T0_E_clISt17integral_constantIbLb1EESX_IbLb0EEEEDaST_SU_EUlST_E_NS1_11comp_targetILNS1_3genE0ELNS1_11target_archE4294967295ELNS1_3gpuE0ELNS1_3repE0EEENS1_30default_config_static_selectorELNS0_4arch9wavefront6targetE0EEEvT1_.uses_flat_scratch, 0
	.set _ZN7rocprim17ROCPRIM_400000_NS6detail17trampoline_kernelINS0_14default_configENS1_33run_length_encode_config_selectorIljNS0_4plusIjEEEEZZNS1_33reduce_by_key_impl_wrapped_configILNS1_25lookback_scan_determinismE0ES3_S7_PKlNS0_17constant_iteratorIjlEEPlSE_SE_S6_NS0_8equal_toIlEEEE10hipError_tPvRmT2_T3_mT4_T5_T6_T7_T8_P12ihipStream_tbENKUlT_T0_E_clISt17integral_constantIbLb1EESX_IbLb0EEEEDaST_SU_EUlST_E_NS1_11comp_targetILNS1_3genE0ELNS1_11target_archE4294967295ELNS1_3gpuE0ELNS1_3repE0EEENS1_30default_config_static_selectorELNS0_4arch9wavefront6targetE0EEEvT1_.has_dyn_sized_stack, 0
	.set _ZN7rocprim17ROCPRIM_400000_NS6detail17trampoline_kernelINS0_14default_configENS1_33run_length_encode_config_selectorIljNS0_4plusIjEEEEZZNS1_33reduce_by_key_impl_wrapped_configILNS1_25lookback_scan_determinismE0ES3_S7_PKlNS0_17constant_iteratorIjlEEPlSE_SE_S6_NS0_8equal_toIlEEEE10hipError_tPvRmT2_T3_mT4_T5_T6_T7_T8_P12ihipStream_tbENKUlT_T0_E_clISt17integral_constantIbLb1EESX_IbLb0EEEEDaST_SU_EUlST_E_NS1_11comp_targetILNS1_3genE0ELNS1_11target_archE4294967295ELNS1_3gpuE0ELNS1_3repE0EEENS1_30default_config_static_selectorELNS0_4arch9wavefront6targetE0EEEvT1_.has_recursion, 0
	.set _ZN7rocprim17ROCPRIM_400000_NS6detail17trampoline_kernelINS0_14default_configENS1_33run_length_encode_config_selectorIljNS0_4plusIjEEEEZZNS1_33reduce_by_key_impl_wrapped_configILNS1_25lookback_scan_determinismE0ES3_S7_PKlNS0_17constant_iteratorIjlEEPlSE_SE_S6_NS0_8equal_toIlEEEE10hipError_tPvRmT2_T3_mT4_T5_T6_T7_T8_P12ihipStream_tbENKUlT_T0_E_clISt17integral_constantIbLb1EESX_IbLb0EEEEDaST_SU_EUlST_E_NS1_11comp_targetILNS1_3genE0ELNS1_11target_archE4294967295ELNS1_3gpuE0ELNS1_3repE0EEENS1_30default_config_static_selectorELNS0_4arch9wavefront6targetE0EEEvT1_.has_indirect_call, 0
	.section	.AMDGPU.csdata,"",@progbits
; Kernel info:
; codeLenInByte = 4
; TotalNumSgprs: 0
; NumVgprs: 0
; ScratchSize: 0
; MemoryBound: 0
; FloatMode: 240
; IeeeMode: 1
; LDSByteSize: 0 bytes/workgroup (compile time only)
; SGPRBlocks: 0
; VGPRBlocks: 0
; NumSGPRsForWavesPerEU: 1
; NumVGPRsForWavesPerEU: 1
; NamedBarCnt: 0
; Occupancy: 16
; WaveLimiterHint : 0
; COMPUTE_PGM_RSRC2:SCRATCH_EN: 0
; COMPUTE_PGM_RSRC2:USER_SGPR: 2
; COMPUTE_PGM_RSRC2:TRAP_HANDLER: 0
; COMPUTE_PGM_RSRC2:TGID_X_EN: 1
; COMPUTE_PGM_RSRC2:TGID_Y_EN: 0
; COMPUTE_PGM_RSRC2:TGID_Z_EN: 0
; COMPUTE_PGM_RSRC2:TIDIG_COMP_CNT: 0
	.section	.text._ZN7rocprim17ROCPRIM_400000_NS6detail17trampoline_kernelINS0_14default_configENS1_33run_length_encode_config_selectorIljNS0_4plusIjEEEEZZNS1_33reduce_by_key_impl_wrapped_configILNS1_25lookback_scan_determinismE0ES3_S7_PKlNS0_17constant_iteratorIjlEEPlSE_SE_S6_NS0_8equal_toIlEEEE10hipError_tPvRmT2_T3_mT4_T5_T6_T7_T8_P12ihipStream_tbENKUlT_T0_E_clISt17integral_constantIbLb1EESX_IbLb0EEEEDaST_SU_EUlST_E_NS1_11comp_targetILNS1_3genE5ELNS1_11target_archE942ELNS1_3gpuE9ELNS1_3repE0EEENS1_30default_config_static_selectorELNS0_4arch9wavefront6targetE0EEEvT1_,"axG",@progbits,_ZN7rocprim17ROCPRIM_400000_NS6detail17trampoline_kernelINS0_14default_configENS1_33run_length_encode_config_selectorIljNS0_4plusIjEEEEZZNS1_33reduce_by_key_impl_wrapped_configILNS1_25lookback_scan_determinismE0ES3_S7_PKlNS0_17constant_iteratorIjlEEPlSE_SE_S6_NS0_8equal_toIlEEEE10hipError_tPvRmT2_T3_mT4_T5_T6_T7_T8_P12ihipStream_tbENKUlT_T0_E_clISt17integral_constantIbLb1EESX_IbLb0EEEEDaST_SU_EUlST_E_NS1_11comp_targetILNS1_3genE5ELNS1_11target_archE942ELNS1_3gpuE9ELNS1_3repE0EEENS1_30default_config_static_selectorELNS0_4arch9wavefront6targetE0EEEvT1_,comdat
	.protected	_ZN7rocprim17ROCPRIM_400000_NS6detail17trampoline_kernelINS0_14default_configENS1_33run_length_encode_config_selectorIljNS0_4plusIjEEEEZZNS1_33reduce_by_key_impl_wrapped_configILNS1_25lookback_scan_determinismE0ES3_S7_PKlNS0_17constant_iteratorIjlEEPlSE_SE_S6_NS0_8equal_toIlEEEE10hipError_tPvRmT2_T3_mT4_T5_T6_T7_T8_P12ihipStream_tbENKUlT_T0_E_clISt17integral_constantIbLb1EESX_IbLb0EEEEDaST_SU_EUlST_E_NS1_11comp_targetILNS1_3genE5ELNS1_11target_archE942ELNS1_3gpuE9ELNS1_3repE0EEENS1_30default_config_static_selectorELNS0_4arch9wavefront6targetE0EEEvT1_ ; -- Begin function _ZN7rocprim17ROCPRIM_400000_NS6detail17trampoline_kernelINS0_14default_configENS1_33run_length_encode_config_selectorIljNS0_4plusIjEEEEZZNS1_33reduce_by_key_impl_wrapped_configILNS1_25lookback_scan_determinismE0ES3_S7_PKlNS0_17constant_iteratorIjlEEPlSE_SE_S6_NS0_8equal_toIlEEEE10hipError_tPvRmT2_T3_mT4_T5_T6_T7_T8_P12ihipStream_tbENKUlT_T0_E_clISt17integral_constantIbLb1EESX_IbLb0EEEEDaST_SU_EUlST_E_NS1_11comp_targetILNS1_3genE5ELNS1_11target_archE942ELNS1_3gpuE9ELNS1_3repE0EEENS1_30default_config_static_selectorELNS0_4arch9wavefront6targetE0EEEvT1_
	.globl	_ZN7rocprim17ROCPRIM_400000_NS6detail17trampoline_kernelINS0_14default_configENS1_33run_length_encode_config_selectorIljNS0_4plusIjEEEEZZNS1_33reduce_by_key_impl_wrapped_configILNS1_25lookback_scan_determinismE0ES3_S7_PKlNS0_17constant_iteratorIjlEEPlSE_SE_S6_NS0_8equal_toIlEEEE10hipError_tPvRmT2_T3_mT4_T5_T6_T7_T8_P12ihipStream_tbENKUlT_T0_E_clISt17integral_constantIbLb1EESX_IbLb0EEEEDaST_SU_EUlST_E_NS1_11comp_targetILNS1_3genE5ELNS1_11target_archE942ELNS1_3gpuE9ELNS1_3repE0EEENS1_30default_config_static_selectorELNS0_4arch9wavefront6targetE0EEEvT1_
	.p2align	8
	.type	_ZN7rocprim17ROCPRIM_400000_NS6detail17trampoline_kernelINS0_14default_configENS1_33run_length_encode_config_selectorIljNS0_4plusIjEEEEZZNS1_33reduce_by_key_impl_wrapped_configILNS1_25lookback_scan_determinismE0ES3_S7_PKlNS0_17constant_iteratorIjlEEPlSE_SE_S6_NS0_8equal_toIlEEEE10hipError_tPvRmT2_T3_mT4_T5_T6_T7_T8_P12ihipStream_tbENKUlT_T0_E_clISt17integral_constantIbLb1EESX_IbLb0EEEEDaST_SU_EUlST_E_NS1_11comp_targetILNS1_3genE5ELNS1_11target_archE942ELNS1_3gpuE9ELNS1_3repE0EEENS1_30default_config_static_selectorELNS0_4arch9wavefront6targetE0EEEvT1_,@function
_ZN7rocprim17ROCPRIM_400000_NS6detail17trampoline_kernelINS0_14default_configENS1_33run_length_encode_config_selectorIljNS0_4plusIjEEEEZZNS1_33reduce_by_key_impl_wrapped_configILNS1_25lookback_scan_determinismE0ES3_S7_PKlNS0_17constant_iteratorIjlEEPlSE_SE_S6_NS0_8equal_toIlEEEE10hipError_tPvRmT2_T3_mT4_T5_T6_T7_T8_P12ihipStream_tbENKUlT_T0_E_clISt17integral_constantIbLb1EESX_IbLb0EEEEDaST_SU_EUlST_E_NS1_11comp_targetILNS1_3genE5ELNS1_11target_archE942ELNS1_3gpuE9ELNS1_3repE0EEENS1_30default_config_static_selectorELNS0_4arch9wavefront6targetE0EEEvT1_: ; @_ZN7rocprim17ROCPRIM_400000_NS6detail17trampoline_kernelINS0_14default_configENS1_33run_length_encode_config_selectorIljNS0_4plusIjEEEEZZNS1_33reduce_by_key_impl_wrapped_configILNS1_25lookback_scan_determinismE0ES3_S7_PKlNS0_17constant_iteratorIjlEEPlSE_SE_S6_NS0_8equal_toIlEEEE10hipError_tPvRmT2_T3_mT4_T5_T6_T7_T8_P12ihipStream_tbENKUlT_T0_E_clISt17integral_constantIbLb1EESX_IbLb0EEEEDaST_SU_EUlST_E_NS1_11comp_targetILNS1_3genE5ELNS1_11target_archE942ELNS1_3gpuE9ELNS1_3repE0EEENS1_30default_config_static_selectorELNS0_4arch9wavefront6targetE0EEEvT1_
; %bb.0:
	.section	.rodata,"a",@progbits
	.p2align	6, 0x0
	.amdhsa_kernel _ZN7rocprim17ROCPRIM_400000_NS6detail17trampoline_kernelINS0_14default_configENS1_33run_length_encode_config_selectorIljNS0_4plusIjEEEEZZNS1_33reduce_by_key_impl_wrapped_configILNS1_25lookback_scan_determinismE0ES3_S7_PKlNS0_17constant_iteratorIjlEEPlSE_SE_S6_NS0_8equal_toIlEEEE10hipError_tPvRmT2_T3_mT4_T5_T6_T7_T8_P12ihipStream_tbENKUlT_T0_E_clISt17integral_constantIbLb1EESX_IbLb0EEEEDaST_SU_EUlST_E_NS1_11comp_targetILNS1_3genE5ELNS1_11target_archE942ELNS1_3gpuE9ELNS1_3repE0EEENS1_30default_config_static_selectorELNS0_4arch9wavefront6targetE0EEEvT1_
		.amdhsa_group_segment_fixed_size 0
		.amdhsa_private_segment_fixed_size 0
		.amdhsa_kernarg_size 128
		.amdhsa_user_sgpr_count 2
		.amdhsa_user_sgpr_dispatch_ptr 0
		.amdhsa_user_sgpr_queue_ptr 0
		.amdhsa_user_sgpr_kernarg_segment_ptr 1
		.amdhsa_user_sgpr_dispatch_id 0
		.amdhsa_user_sgpr_kernarg_preload_length 0
		.amdhsa_user_sgpr_kernarg_preload_offset 0
		.amdhsa_user_sgpr_private_segment_size 0
		.amdhsa_wavefront_size32 1
		.amdhsa_uses_dynamic_stack 0
		.amdhsa_enable_private_segment 0
		.amdhsa_system_sgpr_workgroup_id_x 1
		.amdhsa_system_sgpr_workgroup_id_y 0
		.amdhsa_system_sgpr_workgroup_id_z 0
		.amdhsa_system_sgpr_workgroup_info 0
		.amdhsa_system_vgpr_workitem_id 0
		.amdhsa_next_free_vgpr 1
		.amdhsa_next_free_sgpr 1
		.amdhsa_named_barrier_count 0
		.amdhsa_reserve_vcc 0
		.amdhsa_float_round_mode_32 0
		.amdhsa_float_round_mode_16_64 0
		.amdhsa_float_denorm_mode_32 3
		.amdhsa_float_denorm_mode_16_64 3
		.amdhsa_fp16_overflow 0
		.amdhsa_memory_ordered 1
		.amdhsa_forward_progress 1
		.amdhsa_inst_pref_size 0
		.amdhsa_round_robin_scheduling 0
		.amdhsa_exception_fp_ieee_invalid_op 0
		.amdhsa_exception_fp_denorm_src 0
		.amdhsa_exception_fp_ieee_div_zero 0
		.amdhsa_exception_fp_ieee_overflow 0
		.amdhsa_exception_fp_ieee_underflow 0
		.amdhsa_exception_fp_ieee_inexact 0
		.amdhsa_exception_int_div_zero 0
	.end_amdhsa_kernel
	.section	.text._ZN7rocprim17ROCPRIM_400000_NS6detail17trampoline_kernelINS0_14default_configENS1_33run_length_encode_config_selectorIljNS0_4plusIjEEEEZZNS1_33reduce_by_key_impl_wrapped_configILNS1_25lookback_scan_determinismE0ES3_S7_PKlNS0_17constant_iteratorIjlEEPlSE_SE_S6_NS0_8equal_toIlEEEE10hipError_tPvRmT2_T3_mT4_T5_T6_T7_T8_P12ihipStream_tbENKUlT_T0_E_clISt17integral_constantIbLb1EESX_IbLb0EEEEDaST_SU_EUlST_E_NS1_11comp_targetILNS1_3genE5ELNS1_11target_archE942ELNS1_3gpuE9ELNS1_3repE0EEENS1_30default_config_static_selectorELNS0_4arch9wavefront6targetE0EEEvT1_,"axG",@progbits,_ZN7rocprim17ROCPRIM_400000_NS6detail17trampoline_kernelINS0_14default_configENS1_33run_length_encode_config_selectorIljNS0_4plusIjEEEEZZNS1_33reduce_by_key_impl_wrapped_configILNS1_25lookback_scan_determinismE0ES3_S7_PKlNS0_17constant_iteratorIjlEEPlSE_SE_S6_NS0_8equal_toIlEEEE10hipError_tPvRmT2_T3_mT4_T5_T6_T7_T8_P12ihipStream_tbENKUlT_T0_E_clISt17integral_constantIbLb1EESX_IbLb0EEEEDaST_SU_EUlST_E_NS1_11comp_targetILNS1_3genE5ELNS1_11target_archE942ELNS1_3gpuE9ELNS1_3repE0EEENS1_30default_config_static_selectorELNS0_4arch9wavefront6targetE0EEEvT1_,comdat
.Lfunc_end530:
	.size	_ZN7rocprim17ROCPRIM_400000_NS6detail17trampoline_kernelINS0_14default_configENS1_33run_length_encode_config_selectorIljNS0_4plusIjEEEEZZNS1_33reduce_by_key_impl_wrapped_configILNS1_25lookback_scan_determinismE0ES3_S7_PKlNS0_17constant_iteratorIjlEEPlSE_SE_S6_NS0_8equal_toIlEEEE10hipError_tPvRmT2_T3_mT4_T5_T6_T7_T8_P12ihipStream_tbENKUlT_T0_E_clISt17integral_constantIbLb1EESX_IbLb0EEEEDaST_SU_EUlST_E_NS1_11comp_targetILNS1_3genE5ELNS1_11target_archE942ELNS1_3gpuE9ELNS1_3repE0EEENS1_30default_config_static_selectorELNS0_4arch9wavefront6targetE0EEEvT1_, .Lfunc_end530-_ZN7rocprim17ROCPRIM_400000_NS6detail17trampoline_kernelINS0_14default_configENS1_33run_length_encode_config_selectorIljNS0_4plusIjEEEEZZNS1_33reduce_by_key_impl_wrapped_configILNS1_25lookback_scan_determinismE0ES3_S7_PKlNS0_17constant_iteratorIjlEEPlSE_SE_S6_NS0_8equal_toIlEEEE10hipError_tPvRmT2_T3_mT4_T5_T6_T7_T8_P12ihipStream_tbENKUlT_T0_E_clISt17integral_constantIbLb1EESX_IbLb0EEEEDaST_SU_EUlST_E_NS1_11comp_targetILNS1_3genE5ELNS1_11target_archE942ELNS1_3gpuE9ELNS1_3repE0EEENS1_30default_config_static_selectorELNS0_4arch9wavefront6targetE0EEEvT1_
                                        ; -- End function
	.set _ZN7rocprim17ROCPRIM_400000_NS6detail17trampoline_kernelINS0_14default_configENS1_33run_length_encode_config_selectorIljNS0_4plusIjEEEEZZNS1_33reduce_by_key_impl_wrapped_configILNS1_25lookback_scan_determinismE0ES3_S7_PKlNS0_17constant_iteratorIjlEEPlSE_SE_S6_NS0_8equal_toIlEEEE10hipError_tPvRmT2_T3_mT4_T5_T6_T7_T8_P12ihipStream_tbENKUlT_T0_E_clISt17integral_constantIbLb1EESX_IbLb0EEEEDaST_SU_EUlST_E_NS1_11comp_targetILNS1_3genE5ELNS1_11target_archE942ELNS1_3gpuE9ELNS1_3repE0EEENS1_30default_config_static_selectorELNS0_4arch9wavefront6targetE0EEEvT1_.num_vgpr, 0
	.set _ZN7rocprim17ROCPRIM_400000_NS6detail17trampoline_kernelINS0_14default_configENS1_33run_length_encode_config_selectorIljNS0_4plusIjEEEEZZNS1_33reduce_by_key_impl_wrapped_configILNS1_25lookback_scan_determinismE0ES3_S7_PKlNS0_17constant_iteratorIjlEEPlSE_SE_S6_NS0_8equal_toIlEEEE10hipError_tPvRmT2_T3_mT4_T5_T6_T7_T8_P12ihipStream_tbENKUlT_T0_E_clISt17integral_constantIbLb1EESX_IbLb0EEEEDaST_SU_EUlST_E_NS1_11comp_targetILNS1_3genE5ELNS1_11target_archE942ELNS1_3gpuE9ELNS1_3repE0EEENS1_30default_config_static_selectorELNS0_4arch9wavefront6targetE0EEEvT1_.num_agpr, 0
	.set _ZN7rocprim17ROCPRIM_400000_NS6detail17trampoline_kernelINS0_14default_configENS1_33run_length_encode_config_selectorIljNS0_4plusIjEEEEZZNS1_33reduce_by_key_impl_wrapped_configILNS1_25lookback_scan_determinismE0ES3_S7_PKlNS0_17constant_iteratorIjlEEPlSE_SE_S6_NS0_8equal_toIlEEEE10hipError_tPvRmT2_T3_mT4_T5_T6_T7_T8_P12ihipStream_tbENKUlT_T0_E_clISt17integral_constantIbLb1EESX_IbLb0EEEEDaST_SU_EUlST_E_NS1_11comp_targetILNS1_3genE5ELNS1_11target_archE942ELNS1_3gpuE9ELNS1_3repE0EEENS1_30default_config_static_selectorELNS0_4arch9wavefront6targetE0EEEvT1_.numbered_sgpr, 0
	.set _ZN7rocprim17ROCPRIM_400000_NS6detail17trampoline_kernelINS0_14default_configENS1_33run_length_encode_config_selectorIljNS0_4plusIjEEEEZZNS1_33reduce_by_key_impl_wrapped_configILNS1_25lookback_scan_determinismE0ES3_S7_PKlNS0_17constant_iteratorIjlEEPlSE_SE_S6_NS0_8equal_toIlEEEE10hipError_tPvRmT2_T3_mT4_T5_T6_T7_T8_P12ihipStream_tbENKUlT_T0_E_clISt17integral_constantIbLb1EESX_IbLb0EEEEDaST_SU_EUlST_E_NS1_11comp_targetILNS1_3genE5ELNS1_11target_archE942ELNS1_3gpuE9ELNS1_3repE0EEENS1_30default_config_static_selectorELNS0_4arch9wavefront6targetE0EEEvT1_.num_named_barrier, 0
	.set _ZN7rocprim17ROCPRIM_400000_NS6detail17trampoline_kernelINS0_14default_configENS1_33run_length_encode_config_selectorIljNS0_4plusIjEEEEZZNS1_33reduce_by_key_impl_wrapped_configILNS1_25lookback_scan_determinismE0ES3_S7_PKlNS0_17constant_iteratorIjlEEPlSE_SE_S6_NS0_8equal_toIlEEEE10hipError_tPvRmT2_T3_mT4_T5_T6_T7_T8_P12ihipStream_tbENKUlT_T0_E_clISt17integral_constantIbLb1EESX_IbLb0EEEEDaST_SU_EUlST_E_NS1_11comp_targetILNS1_3genE5ELNS1_11target_archE942ELNS1_3gpuE9ELNS1_3repE0EEENS1_30default_config_static_selectorELNS0_4arch9wavefront6targetE0EEEvT1_.private_seg_size, 0
	.set _ZN7rocprim17ROCPRIM_400000_NS6detail17trampoline_kernelINS0_14default_configENS1_33run_length_encode_config_selectorIljNS0_4plusIjEEEEZZNS1_33reduce_by_key_impl_wrapped_configILNS1_25lookback_scan_determinismE0ES3_S7_PKlNS0_17constant_iteratorIjlEEPlSE_SE_S6_NS0_8equal_toIlEEEE10hipError_tPvRmT2_T3_mT4_T5_T6_T7_T8_P12ihipStream_tbENKUlT_T0_E_clISt17integral_constantIbLb1EESX_IbLb0EEEEDaST_SU_EUlST_E_NS1_11comp_targetILNS1_3genE5ELNS1_11target_archE942ELNS1_3gpuE9ELNS1_3repE0EEENS1_30default_config_static_selectorELNS0_4arch9wavefront6targetE0EEEvT1_.uses_vcc, 0
	.set _ZN7rocprim17ROCPRIM_400000_NS6detail17trampoline_kernelINS0_14default_configENS1_33run_length_encode_config_selectorIljNS0_4plusIjEEEEZZNS1_33reduce_by_key_impl_wrapped_configILNS1_25lookback_scan_determinismE0ES3_S7_PKlNS0_17constant_iteratorIjlEEPlSE_SE_S6_NS0_8equal_toIlEEEE10hipError_tPvRmT2_T3_mT4_T5_T6_T7_T8_P12ihipStream_tbENKUlT_T0_E_clISt17integral_constantIbLb1EESX_IbLb0EEEEDaST_SU_EUlST_E_NS1_11comp_targetILNS1_3genE5ELNS1_11target_archE942ELNS1_3gpuE9ELNS1_3repE0EEENS1_30default_config_static_selectorELNS0_4arch9wavefront6targetE0EEEvT1_.uses_flat_scratch, 0
	.set _ZN7rocprim17ROCPRIM_400000_NS6detail17trampoline_kernelINS0_14default_configENS1_33run_length_encode_config_selectorIljNS0_4plusIjEEEEZZNS1_33reduce_by_key_impl_wrapped_configILNS1_25lookback_scan_determinismE0ES3_S7_PKlNS0_17constant_iteratorIjlEEPlSE_SE_S6_NS0_8equal_toIlEEEE10hipError_tPvRmT2_T3_mT4_T5_T6_T7_T8_P12ihipStream_tbENKUlT_T0_E_clISt17integral_constantIbLb1EESX_IbLb0EEEEDaST_SU_EUlST_E_NS1_11comp_targetILNS1_3genE5ELNS1_11target_archE942ELNS1_3gpuE9ELNS1_3repE0EEENS1_30default_config_static_selectorELNS0_4arch9wavefront6targetE0EEEvT1_.has_dyn_sized_stack, 0
	.set _ZN7rocprim17ROCPRIM_400000_NS6detail17trampoline_kernelINS0_14default_configENS1_33run_length_encode_config_selectorIljNS0_4plusIjEEEEZZNS1_33reduce_by_key_impl_wrapped_configILNS1_25lookback_scan_determinismE0ES3_S7_PKlNS0_17constant_iteratorIjlEEPlSE_SE_S6_NS0_8equal_toIlEEEE10hipError_tPvRmT2_T3_mT4_T5_T6_T7_T8_P12ihipStream_tbENKUlT_T0_E_clISt17integral_constantIbLb1EESX_IbLb0EEEEDaST_SU_EUlST_E_NS1_11comp_targetILNS1_3genE5ELNS1_11target_archE942ELNS1_3gpuE9ELNS1_3repE0EEENS1_30default_config_static_selectorELNS0_4arch9wavefront6targetE0EEEvT1_.has_recursion, 0
	.set _ZN7rocprim17ROCPRIM_400000_NS6detail17trampoline_kernelINS0_14default_configENS1_33run_length_encode_config_selectorIljNS0_4plusIjEEEEZZNS1_33reduce_by_key_impl_wrapped_configILNS1_25lookback_scan_determinismE0ES3_S7_PKlNS0_17constant_iteratorIjlEEPlSE_SE_S6_NS0_8equal_toIlEEEE10hipError_tPvRmT2_T3_mT4_T5_T6_T7_T8_P12ihipStream_tbENKUlT_T0_E_clISt17integral_constantIbLb1EESX_IbLb0EEEEDaST_SU_EUlST_E_NS1_11comp_targetILNS1_3genE5ELNS1_11target_archE942ELNS1_3gpuE9ELNS1_3repE0EEENS1_30default_config_static_selectorELNS0_4arch9wavefront6targetE0EEEvT1_.has_indirect_call, 0
	.section	.AMDGPU.csdata,"",@progbits
; Kernel info:
; codeLenInByte = 0
; TotalNumSgprs: 0
; NumVgprs: 0
; ScratchSize: 0
; MemoryBound: 0
; FloatMode: 240
; IeeeMode: 1
; LDSByteSize: 0 bytes/workgroup (compile time only)
; SGPRBlocks: 0
; VGPRBlocks: 0
; NumSGPRsForWavesPerEU: 1
; NumVGPRsForWavesPerEU: 1
; NamedBarCnt: 0
; Occupancy: 16
; WaveLimiterHint : 0
; COMPUTE_PGM_RSRC2:SCRATCH_EN: 0
; COMPUTE_PGM_RSRC2:USER_SGPR: 2
; COMPUTE_PGM_RSRC2:TRAP_HANDLER: 0
; COMPUTE_PGM_RSRC2:TGID_X_EN: 1
; COMPUTE_PGM_RSRC2:TGID_Y_EN: 0
; COMPUTE_PGM_RSRC2:TGID_Z_EN: 0
; COMPUTE_PGM_RSRC2:TIDIG_COMP_CNT: 0
	.section	.text._ZN7rocprim17ROCPRIM_400000_NS6detail17trampoline_kernelINS0_14default_configENS1_33run_length_encode_config_selectorIljNS0_4plusIjEEEEZZNS1_33reduce_by_key_impl_wrapped_configILNS1_25lookback_scan_determinismE0ES3_S7_PKlNS0_17constant_iteratorIjlEEPlSE_SE_S6_NS0_8equal_toIlEEEE10hipError_tPvRmT2_T3_mT4_T5_T6_T7_T8_P12ihipStream_tbENKUlT_T0_E_clISt17integral_constantIbLb1EESX_IbLb0EEEEDaST_SU_EUlST_E_NS1_11comp_targetILNS1_3genE4ELNS1_11target_archE910ELNS1_3gpuE8ELNS1_3repE0EEENS1_30default_config_static_selectorELNS0_4arch9wavefront6targetE0EEEvT1_,"axG",@progbits,_ZN7rocprim17ROCPRIM_400000_NS6detail17trampoline_kernelINS0_14default_configENS1_33run_length_encode_config_selectorIljNS0_4plusIjEEEEZZNS1_33reduce_by_key_impl_wrapped_configILNS1_25lookback_scan_determinismE0ES3_S7_PKlNS0_17constant_iteratorIjlEEPlSE_SE_S6_NS0_8equal_toIlEEEE10hipError_tPvRmT2_T3_mT4_T5_T6_T7_T8_P12ihipStream_tbENKUlT_T0_E_clISt17integral_constantIbLb1EESX_IbLb0EEEEDaST_SU_EUlST_E_NS1_11comp_targetILNS1_3genE4ELNS1_11target_archE910ELNS1_3gpuE8ELNS1_3repE0EEENS1_30default_config_static_selectorELNS0_4arch9wavefront6targetE0EEEvT1_,comdat
	.protected	_ZN7rocprim17ROCPRIM_400000_NS6detail17trampoline_kernelINS0_14default_configENS1_33run_length_encode_config_selectorIljNS0_4plusIjEEEEZZNS1_33reduce_by_key_impl_wrapped_configILNS1_25lookback_scan_determinismE0ES3_S7_PKlNS0_17constant_iteratorIjlEEPlSE_SE_S6_NS0_8equal_toIlEEEE10hipError_tPvRmT2_T3_mT4_T5_T6_T7_T8_P12ihipStream_tbENKUlT_T0_E_clISt17integral_constantIbLb1EESX_IbLb0EEEEDaST_SU_EUlST_E_NS1_11comp_targetILNS1_3genE4ELNS1_11target_archE910ELNS1_3gpuE8ELNS1_3repE0EEENS1_30default_config_static_selectorELNS0_4arch9wavefront6targetE0EEEvT1_ ; -- Begin function _ZN7rocprim17ROCPRIM_400000_NS6detail17trampoline_kernelINS0_14default_configENS1_33run_length_encode_config_selectorIljNS0_4plusIjEEEEZZNS1_33reduce_by_key_impl_wrapped_configILNS1_25lookback_scan_determinismE0ES3_S7_PKlNS0_17constant_iteratorIjlEEPlSE_SE_S6_NS0_8equal_toIlEEEE10hipError_tPvRmT2_T3_mT4_T5_T6_T7_T8_P12ihipStream_tbENKUlT_T0_E_clISt17integral_constantIbLb1EESX_IbLb0EEEEDaST_SU_EUlST_E_NS1_11comp_targetILNS1_3genE4ELNS1_11target_archE910ELNS1_3gpuE8ELNS1_3repE0EEENS1_30default_config_static_selectorELNS0_4arch9wavefront6targetE0EEEvT1_
	.globl	_ZN7rocprim17ROCPRIM_400000_NS6detail17trampoline_kernelINS0_14default_configENS1_33run_length_encode_config_selectorIljNS0_4plusIjEEEEZZNS1_33reduce_by_key_impl_wrapped_configILNS1_25lookback_scan_determinismE0ES3_S7_PKlNS0_17constant_iteratorIjlEEPlSE_SE_S6_NS0_8equal_toIlEEEE10hipError_tPvRmT2_T3_mT4_T5_T6_T7_T8_P12ihipStream_tbENKUlT_T0_E_clISt17integral_constantIbLb1EESX_IbLb0EEEEDaST_SU_EUlST_E_NS1_11comp_targetILNS1_3genE4ELNS1_11target_archE910ELNS1_3gpuE8ELNS1_3repE0EEENS1_30default_config_static_selectorELNS0_4arch9wavefront6targetE0EEEvT1_
	.p2align	8
	.type	_ZN7rocprim17ROCPRIM_400000_NS6detail17trampoline_kernelINS0_14default_configENS1_33run_length_encode_config_selectorIljNS0_4plusIjEEEEZZNS1_33reduce_by_key_impl_wrapped_configILNS1_25lookback_scan_determinismE0ES3_S7_PKlNS0_17constant_iteratorIjlEEPlSE_SE_S6_NS0_8equal_toIlEEEE10hipError_tPvRmT2_T3_mT4_T5_T6_T7_T8_P12ihipStream_tbENKUlT_T0_E_clISt17integral_constantIbLb1EESX_IbLb0EEEEDaST_SU_EUlST_E_NS1_11comp_targetILNS1_3genE4ELNS1_11target_archE910ELNS1_3gpuE8ELNS1_3repE0EEENS1_30default_config_static_selectorELNS0_4arch9wavefront6targetE0EEEvT1_,@function
_ZN7rocprim17ROCPRIM_400000_NS6detail17trampoline_kernelINS0_14default_configENS1_33run_length_encode_config_selectorIljNS0_4plusIjEEEEZZNS1_33reduce_by_key_impl_wrapped_configILNS1_25lookback_scan_determinismE0ES3_S7_PKlNS0_17constant_iteratorIjlEEPlSE_SE_S6_NS0_8equal_toIlEEEE10hipError_tPvRmT2_T3_mT4_T5_T6_T7_T8_P12ihipStream_tbENKUlT_T0_E_clISt17integral_constantIbLb1EESX_IbLb0EEEEDaST_SU_EUlST_E_NS1_11comp_targetILNS1_3genE4ELNS1_11target_archE910ELNS1_3gpuE8ELNS1_3repE0EEENS1_30default_config_static_selectorELNS0_4arch9wavefront6targetE0EEEvT1_: ; @_ZN7rocprim17ROCPRIM_400000_NS6detail17trampoline_kernelINS0_14default_configENS1_33run_length_encode_config_selectorIljNS0_4plusIjEEEEZZNS1_33reduce_by_key_impl_wrapped_configILNS1_25lookback_scan_determinismE0ES3_S7_PKlNS0_17constant_iteratorIjlEEPlSE_SE_S6_NS0_8equal_toIlEEEE10hipError_tPvRmT2_T3_mT4_T5_T6_T7_T8_P12ihipStream_tbENKUlT_T0_E_clISt17integral_constantIbLb1EESX_IbLb0EEEEDaST_SU_EUlST_E_NS1_11comp_targetILNS1_3genE4ELNS1_11target_archE910ELNS1_3gpuE8ELNS1_3repE0EEENS1_30default_config_static_selectorELNS0_4arch9wavefront6targetE0EEEvT1_
; %bb.0:
	.section	.rodata,"a",@progbits
	.p2align	6, 0x0
	.amdhsa_kernel _ZN7rocprim17ROCPRIM_400000_NS6detail17trampoline_kernelINS0_14default_configENS1_33run_length_encode_config_selectorIljNS0_4plusIjEEEEZZNS1_33reduce_by_key_impl_wrapped_configILNS1_25lookback_scan_determinismE0ES3_S7_PKlNS0_17constant_iteratorIjlEEPlSE_SE_S6_NS0_8equal_toIlEEEE10hipError_tPvRmT2_T3_mT4_T5_T6_T7_T8_P12ihipStream_tbENKUlT_T0_E_clISt17integral_constantIbLb1EESX_IbLb0EEEEDaST_SU_EUlST_E_NS1_11comp_targetILNS1_3genE4ELNS1_11target_archE910ELNS1_3gpuE8ELNS1_3repE0EEENS1_30default_config_static_selectorELNS0_4arch9wavefront6targetE0EEEvT1_
		.amdhsa_group_segment_fixed_size 0
		.amdhsa_private_segment_fixed_size 0
		.amdhsa_kernarg_size 128
		.amdhsa_user_sgpr_count 2
		.amdhsa_user_sgpr_dispatch_ptr 0
		.amdhsa_user_sgpr_queue_ptr 0
		.amdhsa_user_sgpr_kernarg_segment_ptr 1
		.amdhsa_user_sgpr_dispatch_id 0
		.amdhsa_user_sgpr_kernarg_preload_length 0
		.amdhsa_user_sgpr_kernarg_preload_offset 0
		.amdhsa_user_sgpr_private_segment_size 0
		.amdhsa_wavefront_size32 1
		.amdhsa_uses_dynamic_stack 0
		.amdhsa_enable_private_segment 0
		.amdhsa_system_sgpr_workgroup_id_x 1
		.amdhsa_system_sgpr_workgroup_id_y 0
		.amdhsa_system_sgpr_workgroup_id_z 0
		.amdhsa_system_sgpr_workgroup_info 0
		.amdhsa_system_vgpr_workitem_id 0
		.amdhsa_next_free_vgpr 1
		.amdhsa_next_free_sgpr 1
		.amdhsa_named_barrier_count 0
		.amdhsa_reserve_vcc 0
		.amdhsa_float_round_mode_32 0
		.amdhsa_float_round_mode_16_64 0
		.amdhsa_float_denorm_mode_32 3
		.amdhsa_float_denorm_mode_16_64 3
		.amdhsa_fp16_overflow 0
		.amdhsa_memory_ordered 1
		.amdhsa_forward_progress 1
		.amdhsa_inst_pref_size 0
		.amdhsa_round_robin_scheduling 0
		.amdhsa_exception_fp_ieee_invalid_op 0
		.amdhsa_exception_fp_denorm_src 0
		.amdhsa_exception_fp_ieee_div_zero 0
		.amdhsa_exception_fp_ieee_overflow 0
		.amdhsa_exception_fp_ieee_underflow 0
		.amdhsa_exception_fp_ieee_inexact 0
		.amdhsa_exception_int_div_zero 0
	.end_amdhsa_kernel
	.section	.text._ZN7rocprim17ROCPRIM_400000_NS6detail17trampoline_kernelINS0_14default_configENS1_33run_length_encode_config_selectorIljNS0_4plusIjEEEEZZNS1_33reduce_by_key_impl_wrapped_configILNS1_25lookback_scan_determinismE0ES3_S7_PKlNS0_17constant_iteratorIjlEEPlSE_SE_S6_NS0_8equal_toIlEEEE10hipError_tPvRmT2_T3_mT4_T5_T6_T7_T8_P12ihipStream_tbENKUlT_T0_E_clISt17integral_constantIbLb1EESX_IbLb0EEEEDaST_SU_EUlST_E_NS1_11comp_targetILNS1_3genE4ELNS1_11target_archE910ELNS1_3gpuE8ELNS1_3repE0EEENS1_30default_config_static_selectorELNS0_4arch9wavefront6targetE0EEEvT1_,"axG",@progbits,_ZN7rocprim17ROCPRIM_400000_NS6detail17trampoline_kernelINS0_14default_configENS1_33run_length_encode_config_selectorIljNS0_4plusIjEEEEZZNS1_33reduce_by_key_impl_wrapped_configILNS1_25lookback_scan_determinismE0ES3_S7_PKlNS0_17constant_iteratorIjlEEPlSE_SE_S6_NS0_8equal_toIlEEEE10hipError_tPvRmT2_T3_mT4_T5_T6_T7_T8_P12ihipStream_tbENKUlT_T0_E_clISt17integral_constantIbLb1EESX_IbLb0EEEEDaST_SU_EUlST_E_NS1_11comp_targetILNS1_3genE4ELNS1_11target_archE910ELNS1_3gpuE8ELNS1_3repE0EEENS1_30default_config_static_selectorELNS0_4arch9wavefront6targetE0EEEvT1_,comdat
.Lfunc_end531:
	.size	_ZN7rocprim17ROCPRIM_400000_NS6detail17trampoline_kernelINS0_14default_configENS1_33run_length_encode_config_selectorIljNS0_4plusIjEEEEZZNS1_33reduce_by_key_impl_wrapped_configILNS1_25lookback_scan_determinismE0ES3_S7_PKlNS0_17constant_iteratorIjlEEPlSE_SE_S6_NS0_8equal_toIlEEEE10hipError_tPvRmT2_T3_mT4_T5_T6_T7_T8_P12ihipStream_tbENKUlT_T0_E_clISt17integral_constantIbLb1EESX_IbLb0EEEEDaST_SU_EUlST_E_NS1_11comp_targetILNS1_3genE4ELNS1_11target_archE910ELNS1_3gpuE8ELNS1_3repE0EEENS1_30default_config_static_selectorELNS0_4arch9wavefront6targetE0EEEvT1_, .Lfunc_end531-_ZN7rocprim17ROCPRIM_400000_NS6detail17trampoline_kernelINS0_14default_configENS1_33run_length_encode_config_selectorIljNS0_4plusIjEEEEZZNS1_33reduce_by_key_impl_wrapped_configILNS1_25lookback_scan_determinismE0ES3_S7_PKlNS0_17constant_iteratorIjlEEPlSE_SE_S6_NS0_8equal_toIlEEEE10hipError_tPvRmT2_T3_mT4_T5_T6_T7_T8_P12ihipStream_tbENKUlT_T0_E_clISt17integral_constantIbLb1EESX_IbLb0EEEEDaST_SU_EUlST_E_NS1_11comp_targetILNS1_3genE4ELNS1_11target_archE910ELNS1_3gpuE8ELNS1_3repE0EEENS1_30default_config_static_selectorELNS0_4arch9wavefront6targetE0EEEvT1_
                                        ; -- End function
	.set _ZN7rocprim17ROCPRIM_400000_NS6detail17trampoline_kernelINS0_14default_configENS1_33run_length_encode_config_selectorIljNS0_4plusIjEEEEZZNS1_33reduce_by_key_impl_wrapped_configILNS1_25lookback_scan_determinismE0ES3_S7_PKlNS0_17constant_iteratorIjlEEPlSE_SE_S6_NS0_8equal_toIlEEEE10hipError_tPvRmT2_T3_mT4_T5_T6_T7_T8_P12ihipStream_tbENKUlT_T0_E_clISt17integral_constantIbLb1EESX_IbLb0EEEEDaST_SU_EUlST_E_NS1_11comp_targetILNS1_3genE4ELNS1_11target_archE910ELNS1_3gpuE8ELNS1_3repE0EEENS1_30default_config_static_selectorELNS0_4arch9wavefront6targetE0EEEvT1_.num_vgpr, 0
	.set _ZN7rocprim17ROCPRIM_400000_NS6detail17trampoline_kernelINS0_14default_configENS1_33run_length_encode_config_selectorIljNS0_4plusIjEEEEZZNS1_33reduce_by_key_impl_wrapped_configILNS1_25lookback_scan_determinismE0ES3_S7_PKlNS0_17constant_iteratorIjlEEPlSE_SE_S6_NS0_8equal_toIlEEEE10hipError_tPvRmT2_T3_mT4_T5_T6_T7_T8_P12ihipStream_tbENKUlT_T0_E_clISt17integral_constantIbLb1EESX_IbLb0EEEEDaST_SU_EUlST_E_NS1_11comp_targetILNS1_3genE4ELNS1_11target_archE910ELNS1_3gpuE8ELNS1_3repE0EEENS1_30default_config_static_selectorELNS0_4arch9wavefront6targetE0EEEvT1_.num_agpr, 0
	.set _ZN7rocprim17ROCPRIM_400000_NS6detail17trampoline_kernelINS0_14default_configENS1_33run_length_encode_config_selectorIljNS0_4plusIjEEEEZZNS1_33reduce_by_key_impl_wrapped_configILNS1_25lookback_scan_determinismE0ES3_S7_PKlNS0_17constant_iteratorIjlEEPlSE_SE_S6_NS0_8equal_toIlEEEE10hipError_tPvRmT2_T3_mT4_T5_T6_T7_T8_P12ihipStream_tbENKUlT_T0_E_clISt17integral_constantIbLb1EESX_IbLb0EEEEDaST_SU_EUlST_E_NS1_11comp_targetILNS1_3genE4ELNS1_11target_archE910ELNS1_3gpuE8ELNS1_3repE0EEENS1_30default_config_static_selectorELNS0_4arch9wavefront6targetE0EEEvT1_.numbered_sgpr, 0
	.set _ZN7rocprim17ROCPRIM_400000_NS6detail17trampoline_kernelINS0_14default_configENS1_33run_length_encode_config_selectorIljNS0_4plusIjEEEEZZNS1_33reduce_by_key_impl_wrapped_configILNS1_25lookback_scan_determinismE0ES3_S7_PKlNS0_17constant_iteratorIjlEEPlSE_SE_S6_NS0_8equal_toIlEEEE10hipError_tPvRmT2_T3_mT4_T5_T6_T7_T8_P12ihipStream_tbENKUlT_T0_E_clISt17integral_constantIbLb1EESX_IbLb0EEEEDaST_SU_EUlST_E_NS1_11comp_targetILNS1_3genE4ELNS1_11target_archE910ELNS1_3gpuE8ELNS1_3repE0EEENS1_30default_config_static_selectorELNS0_4arch9wavefront6targetE0EEEvT1_.num_named_barrier, 0
	.set _ZN7rocprim17ROCPRIM_400000_NS6detail17trampoline_kernelINS0_14default_configENS1_33run_length_encode_config_selectorIljNS0_4plusIjEEEEZZNS1_33reduce_by_key_impl_wrapped_configILNS1_25lookback_scan_determinismE0ES3_S7_PKlNS0_17constant_iteratorIjlEEPlSE_SE_S6_NS0_8equal_toIlEEEE10hipError_tPvRmT2_T3_mT4_T5_T6_T7_T8_P12ihipStream_tbENKUlT_T0_E_clISt17integral_constantIbLb1EESX_IbLb0EEEEDaST_SU_EUlST_E_NS1_11comp_targetILNS1_3genE4ELNS1_11target_archE910ELNS1_3gpuE8ELNS1_3repE0EEENS1_30default_config_static_selectorELNS0_4arch9wavefront6targetE0EEEvT1_.private_seg_size, 0
	.set _ZN7rocprim17ROCPRIM_400000_NS6detail17trampoline_kernelINS0_14default_configENS1_33run_length_encode_config_selectorIljNS0_4plusIjEEEEZZNS1_33reduce_by_key_impl_wrapped_configILNS1_25lookback_scan_determinismE0ES3_S7_PKlNS0_17constant_iteratorIjlEEPlSE_SE_S6_NS0_8equal_toIlEEEE10hipError_tPvRmT2_T3_mT4_T5_T6_T7_T8_P12ihipStream_tbENKUlT_T0_E_clISt17integral_constantIbLb1EESX_IbLb0EEEEDaST_SU_EUlST_E_NS1_11comp_targetILNS1_3genE4ELNS1_11target_archE910ELNS1_3gpuE8ELNS1_3repE0EEENS1_30default_config_static_selectorELNS0_4arch9wavefront6targetE0EEEvT1_.uses_vcc, 0
	.set _ZN7rocprim17ROCPRIM_400000_NS6detail17trampoline_kernelINS0_14default_configENS1_33run_length_encode_config_selectorIljNS0_4plusIjEEEEZZNS1_33reduce_by_key_impl_wrapped_configILNS1_25lookback_scan_determinismE0ES3_S7_PKlNS0_17constant_iteratorIjlEEPlSE_SE_S6_NS0_8equal_toIlEEEE10hipError_tPvRmT2_T3_mT4_T5_T6_T7_T8_P12ihipStream_tbENKUlT_T0_E_clISt17integral_constantIbLb1EESX_IbLb0EEEEDaST_SU_EUlST_E_NS1_11comp_targetILNS1_3genE4ELNS1_11target_archE910ELNS1_3gpuE8ELNS1_3repE0EEENS1_30default_config_static_selectorELNS0_4arch9wavefront6targetE0EEEvT1_.uses_flat_scratch, 0
	.set _ZN7rocprim17ROCPRIM_400000_NS6detail17trampoline_kernelINS0_14default_configENS1_33run_length_encode_config_selectorIljNS0_4plusIjEEEEZZNS1_33reduce_by_key_impl_wrapped_configILNS1_25lookback_scan_determinismE0ES3_S7_PKlNS0_17constant_iteratorIjlEEPlSE_SE_S6_NS0_8equal_toIlEEEE10hipError_tPvRmT2_T3_mT4_T5_T6_T7_T8_P12ihipStream_tbENKUlT_T0_E_clISt17integral_constantIbLb1EESX_IbLb0EEEEDaST_SU_EUlST_E_NS1_11comp_targetILNS1_3genE4ELNS1_11target_archE910ELNS1_3gpuE8ELNS1_3repE0EEENS1_30default_config_static_selectorELNS0_4arch9wavefront6targetE0EEEvT1_.has_dyn_sized_stack, 0
	.set _ZN7rocprim17ROCPRIM_400000_NS6detail17trampoline_kernelINS0_14default_configENS1_33run_length_encode_config_selectorIljNS0_4plusIjEEEEZZNS1_33reduce_by_key_impl_wrapped_configILNS1_25lookback_scan_determinismE0ES3_S7_PKlNS0_17constant_iteratorIjlEEPlSE_SE_S6_NS0_8equal_toIlEEEE10hipError_tPvRmT2_T3_mT4_T5_T6_T7_T8_P12ihipStream_tbENKUlT_T0_E_clISt17integral_constantIbLb1EESX_IbLb0EEEEDaST_SU_EUlST_E_NS1_11comp_targetILNS1_3genE4ELNS1_11target_archE910ELNS1_3gpuE8ELNS1_3repE0EEENS1_30default_config_static_selectorELNS0_4arch9wavefront6targetE0EEEvT1_.has_recursion, 0
	.set _ZN7rocprim17ROCPRIM_400000_NS6detail17trampoline_kernelINS0_14default_configENS1_33run_length_encode_config_selectorIljNS0_4plusIjEEEEZZNS1_33reduce_by_key_impl_wrapped_configILNS1_25lookback_scan_determinismE0ES3_S7_PKlNS0_17constant_iteratorIjlEEPlSE_SE_S6_NS0_8equal_toIlEEEE10hipError_tPvRmT2_T3_mT4_T5_T6_T7_T8_P12ihipStream_tbENKUlT_T0_E_clISt17integral_constantIbLb1EESX_IbLb0EEEEDaST_SU_EUlST_E_NS1_11comp_targetILNS1_3genE4ELNS1_11target_archE910ELNS1_3gpuE8ELNS1_3repE0EEENS1_30default_config_static_selectorELNS0_4arch9wavefront6targetE0EEEvT1_.has_indirect_call, 0
	.section	.AMDGPU.csdata,"",@progbits
; Kernel info:
; codeLenInByte = 0
; TotalNumSgprs: 0
; NumVgprs: 0
; ScratchSize: 0
; MemoryBound: 0
; FloatMode: 240
; IeeeMode: 1
; LDSByteSize: 0 bytes/workgroup (compile time only)
; SGPRBlocks: 0
; VGPRBlocks: 0
; NumSGPRsForWavesPerEU: 1
; NumVGPRsForWavesPerEU: 1
; NamedBarCnt: 0
; Occupancy: 16
; WaveLimiterHint : 0
; COMPUTE_PGM_RSRC2:SCRATCH_EN: 0
; COMPUTE_PGM_RSRC2:USER_SGPR: 2
; COMPUTE_PGM_RSRC2:TRAP_HANDLER: 0
; COMPUTE_PGM_RSRC2:TGID_X_EN: 1
; COMPUTE_PGM_RSRC2:TGID_Y_EN: 0
; COMPUTE_PGM_RSRC2:TGID_Z_EN: 0
; COMPUTE_PGM_RSRC2:TIDIG_COMP_CNT: 0
	.section	.text._ZN7rocprim17ROCPRIM_400000_NS6detail17trampoline_kernelINS0_14default_configENS1_33run_length_encode_config_selectorIljNS0_4plusIjEEEEZZNS1_33reduce_by_key_impl_wrapped_configILNS1_25lookback_scan_determinismE0ES3_S7_PKlNS0_17constant_iteratorIjlEEPlSE_SE_S6_NS0_8equal_toIlEEEE10hipError_tPvRmT2_T3_mT4_T5_T6_T7_T8_P12ihipStream_tbENKUlT_T0_E_clISt17integral_constantIbLb1EESX_IbLb0EEEEDaST_SU_EUlST_E_NS1_11comp_targetILNS1_3genE3ELNS1_11target_archE908ELNS1_3gpuE7ELNS1_3repE0EEENS1_30default_config_static_selectorELNS0_4arch9wavefront6targetE0EEEvT1_,"axG",@progbits,_ZN7rocprim17ROCPRIM_400000_NS6detail17trampoline_kernelINS0_14default_configENS1_33run_length_encode_config_selectorIljNS0_4plusIjEEEEZZNS1_33reduce_by_key_impl_wrapped_configILNS1_25lookback_scan_determinismE0ES3_S7_PKlNS0_17constant_iteratorIjlEEPlSE_SE_S6_NS0_8equal_toIlEEEE10hipError_tPvRmT2_T3_mT4_T5_T6_T7_T8_P12ihipStream_tbENKUlT_T0_E_clISt17integral_constantIbLb1EESX_IbLb0EEEEDaST_SU_EUlST_E_NS1_11comp_targetILNS1_3genE3ELNS1_11target_archE908ELNS1_3gpuE7ELNS1_3repE0EEENS1_30default_config_static_selectorELNS0_4arch9wavefront6targetE0EEEvT1_,comdat
	.protected	_ZN7rocprim17ROCPRIM_400000_NS6detail17trampoline_kernelINS0_14default_configENS1_33run_length_encode_config_selectorIljNS0_4plusIjEEEEZZNS1_33reduce_by_key_impl_wrapped_configILNS1_25lookback_scan_determinismE0ES3_S7_PKlNS0_17constant_iteratorIjlEEPlSE_SE_S6_NS0_8equal_toIlEEEE10hipError_tPvRmT2_T3_mT4_T5_T6_T7_T8_P12ihipStream_tbENKUlT_T0_E_clISt17integral_constantIbLb1EESX_IbLb0EEEEDaST_SU_EUlST_E_NS1_11comp_targetILNS1_3genE3ELNS1_11target_archE908ELNS1_3gpuE7ELNS1_3repE0EEENS1_30default_config_static_selectorELNS0_4arch9wavefront6targetE0EEEvT1_ ; -- Begin function _ZN7rocprim17ROCPRIM_400000_NS6detail17trampoline_kernelINS0_14default_configENS1_33run_length_encode_config_selectorIljNS0_4plusIjEEEEZZNS1_33reduce_by_key_impl_wrapped_configILNS1_25lookback_scan_determinismE0ES3_S7_PKlNS0_17constant_iteratorIjlEEPlSE_SE_S6_NS0_8equal_toIlEEEE10hipError_tPvRmT2_T3_mT4_T5_T6_T7_T8_P12ihipStream_tbENKUlT_T0_E_clISt17integral_constantIbLb1EESX_IbLb0EEEEDaST_SU_EUlST_E_NS1_11comp_targetILNS1_3genE3ELNS1_11target_archE908ELNS1_3gpuE7ELNS1_3repE0EEENS1_30default_config_static_selectorELNS0_4arch9wavefront6targetE0EEEvT1_
	.globl	_ZN7rocprim17ROCPRIM_400000_NS6detail17trampoline_kernelINS0_14default_configENS1_33run_length_encode_config_selectorIljNS0_4plusIjEEEEZZNS1_33reduce_by_key_impl_wrapped_configILNS1_25lookback_scan_determinismE0ES3_S7_PKlNS0_17constant_iteratorIjlEEPlSE_SE_S6_NS0_8equal_toIlEEEE10hipError_tPvRmT2_T3_mT4_T5_T6_T7_T8_P12ihipStream_tbENKUlT_T0_E_clISt17integral_constantIbLb1EESX_IbLb0EEEEDaST_SU_EUlST_E_NS1_11comp_targetILNS1_3genE3ELNS1_11target_archE908ELNS1_3gpuE7ELNS1_3repE0EEENS1_30default_config_static_selectorELNS0_4arch9wavefront6targetE0EEEvT1_
	.p2align	8
	.type	_ZN7rocprim17ROCPRIM_400000_NS6detail17trampoline_kernelINS0_14default_configENS1_33run_length_encode_config_selectorIljNS0_4plusIjEEEEZZNS1_33reduce_by_key_impl_wrapped_configILNS1_25lookback_scan_determinismE0ES3_S7_PKlNS0_17constant_iteratorIjlEEPlSE_SE_S6_NS0_8equal_toIlEEEE10hipError_tPvRmT2_T3_mT4_T5_T6_T7_T8_P12ihipStream_tbENKUlT_T0_E_clISt17integral_constantIbLb1EESX_IbLb0EEEEDaST_SU_EUlST_E_NS1_11comp_targetILNS1_3genE3ELNS1_11target_archE908ELNS1_3gpuE7ELNS1_3repE0EEENS1_30default_config_static_selectorELNS0_4arch9wavefront6targetE0EEEvT1_,@function
_ZN7rocprim17ROCPRIM_400000_NS6detail17trampoline_kernelINS0_14default_configENS1_33run_length_encode_config_selectorIljNS0_4plusIjEEEEZZNS1_33reduce_by_key_impl_wrapped_configILNS1_25lookback_scan_determinismE0ES3_S7_PKlNS0_17constant_iteratorIjlEEPlSE_SE_S6_NS0_8equal_toIlEEEE10hipError_tPvRmT2_T3_mT4_T5_T6_T7_T8_P12ihipStream_tbENKUlT_T0_E_clISt17integral_constantIbLb1EESX_IbLb0EEEEDaST_SU_EUlST_E_NS1_11comp_targetILNS1_3genE3ELNS1_11target_archE908ELNS1_3gpuE7ELNS1_3repE0EEENS1_30default_config_static_selectorELNS0_4arch9wavefront6targetE0EEEvT1_: ; @_ZN7rocprim17ROCPRIM_400000_NS6detail17trampoline_kernelINS0_14default_configENS1_33run_length_encode_config_selectorIljNS0_4plusIjEEEEZZNS1_33reduce_by_key_impl_wrapped_configILNS1_25lookback_scan_determinismE0ES3_S7_PKlNS0_17constant_iteratorIjlEEPlSE_SE_S6_NS0_8equal_toIlEEEE10hipError_tPvRmT2_T3_mT4_T5_T6_T7_T8_P12ihipStream_tbENKUlT_T0_E_clISt17integral_constantIbLb1EESX_IbLb0EEEEDaST_SU_EUlST_E_NS1_11comp_targetILNS1_3genE3ELNS1_11target_archE908ELNS1_3gpuE7ELNS1_3repE0EEENS1_30default_config_static_selectorELNS0_4arch9wavefront6targetE0EEEvT1_
; %bb.0:
	.section	.rodata,"a",@progbits
	.p2align	6, 0x0
	.amdhsa_kernel _ZN7rocprim17ROCPRIM_400000_NS6detail17trampoline_kernelINS0_14default_configENS1_33run_length_encode_config_selectorIljNS0_4plusIjEEEEZZNS1_33reduce_by_key_impl_wrapped_configILNS1_25lookback_scan_determinismE0ES3_S7_PKlNS0_17constant_iteratorIjlEEPlSE_SE_S6_NS0_8equal_toIlEEEE10hipError_tPvRmT2_T3_mT4_T5_T6_T7_T8_P12ihipStream_tbENKUlT_T0_E_clISt17integral_constantIbLb1EESX_IbLb0EEEEDaST_SU_EUlST_E_NS1_11comp_targetILNS1_3genE3ELNS1_11target_archE908ELNS1_3gpuE7ELNS1_3repE0EEENS1_30default_config_static_selectorELNS0_4arch9wavefront6targetE0EEEvT1_
		.amdhsa_group_segment_fixed_size 0
		.amdhsa_private_segment_fixed_size 0
		.amdhsa_kernarg_size 128
		.amdhsa_user_sgpr_count 2
		.amdhsa_user_sgpr_dispatch_ptr 0
		.amdhsa_user_sgpr_queue_ptr 0
		.amdhsa_user_sgpr_kernarg_segment_ptr 1
		.amdhsa_user_sgpr_dispatch_id 0
		.amdhsa_user_sgpr_kernarg_preload_length 0
		.amdhsa_user_sgpr_kernarg_preload_offset 0
		.amdhsa_user_sgpr_private_segment_size 0
		.amdhsa_wavefront_size32 1
		.amdhsa_uses_dynamic_stack 0
		.amdhsa_enable_private_segment 0
		.amdhsa_system_sgpr_workgroup_id_x 1
		.amdhsa_system_sgpr_workgroup_id_y 0
		.amdhsa_system_sgpr_workgroup_id_z 0
		.amdhsa_system_sgpr_workgroup_info 0
		.amdhsa_system_vgpr_workitem_id 0
		.amdhsa_next_free_vgpr 1
		.amdhsa_next_free_sgpr 1
		.amdhsa_named_barrier_count 0
		.amdhsa_reserve_vcc 0
		.amdhsa_float_round_mode_32 0
		.amdhsa_float_round_mode_16_64 0
		.amdhsa_float_denorm_mode_32 3
		.amdhsa_float_denorm_mode_16_64 3
		.amdhsa_fp16_overflow 0
		.amdhsa_memory_ordered 1
		.amdhsa_forward_progress 1
		.amdhsa_inst_pref_size 0
		.amdhsa_round_robin_scheduling 0
		.amdhsa_exception_fp_ieee_invalid_op 0
		.amdhsa_exception_fp_denorm_src 0
		.amdhsa_exception_fp_ieee_div_zero 0
		.amdhsa_exception_fp_ieee_overflow 0
		.amdhsa_exception_fp_ieee_underflow 0
		.amdhsa_exception_fp_ieee_inexact 0
		.amdhsa_exception_int_div_zero 0
	.end_amdhsa_kernel
	.section	.text._ZN7rocprim17ROCPRIM_400000_NS6detail17trampoline_kernelINS0_14default_configENS1_33run_length_encode_config_selectorIljNS0_4plusIjEEEEZZNS1_33reduce_by_key_impl_wrapped_configILNS1_25lookback_scan_determinismE0ES3_S7_PKlNS0_17constant_iteratorIjlEEPlSE_SE_S6_NS0_8equal_toIlEEEE10hipError_tPvRmT2_T3_mT4_T5_T6_T7_T8_P12ihipStream_tbENKUlT_T0_E_clISt17integral_constantIbLb1EESX_IbLb0EEEEDaST_SU_EUlST_E_NS1_11comp_targetILNS1_3genE3ELNS1_11target_archE908ELNS1_3gpuE7ELNS1_3repE0EEENS1_30default_config_static_selectorELNS0_4arch9wavefront6targetE0EEEvT1_,"axG",@progbits,_ZN7rocprim17ROCPRIM_400000_NS6detail17trampoline_kernelINS0_14default_configENS1_33run_length_encode_config_selectorIljNS0_4plusIjEEEEZZNS1_33reduce_by_key_impl_wrapped_configILNS1_25lookback_scan_determinismE0ES3_S7_PKlNS0_17constant_iteratorIjlEEPlSE_SE_S6_NS0_8equal_toIlEEEE10hipError_tPvRmT2_T3_mT4_T5_T6_T7_T8_P12ihipStream_tbENKUlT_T0_E_clISt17integral_constantIbLb1EESX_IbLb0EEEEDaST_SU_EUlST_E_NS1_11comp_targetILNS1_3genE3ELNS1_11target_archE908ELNS1_3gpuE7ELNS1_3repE0EEENS1_30default_config_static_selectorELNS0_4arch9wavefront6targetE0EEEvT1_,comdat
.Lfunc_end532:
	.size	_ZN7rocprim17ROCPRIM_400000_NS6detail17trampoline_kernelINS0_14default_configENS1_33run_length_encode_config_selectorIljNS0_4plusIjEEEEZZNS1_33reduce_by_key_impl_wrapped_configILNS1_25lookback_scan_determinismE0ES3_S7_PKlNS0_17constant_iteratorIjlEEPlSE_SE_S6_NS0_8equal_toIlEEEE10hipError_tPvRmT2_T3_mT4_T5_T6_T7_T8_P12ihipStream_tbENKUlT_T0_E_clISt17integral_constantIbLb1EESX_IbLb0EEEEDaST_SU_EUlST_E_NS1_11comp_targetILNS1_3genE3ELNS1_11target_archE908ELNS1_3gpuE7ELNS1_3repE0EEENS1_30default_config_static_selectorELNS0_4arch9wavefront6targetE0EEEvT1_, .Lfunc_end532-_ZN7rocprim17ROCPRIM_400000_NS6detail17trampoline_kernelINS0_14default_configENS1_33run_length_encode_config_selectorIljNS0_4plusIjEEEEZZNS1_33reduce_by_key_impl_wrapped_configILNS1_25lookback_scan_determinismE0ES3_S7_PKlNS0_17constant_iteratorIjlEEPlSE_SE_S6_NS0_8equal_toIlEEEE10hipError_tPvRmT2_T3_mT4_T5_T6_T7_T8_P12ihipStream_tbENKUlT_T0_E_clISt17integral_constantIbLb1EESX_IbLb0EEEEDaST_SU_EUlST_E_NS1_11comp_targetILNS1_3genE3ELNS1_11target_archE908ELNS1_3gpuE7ELNS1_3repE0EEENS1_30default_config_static_selectorELNS0_4arch9wavefront6targetE0EEEvT1_
                                        ; -- End function
	.set _ZN7rocprim17ROCPRIM_400000_NS6detail17trampoline_kernelINS0_14default_configENS1_33run_length_encode_config_selectorIljNS0_4plusIjEEEEZZNS1_33reduce_by_key_impl_wrapped_configILNS1_25lookback_scan_determinismE0ES3_S7_PKlNS0_17constant_iteratorIjlEEPlSE_SE_S6_NS0_8equal_toIlEEEE10hipError_tPvRmT2_T3_mT4_T5_T6_T7_T8_P12ihipStream_tbENKUlT_T0_E_clISt17integral_constantIbLb1EESX_IbLb0EEEEDaST_SU_EUlST_E_NS1_11comp_targetILNS1_3genE3ELNS1_11target_archE908ELNS1_3gpuE7ELNS1_3repE0EEENS1_30default_config_static_selectorELNS0_4arch9wavefront6targetE0EEEvT1_.num_vgpr, 0
	.set _ZN7rocprim17ROCPRIM_400000_NS6detail17trampoline_kernelINS0_14default_configENS1_33run_length_encode_config_selectorIljNS0_4plusIjEEEEZZNS1_33reduce_by_key_impl_wrapped_configILNS1_25lookback_scan_determinismE0ES3_S7_PKlNS0_17constant_iteratorIjlEEPlSE_SE_S6_NS0_8equal_toIlEEEE10hipError_tPvRmT2_T3_mT4_T5_T6_T7_T8_P12ihipStream_tbENKUlT_T0_E_clISt17integral_constantIbLb1EESX_IbLb0EEEEDaST_SU_EUlST_E_NS1_11comp_targetILNS1_3genE3ELNS1_11target_archE908ELNS1_3gpuE7ELNS1_3repE0EEENS1_30default_config_static_selectorELNS0_4arch9wavefront6targetE0EEEvT1_.num_agpr, 0
	.set _ZN7rocprim17ROCPRIM_400000_NS6detail17trampoline_kernelINS0_14default_configENS1_33run_length_encode_config_selectorIljNS0_4plusIjEEEEZZNS1_33reduce_by_key_impl_wrapped_configILNS1_25lookback_scan_determinismE0ES3_S7_PKlNS0_17constant_iteratorIjlEEPlSE_SE_S6_NS0_8equal_toIlEEEE10hipError_tPvRmT2_T3_mT4_T5_T6_T7_T8_P12ihipStream_tbENKUlT_T0_E_clISt17integral_constantIbLb1EESX_IbLb0EEEEDaST_SU_EUlST_E_NS1_11comp_targetILNS1_3genE3ELNS1_11target_archE908ELNS1_3gpuE7ELNS1_3repE0EEENS1_30default_config_static_selectorELNS0_4arch9wavefront6targetE0EEEvT1_.numbered_sgpr, 0
	.set _ZN7rocprim17ROCPRIM_400000_NS6detail17trampoline_kernelINS0_14default_configENS1_33run_length_encode_config_selectorIljNS0_4plusIjEEEEZZNS1_33reduce_by_key_impl_wrapped_configILNS1_25lookback_scan_determinismE0ES3_S7_PKlNS0_17constant_iteratorIjlEEPlSE_SE_S6_NS0_8equal_toIlEEEE10hipError_tPvRmT2_T3_mT4_T5_T6_T7_T8_P12ihipStream_tbENKUlT_T0_E_clISt17integral_constantIbLb1EESX_IbLb0EEEEDaST_SU_EUlST_E_NS1_11comp_targetILNS1_3genE3ELNS1_11target_archE908ELNS1_3gpuE7ELNS1_3repE0EEENS1_30default_config_static_selectorELNS0_4arch9wavefront6targetE0EEEvT1_.num_named_barrier, 0
	.set _ZN7rocprim17ROCPRIM_400000_NS6detail17trampoline_kernelINS0_14default_configENS1_33run_length_encode_config_selectorIljNS0_4plusIjEEEEZZNS1_33reduce_by_key_impl_wrapped_configILNS1_25lookback_scan_determinismE0ES3_S7_PKlNS0_17constant_iteratorIjlEEPlSE_SE_S6_NS0_8equal_toIlEEEE10hipError_tPvRmT2_T3_mT4_T5_T6_T7_T8_P12ihipStream_tbENKUlT_T0_E_clISt17integral_constantIbLb1EESX_IbLb0EEEEDaST_SU_EUlST_E_NS1_11comp_targetILNS1_3genE3ELNS1_11target_archE908ELNS1_3gpuE7ELNS1_3repE0EEENS1_30default_config_static_selectorELNS0_4arch9wavefront6targetE0EEEvT1_.private_seg_size, 0
	.set _ZN7rocprim17ROCPRIM_400000_NS6detail17trampoline_kernelINS0_14default_configENS1_33run_length_encode_config_selectorIljNS0_4plusIjEEEEZZNS1_33reduce_by_key_impl_wrapped_configILNS1_25lookback_scan_determinismE0ES3_S7_PKlNS0_17constant_iteratorIjlEEPlSE_SE_S6_NS0_8equal_toIlEEEE10hipError_tPvRmT2_T3_mT4_T5_T6_T7_T8_P12ihipStream_tbENKUlT_T0_E_clISt17integral_constantIbLb1EESX_IbLb0EEEEDaST_SU_EUlST_E_NS1_11comp_targetILNS1_3genE3ELNS1_11target_archE908ELNS1_3gpuE7ELNS1_3repE0EEENS1_30default_config_static_selectorELNS0_4arch9wavefront6targetE0EEEvT1_.uses_vcc, 0
	.set _ZN7rocprim17ROCPRIM_400000_NS6detail17trampoline_kernelINS0_14default_configENS1_33run_length_encode_config_selectorIljNS0_4plusIjEEEEZZNS1_33reduce_by_key_impl_wrapped_configILNS1_25lookback_scan_determinismE0ES3_S7_PKlNS0_17constant_iteratorIjlEEPlSE_SE_S6_NS0_8equal_toIlEEEE10hipError_tPvRmT2_T3_mT4_T5_T6_T7_T8_P12ihipStream_tbENKUlT_T0_E_clISt17integral_constantIbLb1EESX_IbLb0EEEEDaST_SU_EUlST_E_NS1_11comp_targetILNS1_3genE3ELNS1_11target_archE908ELNS1_3gpuE7ELNS1_3repE0EEENS1_30default_config_static_selectorELNS0_4arch9wavefront6targetE0EEEvT1_.uses_flat_scratch, 0
	.set _ZN7rocprim17ROCPRIM_400000_NS6detail17trampoline_kernelINS0_14default_configENS1_33run_length_encode_config_selectorIljNS0_4plusIjEEEEZZNS1_33reduce_by_key_impl_wrapped_configILNS1_25lookback_scan_determinismE0ES3_S7_PKlNS0_17constant_iteratorIjlEEPlSE_SE_S6_NS0_8equal_toIlEEEE10hipError_tPvRmT2_T3_mT4_T5_T6_T7_T8_P12ihipStream_tbENKUlT_T0_E_clISt17integral_constantIbLb1EESX_IbLb0EEEEDaST_SU_EUlST_E_NS1_11comp_targetILNS1_3genE3ELNS1_11target_archE908ELNS1_3gpuE7ELNS1_3repE0EEENS1_30default_config_static_selectorELNS0_4arch9wavefront6targetE0EEEvT1_.has_dyn_sized_stack, 0
	.set _ZN7rocprim17ROCPRIM_400000_NS6detail17trampoline_kernelINS0_14default_configENS1_33run_length_encode_config_selectorIljNS0_4plusIjEEEEZZNS1_33reduce_by_key_impl_wrapped_configILNS1_25lookback_scan_determinismE0ES3_S7_PKlNS0_17constant_iteratorIjlEEPlSE_SE_S6_NS0_8equal_toIlEEEE10hipError_tPvRmT2_T3_mT4_T5_T6_T7_T8_P12ihipStream_tbENKUlT_T0_E_clISt17integral_constantIbLb1EESX_IbLb0EEEEDaST_SU_EUlST_E_NS1_11comp_targetILNS1_3genE3ELNS1_11target_archE908ELNS1_3gpuE7ELNS1_3repE0EEENS1_30default_config_static_selectorELNS0_4arch9wavefront6targetE0EEEvT1_.has_recursion, 0
	.set _ZN7rocprim17ROCPRIM_400000_NS6detail17trampoline_kernelINS0_14default_configENS1_33run_length_encode_config_selectorIljNS0_4plusIjEEEEZZNS1_33reduce_by_key_impl_wrapped_configILNS1_25lookback_scan_determinismE0ES3_S7_PKlNS0_17constant_iteratorIjlEEPlSE_SE_S6_NS0_8equal_toIlEEEE10hipError_tPvRmT2_T3_mT4_T5_T6_T7_T8_P12ihipStream_tbENKUlT_T0_E_clISt17integral_constantIbLb1EESX_IbLb0EEEEDaST_SU_EUlST_E_NS1_11comp_targetILNS1_3genE3ELNS1_11target_archE908ELNS1_3gpuE7ELNS1_3repE0EEENS1_30default_config_static_selectorELNS0_4arch9wavefront6targetE0EEEvT1_.has_indirect_call, 0
	.section	.AMDGPU.csdata,"",@progbits
; Kernel info:
; codeLenInByte = 0
; TotalNumSgprs: 0
; NumVgprs: 0
; ScratchSize: 0
; MemoryBound: 0
; FloatMode: 240
; IeeeMode: 1
; LDSByteSize: 0 bytes/workgroup (compile time only)
; SGPRBlocks: 0
; VGPRBlocks: 0
; NumSGPRsForWavesPerEU: 1
; NumVGPRsForWavesPerEU: 1
; NamedBarCnt: 0
; Occupancy: 16
; WaveLimiterHint : 0
; COMPUTE_PGM_RSRC2:SCRATCH_EN: 0
; COMPUTE_PGM_RSRC2:USER_SGPR: 2
; COMPUTE_PGM_RSRC2:TRAP_HANDLER: 0
; COMPUTE_PGM_RSRC2:TGID_X_EN: 1
; COMPUTE_PGM_RSRC2:TGID_Y_EN: 0
; COMPUTE_PGM_RSRC2:TGID_Z_EN: 0
; COMPUTE_PGM_RSRC2:TIDIG_COMP_CNT: 0
	.section	.text._ZN7rocprim17ROCPRIM_400000_NS6detail17trampoline_kernelINS0_14default_configENS1_33run_length_encode_config_selectorIljNS0_4plusIjEEEEZZNS1_33reduce_by_key_impl_wrapped_configILNS1_25lookback_scan_determinismE0ES3_S7_PKlNS0_17constant_iteratorIjlEEPlSE_SE_S6_NS0_8equal_toIlEEEE10hipError_tPvRmT2_T3_mT4_T5_T6_T7_T8_P12ihipStream_tbENKUlT_T0_E_clISt17integral_constantIbLb1EESX_IbLb0EEEEDaST_SU_EUlST_E_NS1_11comp_targetILNS1_3genE2ELNS1_11target_archE906ELNS1_3gpuE6ELNS1_3repE0EEENS1_30default_config_static_selectorELNS0_4arch9wavefront6targetE0EEEvT1_,"axG",@progbits,_ZN7rocprim17ROCPRIM_400000_NS6detail17trampoline_kernelINS0_14default_configENS1_33run_length_encode_config_selectorIljNS0_4plusIjEEEEZZNS1_33reduce_by_key_impl_wrapped_configILNS1_25lookback_scan_determinismE0ES3_S7_PKlNS0_17constant_iteratorIjlEEPlSE_SE_S6_NS0_8equal_toIlEEEE10hipError_tPvRmT2_T3_mT4_T5_T6_T7_T8_P12ihipStream_tbENKUlT_T0_E_clISt17integral_constantIbLb1EESX_IbLb0EEEEDaST_SU_EUlST_E_NS1_11comp_targetILNS1_3genE2ELNS1_11target_archE906ELNS1_3gpuE6ELNS1_3repE0EEENS1_30default_config_static_selectorELNS0_4arch9wavefront6targetE0EEEvT1_,comdat
	.protected	_ZN7rocprim17ROCPRIM_400000_NS6detail17trampoline_kernelINS0_14default_configENS1_33run_length_encode_config_selectorIljNS0_4plusIjEEEEZZNS1_33reduce_by_key_impl_wrapped_configILNS1_25lookback_scan_determinismE0ES3_S7_PKlNS0_17constant_iteratorIjlEEPlSE_SE_S6_NS0_8equal_toIlEEEE10hipError_tPvRmT2_T3_mT4_T5_T6_T7_T8_P12ihipStream_tbENKUlT_T0_E_clISt17integral_constantIbLb1EESX_IbLb0EEEEDaST_SU_EUlST_E_NS1_11comp_targetILNS1_3genE2ELNS1_11target_archE906ELNS1_3gpuE6ELNS1_3repE0EEENS1_30default_config_static_selectorELNS0_4arch9wavefront6targetE0EEEvT1_ ; -- Begin function _ZN7rocprim17ROCPRIM_400000_NS6detail17trampoline_kernelINS0_14default_configENS1_33run_length_encode_config_selectorIljNS0_4plusIjEEEEZZNS1_33reduce_by_key_impl_wrapped_configILNS1_25lookback_scan_determinismE0ES3_S7_PKlNS0_17constant_iteratorIjlEEPlSE_SE_S6_NS0_8equal_toIlEEEE10hipError_tPvRmT2_T3_mT4_T5_T6_T7_T8_P12ihipStream_tbENKUlT_T0_E_clISt17integral_constantIbLb1EESX_IbLb0EEEEDaST_SU_EUlST_E_NS1_11comp_targetILNS1_3genE2ELNS1_11target_archE906ELNS1_3gpuE6ELNS1_3repE0EEENS1_30default_config_static_selectorELNS0_4arch9wavefront6targetE0EEEvT1_
	.globl	_ZN7rocprim17ROCPRIM_400000_NS6detail17trampoline_kernelINS0_14default_configENS1_33run_length_encode_config_selectorIljNS0_4plusIjEEEEZZNS1_33reduce_by_key_impl_wrapped_configILNS1_25lookback_scan_determinismE0ES3_S7_PKlNS0_17constant_iteratorIjlEEPlSE_SE_S6_NS0_8equal_toIlEEEE10hipError_tPvRmT2_T3_mT4_T5_T6_T7_T8_P12ihipStream_tbENKUlT_T0_E_clISt17integral_constantIbLb1EESX_IbLb0EEEEDaST_SU_EUlST_E_NS1_11comp_targetILNS1_3genE2ELNS1_11target_archE906ELNS1_3gpuE6ELNS1_3repE0EEENS1_30default_config_static_selectorELNS0_4arch9wavefront6targetE0EEEvT1_
	.p2align	8
	.type	_ZN7rocprim17ROCPRIM_400000_NS6detail17trampoline_kernelINS0_14default_configENS1_33run_length_encode_config_selectorIljNS0_4plusIjEEEEZZNS1_33reduce_by_key_impl_wrapped_configILNS1_25lookback_scan_determinismE0ES3_S7_PKlNS0_17constant_iteratorIjlEEPlSE_SE_S6_NS0_8equal_toIlEEEE10hipError_tPvRmT2_T3_mT4_T5_T6_T7_T8_P12ihipStream_tbENKUlT_T0_E_clISt17integral_constantIbLb1EESX_IbLb0EEEEDaST_SU_EUlST_E_NS1_11comp_targetILNS1_3genE2ELNS1_11target_archE906ELNS1_3gpuE6ELNS1_3repE0EEENS1_30default_config_static_selectorELNS0_4arch9wavefront6targetE0EEEvT1_,@function
_ZN7rocprim17ROCPRIM_400000_NS6detail17trampoline_kernelINS0_14default_configENS1_33run_length_encode_config_selectorIljNS0_4plusIjEEEEZZNS1_33reduce_by_key_impl_wrapped_configILNS1_25lookback_scan_determinismE0ES3_S7_PKlNS0_17constant_iteratorIjlEEPlSE_SE_S6_NS0_8equal_toIlEEEE10hipError_tPvRmT2_T3_mT4_T5_T6_T7_T8_P12ihipStream_tbENKUlT_T0_E_clISt17integral_constantIbLb1EESX_IbLb0EEEEDaST_SU_EUlST_E_NS1_11comp_targetILNS1_3genE2ELNS1_11target_archE906ELNS1_3gpuE6ELNS1_3repE0EEENS1_30default_config_static_selectorELNS0_4arch9wavefront6targetE0EEEvT1_: ; @_ZN7rocprim17ROCPRIM_400000_NS6detail17trampoline_kernelINS0_14default_configENS1_33run_length_encode_config_selectorIljNS0_4plusIjEEEEZZNS1_33reduce_by_key_impl_wrapped_configILNS1_25lookback_scan_determinismE0ES3_S7_PKlNS0_17constant_iteratorIjlEEPlSE_SE_S6_NS0_8equal_toIlEEEE10hipError_tPvRmT2_T3_mT4_T5_T6_T7_T8_P12ihipStream_tbENKUlT_T0_E_clISt17integral_constantIbLb1EESX_IbLb0EEEEDaST_SU_EUlST_E_NS1_11comp_targetILNS1_3genE2ELNS1_11target_archE906ELNS1_3gpuE6ELNS1_3repE0EEENS1_30default_config_static_selectorELNS0_4arch9wavefront6targetE0EEEvT1_
; %bb.0:
	.section	.rodata,"a",@progbits
	.p2align	6, 0x0
	.amdhsa_kernel _ZN7rocprim17ROCPRIM_400000_NS6detail17trampoline_kernelINS0_14default_configENS1_33run_length_encode_config_selectorIljNS0_4plusIjEEEEZZNS1_33reduce_by_key_impl_wrapped_configILNS1_25lookback_scan_determinismE0ES3_S7_PKlNS0_17constant_iteratorIjlEEPlSE_SE_S6_NS0_8equal_toIlEEEE10hipError_tPvRmT2_T3_mT4_T5_T6_T7_T8_P12ihipStream_tbENKUlT_T0_E_clISt17integral_constantIbLb1EESX_IbLb0EEEEDaST_SU_EUlST_E_NS1_11comp_targetILNS1_3genE2ELNS1_11target_archE906ELNS1_3gpuE6ELNS1_3repE0EEENS1_30default_config_static_selectorELNS0_4arch9wavefront6targetE0EEEvT1_
		.amdhsa_group_segment_fixed_size 0
		.amdhsa_private_segment_fixed_size 0
		.amdhsa_kernarg_size 128
		.amdhsa_user_sgpr_count 2
		.amdhsa_user_sgpr_dispatch_ptr 0
		.amdhsa_user_sgpr_queue_ptr 0
		.amdhsa_user_sgpr_kernarg_segment_ptr 1
		.amdhsa_user_sgpr_dispatch_id 0
		.amdhsa_user_sgpr_kernarg_preload_length 0
		.amdhsa_user_sgpr_kernarg_preload_offset 0
		.amdhsa_user_sgpr_private_segment_size 0
		.amdhsa_wavefront_size32 1
		.amdhsa_uses_dynamic_stack 0
		.amdhsa_enable_private_segment 0
		.amdhsa_system_sgpr_workgroup_id_x 1
		.amdhsa_system_sgpr_workgroup_id_y 0
		.amdhsa_system_sgpr_workgroup_id_z 0
		.amdhsa_system_sgpr_workgroup_info 0
		.amdhsa_system_vgpr_workitem_id 0
		.amdhsa_next_free_vgpr 1
		.amdhsa_next_free_sgpr 1
		.amdhsa_named_barrier_count 0
		.amdhsa_reserve_vcc 0
		.amdhsa_float_round_mode_32 0
		.amdhsa_float_round_mode_16_64 0
		.amdhsa_float_denorm_mode_32 3
		.amdhsa_float_denorm_mode_16_64 3
		.amdhsa_fp16_overflow 0
		.amdhsa_memory_ordered 1
		.amdhsa_forward_progress 1
		.amdhsa_inst_pref_size 0
		.amdhsa_round_robin_scheduling 0
		.amdhsa_exception_fp_ieee_invalid_op 0
		.amdhsa_exception_fp_denorm_src 0
		.amdhsa_exception_fp_ieee_div_zero 0
		.amdhsa_exception_fp_ieee_overflow 0
		.amdhsa_exception_fp_ieee_underflow 0
		.amdhsa_exception_fp_ieee_inexact 0
		.amdhsa_exception_int_div_zero 0
	.end_amdhsa_kernel
	.section	.text._ZN7rocprim17ROCPRIM_400000_NS6detail17trampoline_kernelINS0_14default_configENS1_33run_length_encode_config_selectorIljNS0_4plusIjEEEEZZNS1_33reduce_by_key_impl_wrapped_configILNS1_25lookback_scan_determinismE0ES3_S7_PKlNS0_17constant_iteratorIjlEEPlSE_SE_S6_NS0_8equal_toIlEEEE10hipError_tPvRmT2_T3_mT4_T5_T6_T7_T8_P12ihipStream_tbENKUlT_T0_E_clISt17integral_constantIbLb1EESX_IbLb0EEEEDaST_SU_EUlST_E_NS1_11comp_targetILNS1_3genE2ELNS1_11target_archE906ELNS1_3gpuE6ELNS1_3repE0EEENS1_30default_config_static_selectorELNS0_4arch9wavefront6targetE0EEEvT1_,"axG",@progbits,_ZN7rocprim17ROCPRIM_400000_NS6detail17trampoline_kernelINS0_14default_configENS1_33run_length_encode_config_selectorIljNS0_4plusIjEEEEZZNS1_33reduce_by_key_impl_wrapped_configILNS1_25lookback_scan_determinismE0ES3_S7_PKlNS0_17constant_iteratorIjlEEPlSE_SE_S6_NS0_8equal_toIlEEEE10hipError_tPvRmT2_T3_mT4_T5_T6_T7_T8_P12ihipStream_tbENKUlT_T0_E_clISt17integral_constantIbLb1EESX_IbLb0EEEEDaST_SU_EUlST_E_NS1_11comp_targetILNS1_3genE2ELNS1_11target_archE906ELNS1_3gpuE6ELNS1_3repE0EEENS1_30default_config_static_selectorELNS0_4arch9wavefront6targetE0EEEvT1_,comdat
.Lfunc_end533:
	.size	_ZN7rocprim17ROCPRIM_400000_NS6detail17trampoline_kernelINS0_14default_configENS1_33run_length_encode_config_selectorIljNS0_4plusIjEEEEZZNS1_33reduce_by_key_impl_wrapped_configILNS1_25lookback_scan_determinismE0ES3_S7_PKlNS0_17constant_iteratorIjlEEPlSE_SE_S6_NS0_8equal_toIlEEEE10hipError_tPvRmT2_T3_mT4_T5_T6_T7_T8_P12ihipStream_tbENKUlT_T0_E_clISt17integral_constantIbLb1EESX_IbLb0EEEEDaST_SU_EUlST_E_NS1_11comp_targetILNS1_3genE2ELNS1_11target_archE906ELNS1_3gpuE6ELNS1_3repE0EEENS1_30default_config_static_selectorELNS0_4arch9wavefront6targetE0EEEvT1_, .Lfunc_end533-_ZN7rocprim17ROCPRIM_400000_NS6detail17trampoline_kernelINS0_14default_configENS1_33run_length_encode_config_selectorIljNS0_4plusIjEEEEZZNS1_33reduce_by_key_impl_wrapped_configILNS1_25lookback_scan_determinismE0ES3_S7_PKlNS0_17constant_iteratorIjlEEPlSE_SE_S6_NS0_8equal_toIlEEEE10hipError_tPvRmT2_T3_mT4_T5_T6_T7_T8_P12ihipStream_tbENKUlT_T0_E_clISt17integral_constantIbLb1EESX_IbLb0EEEEDaST_SU_EUlST_E_NS1_11comp_targetILNS1_3genE2ELNS1_11target_archE906ELNS1_3gpuE6ELNS1_3repE0EEENS1_30default_config_static_selectorELNS0_4arch9wavefront6targetE0EEEvT1_
                                        ; -- End function
	.set _ZN7rocprim17ROCPRIM_400000_NS6detail17trampoline_kernelINS0_14default_configENS1_33run_length_encode_config_selectorIljNS0_4plusIjEEEEZZNS1_33reduce_by_key_impl_wrapped_configILNS1_25lookback_scan_determinismE0ES3_S7_PKlNS0_17constant_iteratorIjlEEPlSE_SE_S6_NS0_8equal_toIlEEEE10hipError_tPvRmT2_T3_mT4_T5_T6_T7_T8_P12ihipStream_tbENKUlT_T0_E_clISt17integral_constantIbLb1EESX_IbLb0EEEEDaST_SU_EUlST_E_NS1_11comp_targetILNS1_3genE2ELNS1_11target_archE906ELNS1_3gpuE6ELNS1_3repE0EEENS1_30default_config_static_selectorELNS0_4arch9wavefront6targetE0EEEvT1_.num_vgpr, 0
	.set _ZN7rocprim17ROCPRIM_400000_NS6detail17trampoline_kernelINS0_14default_configENS1_33run_length_encode_config_selectorIljNS0_4plusIjEEEEZZNS1_33reduce_by_key_impl_wrapped_configILNS1_25lookback_scan_determinismE0ES3_S7_PKlNS0_17constant_iteratorIjlEEPlSE_SE_S6_NS0_8equal_toIlEEEE10hipError_tPvRmT2_T3_mT4_T5_T6_T7_T8_P12ihipStream_tbENKUlT_T0_E_clISt17integral_constantIbLb1EESX_IbLb0EEEEDaST_SU_EUlST_E_NS1_11comp_targetILNS1_3genE2ELNS1_11target_archE906ELNS1_3gpuE6ELNS1_3repE0EEENS1_30default_config_static_selectorELNS0_4arch9wavefront6targetE0EEEvT1_.num_agpr, 0
	.set _ZN7rocprim17ROCPRIM_400000_NS6detail17trampoline_kernelINS0_14default_configENS1_33run_length_encode_config_selectorIljNS0_4plusIjEEEEZZNS1_33reduce_by_key_impl_wrapped_configILNS1_25lookback_scan_determinismE0ES3_S7_PKlNS0_17constant_iteratorIjlEEPlSE_SE_S6_NS0_8equal_toIlEEEE10hipError_tPvRmT2_T3_mT4_T5_T6_T7_T8_P12ihipStream_tbENKUlT_T0_E_clISt17integral_constantIbLb1EESX_IbLb0EEEEDaST_SU_EUlST_E_NS1_11comp_targetILNS1_3genE2ELNS1_11target_archE906ELNS1_3gpuE6ELNS1_3repE0EEENS1_30default_config_static_selectorELNS0_4arch9wavefront6targetE0EEEvT1_.numbered_sgpr, 0
	.set _ZN7rocprim17ROCPRIM_400000_NS6detail17trampoline_kernelINS0_14default_configENS1_33run_length_encode_config_selectorIljNS0_4plusIjEEEEZZNS1_33reduce_by_key_impl_wrapped_configILNS1_25lookback_scan_determinismE0ES3_S7_PKlNS0_17constant_iteratorIjlEEPlSE_SE_S6_NS0_8equal_toIlEEEE10hipError_tPvRmT2_T3_mT4_T5_T6_T7_T8_P12ihipStream_tbENKUlT_T0_E_clISt17integral_constantIbLb1EESX_IbLb0EEEEDaST_SU_EUlST_E_NS1_11comp_targetILNS1_3genE2ELNS1_11target_archE906ELNS1_3gpuE6ELNS1_3repE0EEENS1_30default_config_static_selectorELNS0_4arch9wavefront6targetE0EEEvT1_.num_named_barrier, 0
	.set _ZN7rocprim17ROCPRIM_400000_NS6detail17trampoline_kernelINS0_14default_configENS1_33run_length_encode_config_selectorIljNS0_4plusIjEEEEZZNS1_33reduce_by_key_impl_wrapped_configILNS1_25lookback_scan_determinismE0ES3_S7_PKlNS0_17constant_iteratorIjlEEPlSE_SE_S6_NS0_8equal_toIlEEEE10hipError_tPvRmT2_T3_mT4_T5_T6_T7_T8_P12ihipStream_tbENKUlT_T0_E_clISt17integral_constantIbLb1EESX_IbLb0EEEEDaST_SU_EUlST_E_NS1_11comp_targetILNS1_3genE2ELNS1_11target_archE906ELNS1_3gpuE6ELNS1_3repE0EEENS1_30default_config_static_selectorELNS0_4arch9wavefront6targetE0EEEvT1_.private_seg_size, 0
	.set _ZN7rocprim17ROCPRIM_400000_NS6detail17trampoline_kernelINS0_14default_configENS1_33run_length_encode_config_selectorIljNS0_4plusIjEEEEZZNS1_33reduce_by_key_impl_wrapped_configILNS1_25lookback_scan_determinismE0ES3_S7_PKlNS0_17constant_iteratorIjlEEPlSE_SE_S6_NS0_8equal_toIlEEEE10hipError_tPvRmT2_T3_mT4_T5_T6_T7_T8_P12ihipStream_tbENKUlT_T0_E_clISt17integral_constantIbLb1EESX_IbLb0EEEEDaST_SU_EUlST_E_NS1_11comp_targetILNS1_3genE2ELNS1_11target_archE906ELNS1_3gpuE6ELNS1_3repE0EEENS1_30default_config_static_selectorELNS0_4arch9wavefront6targetE0EEEvT1_.uses_vcc, 0
	.set _ZN7rocprim17ROCPRIM_400000_NS6detail17trampoline_kernelINS0_14default_configENS1_33run_length_encode_config_selectorIljNS0_4plusIjEEEEZZNS1_33reduce_by_key_impl_wrapped_configILNS1_25lookback_scan_determinismE0ES3_S7_PKlNS0_17constant_iteratorIjlEEPlSE_SE_S6_NS0_8equal_toIlEEEE10hipError_tPvRmT2_T3_mT4_T5_T6_T7_T8_P12ihipStream_tbENKUlT_T0_E_clISt17integral_constantIbLb1EESX_IbLb0EEEEDaST_SU_EUlST_E_NS1_11comp_targetILNS1_3genE2ELNS1_11target_archE906ELNS1_3gpuE6ELNS1_3repE0EEENS1_30default_config_static_selectorELNS0_4arch9wavefront6targetE0EEEvT1_.uses_flat_scratch, 0
	.set _ZN7rocprim17ROCPRIM_400000_NS6detail17trampoline_kernelINS0_14default_configENS1_33run_length_encode_config_selectorIljNS0_4plusIjEEEEZZNS1_33reduce_by_key_impl_wrapped_configILNS1_25lookback_scan_determinismE0ES3_S7_PKlNS0_17constant_iteratorIjlEEPlSE_SE_S6_NS0_8equal_toIlEEEE10hipError_tPvRmT2_T3_mT4_T5_T6_T7_T8_P12ihipStream_tbENKUlT_T0_E_clISt17integral_constantIbLb1EESX_IbLb0EEEEDaST_SU_EUlST_E_NS1_11comp_targetILNS1_3genE2ELNS1_11target_archE906ELNS1_3gpuE6ELNS1_3repE0EEENS1_30default_config_static_selectorELNS0_4arch9wavefront6targetE0EEEvT1_.has_dyn_sized_stack, 0
	.set _ZN7rocprim17ROCPRIM_400000_NS6detail17trampoline_kernelINS0_14default_configENS1_33run_length_encode_config_selectorIljNS0_4plusIjEEEEZZNS1_33reduce_by_key_impl_wrapped_configILNS1_25lookback_scan_determinismE0ES3_S7_PKlNS0_17constant_iteratorIjlEEPlSE_SE_S6_NS0_8equal_toIlEEEE10hipError_tPvRmT2_T3_mT4_T5_T6_T7_T8_P12ihipStream_tbENKUlT_T0_E_clISt17integral_constantIbLb1EESX_IbLb0EEEEDaST_SU_EUlST_E_NS1_11comp_targetILNS1_3genE2ELNS1_11target_archE906ELNS1_3gpuE6ELNS1_3repE0EEENS1_30default_config_static_selectorELNS0_4arch9wavefront6targetE0EEEvT1_.has_recursion, 0
	.set _ZN7rocprim17ROCPRIM_400000_NS6detail17trampoline_kernelINS0_14default_configENS1_33run_length_encode_config_selectorIljNS0_4plusIjEEEEZZNS1_33reduce_by_key_impl_wrapped_configILNS1_25lookback_scan_determinismE0ES3_S7_PKlNS0_17constant_iteratorIjlEEPlSE_SE_S6_NS0_8equal_toIlEEEE10hipError_tPvRmT2_T3_mT4_T5_T6_T7_T8_P12ihipStream_tbENKUlT_T0_E_clISt17integral_constantIbLb1EESX_IbLb0EEEEDaST_SU_EUlST_E_NS1_11comp_targetILNS1_3genE2ELNS1_11target_archE906ELNS1_3gpuE6ELNS1_3repE0EEENS1_30default_config_static_selectorELNS0_4arch9wavefront6targetE0EEEvT1_.has_indirect_call, 0
	.section	.AMDGPU.csdata,"",@progbits
; Kernel info:
; codeLenInByte = 0
; TotalNumSgprs: 0
; NumVgprs: 0
; ScratchSize: 0
; MemoryBound: 0
; FloatMode: 240
; IeeeMode: 1
; LDSByteSize: 0 bytes/workgroup (compile time only)
; SGPRBlocks: 0
; VGPRBlocks: 0
; NumSGPRsForWavesPerEU: 1
; NumVGPRsForWavesPerEU: 1
; NamedBarCnt: 0
; Occupancy: 16
; WaveLimiterHint : 0
; COMPUTE_PGM_RSRC2:SCRATCH_EN: 0
; COMPUTE_PGM_RSRC2:USER_SGPR: 2
; COMPUTE_PGM_RSRC2:TRAP_HANDLER: 0
; COMPUTE_PGM_RSRC2:TGID_X_EN: 1
; COMPUTE_PGM_RSRC2:TGID_Y_EN: 0
; COMPUTE_PGM_RSRC2:TGID_Z_EN: 0
; COMPUTE_PGM_RSRC2:TIDIG_COMP_CNT: 0
	.section	.text._ZN7rocprim17ROCPRIM_400000_NS6detail17trampoline_kernelINS0_14default_configENS1_33run_length_encode_config_selectorIljNS0_4plusIjEEEEZZNS1_33reduce_by_key_impl_wrapped_configILNS1_25lookback_scan_determinismE0ES3_S7_PKlNS0_17constant_iteratorIjlEEPlSE_SE_S6_NS0_8equal_toIlEEEE10hipError_tPvRmT2_T3_mT4_T5_T6_T7_T8_P12ihipStream_tbENKUlT_T0_E_clISt17integral_constantIbLb1EESX_IbLb0EEEEDaST_SU_EUlST_E_NS1_11comp_targetILNS1_3genE10ELNS1_11target_archE1201ELNS1_3gpuE5ELNS1_3repE0EEENS1_30default_config_static_selectorELNS0_4arch9wavefront6targetE0EEEvT1_,"axG",@progbits,_ZN7rocprim17ROCPRIM_400000_NS6detail17trampoline_kernelINS0_14default_configENS1_33run_length_encode_config_selectorIljNS0_4plusIjEEEEZZNS1_33reduce_by_key_impl_wrapped_configILNS1_25lookback_scan_determinismE0ES3_S7_PKlNS0_17constant_iteratorIjlEEPlSE_SE_S6_NS0_8equal_toIlEEEE10hipError_tPvRmT2_T3_mT4_T5_T6_T7_T8_P12ihipStream_tbENKUlT_T0_E_clISt17integral_constantIbLb1EESX_IbLb0EEEEDaST_SU_EUlST_E_NS1_11comp_targetILNS1_3genE10ELNS1_11target_archE1201ELNS1_3gpuE5ELNS1_3repE0EEENS1_30default_config_static_selectorELNS0_4arch9wavefront6targetE0EEEvT1_,comdat
	.protected	_ZN7rocprim17ROCPRIM_400000_NS6detail17trampoline_kernelINS0_14default_configENS1_33run_length_encode_config_selectorIljNS0_4plusIjEEEEZZNS1_33reduce_by_key_impl_wrapped_configILNS1_25lookback_scan_determinismE0ES3_S7_PKlNS0_17constant_iteratorIjlEEPlSE_SE_S6_NS0_8equal_toIlEEEE10hipError_tPvRmT2_T3_mT4_T5_T6_T7_T8_P12ihipStream_tbENKUlT_T0_E_clISt17integral_constantIbLb1EESX_IbLb0EEEEDaST_SU_EUlST_E_NS1_11comp_targetILNS1_3genE10ELNS1_11target_archE1201ELNS1_3gpuE5ELNS1_3repE0EEENS1_30default_config_static_selectorELNS0_4arch9wavefront6targetE0EEEvT1_ ; -- Begin function _ZN7rocprim17ROCPRIM_400000_NS6detail17trampoline_kernelINS0_14default_configENS1_33run_length_encode_config_selectorIljNS0_4plusIjEEEEZZNS1_33reduce_by_key_impl_wrapped_configILNS1_25lookback_scan_determinismE0ES3_S7_PKlNS0_17constant_iteratorIjlEEPlSE_SE_S6_NS0_8equal_toIlEEEE10hipError_tPvRmT2_T3_mT4_T5_T6_T7_T8_P12ihipStream_tbENKUlT_T0_E_clISt17integral_constantIbLb1EESX_IbLb0EEEEDaST_SU_EUlST_E_NS1_11comp_targetILNS1_3genE10ELNS1_11target_archE1201ELNS1_3gpuE5ELNS1_3repE0EEENS1_30default_config_static_selectorELNS0_4arch9wavefront6targetE0EEEvT1_
	.globl	_ZN7rocprim17ROCPRIM_400000_NS6detail17trampoline_kernelINS0_14default_configENS1_33run_length_encode_config_selectorIljNS0_4plusIjEEEEZZNS1_33reduce_by_key_impl_wrapped_configILNS1_25lookback_scan_determinismE0ES3_S7_PKlNS0_17constant_iteratorIjlEEPlSE_SE_S6_NS0_8equal_toIlEEEE10hipError_tPvRmT2_T3_mT4_T5_T6_T7_T8_P12ihipStream_tbENKUlT_T0_E_clISt17integral_constantIbLb1EESX_IbLb0EEEEDaST_SU_EUlST_E_NS1_11comp_targetILNS1_3genE10ELNS1_11target_archE1201ELNS1_3gpuE5ELNS1_3repE0EEENS1_30default_config_static_selectorELNS0_4arch9wavefront6targetE0EEEvT1_
	.p2align	8
	.type	_ZN7rocprim17ROCPRIM_400000_NS6detail17trampoline_kernelINS0_14default_configENS1_33run_length_encode_config_selectorIljNS0_4plusIjEEEEZZNS1_33reduce_by_key_impl_wrapped_configILNS1_25lookback_scan_determinismE0ES3_S7_PKlNS0_17constant_iteratorIjlEEPlSE_SE_S6_NS0_8equal_toIlEEEE10hipError_tPvRmT2_T3_mT4_T5_T6_T7_T8_P12ihipStream_tbENKUlT_T0_E_clISt17integral_constantIbLb1EESX_IbLb0EEEEDaST_SU_EUlST_E_NS1_11comp_targetILNS1_3genE10ELNS1_11target_archE1201ELNS1_3gpuE5ELNS1_3repE0EEENS1_30default_config_static_selectorELNS0_4arch9wavefront6targetE0EEEvT1_,@function
_ZN7rocprim17ROCPRIM_400000_NS6detail17trampoline_kernelINS0_14default_configENS1_33run_length_encode_config_selectorIljNS0_4plusIjEEEEZZNS1_33reduce_by_key_impl_wrapped_configILNS1_25lookback_scan_determinismE0ES3_S7_PKlNS0_17constant_iteratorIjlEEPlSE_SE_S6_NS0_8equal_toIlEEEE10hipError_tPvRmT2_T3_mT4_T5_T6_T7_T8_P12ihipStream_tbENKUlT_T0_E_clISt17integral_constantIbLb1EESX_IbLb0EEEEDaST_SU_EUlST_E_NS1_11comp_targetILNS1_3genE10ELNS1_11target_archE1201ELNS1_3gpuE5ELNS1_3repE0EEENS1_30default_config_static_selectorELNS0_4arch9wavefront6targetE0EEEvT1_: ; @_ZN7rocprim17ROCPRIM_400000_NS6detail17trampoline_kernelINS0_14default_configENS1_33run_length_encode_config_selectorIljNS0_4plusIjEEEEZZNS1_33reduce_by_key_impl_wrapped_configILNS1_25lookback_scan_determinismE0ES3_S7_PKlNS0_17constant_iteratorIjlEEPlSE_SE_S6_NS0_8equal_toIlEEEE10hipError_tPvRmT2_T3_mT4_T5_T6_T7_T8_P12ihipStream_tbENKUlT_T0_E_clISt17integral_constantIbLb1EESX_IbLb0EEEEDaST_SU_EUlST_E_NS1_11comp_targetILNS1_3genE10ELNS1_11target_archE1201ELNS1_3gpuE5ELNS1_3repE0EEENS1_30default_config_static_selectorELNS0_4arch9wavefront6targetE0EEEvT1_
; %bb.0:
	.section	.rodata,"a",@progbits
	.p2align	6, 0x0
	.amdhsa_kernel _ZN7rocprim17ROCPRIM_400000_NS6detail17trampoline_kernelINS0_14default_configENS1_33run_length_encode_config_selectorIljNS0_4plusIjEEEEZZNS1_33reduce_by_key_impl_wrapped_configILNS1_25lookback_scan_determinismE0ES3_S7_PKlNS0_17constant_iteratorIjlEEPlSE_SE_S6_NS0_8equal_toIlEEEE10hipError_tPvRmT2_T3_mT4_T5_T6_T7_T8_P12ihipStream_tbENKUlT_T0_E_clISt17integral_constantIbLb1EESX_IbLb0EEEEDaST_SU_EUlST_E_NS1_11comp_targetILNS1_3genE10ELNS1_11target_archE1201ELNS1_3gpuE5ELNS1_3repE0EEENS1_30default_config_static_selectorELNS0_4arch9wavefront6targetE0EEEvT1_
		.amdhsa_group_segment_fixed_size 0
		.amdhsa_private_segment_fixed_size 0
		.amdhsa_kernarg_size 128
		.amdhsa_user_sgpr_count 2
		.amdhsa_user_sgpr_dispatch_ptr 0
		.amdhsa_user_sgpr_queue_ptr 0
		.amdhsa_user_sgpr_kernarg_segment_ptr 1
		.amdhsa_user_sgpr_dispatch_id 0
		.amdhsa_user_sgpr_kernarg_preload_length 0
		.amdhsa_user_sgpr_kernarg_preload_offset 0
		.amdhsa_user_sgpr_private_segment_size 0
		.amdhsa_wavefront_size32 1
		.amdhsa_uses_dynamic_stack 0
		.amdhsa_enable_private_segment 0
		.amdhsa_system_sgpr_workgroup_id_x 1
		.amdhsa_system_sgpr_workgroup_id_y 0
		.amdhsa_system_sgpr_workgroup_id_z 0
		.amdhsa_system_sgpr_workgroup_info 0
		.amdhsa_system_vgpr_workitem_id 0
		.amdhsa_next_free_vgpr 1
		.amdhsa_next_free_sgpr 1
		.amdhsa_named_barrier_count 0
		.amdhsa_reserve_vcc 0
		.amdhsa_float_round_mode_32 0
		.amdhsa_float_round_mode_16_64 0
		.amdhsa_float_denorm_mode_32 3
		.amdhsa_float_denorm_mode_16_64 3
		.amdhsa_fp16_overflow 0
		.amdhsa_memory_ordered 1
		.amdhsa_forward_progress 1
		.amdhsa_inst_pref_size 0
		.amdhsa_round_robin_scheduling 0
		.amdhsa_exception_fp_ieee_invalid_op 0
		.amdhsa_exception_fp_denorm_src 0
		.amdhsa_exception_fp_ieee_div_zero 0
		.amdhsa_exception_fp_ieee_overflow 0
		.amdhsa_exception_fp_ieee_underflow 0
		.amdhsa_exception_fp_ieee_inexact 0
		.amdhsa_exception_int_div_zero 0
	.end_amdhsa_kernel
	.section	.text._ZN7rocprim17ROCPRIM_400000_NS6detail17trampoline_kernelINS0_14default_configENS1_33run_length_encode_config_selectorIljNS0_4plusIjEEEEZZNS1_33reduce_by_key_impl_wrapped_configILNS1_25lookback_scan_determinismE0ES3_S7_PKlNS0_17constant_iteratorIjlEEPlSE_SE_S6_NS0_8equal_toIlEEEE10hipError_tPvRmT2_T3_mT4_T5_T6_T7_T8_P12ihipStream_tbENKUlT_T0_E_clISt17integral_constantIbLb1EESX_IbLb0EEEEDaST_SU_EUlST_E_NS1_11comp_targetILNS1_3genE10ELNS1_11target_archE1201ELNS1_3gpuE5ELNS1_3repE0EEENS1_30default_config_static_selectorELNS0_4arch9wavefront6targetE0EEEvT1_,"axG",@progbits,_ZN7rocprim17ROCPRIM_400000_NS6detail17trampoline_kernelINS0_14default_configENS1_33run_length_encode_config_selectorIljNS0_4plusIjEEEEZZNS1_33reduce_by_key_impl_wrapped_configILNS1_25lookback_scan_determinismE0ES3_S7_PKlNS0_17constant_iteratorIjlEEPlSE_SE_S6_NS0_8equal_toIlEEEE10hipError_tPvRmT2_T3_mT4_T5_T6_T7_T8_P12ihipStream_tbENKUlT_T0_E_clISt17integral_constantIbLb1EESX_IbLb0EEEEDaST_SU_EUlST_E_NS1_11comp_targetILNS1_3genE10ELNS1_11target_archE1201ELNS1_3gpuE5ELNS1_3repE0EEENS1_30default_config_static_selectorELNS0_4arch9wavefront6targetE0EEEvT1_,comdat
.Lfunc_end534:
	.size	_ZN7rocprim17ROCPRIM_400000_NS6detail17trampoline_kernelINS0_14default_configENS1_33run_length_encode_config_selectorIljNS0_4plusIjEEEEZZNS1_33reduce_by_key_impl_wrapped_configILNS1_25lookback_scan_determinismE0ES3_S7_PKlNS0_17constant_iteratorIjlEEPlSE_SE_S6_NS0_8equal_toIlEEEE10hipError_tPvRmT2_T3_mT4_T5_T6_T7_T8_P12ihipStream_tbENKUlT_T0_E_clISt17integral_constantIbLb1EESX_IbLb0EEEEDaST_SU_EUlST_E_NS1_11comp_targetILNS1_3genE10ELNS1_11target_archE1201ELNS1_3gpuE5ELNS1_3repE0EEENS1_30default_config_static_selectorELNS0_4arch9wavefront6targetE0EEEvT1_, .Lfunc_end534-_ZN7rocprim17ROCPRIM_400000_NS6detail17trampoline_kernelINS0_14default_configENS1_33run_length_encode_config_selectorIljNS0_4plusIjEEEEZZNS1_33reduce_by_key_impl_wrapped_configILNS1_25lookback_scan_determinismE0ES3_S7_PKlNS0_17constant_iteratorIjlEEPlSE_SE_S6_NS0_8equal_toIlEEEE10hipError_tPvRmT2_T3_mT4_T5_T6_T7_T8_P12ihipStream_tbENKUlT_T0_E_clISt17integral_constantIbLb1EESX_IbLb0EEEEDaST_SU_EUlST_E_NS1_11comp_targetILNS1_3genE10ELNS1_11target_archE1201ELNS1_3gpuE5ELNS1_3repE0EEENS1_30default_config_static_selectorELNS0_4arch9wavefront6targetE0EEEvT1_
                                        ; -- End function
	.set _ZN7rocprim17ROCPRIM_400000_NS6detail17trampoline_kernelINS0_14default_configENS1_33run_length_encode_config_selectorIljNS0_4plusIjEEEEZZNS1_33reduce_by_key_impl_wrapped_configILNS1_25lookback_scan_determinismE0ES3_S7_PKlNS0_17constant_iteratorIjlEEPlSE_SE_S6_NS0_8equal_toIlEEEE10hipError_tPvRmT2_T3_mT4_T5_T6_T7_T8_P12ihipStream_tbENKUlT_T0_E_clISt17integral_constantIbLb1EESX_IbLb0EEEEDaST_SU_EUlST_E_NS1_11comp_targetILNS1_3genE10ELNS1_11target_archE1201ELNS1_3gpuE5ELNS1_3repE0EEENS1_30default_config_static_selectorELNS0_4arch9wavefront6targetE0EEEvT1_.num_vgpr, 0
	.set _ZN7rocprim17ROCPRIM_400000_NS6detail17trampoline_kernelINS0_14default_configENS1_33run_length_encode_config_selectorIljNS0_4plusIjEEEEZZNS1_33reduce_by_key_impl_wrapped_configILNS1_25lookback_scan_determinismE0ES3_S7_PKlNS0_17constant_iteratorIjlEEPlSE_SE_S6_NS0_8equal_toIlEEEE10hipError_tPvRmT2_T3_mT4_T5_T6_T7_T8_P12ihipStream_tbENKUlT_T0_E_clISt17integral_constantIbLb1EESX_IbLb0EEEEDaST_SU_EUlST_E_NS1_11comp_targetILNS1_3genE10ELNS1_11target_archE1201ELNS1_3gpuE5ELNS1_3repE0EEENS1_30default_config_static_selectorELNS0_4arch9wavefront6targetE0EEEvT1_.num_agpr, 0
	.set _ZN7rocprim17ROCPRIM_400000_NS6detail17trampoline_kernelINS0_14default_configENS1_33run_length_encode_config_selectorIljNS0_4plusIjEEEEZZNS1_33reduce_by_key_impl_wrapped_configILNS1_25lookback_scan_determinismE0ES3_S7_PKlNS0_17constant_iteratorIjlEEPlSE_SE_S6_NS0_8equal_toIlEEEE10hipError_tPvRmT2_T3_mT4_T5_T6_T7_T8_P12ihipStream_tbENKUlT_T0_E_clISt17integral_constantIbLb1EESX_IbLb0EEEEDaST_SU_EUlST_E_NS1_11comp_targetILNS1_3genE10ELNS1_11target_archE1201ELNS1_3gpuE5ELNS1_3repE0EEENS1_30default_config_static_selectorELNS0_4arch9wavefront6targetE0EEEvT1_.numbered_sgpr, 0
	.set _ZN7rocprim17ROCPRIM_400000_NS6detail17trampoline_kernelINS0_14default_configENS1_33run_length_encode_config_selectorIljNS0_4plusIjEEEEZZNS1_33reduce_by_key_impl_wrapped_configILNS1_25lookback_scan_determinismE0ES3_S7_PKlNS0_17constant_iteratorIjlEEPlSE_SE_S6_NS0_8equal_toIlEEEE10hipError_tPvRmT2_T3_mT4_T5_T6_T7_T8_P12ihipStream_tbENKUlT_T0_E_clISt17integral_constantIbLb1EESX_IbLb0EEEEDaST_SU_EUlST_E_NS1_11comp_targetILNS1_3genE10ELNS1_11target_archE1201ELNS1_3gpuE5ELNS1_3repE0EEENS1_30default_config_static_selectorELNS0_4arch9wavefront6targetE0EEEvT1_.num_named_barrier, 0
	.set _ZN7rocprim17ROCPRIM_400000_NS6detail17trampoline_kernelINS0_14default_configENS1_33run_length_encode_config_selectorIljNS0_4plusIjEEEEZZNS1_33reduce_by_key_impl_wrapped_configILNS1_25lookback_scan_determinismE0ES3_S7_PKlNS0_17constant_iteratorIjlEEPlSE_SE_S6_NS0_8equal_toIlEEEE10hipError_tPvRmT2_T3_mT4_T5_T6_T7_T8_P12ihipStream_tbENKUlT_T0_E_clISt17integral_constantIbLb1EESX_IbLb0EEEEDaST_SU_EUlST_E_NS1_11comp_targetILNS1_3genE10ELNS1_11target_archE1201ELNS1_3gpuE5ELNS1_3repE0EEENS1_30default_config_static_selectorELNS0_4arch9wavefront6targetE0EEEvT1_.private_seg_size, 0
	.set _ZN7rocprim17ROCPRIM_400000_NS6detail17trampoline_kernelINS0_14default_configENS1_33run_length_encode_config_selectorIljNS0_4plusIjEEEEZZNS1_33reduce_by_key_impl_wrapped_configILNS1_25lookback_scan_determinismE0ES3_S7_PKlNS0_17constant_iteratorIjlEEPlSE_SE_S6_NS0_8equal_toIlEEEE10hipError_tPvRmT2_T3_mT4_T5_T6_T7_T8_P12ihipStream_tbENKUlT_T0_E_clISt17integral_constantIbLb1EESX_IbLb0EEEEDaST_SU_EUlST_E_NS1_11comp_targetILNS1_3genE10ELNS1_11target_archE1201ELNS1_3gpuE5ELNS1_3repE0EEENS1_30default_config_static_selectorELNS0_4arch9wavefront6targetE0EEEvT1_.uses_vcc, 0
	.set _ZN7rocprim17ROCPRIM_400000_NS6detail17trampoline_kernelINS0_14default_configENS1_33run_length_encode_config_selectorIljNS0_4plusIjEEEEZZNS1_33reduce_by_key_impl_wrapped_configILNS1_25lookback_scan_determinismE0ES3_S7_PKlNS0_17constant_iteratorIjlEEPlSE_SE_S6_NS0_8equal_toIlEEEE10hipError_tPvRmT2_T3_mT4_T5_T6_T7_T8_P12ihipStream_tbENKUlT_T0_E_clISt17integral_constantIbLb1EESX_IbLb0EEEEDaST_SU_EUlST_E_NS1_11comp_targetILNS1_3genE10ELNS1_11target_archE1201ELNS1_3gpuE5ELNS1_3repE0EEENS1_30default_config_static_selectorELNS0_4arch9wavefront6targetE0EEEvT1_.uses_flat_scratch, 0
	.set _ZN7rocprim17ROCPRIM_400000_NS6detail17trampoline_kernelINS0_14default_configENS1_33run_length_encode_config_selectorIljNS0_4plusIjEEEEZZNS1_33reduce_by_key_impl_wrapped_configILNS1_25lookback_scan_determinismE0ES3_S7_PKlNS0_17constant_iteratorIjlEEPlSE_SE_S6_NS0_8equal_toIlEEEE10hipError_tPvRmT2_T3_mT4_T5_T6_T7_T8_P12ihipStream_tbENKUlT_T0_E_clISt17integral_constantIbLb1EESX_IbLb0EEEEDaST_SU_EUlST_E_NS1_11comp_targetILNS1_3genE10ELNS1_11target_archE1201ELNS1_3gpuE5ELNS1_3repE0EEENS1_30default_config_static_selectorELNS0_4arch9wavefront6targetE0EEEvT1_.has_dyn_sized_stack, 0
	.set _ZN7rocprim17ROCPRIM_400000_NS6detail17trampoline_kernelINS0_14default_configENS1_33run_length_encode_config_selectorIljNS0_4plusIjEEEEZZNS1_33reduce_by_key_impl_wrapped_configILNS1_25lookback_scan_determinismE0ES3_S7_PKlNS0_17constant_iteratorIjlEEPlSE_SE_S6_NS0_8equal_toIlEEEE10hipError_tPvRmT2_T3_mT4_T5_T6_T7_T8_P12ihipStream_tbENKUlT_T0_E_clISt17integral_constantIbLb1EESX_IbLb0EEEEDaST_SU_EUlST_E_NS1_11comp_targetILNS1_3genE10ELNS1_11target_archE1201ELNS1_3gpuE5ELNS1_3repE0EEENS1_30default_config_static_selectorELNS0_4arch9wavefront6targetE0EEEvT1_.has_recursion, 0
	.set _ZN7rocprim17ROCPRIM_400000_NS6detail17trampoline_kernelINS0_14default_configENS1_33run_length_encode_config_selectorIljNS0_4plusIjEEEEZZNS1_33reduce_by_key_impl_wrapped_configILNS1_25lookback_scan_determinismE0ES3_S7_PKlNS0_17constant_iteratorIjlEEPlSE_SE_S6_NS0_8equal_toIlEEEE10hipError_tPvRmT2_T3_mT4_T5_T6_T7_T8_P12ihipStream_tbENKUlT_T0_E_clISt17integral_constantIbLb1EESX_IbLb0EEEEDaST_SU_EUlST_E_NS1_11comp_targetILNS1_3genE10ELNS1_11target_archE1201ELNS1_3gpuE5ELNS1_3repE0EEENS1_30default_config_static_selectorELNS0_4arch9wavefront6targetE0EEEvT1_.has_indirect_call, 0
	.section	.AMDGPU.csdata,"",@progbits
; Kernel info:
; codeLenInByte = 0
; TotalNumSgprs: 0
; NumVgprs: 0
; ScratchSize: 0
; MemoryBound: 0
; FloatMode: 240
; IeeeMode: 1
; LDSByteSize: 0 bytes/workgroup (compile time only)
; SGPRBlocks: 0
; VGPRBlocks: 0
; NumSGPRsForWavesPerEU: 1
; NumVGPRsForWavesPerEU: 1
; NamedBarCnt: 0
; Occupancy: 16
; WaveLimiterHint : 0
; COMPUTE_PGM_RSRC2:SCRATCH_EN: 0
; COMPUTE_PGM_RSRC2:USER_SGPR: 2
; COMPUTE_PGM_RSRC2:TRAP_HANDLER: 0
; COMPUTE_PGM_RSRC2:TGID_X_EN: 1
; COMPUTE_PGM_RSRC2:TGID_Y_EN: 0
; COMPUTE_PGM_RSRC2:TGID_Z_EN: 0
; COMPUTE_PGM_RSRC2:TIDIG_COMP_CNT: 0
	.section	.text._ZN7rocprim17ROCPRIM_400000_NS6detail17trampoline_kernelINS0_14default_configENS1_33run_length_encode_config_selectorIljNS0_4plusIjEEEEZZNS1_33reduce_by_key_impl_wrapped_configILNS1_25lookback_scan_determinismE0ES3_S7_PKlNS0_17constant_iteratorIjlEEPlSE_SE_S6_NS0_8equal_toIlEEEE10hipError_tPvRmT2_T3_mT4_T5_T6_T7_T8_P12ihipStream_tbENKUlT_T0_E_clISt17integral_constantIbLb1EESX_IbLb0EEEEDaST_SU_EUlST_E_NS1_11comp_targetILNS1_3genE10ELNS1_11target_archE1200ELNS1_3gpuE4ELNS1_3repE0EEENS1_30default_config_static_selectorELNS0_4arch9wavefront6targetE0EEEvT1_,"axG",@progbits,_ZN7rocprim17ROCPRIM_400000_NS6detail17trampoline_kernelINS0_14default_configENS1_33run_length_encode_config_selectorIljNS0_4plusIjEEEEZZNS1_33reduce_by_key_impl_wrapped_configILNS1_25lookback_scan_determinismE0ES3_S7_PKlNS0_17constant_iteratorIjlEEPlSE_SE_S6_NS0_8equal_toIlEEEE10hipError_tPvRmT2_T3_mT4_T5_T6_T7_T8_P12ihipStream_tbENKUlT_T0_E_clISt17integral_constantIbLb1EESX_IbLb0EEEEDaST_SU_EUlST_E_NS1_11comp_targetILNS1_3genE10ELNS1_11target_archE1200ELNS1_3gpuE4ELNS1_3repE0EEENS1_30default_config_static_selectorELNS0_4arch9wavefront6targetE0EEEvT1_,comdat
	.protected	_ZN7rocprim17ROCPRIM_400000_NS6detail17trampoline_kernelINS0_14default_configENS1_33run_length_encode_config_selectorIljNS0_4plusIjEEEEZZNS1_33reduce_by_key_impl_wrapped_configILNS1_25lookback_scan_determinismE0ES3_S7_PKlNS0_17constant_iteratorIjlEEPlSE_SE_S6_NS0_8equal_toIlEEEE10hipError_tPvRmT2_T3_mT4_T5_T6_T7_T8_P12ihipStream_tbENKUlT_T0_E_clISt17integral_constantIbLb1EESX_IbLb0EEEEDaST_SU_EUlST_E_NS1_11comp_targetILNS1_3genE10ELNS1_11target_archE1200ELNS1_3gpuE4ELNS1_3repE0EEENS1_30default_config_static_selectorELNS0_4arch9wavefront6targetE0EEEvT1_ ; -- Begin function _ZN7rocprim17ROCPRIM_400000_NS6detail17trampoline_kernelINS0_14default_configENS1_33run_length_encode_config_selectorIljNS0_4plusIjEEEEZZNS1_33reduce_by_key_impl_wrapped_configILNS1_25lookback_scan_determinismE0ES3_S7_PKlNS0_17constant_iteratorIjlEEPlSE_SE_S6_NS0_8equal_toIlEEEE10hipError_tPvRmT2_T3_mT4_T5_T6_T7_T8_P12ihipStream_tbENKUlT_T0_E_clISt17integral_constantIbLb1EESX_IbLb0EEEEDaST_SU_EUlST_E_NS1_11comp_targetILNS1_3genE10ELNS1_11target_archE1200ELNS1_3gpuE4ELNS1_3repE0EEENS1_30default_config_static_selectorELNS0_4arch9wavefront6targetE0EEEvT1_
	.globl	_ZN7rocprim17ROCPRIM_400000_NS6detail17trampoline_kernelINS0_14default_configENS1_33run_length_encode_config_selectorIljNS0_4plusIjEEEEZZNS1_33reduce_by_key_impl_wrapped_configILNS1_25lookback_scan_determinismE0ES3_S7_PKlNS0_17constant_iteratorIjlEEPlSE_SE_S6_NS0_8equal_toIlEEEE10hipError_tPvRmT2_T3_mT4_T5_T6_T7_T8_P12ihipStream_tbENKUlT_T0_E_clISt17integral_constantIbLb1EESX_IbLb0EEEEDaST_SU_EUlST_E_NS1_11comp_targetILNS1_3genE10ELNS1_11target_archE1200ELNS1_3gpuE4ELNS1_3repE0EEENS1_30default_config_static_selectorELNS0_4arch9wavefront6targetE0EEEvT1_
	.p2align	8
	.type	_ZN7rocprim17ROCPRIM_400000_NS6detail17trampoline_kernelINS0_14default_configENS1_33run_length_encode_config_selectorIljNS0_4plusIjEEEEZZNS1_33reduce_by_key_impl_wrapped_configILNS1_25lookback_scan_determinismE0ES3_S7_PKlNS0_17constant_iteratorIjlEEPlSE_SE_S6_NS0_8equal_toIlEEEE10hipError_tPvRmT2_T3_mT4_T5_T6_T7_T8_P12ihipStream_tbENKUlT_T0_E_clISt17integral_constantIbLb1EESX_IbLb0EEEEDaST_SU_EUlST_E_NS1_11comp_targetILNS1_3genE10ELNS1_11target_archE1200ELNS1_3gpuE4ELNS1_3repE0EEENS1_30default_config_static_selectorELNS0_4arch9wavefront6targetE0EEEvT1_,@function
_ZN7rocprim17ROCPRIM_400000_NS6detail17trampoline_kernelINS0_14default_configENS1_33run_length_encode_config_selectorIljNS0_4plusIjEEEEZZNS1_33reduce_by_key_impl_wrapped_configILNS1_25lookback_scan_determinismE0ES3_S7_PKlNS0_17constant_iteratorIjlEEPlSE_SE_S6_NS0_8equal_toIlEEEE10hipError_tPvRmT2_T3_mT4_T5_T6_T7_T8_P12ihipStream_tbENKUlT_T0_E_clISt17integral_constantIbLb1EESX_IbLb0EEEEDaST_SU_EUlST_E_NS1_11comp_targetILNS1_3genE10ELNS1_11target_archE1200ELNS1_3gpuE4ELNS1_3repE0EEENS1_30default_config_static_selectorELNS0_4arch9wavefront6targetE0EEEvT1_: ; @_ZN7rocprim17ROCPRIM_400000_NS6detail17trampoline_kernelINS0_14default_configENS1_33run_length_encode_config_selectorIljNS0_4plusIjEEEEZZNS1_33reduce_by_key_impl_wrapped_configILNS1_25lookback_scan_determinismE0ES3_S7_PKlNS0_17constant_iteratorIjlEEPlSE_SE_S6_NS0_8equal_toIlEEEE10hipError_tPvRmT2_T3_mT4_T5_T6_T7_T8_P12ihipStream_tbENKUlT_T0_E_clISt17integral_constantIbLb1EESX_IbLb0EEEEDaST_SU_EUlST_E_NS1_11comp_targetILNS1_3genE10ELNS1_11target_archE1200ELNS1_3gpuE4ELNS1_3repE0EEENS1_30default_config_static_selectorELNS0_4arch9wavefront6targetE0EEEvT1_
; %bb.0:
	.section	.rodata,"a",@progbits
	.p2align	6, 0x0
	.amdhsa_kernel _ZN7rocprim17ROCPRIM_400000_NS6detail17trampoline_kernelINS0_14default_configENS1_33run_length_encode_config_selectorIljNS0_4plusIjEEEEZZNS1_33reduce_by_key_impl_wrapped_configILNS1_25lookback_scan_determinismE0ES3_S7_PKlNS0_17constant_iteratorIjlEEPlSE_SE_S6_NS0_8equal_toIlEEEE10hipError_tPvRmT2_T3_mT4_T5_T6_T7_T8_P12ihipStream_tbENKUlT_T0_E_clISt17integral_constantIbLb1EESX_IbLb0EEEEDaST_SU_EUlST_E_NS1_11comp_targetILNS1_3genE10ELNS1_11target_archE1200ELNS1_3gpuE4ELNS1_3repE0EEENS1_30default_config_static_selectorELNS0_4arch9wavefront6targetE0EEEvT1_
		.amdhsa_group_segment_fixed_size 0
		.amdhsa_private_segment_fixed_size 0
		.amdhsa_kernarg_size 128
		.amdhsa_user_sgpr_count 2
		.amdhsa_user_sgpr_dispatch_ptr 0
		.amdhsa_user_sgpr_queue_ptr 0
		.amdhsa_user_sgpr_kernarg_segment_ptr 1
		.amdhsa_user_sgpr_dispatch_id 0
		.amdhsa_user_sgpr_kernarg_preload_length 0
		.amdhsa_user_sgpr_kernarg_preload_offset 0
		.amdhsa_user_sgpr_private_segment_size 0
		.amdhsa_wavefront_size32 1
		.amdhsa_uses_dynamic_stack 0
		.amdhsa_enable_private_segment 0
		.amdhsa_system_sgpr_workgroup_id_x 1
		.amdhsa_system_sgpr_workgroup_id_y 0
		.amdhsa_system_sgpr_workgroup_id_z 0
		.amdhsa_system_sgpr_workgroup_info 0
		.amdhsa_system_vgpr_workitem_id 0
		.amdhsa_next_free_vgpr 1
		.amdhsa_next_free_sgpr 1
		.amdhsa_named_barrier_count 0
		.amdhsa_reserve_vcc 0
		.amdhsa_float_round_mode_32 0
		.amdhsa_float_round_mode_16_64 0
		.amdhsa_float_denorm_mode_32 3
		.amdhsa_float_denorm_mode_16_64 3
		.amdhsa_fp16_overflow 0
		.amdhsa_memory_ordered 1
		.amdhsa_forward_progress 1
		.amdhsa_inst_pref_size 0
		.amdhsa_round_robin_scheduling 0
		.amdhsa_exception_fp_ieee_invalid_op 0
		.amdhsa_exception_fp_denorm_src 0
		.amdhsa_exception_fp_ieee_div_zero 0
		.amdhsa_exception_fp_ieee_overflow 0
		.amdhsa_exception_fp_ieee_underflow 0
		.amdhsa_exception_fp_ieee_inexact 0
		.amdhsa_exception_int_div_zero 0
	.end_amdhsa_kernel
	.section	.text._ZN7rocprim17ROCPRIM_400000_NS6detail17trampoline_kernelINS0_14default_configENS1_33run_length_encode_config_selectorIljNS0_4plusIjEEEEZZNS1_33reduce_by_key_impl_wrapped_configILNS1_25lookback_scan_determinismE0ES3_S7_PKlNS0_17constant_iteratorIjlEEPlSE_SE_S6_NS0_8equal_toIlEEEE10hipError_tPvRmT2_T3_mT4_T5_T6_T7_T8_P12ihipStream_tbENKUlT_T0_E_clISt17integral_constantIbLb1EESX_IbLb0EEEEDaST_SU_EUlST_E_NS1_11comp_targetILNS1_3genE10ELNS1_11target_archE1200ELNS1_3gpuE4ELNS1_3repE0EEENS1_30default_config_static_selectorELNS0_4arch9wavefront6targetE0EEEvT1_,"axG",@progbits,_ZN7rocprim17ROCPRIM_400000_NS6detail17trampoline_kernelINS0_14default_configENS1_33run_length_encode_config_selectorIljNS0_4plusIjEEEEZZNS1_33reduce_by_key_impl_wrapped_configILNS1_25lookback_scan_determinismE0ES3_S7_PKlNS0_17constant_iteratorIjlEEPlSE_SE_S6_NS0_8equal_toIlEEEE10hipError_tPvRmT2_T3_mT4_T5_T6_T7_T8_P12ihipStream_tbENKUlT_T0_E_clISt17integral_constantIbLb1EESX_IbLb0EEEEDaST_SU_EUlST_E_NS1_11comp_targetILNS1_3genE10ELNS1_11target_archE1200ELNS1_3gpuE4ELNS1_3repE0EEENS1_30default_config_static_selectorELNS0_4arch9wavefront6targetE0EEEvT1_,comdat
.Lfunc_end535:
	.size	_ZN7rocprim17ROCPRIM_400000_NS6detail17trampoline_kernelINS0_14default_configENS1_33run_length_encode_config_selectorIljNS0_4plusIjEEEEZZNS1_33reduce_by_key_impl_wrapped_configILNS1_25lookback_scan_determinismE0ES3_S7_PKlNS0_17constant_iteratorIjlEEPlSE_SE_S6_NS0_8equal_toIlEEEE10hipError_tPvRmT2_T3_mT4_T5_T6_T7_T8_P12ihipStream_tbENKUlT_T0_E_clISt17integral_constantIbLb1EESX_IbLb0EEEEDaST_SU_EUlST_E_NS1_11comp_targetILNS1_3genE10ELNS1_11target_archE1200ELNS1_3gpuE4ELNS1_3repE0EEENS1_30default_config_static_selectorELNS0_4arch9wavefront6targetE0EEEvT1_, .Lfunc_end535-_ZN7rocprim17ROCPRIM_400000_NS6detail17trampoline_kernelINS0_14default_configENS1_33run_length_encode_config_selectorIljNS0_4plusIjEEEEZZNS1_33reduce_by_key_impl_wrapped_configILNS1_25lookback_scan_determinismE0ES3_S7_PKlNS0_17constant_iteratorIjlEEPlSE_SE_S6_NS0_8equal_toIlEEEE10hipError_tPvRmT2_T3_mT4_T5_T6_T7_T8_P12ihipStream_tbENKUlT_T0_E_clISt17integral_constantIbLb1EESX_IbLb0EEEEDaST_SU_EUlST_E_NS1_11comp_targetILNS1_3genE10ELNS1_11target_archE1200ELNS1_3gpuE4ELNS1_3repE0EEENS1_30default_config_static_selectorELNS0_4arch9wavefront6targetE0EEEvT1_
                                        ; -- End function
	.set _ZN7rocprim17ROCPRIM_400000_NS6detail17trampoline_kernelINS0_14default_configENS1_33run_length_encode_config_selectorIljNS0_4plusIjEEEEZZNS1_33reduce_by_key_impl_wrapped_configILNS1_25lookback_scan_determinismE0ES3_S7_PKlNS0_17constant_iteratorIjlEEPlSE_SE_S6_NS0_8equal_toIlEEEE10hipError_tPvRmT2_T3_mT4_T5_T6_T7_T8_P12ihipStream_tbENKUlT_T0_E_clISt17integral_constantIbLb1EESX_IbLb0EEEEDaST_SU_EUlST_E_NS1_11comp_targetILNS1_3genE10ELNS1_11target_archE1200ELNS1_3gpuE4ELNS1_3repE0EEENS1_30default_config_static_selectorELNS0_4arch9wavefront6targetE0EEEvT1_.num_vgpr, 0
	.set _ZN7rocprim17ROCPRIM_400000_NS6detail17trampoline_kernelINS0_14default_configENS1_33run_length_encode_config_selectorIljNS0_4plusIjEEEEZZNS1_33reduce_by_key_impl_wrapped_configILNS1_25lookback_scan_determinismE0ES3_S7_PKlNS0_17constant_iteratorIjlEEPlSE_SE_S6_NS0_8equal_toIlEEEE10hipError_tPvRmT2_T3_mT4_T5_T6_T7_T8_P12ihipStream_tbENKUlT_T0_E_clISt17integral_constantIbLb1EESX_IbLb0EEEEDaST_SU_EUlST_E_NS1_11comp_targetILNS1_3genE10ELNS1_11target_archE1200ELNS1_3gpuE4ELNS1_3repE0EEENS1_30default_config_static_selectorELNS0_4arch9wavefront6targetE0EEEvT1_.num_agpr, 0
	.set _ZN7rocprim17ROCPRIM_400000_NS6detail17trampoline_kernelINS0_14default_configENS1_33run_length_encode_config_selectorIljNS0_4plusIjEEEEZZNS1_33reduce_by_key_impl_wrapped_configILNS1_25lookback_scan_determinismE0ES3_S7_PKlNS0_17constant_iteratorIjlEEPlSE_SE_S6_NS0_8equal_toIlEEEE10hipError_tPvRmT2_T3_mT4_T5_T6_T7_T8_P12ihipStream_tbENKUlT_T0_E_clISt17integral_constantIbLb1EESX_IbLb0EEEEDaST_SU_EUlST_E_NS1_11comp_targetILNS1_3genE10ELNS1_11target_archE1200ELNS1_3gpuE4ELNS1_3repE0EEENS1_30default_config_static_selectorELNS0_4arch9wavefront6targetE0EEEvT1_.numbered_sgpr, 0
	.set _ZN7rocprim17ROCPRIM_400000_NS6detail17trampoline_kernelINS0_14default_configENS1_33run_length_encode_config_selectorIljNS0_4plusIjEEEEZZNS1_33reduce_by_key_impl_wrapped_configILNS1_25lookback_scan_determinismE0ES3_S7_PKlNS0_17constant_iteratorIjlEEPlSE_SE_S6_NS0_8equal_toIlEEEE10hipError_tPvRmT2_T3_mT4_T5_T6_T7_T8_P12ihipStream_tbENKUlT_T0_E_clISt17integral_constantIbLb1EESX_IbLb0EEEEDaST_SU_EUlST_E_NS1_11comp_targetILNS1_3genE10ELNS1_11target_archE1200ELNS1_3gpuE4ELNS1_3repE0EEENS1_30default_config_static_selectorELNS0_4arch9wavefront6targetE0EEEvT1_.num_named_barrier, 0
	.set _ZN7rocprim17ROCPRIM_400000_NS6detail17trampoline_kernelINS0_14default_configENS1_33run_length_encode_config_selectorIljNS0_4plusIjEEEEZZNS1_33reduce_by_key_impl_wrapped_configILNS1_25lookback_scan_determinismE0ES3_S7_PKlNS0_17constant_iteratorIjlEEPlSE_SE_S6_NS0_8equal_toIlEEEE10hipError_tPvRmT2_T3_mT4_T5_T6_T7_T8_P12ihipStream_tbENKUlT_T0_E_clISt17integral_constantIbLb1EESX_IbLb0EEEEDaST_SU_EUlST_E_NS1_11comp_targetILNS1_3genE10ELNS1_11target_archE1200ELNS1_3gpuE4ELNS1_3repE0EEENS1_30default_config_static_selectorELNS0_4arch9wavefront6targetE0EEEvT1_.private_seg_size, 0
	.set _ZN7rocprim17ROCPRIM_400000_NS6detail17trampoline_kernelINS0_14default_configENS1_33run_length_encode_config_selectorIljNS0_4plusIjEEEEZZNS1_33reduce_by_key_impl_wrapped_configILNS1_25lookback_scan_determinismE0ES3_S7_PKlNS0_17constant_iteratorIjlEEPlSE_SE_S6_NS0_8equal_toIlEEEE10hipError_tPvRmT2_T3_mT4_T5_T6_T7_T8_P12ihipStream_tbENKUlT_T0_E_clISt17integral_constantIbLb1EESX_IbLb0EEEEDaST_SU_EUlST_E_NS1_11comp_targetILNS1_3genE10ELNS1_11target_archE1200ELNS1_3gpuE4ELNS1_3repE0EEENS1_30default_config_static_selectorELNS0_4arch9wavefront6targetE0EEEvT1_.uses_vcc, 0
	.set _ZN7rocprim17ROCPRIM_400000_NS6detail17trampoline_kernelINS0_14default_configENS1_33run_length_encode_config_selectorIljNS0_4plusIjEEEEZZNS1_33reduce_by_key_impl_wrapped_configILNS1_25lookback_scan_determinismE0ES3_S7_PKlNS0_17constant_iteratorIjlEEPlSE_SE_S6_NS0_8equal_toIlEEEE10hipError_tPvRmT2_T3_mT4_T5_T6_T7_T8_P12ihipStream_tbENKUlT_T0_E_clISt17integral_constantIbLb1EESX_IbLb0EEEEDaST_SU_EUlST_E_NS1_11comp_targetILNS1_3genE10ELNS1_11target_archE1200ELNS1_3gpuE4ELNS1_3repE0EEENS1_30default_config_static_selectorELNS0_4arch9wavefront6targetE0EEEvT1_.uses_flat_scratch, 0
	.set _ZN7rocprim17ROCPRIM_400000_NS6detail17trampoline_kernelINS0_14default_configENS1_33run_length_encode_config_selectorIljNS0_4plusIjEEEEZZNS1_33reduce_by_key_impl_wrapped_configILNS1_25lookback_scan_determinismE0ES3_S7_PKlNS0_17constant_iteratorIjlEEPlSE_SE_S6_NS0_8equal_toIlEEEE10hipError_tPvRmT2_T3_mT4_T5_T6_T7_T8_P12ihipStream_tbENKUlT_T0_E_clISt17integral_constantIbLb1EESX_IbLb0EEEEDaST_SU_EUlST_E_NS1_11comp_targetILNS1_3genE10ELNS1_11target_archE1200ELNS1_3gpuE4ELNS1_3repE0EEENS1_30default_config_static_selectorELNS0_4arch9wavefront6targetE0EEEvT1_.has_dyn_sized_stack, 0
	.set _ZN7rocprim17ROCPRIM_400000_NS6detail17trampoline_kernelINS0_14default_configENS1_33run_length_encode_config_selectorIljNS0_4plusIjEEEEZZNS1_33reduce_by_key_impl_wrapped_configILNS1_25lookback_scan_determinismE0ES3_S7_PKlNS0_17constant_iteratorIjlEEPlSE_SE_S6_NS0_8equal_toIlEEEE10hipError_tPvRmT2_T3_mT4_T5_T6_T7_T8_P12ihipStream_tbENKUlT_T0_E_clISt17integral_constantIbLb1EESX_IbLb0EEEEDaST_SU_EUlST_E_NS1_11comp_targetILNS1_3genE10ELNS1_11target_archE1200ELNS1_3gpuE4ELNS1_3repE0EEENS1_30default_config_static_selectorELNS0_4arch9wavefront6targetE0EEEvT1_.has_recursion, 0
	.set _ZN7rocprim17ROCPRIM_400000_NS6detail17trampoline_kernelINS0_14default_configENS1_33run_length_encode_config_selectorIljNS0_4plusIjEEEEZZNS1_33reduce_by_key_impl_wrapped_configILNS1_25lookback_scan_determinismE0ES3_S7_PKlNS0_17constant_iteratorIjlEEPlSE_SE_S6_NS0_8equal_toIlEEEE10hipError_tPvRmT2_T3_mT4_T5_T6_T7_T8_P12ihipStream_tbENKUlT_T0_E_clISt17integral_constantIbLb1EESX_IbLb0EEEEDaST_SU_EUlST_E_NS1_11comp_targetILNS1_3genE10ELNS1_11target_archE1200ELNS1_3gpuE4ELNS1_3repE0EEENS1_30default_config_static_selectorELNS0_4arch9wavefront6targetE0EEEvT1_.has_indirect_call, 0
	.section	.AMDGPU.csdata,"",@progbits
; Kernel info:
; codeLenInByte = 0
; TotalNumSgprs: 0
; NumVgprs: 0
; ScratchSize: 0
; MemoryBound: 0
; FloatMode: 240
; IeeeMode: 1
; LDSByteSize: 0 bytes/workgroup (compile time only)
; SGPRBlocks: 0
; VGPRBlocks: 0
; NumSGPRsForWavesPerEU: 1
; NumVGPRsForWavesPerEU: 1
; NamedBarCnt: 0
; Occupancy: 16
; WaveLimiterHint : 0
; COMPUTE_PGM_RSRC2:SCRATCH_EN: 0
; COMPUTE_PGM_RSRC2:USER_SGPR: 2
; COMPUTE_PGM_RSRC2:TRAP_HANDLER: 0
; COMPUTE_PGM_RSRC2:TGID_X_EN: 1
; COMPUTE_PGM_RSRC2:TGID_Y_EN: 0
; COMPUTE_PGM_RSRC2:TGID_Z_EN: 0
; COMPUTE_PGM_RSRC2:TIDIG_COMP_CNT: 0
	.section	.text._ZN7rocprim17ROCPRIM_400000_NS6detail17trampoline_kernelINS0_14default_configENS1_33run_length_encode_config_selectorIljNS0_4plusIjEEEEZZNS1_33reduce_by_key_impl_wrapped_configILNS1_25lookback_scan_determinismE0ES3_S7_PKlNS0_17constant_iteratorIjlEEPlSE_SE_S6_NS0_8equal_toIlEEEE10hipError_tPvRmT2_T3_mT4_T5_T6_T7_T8_P12ihipStream_tbENKUlT_T0_E_clISt17integral_constantIbLb1EESX_IbLb0EEEEDaST_SU_EUlST_E_NS1_11comp_targetILNS1_3genE9ELNS1_11target_archE1100ELNS1_3gpuE3ELNS1_3repE0EEENS1_30default_config_static_selectorELNS0_4arch9wavefront6targetE0EEEvT1_,"axG",@progbits,_ZN7rocprim17ROCPRIM_400000_NS6detail17trampoline_kernelINS0_14default_configENS1_33run_length_encode_config_selectorIljNS0_4plusIjEEEEZZNS1_33reduce_by_key_impl_wrapped_configILNS1_25lookback_scan_determinismE0ES3_S7_PKlNS0_17constant_iteratorIjlEEPlSE_SE_S6_NS0_8equal_toIlEEEE10hipError_tPvRmT2_T3_mT4_T5_T6_T7_T8_P12ihipStream_tbENKUlT_T0_E_clISt17integral_constantIbLb1EESX_IbLb0EEEEDaST_SU_EUlST_E_NS1_11comp_targetILNS1_3genE9ELNS1_11target_archE1100ELNS1_3gpuE3ELNS1_3repE0EEENS1_30default_config_static_selectorELNS0_4arch9wavefront6targetE0EEEvT1_,comdat
	.protected	_ZN7rocprim17ROCPRIM_400000_NS6detail17trampoline_kernelINS0_14default_configENS1_33run_length_encode_config_selectorIljNS0_4plusIjEEEEZZNS1_33reduce_by_key_impl_wrapped_configILNS1_25lookback_scan_determinismE0ES3_S7_PKlNS0_17constant_iteratorIjlEEPlSE_SE_S6_NS0_8equal_toIlEEEE10hipError_tPvRmT2_T3_mT4_T5_T6_T7_T8_P12ihipStream_tbENKUlT_T0_E_clISt17integral_constantIbLb1EESX_IbLb0EEEEDaST_SU_EUlST_E_NS1_11comp_targetILNS1_3genE9ELNS1_11target_archE1100ELNS1_3gpuE3ELNS1_3repE0EEENS1_30default_config_static_selectorELNS0_4arch9wavefront6targetE0EEEvT1_ ; -- Begin function _ZN7rocprim17ROCPRIM_400000_NS6detail17trampoline_kernelINS0_14default_configENS1_33run_length_encode_config_selectorIljNS0_4plusIjEEEEZZNS1_33reduce_by_key_impl_wrapped_configILNS1_25lookback_scan_determinismE0ES3_S7_PKlNS0_17constant_iteratorIjlEEPlSE_SE_S6_NS0_8equal_toIlEEEE10hipError_tPvRmT2_T3_mT4_T5_T6_T7_T8_P12ihipStream_tbENKUlT_T0_E_clISt17integral_constantIbLb1EESX_IbLb0EEEEDaST_SU_EUlST_E_NS1_11comp_targetILNS1_3genE9ELNS1_11target_archE1100ELNS1_3gpuE3ELNS1_3repE0EEENS1_30default_config_static_selectorELNS0_4arch9wavefront6targetE0EEEvT1_
	.globl	_ZN7rocprim17ROCPRIM_400000_NS6detail17trampoline_kernelINS0_14default_configENS1_33run_length_encode_config_selectorIljNS0_4plusIjEEEEZZNS1_33reduce_by_key_impl_wrapped_configILNS1_25lookback_scan_determinismE0ES3_S7_PKlNS0_17constant_iteratorIjlEEPlSE_SE_S6_NS0_8equal_toIlEEEE10hipError_tPvRmT2_T3_mT4_T5_T6_T7_T8_P12ihipStream_tbENKUlT_T0_E_clISt17integral_constantIbLb1EESX_IbLb0EEEEDaST_SU_EUlST_E_NS1_11comp_targetILNS1_3genE9ELNS1_11target_archE1100ELNS1_3gpuE3ELNS1_3repE0EEENS1_30default_config_static_selectorELNS0_4arch9wavefront6targetE0EEEvT1_
	.p2align	8
	.type	_ZN7rocprim17ROCPRIM_400000_NS6detail17trampoline_kernelINS0_14default_configENS1_33run_length_encode_config_selectorIljNS0_4plusIjEEEEZZNS1_33reduce_by_key_impl_wrapped_configILNS1_25lookback_scan_determinismE0ES3_S7_PKlNS0_17constant_iteratorIjlEEPlSE_SE_S6_NS0_8equal_toIlEEEE10hipError_tPvRmT2_T3_mT4_T5_T6_T7_T8_P12ihipStream_tbENKUlT_T0_E_clISt17integral_constantIbLb1EESX_IbLb0EEEEDaST_SU_EUlST_E_NS1_11comp_targetILNS1_3genE9ELNS1_11target_archE1100ELNS1_3gpuE3ELNS1_3repE0EEENS1_30default_config_static_selectorELNS0_4arch9wavefront6targetE0EEEvT1_,@function
_ZN7rocprim17ROCPRIM_400000_NS6detail17trampoline_kernelINS0_14default_configENS1_33run_length_encode_config_selectorIljNS0_4plusIjEEEEZZNS1_33reduce_by_key_impl_wrapped_configILNS1_25lookback_scan_determinismE0ES3_S7_PKlNS0_17constant_iteratorIjlEEPlSE_SE_S6_NS0_8equal_toIlEEEE10hipError_tPvRmT2_T3_mT4_T5_T6_T7_T8_P12ihipStream_tbENKUlT_T0_E_clISt17integral_constantIbLb1EESX_IbLb0EEEEDaST_SU_EUlST_E_NS1_11comp_targetILNS1_3genE9ELNS1_11target_archE1100ELNS1_3gpuE3ELNS1_3repE0EEENS1_30default_config_static_selectorELNS0_4arch9wavefront6targetE0EEEvT1_: ; @_ZN7rocprim17ROCPRIM_400000_NS6detail17trampoline_kernelINS0_14default_configENS1_33run_length_encode_config_selectorIljNS0_4plusIjEEEEZZNS1_33reduce_by_key_impl_wrapped_configILNS1_25lookback_scan_determinismE0ES3_S7_PKlNS0_17constant_iteratorIjlEEPlSE_SE_S6_NS0_8equal_toIlEEEE10hipError_tPvRmT2_T3_mT4_T5_T6_T7_T8_P12ihipStream_tbENKUlT_T0_E_clISt17integral_constantIbLb1EESX_IbLb0EEEEDaST_SU_EUlST_E_NS1_11comp_targetILNS1_3genE9ELNS1_11target_archE1100ELNS1_3gpuE3ELNS1_3repE0EEENS1_30default_config_static_selectorELNS0_4arch9wavefront6targetE0EEEvT1_
; %bb.0:
	.section	.rodata,"a",@progbits
	.p2align	6, 0x0
	.amdhsa_kernel _ZN7rocprim17ROCPRIM_400000_NS6detail17trampoline_kernelINS0_14default_configENS1_33run_length_encode_config_selectorIljNS0_4plusIjEEEEZZNS1_33reduce_by_key_impl_wrapped_configILNS1_25lookback_scan_determinismE0ES3_S7_PKlNS0_17constant_iteratorIjlEEPlSE_SE_S6_NS0_8equal_toIlEEEE10hipError_tPvRmT2_T3_mT4_T5_T6_T7_T8_P12ihipStream_tbENKUlT_T0_E_clISt17integral_constantIbLb1EESX_IbLb0EEEEDaST_SU_EUlST_E_NS1_11comp_targetILNS1_3genE9ELNS1_11target_archE1100ELNS1_3gpuE3ELNS1_3repE0EEENS1_30default_config_static_selectorELNS0_4arch9wavefront6targetE0EEEvT1_
		.amdhsa_group_segment_fixed_size 0
		.amdhsa_private_segment_fixed_size 0
		.amdhsa_kernarg_size 128
		.amdhsa_user_sgpr_count 2
		.amdhsa_user_sgpr_dispatch_ptr 0
		.amdhsa_user_sgpr_queue_ptr 0
		.amdhsa_user_sgpr_kernarg_segment_ptr 1
		.amdhsa_user_sgpr_dispatch_id 0
		.amdhsa_user_sgpr_kernarg_preload_length 0
		.amdhsa_user_sgpr_kernarg_preload_offset 0
		.amdhsa_user_sgpr_private_segment_size 0
		.amdhsa_wavefront_size32 1
		.amdhsa_uses_dynamic_stack 0
		.amdhsa_enable_private_segment 0
		.amdhsa_system_sgpr_workgroup_id_x 1
		.amdhsa_system_sgpr_workgroup_id_y 0
		.amdhsa_system_sgpr_workgroup_id_z 0
		.amdhsa_system_sgpr_workgroup_info 0
		.amdhsa_system_vgpr_workitem_id 0
		.amdhsa_next_free_vgpr 1
		.amdhsa_next_free_sgpr 1
		.amdhsa_named_barrier_count 0
		.amdhsa_reserve_vcc 0
		.amdhsa_float_round_mode_32 0
		.amdhsa_float_round_mode_16_64 0
		.amdhsa_float_denorm_mode_32 3
		.amdhsa_float_denorm_mode_16_64 3
		.amdhsa_fp16_overflow 0
		.amdhsa_memory_ordered 1
		.amdhsa_forward_progress 1
		.amdhsa_inst_pref_size 0
		.amdhsa_round_robin_scheduling 0
		.amdhsa_exception_fp_ieee_invalid_op 0
		.amdhsa_exception_fp_denorm_src 0
		.amdhsa_exception_fp_ieee_div_zero 0
		.amdhsa_exception_fp_ieee_overflow 0
		.amdhsa_exception_fp_ieee_underflow 0
		.amdhsa_exception_fp_ieee_inexact 0
		.amdhsa_exception_int_div_zero 0
	.end_amdhsa_kernel
	.section	.text._ZN7rocprim17ROCPRIM_400000_NS6detail17trampoline_kernelINS0_14default_configENS1_33run_length_encode_config_selectorIljNS0_4plusIjEEEEZZNS1_33reduce_by_key_impl_wrapped_configILNS1_25lookback_scan_determinismE0ES3_S7_PKlNS0_17constant_iteratorIjlEEPlSE_SE_S6_NS0_8equal_toIlEEEE10hipError_tPvRmT2_T3_mT4_T5_T6_T7_T8_P12ihipStream_tbENKUlT_T0_E_clISt17integral_constantIbLb1EESX_IbLb0EEEEDaST_SU_EUlST_E_NS1_11comp_targetILNS1_3genE9ELNS1_11target_archE1100ELNS1_3gpuE3ELNS1_3repE0EEENS1_30default_config_static_selectorELNS0_4arch9wavefront6targetE0EEEvT1_,"axG",@progbits,_ZN7rocprim17ROCPRIM_400000_NS6detail17trampoline_kernelINS0_14default_configENS1_33run_length_encode_config_selectorIljNS0_4plusIjEEEEZZNS1_33reduce_by_key_impl_wrapped_configILNS1_25lookback_scan_determinismE0ES3_S7_PKlNS0_17constant_iteratorIjlEEPlSE_SE_S6_NS0_8equal_toIlEEEE10hipError_tPvRmT2_T3_mT4_T5_T6_T7_T8_P12ihipStream_tbENKUlT_T0_E_clISt17integral_constantIbLb1EESX_IbLb0EEEEDaST_SU_EUlST_E_NS1_11comp_targetILNS1_3genE9ELNS1_11target_archE1100ELNS1_3gpuE3ELNS1_3repE0EEENS1_30default_config_static_selectorELNS0_4arch9wavefront6targetE0EEEvT1_,comdat
.Lfunc_end536:
	.size	_ZN7rocprim17ROCPRIM_400000_NS6detail17trampoline_kernelINS0_14default_configENS1_33run_length_encode_config_selectorIljNS0_4plusIjEEEEZZNS1_33reduce_by_key_impl_wrapped_configILNS1_25lookback_scan_determinismE0ES3_S7_PKlNS0_17constant_iteratorIjlEEPlSE_SE_S6_NS0_8equal_toIlEEEE10hipError_tPvRmT2_T3_mT4_T5_T6_T7_T8_P12ihipStream_tbENKUlT_T0_E_clISt17integral_constantIbLb1EESX_IbLb0EEEEDaST_SU_EUlST_E_NS1_11comp_targetILNS1_3genE9ELNS1_11target_archE1100ELNS1_3gpuE3ELNS1_3repE0EEENS1_30default_config_static_selectorELNS0_4arch9wavefront6targetE0EEEvT1_, .Lfunc_end536-_ZN7rocprim17ROCPRIM_400000_NS6detail17trampoline_kernelINS0_14default_configENS1_33run_length_encode_config_selectorIljNS0_4plusIjEEEEZZNS1_33reduce_by_key_impl_wrapped_configILNS1_25lookback_scan_determinismE0ES3_S7_PKlNS0_17constant_iteratorIjlEEPlSE_SE_S6_NS0_8equal_toIlEEEE10hipError_tPvRmT2_T3_mT4_T5_T6_T7_T8_P12ihipStream_tbENKUlT_T0_E_clISt17integral_constantIbLb1EESX_IbLb0EEEEDaST_SU_EUlST_E_NS1_11comp_targetILNS1_3genE9ELNS1_11target_archE1100ELNS1_3gpuE3ELNS1_3repE0EEENS1_30default_config_static_selectorELNS0_4arch9wavefront6targetE0EEEvT1_
                                        ; -- End function
	.set _ZN7rocprim17ROCPRIM_400000_NS6detail17trampoline_kernelINS0_14default_configENS1_33run_length_encode_config_selectorIljNS0_4plusIjEEEEZZNS1_33reduce_by_key_impl_wrapped_configILNS1_25lookback_scan_determinismE0ES3_S7_PKlNS0_17constant_iteratorIjlEEPlSE_SE_S6_NS0_8equal_toIlEEEE10hipError_tPvRmT2_T3_mT4_T5_T6_T7_T8_P12ihipStream_tbENKUlT_T0_E_clISt17integral_constantIbLb1EESX_IbLb0EEEEDaST_SU_EUlST_E_NS1_11comp_targetILNS1_3genE9ELNS1_11target_archE1100ELNS1_3gpuE3ELNS1_3repE0EEENS1_30default_config_static_selectorELNS0_4arch9wavefront6targetE0EEEvT1_.num_vgpr, 0
	.set _ZN7rocprim17ROCPRIM_400000_NS6detail17trampoline_kernelINS0_14default_configENS1_33run_length_encode_config_selectorIljNS0_4plusIjEEEEZZNS1_33reduce_by_key_impl_wrapped_configILNS1_25lookback_scan_determinismE0ES3_S7_PKlNS0_17constant_iteratorIjlEEPlSE_SE_S6_NS0_8equal_toIlEEEE10hipError_tPvRmT2_T3_mT4_T5_T6_T7_T8_P12ihipStream_tbENKUlT_T0_E_clISt17integral_constantIbLb1EESX_IbLb0EEEEDaST_SU_EUlST_E_NS1_11comp_targetILNS1_3genE9ELNS1_11target_archE1100ELNS1_3gpuE3ELNS1_3repE0EEENS1_30default_config_static_selectorELNS0_4arch9wavefront6targetE0EEEvT1_.num_agpr, 0
	.set _ZN7rocprim17ROCPRIM_400000_NS6detail17trampoline_kernelINS0_14default_configENS1_33run_length_encode_config_selectorIljNS0_4plusIjEEEEZZNS1_33reduce_by_key_impl_wrapped_configILNS1_25lookback_scan_determinismE0ES3_S7_PKlNS0_17constant_iteratorIjlEEPlSE_SE_S6_NS0_8equal_toIlEEEE10hipError_tPvRmT2_T3_mT4_T5_T6_T7_T8_P12ihipStream_tbENKUlT_T0_E_clISt17integral_constantIbLb1EESX_IbLb0EEEEDaST_SU_EUlST_E_NS1_11comp_targetILNS1_3genE9ELNS1_11target_archE1100ELNS1_3gpuE3ELNS1_3repE0EEENS1_30default_config_static_selectorELNS0_4arch9wavefront6targetE0EEEvT1_.numbered_sgpr, 0
	.set _ZN7rocprim17ROCPRIM_400000_NS6detail17trampoline_kernelINS0_14default_configENS1_33run_length_encode_config_selectorIljNS0_4plusIjEEEEZZNS1_33reduce_by_key_impl_wrapped_configILNS1_25lookback_scan_determinismE0ES3_S7_PKlNS0_17constant_iteratorIjlEEPlSE_SE_S6_NS0_8equal_toIlEEEE10hipError_tPvRmT2_T3_mT4_T5_T6_T7_T8_P12ihipStream_tbENKUlT_T0_E_clISt17integral_constantIbLb1EESX_IbLb0EEEEDaST_SU_EUlST_E_NS1_11comp_targetILNS1_3genE9ELNS1_11target_archE1100ELNS1_3gpuE3ELNS1_3repE0EEENS1_30default_config_static_selectorELNS0_4arch9wavefront6targetE0EEEvT1_.num_named_barrier, 0
	.set _ZN7rocprim17ROCPRIM_400000_NS6detail17trampoline_kernelINS0_14default_configENS1_33run_length_encode_config_selectorIljNS0_4plusIjEEEEZZNS1_33reduce_by_key_impl_wrapped_configILNS1_25lookback_scan_determinismE0ES3_S7_PKlNS0_17constant_iteratorIjlEEPlSE_SE_S6_NS0_8equal_toIlEEEE10hipError_tPvRmT2_T3_mT4_T5_T6_T7_T8_P12ihipStream_tbENKUlT_T0_E_clISt17integral_constantIbLb1EESX_IbLb0EEEEDaST_SU_EUlST_E_NS1_11comp_targetILNS1_3genE9ELNS1_11target_archE1100ELNS1_3gpuE3ELNS1_3repE0EEENS1_30default_config_static_selectorELNS0_4arch9wavefront6targetE0EEEvT1_.private_seg_size, 0
	.set _ZN7rocprim17ROCPRIM_400000_NS6detail17trampoline_kernelINS0_14default_configENS1_33run_length_encode_config_selectorIljNS0_4plusIjEEEEZZNS1_33reduce_by_key_impl_wrapped_configILNS1_25lookback_scan_determinismE0ES3_S7_PKlNS0_17constant_iteratorIjlEEPlSE_SE_S6_NS0_8equal_toIlEEEE10hipError_tPvRmT2_T3_mT4_T5_T6_T7_T8_P12ihipStream_tbENKUlT_T0_E_clISt17integral_constantIbLb1EESX_IbLb0EEEEDaST_SU_EUlST_E_NS1_11comp_targetILNS1_3genE9ELNS1_11target_archE1100ELNS1_3gpuE3ELNS1_3repE0EEENS1_30default_config_static_selectorELNS0_4arch9wavefront6targetE0EEEvT1_.uses_vcc, 0
	.set _ZN7rocprim17ROCPRIM_400000_NS6detail17trampoline_kernelINS0_14default_configENS1_33run_length_encode_config_selectorIljNS0_4plusIjEEEEZZNS1_33reduce_by_key_impl_wrapped_configILNS1_25lookback_scan_determinismE0ES3_S7_PKlNS0_17constant_iteratorIjlEEPlSE_SE_S6_NS0_8equal_toIlEEEE10hipError_tPvRmT2_T3_mT4_T5_T6_T7_T8_P12ihipStream_tbENKUlT_T0_E_clISt17integral_constantIbLb1EESX_IbLb0EEEEDaST_SU_EUlST_E_NS1_11comp_targetILNS1_3genE9ELNS1_11target_archE1100ELNS1_3gpuE3ELNS1_3repE0EEENS1_30default_config_static_selectorELNS0_4arch9wavefront6targetE0EEEvT1_.uses_flat_scratch, 0
	.set _ZN7rocprim17ROCPRIM_400000_NS6detail17trampoline_kernelINS0_14default_configENS1_33run_length_encode_config_selectorIljNS0_4plusIjEEEEZZNS1_33reduce_by_key_impl_wrapped_configILNS1_25lookback_scan_determinismE0ES3_S7_PKlNS0_17constant_iteratorIjlEEPlSE_SE_S6_NS0_8equal_toIlEEEE10hipError_tPvRmT2_T3_mT4_T5_T6_T7_T8_P12ihipStream_tbENKUlT_T0_E_clISt17integral_constantIbLb1EESX_IbLb0EEEEDaST_SU_EUlST_E_NS1_11comp_targetILNS1_3genE9ELNS1_11target_archE1100ELNS1_3gpuE3ELNS1_3repE0EEENS1_30default_config_static_selectorELNS0_4arch9wavefront6targetE0EEEvT1_.has_dyn_sized_stack, 0
	.set _ZN7rocprim17ROCPRIM_400000_NS6detail17trampoline_kernelINS0_14default_configENS1_33run_length_encode_config_selectorIljNS0_4plusIjEEEEZZNS1_33reduce_by_key_impl_wrapped_configILNS1_25lookback_scan_determinismE0ES3_S7_PKlNS0_17constant_iteratorIjlEEPlSE_SE_S6_NS0_8equal_toIlEEEE10hipError_tPvRmT2_T3_mT4_T5_T6_T7_T8_P12ihipStream_tbENKUlT_T0_E_clISt17integral_constantIbLb1EESX_IbLb0EEEEDaST_SU_EUlST_E_NS1_11comp_targetILNS1_3genE9ELNS1_11target_archE1100ELNS1_3gpuE3ELNS1_3repE0EEENS1_30default_config_static_selectorELNS0_4arch9wavefront6targetE0EEEvT1_.has_recursion, 0
	.set _ZN7rocprim17ROCPRIM_400000_NS6detail17trampoline_kernelINS0_14default_configENS1_33run_length_encode_config_selectorIljNS0_4plusIjEEEEZZNS1_33reduce_by_key_impl_wrapped_configILNS1_25lookback_scan_determinismE0ES3_S7_PKlNS0_17constant_iteratorIjlEEPlSE_SE_S6_NS0_8equal_toIlEEEE10hipError_tPvRmT2_T3_mT4_T5_T6_T7_T8_P12ihipStream_tbENKUlT_T0_E_clISt17integral_constantIbLb1EESX_IbLb0EEEEDaST_SU_EUlST_E_NS1_11comp_targetILNS1_3genE9ELNS1_11target_archE1100ELNS1_3gpuE3ELNS1_3repE0EEENS1_30default_config_static_selectorELNS0_4arch9wavefront6targetE0EEEvT1_.has_indirect_call, 0
	.section	.AMDGPU.csdata,"",@progbits
; Kernel info:
; codeLenInByte = 0
; TotalNumSgprs: 0
; NumVgprs: 0
; ScratchSize: 0
; MemoryBound: 0
; FloatMode: 240
; IeeeMode: 1
; LDSByteSize: 0 bytes/workgroup (compile time only)
; SGPRBlocks: 0
; VGPRBlocks: 0
; NumSGPRsForWavesPerEU: 1
; NumVGPRsForWavesPerEU: 1
; NamedBarCnt: 0
; Occupancy: 16
; WaveLimiterHint : 0
; COMPUTE_PGM_RSRC2:SCRATCH_EN: 0
; COMPUTE_PGM_RSRC2:USER_SGPR: 2
; COMPUTE_PGM_RSRC2:TRAP_HANDLER: 0
; COMPUTE_PGM_RSRC2:TGID_X_EN: 1
; COMPUTE_PGM_RSRC2:TGID_Y_EN: 0
; COMPUTE_PGM_RSRC2:TGID_Z_EN: 0
; COMPUTE_PGM_RSRC2:TIDIG_COMP_CNT: 0
	.section	.text._ZN7rocprim17ROCPRIM_400000_NS6detail17trampoline_kernelINS0_14default_configENS1_33run_length_encode_config_selectorIljNS0_4plusIjEEEEZZNS1_33reduce_by_key_impl_wrapped_configILNS1_25lookback_scan_determinismE0ES3_S7_PKlNS0_17constant_iteratorIjlEEPlSE_SE_S6_NS0_8equal_toIlEEEE10hipError_tPvRmT2_T3_mT4_T5_T6_T7_T8_P12ihipStream_tbENKUlT_T0_E_clISt17integral_constantIbLb1EESX_IbLb0EEEEDaST_SU_EUlST_E_NS1_11comp_targetILNS1_3genE8ELNS1_11target_archE1030ELNS1_3gpuE2ELNS1_3repE0EEENS1_30default_config_static_selectorELNS0_4arch9wavefront6targetE0EEEvT1_,"axG",@progbits,_ZN7rocprim17ROCPRIM_400000_NS6detail17trampoline_kernelINS0_14default_configENS1_33run_length_encode_config_selectorIljNS0_4plusIjEEEEZZNS1_33reduce_by_key_impl_wrapped_configILNS1_25lookback_scan_determinismE0ES3_S7_PKlNS0_17constant_iteratorIjlEEPlSE_SE_S6_NS0_8equal_toIlEEEE10hipError_tPvRmT2_T3_mT4_T5_T6_T7_T8_P12ihipStream_tbENKUlT_T0_E_clISt17integral_constantIbLb1EESX_IbLb0EEEEDaST_SU_EUlST_E_NS1_11comp_targetILNS1_3genE8ELNS1_11target_archE1030ELNS1_3gpuE2ELNS1_3repE0EEENS1_30default_config_static_selectorELNS0_4arch9wavefront6targetE0EEEvT1_,comdat
	.protected	_ZN7rocprim17ROCPRIM_400000_NS6detail17trampoline_kernelINS0_14default_configENS1_33run_length_encode_config_selectorIljNS0_4plusIjEEEEZZNS1_33reduce_by_key_impl_wrapped_configILNS1_25lookback_scan_determinismE0ES3_S7_PKlNS0_17constant_iteratorIjlEEPlSE_SE_S6_NS0_8equal_toIlEEEE10hipError_tPvRmT2_T3_mT4_T5_T6_T7_T8_P12ihipStream_tbENKUlT_T0_E_clISt17integral_constantIbLb1EESX_IbLb0EEEEDaST_SU_EUlST_E_NS1_11comp_targetILNS1_3genE8ELNS1_11target_archE1030ELNS1_3gpuE2ELNS1_3repE0EEENS1_30default_config_static_selectorELNS0_4arch9wavefront6targetE0EEEvT1_ ; -- Begin function _ZN7rocprim17ROCPRIM_400000_NS6detail17trampoline_kernelINS0_14default_configENS1_33run_length_encode_config_selectorIljNS0_4plusIjEEEEZZNS1_33reduce_by_key_impl_wrapped_configILNS1_25lookback_scan_determinismE0ES3_S7_PKlNS0_17constant_iteratorIjlEEPlSE_SE_S6_NS0_8equal_toIlEEEE10hipError_tPvRmT2_T3_mT4_T5_T6_T7_T8_P12ihipStream_tbENKUlT_T0_E_clISt17integral_constantIbLb1EESX_IbLb0EEEEDaST_SU_EUlST_E_NS1_11comp_targetILNS1_3genE8ELNS1_11target_archE1030ELNS1_3gpuE2ELNS1_3repE0EEENS1_30default_config_static_selectorELNS0_4arch9wavefront6targetE0EEEvT1_
	.globl	_ZN7rocprim17ROCPRIM_400000_NS6detail17trampoline_kernelINS0_14default_configENS1_33run_length_encode_config_selectorIljNS0_4plusIjEEEEZZNS1_33reduce_by_key_impl_wrapped_configILNS1_25lookback_scan_determinismE0ES3_S7_PKlNS0_17constant_iteratorIjlEEPlSE_SE_S6_NS0_8equal_toIlEEEE10hipError_tPvRmT2_T3_mT4_T5_T6_T7_T8_P12ihipStream_tbENKUlT_T0_E_clISt17integral_constantIbLb1EESX_IbLb0EEEEDaST_SU_EUlST_E_NS1_11comp_targetILNS1_3genE8ELNS1_11target_archE1030ELNS1_3gpuE2ELNS1_3repE0EEENS1_30default_config_static_selectorELNS0_4arch9wavefront6targetE0EEEvT1_
	.p2align	8
	.type	_ZN7rocprim17ROCPRIM_400000_NS6detail17trampoline_kernelINS0_14default_configENS1_33run_length_encode_config_selectorIljNS0_4plusIjEEEEZZNS1_33reduce_by_key_impl_wrapped_configILNS1_25lookback_scan_determinismE0ES3_S7_PKlNS0_17constant_iteratorIjlEEPlSE_SE_S6_NS0_8equal_toIlEEEE10hipError_tPvRmT2_T3_mT4_T5_T6_T7_T8_P12ihipStream_tbENKUlT_T0_E_clISt17integral_constantIbLb1EESX_IbLb0EEEEDaST_SU_EUlST_E_NS1_11comp_targetILNS1_3genE8ELNS1_11target_archE1030ELNS1_3gpuE2ELNS1_3repE0EEENS1_30default_config_static_selectorELNS0_4arch9wavefront6targetE0EEEvT1_,@function
_ZN7rocprim17ROCPRIM_400000_NS6detail17trampoline_kernelINS0_14default_configENS1_33run_length_encode_config_selectorIljNS0_4plusIjEEEEZZNS1_33reduce_by_key_impl_wrapped_configILNS1_25lookback_scan_determinismE0ES3_S7_PKlNS0_17constant_iteratorIjlEEPlSE_SE_S6_NS0_8equal_toIlEEEE10hipError_tPvRmT2_T3_mT4_T5_T6_T7_T8_P12ihipStream_tbENKUlT_T0_E_clISt17integral_constantIbLb1EESX_IbLb0EEEEDaST_SU_EUlST_E_NS1_11comp_targetILNS1_3genE8ELNS1_11target_archE1030ELNS1_3gpuE2ELNS1_3repE0EEENS1_30default_config_static_selectorELNS0_4arch9wavefront6targetE0EEEvT1_: ; @_ZN7rocprim17ROCPRIM_400000_NS6detail17trampoline_kernelINS0_14default_configENS1_33run_length_encode_config_selectorIljNS0_4plusIjEEEEZZNS1_33reduce_by_key_impl_wrapped_configILNS1_25lookback_scan_determinismE0ES3_S7_PKlNS0_17constant_iteratorIjlEEPlSE_SE_S6_NS0_8equal_toIlEEEE10hipError_tPvRmT2_T3_mT4_T5_T6_T7_T8_P12ihipStream_tbENKUlT_T0_E_clISt17integral_constantIbLb1EESX_IbLb0EEEEDaST_SU_EUlST_E_NS1_11comp_targetILNS1_3genE8ELNS1_11target_archE1030ELNS1_3gpuE2ELNS1_3repE0EEENS1_30default_config_static_selectorELNS0_4arch9wavefront6targetE0EEEvT1_
; %bb.0:
	.section	.rodata,"a",@progbits
	.p2align	6, 0x0
	.amdhsa_kernel _ZN7rocprim17ROCPRIM_400000_NS6detail17trampoline_kernelINS0_14default_configENS1_33run_length_encode_config_selectorIljNS0_4plusIjEEEEZZNS1_33reduce_by_key_impl_wrapped_configILNS1_25lookback_scan_determinismE0ES3_S7_PKlNS0_17constant_iteratorIjlEEPlSE_SE_S6_NS0_8equal_toIlEEEE10hipError_tPvRmT2_T3_mT4_T5_T6_T7_T8_P12ihipStream_tbENKUlT_T0_E_clISt17integral_constantIbLb1EESX_IbLb0EEEEDaST_SU_EUlST_E_NS1_11comp_targetILNS1_3genE8ELNS1_11target_archE1030ELNS1_3gpuE2ELNS1_3repE0EEENS1_30default_config_static_selectorELNS0_4arch9wavefront6targetE0EEEvT1_
		.amdhsa_group_segment_fixed_size 0
		.amdhsa_private_segment_fixed_size 0
		.amdhsa_kernarg_size 128
		.amdhsa_user_sgpr_count 2
		.amdhsa_user_sgpr_dispatch_ptr 0
		.amdhsa_user_sgpr_queue_ptr 0
		.amdhsa_user_sgpr_kernarg_segment_ptr 1
		.amdhsa_user_sgpr_dispatch_id 0
		.amdhsa_user_sgpr_kernarg_preload_length 0
		.amdhsa_user_sgpr_kernarg_preload_offset 0
		.amdhsa_user_sgpr_private_segment_size 0
		.amdhsa_wavefront_size32 1
		.amdhsa_uses_dynamic_stack 0
		.amdhsa_enable_private_segment 0
		.amdhsa_system_sgpr_workgroup_id_x 1
		.amdhsa_system_sgpr_workgroup_id_y 0
		.amdhsa_system_sgpr_workgroup_id_z 0
		.amdhsa_system_sgpr_workgroup_info 0
		.amdhsa_system_vgpr_workitem_id 0
		.amdhsa_next_free_vgpr 1
		.amdhsa_next_free_sgpr 1
		.amdhsa_named_barrier_count 0
		.amdhsa_reserve_vcc 0
		.amdhsa_float_round_mode_32 0
		.amdhsa_float_round_mode_16_64 0
		.amdhsa_float_denorm_mode_32 3
		.amdhsa_float_denorm_mode_16_64 3
		.amdhsa_fp16_overflow 0
		.amdhsa_memory_ordered 1
		.amdhsa_forward_progress 1
		.amdhsa_inst_pref_size 0
		.amdhsa_round_robin_scheduling 0
		.amdhsa_exception_fp_ieee_invalid_op 0
		.amdhsa_exception_fp_denorm_src 0
		.amdhsa_exception_fp_ieee_div_zero 0
		.amdhsa_exception_fp_ieee_overflow 0
		.amdhsa_exception_fp_ieee_underflow 0
		.amdhsa_exception_fp_ieee_inexact 0
		.amdhsa_exception_int_div_zero 0
	.end_amdhsa_kernel
	.section	.text._ZN7rocprim17ROCPRIM_400000_NS6detail17trampoline_kernelINS0_14default_configENS1_33run_length_encode_config_selectorIljNS0_4plusIjEEEEZZNS1_33reduce_by_key_impl_wrapped_configILNS1_25lookback_scan_determinismE0ES3_S7_PKlNS0_17constant_iteratorIjlEEPlSE_SE_S6_NS0_8equal_toIlEEEE10hipError_tPvRmT2_T3_mT4_T5_T6_T7_T8_P12ihipStream_tbENKUlT_T0_E_clISt17integral_constantIbLb1EESX_IbLb0EEEEDaST_SU_EUlST_E_NS1_11comp_targetILNS1_3genE8ELNS1_11target_archE1030ELNS1_3gpuE2ELNS1_3repE0EEENS1_30default_config_static_selectorELNS0_4arch9wavefront6targetE0EEEvT1_,"axG",@progbits,_ZN7rocprim17ROCPRIM_400000_NS6detail17trampoline_kernelINS0_14default_configENS1_33run_length_encode_config_selectorIljNS0_4plusIjEEEEZZNS1_33reduce_by_key_impl_wrapped_configILNS1_25lookback_scan_determinismE0ES3_S7_PKlNS0_17constant_iteratorIjlEEPlSE_SE_S6_NS0_8equal_toIlEEEE10hipError_tPvRmT2_T3_mT4_T5_T6_T7_T8_P12ihipStream_tbENKUlT_T0_E_clISt17integral_constantIbLb1EESX_IbLb0EEEEDaST_SU_EUlST_E_NS1_11comp_targetILNS1_3genE8ELNS1_11target_archE1030ELNS1_3gpuE2ELNS1_3repE0EEENS1_30default_config_static_selectorELNS0_4arch9wavefront6targetE0EEEvT1_,comdat
.Lfunc_end537:
	.size	_ZN7rocprim17ROCPRIM_400000_NS6detail17trampoline_kernelINS0_14default_configENS1_33run_length_encode_config_selectorIljNS0_4plusIjEEEEZZNS1_33reduce_by_key_impl_wrapped_configILNS1_25lookback_scan_determinismE0ES3_S7_PKlNS0_17constant_iteratorIjlEEPlSE_SE_S6_NS0_8equal_toIlEEEE10hipError_tPvRmT2_T3_mT4_T5_T6_T7_T8_P12ihipStream_tbENKUlT_T0_E_clISt17integral_constantIbLb1EESX_IbLb0EEEEDaST_SU_EUlST_E_NS1_11comp_targetILNS1_3genE8ELNS1_11target_archE1030ELNS1_3gpuE2ELNS1_3repE0EEENS1_30default_config_static_selectorELNS0_4arch9wavefront6targetE0EEEvT1_, .Lfunc_end537-_ZN7rocprim17ROCPRIM_400000_NS6detail17trampoline_kernelINS0_14default_configENS1_33run_length_encode_config_selectorIljNS0_4plusIjEEEEZZNS1_33reduce_by_key_impl_wrapped_configILNS1_25lookback_scan_determinismE0ES3_S7_PKlNS0_17constant_iteratorIjlEEPlSE_SE_S6_NS0_8equal_toIlEEEE10hipError_tPvRmT2_T3_mT4_T5_T6_T7_T8_P12ihipStream_tbENKUlT_T0_E_clISt17integral_constantIbLb1EESX_IbLb0EEEEDaST_SU_EUlST_E_NS1_11comp_targetILNS1_3genE8ELNS1_11target_archE1030ELNS1_3gpuE2ELNS1_3repE0EEENS1_30default_config_static_selectorELNS0_4arch9wavefront6targetE0EEEvT1_
                                        ; -- End function
	.set _ZN7rocprim17ROCPRIM_400000_NS6detail17trampoline_kernelINS0_14default_configENS1_33run_length_encode_config_selectorIljNS0_4plusIjEEEEZZNS1_33reduce_by_key_impl_wrapped_configILNS1_25lookback_scan_determinismE0ES3_S7_PKlNS0_17constant_iteratorIjlEEPlSE_SE_S6_NS0_8equal_toIlEEEE10hipError_tPvRmT2_T3_mT4_T5_T6_T7_T8_P12ihipStream_tbENKUlT_T0_E_clISt17integral_constantIbLb1EESX_IbLb0EEEEDaST_SU_EUlST_E_NS1_11comp_targetILNS1_3genE8ELNS1_11target_archE1030ELNS1_3gpuE2ELNS1_3repE0EEENS1_30default_config_static_selectorELNS0_4arch9wavefront6targetE0EEEvT1_.num_vgpr, 0
	.set _ZN7rocprim17ROCPRIM_400000_NS6detail17trampoline_kernelINS0_14default_configENS1_33run_length_encode_config_selectorIljNS0_4plusIjEEEEZZNS1_33reduce_by_key_impl_wrapped_configILNS1_25lookback_scan_determinismE0ES3_S7_PKlNS0_17constant_iteratorIjlEEPlSE_SE_S6_NS0_8equal_toIlEEEE10hipError_tPvRmT2_T3_mT4_T5_T6_T7_T8_P12ihipStream_tbENKUlT_T0_E_clISt17integral_constantIbLb1EESX_IbLb0EEEEDaST_SU_EUlST_E_NS1_11comp_targetILNS1_3genE8ELNS1_11target_archE1030ELNS1_3gpuE2ELNS1_3repE0EEENS1_30default_config_static_selectorELNS0_4arch9wavefront6targetE0EEEvT1_.num_agpr, 0
	.set _ZN7rocprim17ROCPRIM_400000_NS6detail17trampoline_kernelINS0_14default_configENS1_33run_length_encode_config_selectorIljNS0_4plusIjEEEEZZNS1_33reduce_by_key_impl_wrapped_configILNS1_25lookback_scan_determinismE0ES3_S7_PKlNS0_17constant_iteratorIjlEEPlSE_SE_S6_NS0_8equal_toIlEEEE10hipError_tPvRmT2_T3_mT4_T5_T6_T7_T8_P12ihipStream_tbENKUlT_T0_E_clISt17integral_constantIbLb1EESX_IbLb0EEEEDaST_SU_EUlST_E_NS1_11comp_targetILNS1_3genE8ELNS1_11target_archE1030ELNS1_3gpuE2ELNS1_3repE0EEENS1_30default_config_static_selectorELNS0_4arch9wavefront6targetE0EEEvT1_.numbered_sgpr, 0
	.set _ZN7rocprim17ROCPRIM_400000_NS6detail17trampoline_kernelINS0_14default_configENS1_33run_length_encode_config_selectorIljNS0_4plusIjEEEEZZNS1_33reduce_by_key_impl_wrapped_configILNS1_25lookback_scan_determinismE0ES3_S7_PKlNS0_17constant_iteratorIjlEEPlSE_SE_S6_NS0_8equal_toIlEEEE10hipError_tPvRmT2_T3_mT4_T5_T6_T7_T8_P12ihipStream_tbENKUlT_T0_E_clISt17integral_constantIbLb1EESX_IbLb0EEEEDaST_SU_EUlST_E_NS1_11comp_targetILNS1_3genE8ELNS1_11target_archE1030ELNS1_3gpuE2ELNS1_3repE0EEENS1_30default_config_static_selectorELNS0_4arch9wavefront6targetE0EEEvT1_.num_named_barrier, 0
	.set _ZN7rocprim17ROCPRIM_400000_NS6detail17trampoline_kernelINS0_14default_configENS1_33run_length_encode_config_selectorIljNS0_4plusIjEEEEZZNS1_33reduce_by_key_impl_wrapped_configILNS1_25lookback_scan_determinismE0ES3_S7_PKlNS0_17constant_iteratorIjlEEPlSE_SE_S6_NS0_8equal_toIlEEEE10hipError_tPvRmT2_T3_mT4_T5_T6_T7_T8_P12ihipStream_tbENKUlT_T0_E_clISt17integral_constantIbLb1EESX_IbLb0EEEEDaST_SU_EUlST_E_NS1_11comp_targetILNS1_3genE8ELNS1_11target_archE1030ELNS1_3gpuE2ELNS1_3repE0EEENS1_30default_config_static_selectorELNS0_4arch9wavefront6targetE0EEEvT1_.private_seg_size, 0
	.set _ZN7rocprim17ROCPRIM_400000_NS6detail17trampoline_kernelINS0_14default_configENS1_33run_length_encode_config_selectorIljNS0_4plusIjEEEEZZNS1_33reduce_by_key_impl_wrapped_configILNS1_25lookback_scan_determinismE0ES3_S7_PKlNS0_17constant_iteratorIjlEEPlSE_SE_S6_NS0_8equal_toIlEEEE10hipError_tPvRmT2_T3_mT4_T5_T6_T7_T8_P12ihipStream_tbENKUlT_T0_E_clISt17integral_constantIbLb1EESX_IbLb0EEEEDaST_SU_EUlST_E_NS1_11comp_targetILNS1_3genE8ELNS1_11target_archE1030ELNS1_3gpuE2ELNS1_3repE0EEENS1_30default_config_static_selectorELNS0_4arch9wavefront6targetE0EEEvT1_.uses_vcc, 0
	.set _ZN7rocprim17ROCPRIM_400000_NS6detail17trampoline_kernelINS0_14default_configENS1_33run_length_encode_config_selectorIljNS0_4plusIjEEEEZZNS1_33reduce_by_key_impl_wrapped_configILNS1_25lookback_scan_determinismE0ES3_S7_PKlNS0_17constant_iteratorIjlEEPlSE_SE_S6_NS0_8equal_toIlEEEE10hipError_tPvRmT2_T3_mT4_T5_T6_T7_T8_P12ihipStream_tbENKUlT_T0_E_clISt17integral_constantIbLb1EESX_IbLb0EEEEDaST_SU_EUlST_E_NS1_11comp_targetILNS1_3genE8ELNS1_11target_archE1030ELNS1_3gpuE2ELNS1_3repE0EEENS1_30default_config_static_selectorELNS0_4arch9wavefront6targetE0EEEvT1_.uses_flat_scratch, 0
	.set _ZN7rocprim17ROCPRIM_400000_NS6detail17trampoline_kernelINS0_14default_configENS1_33run_length_encode_config_selectorIljNS0_4plusIjEEEEZZNS1_33reduce_by_key_impl_wrapped_configILNS1_25lookback_scan_determinismE0ES3_S7_PKlNS0_17constant_iteratorIjlEEPlSE_SE_S6_NS0_8equal_toIlEEEE10hipError_tPvRmT2_T3_mT4_T5_T6_T7_T8_P12ihipStream_tbENKUlT_T0_E_clISt17integral_constantIbLb1EESX_IbLb0EEEEDaST_SU_EUlST_E_NS1_11comp_targetILNS1_3genE8ELNS1_11target_archE1030ELNS1_3gpuE2ELNS1_3repE0EEENS1_30default_config_static_selectorELNS0_4arch9wavefront6targetE0EEEvT1_.has_dyn_sized_stack, 0
	.set _ZN7rocprim17ROCPRIM_400000_NS6detail17trampoline_kernelINS0_14default_configENS1_33run_length_encode_config_selectorIljNS0_4plusIjEEEEZZNS1_33reduce_by_key_impl_wrapped_configILNS1_25lookback_scan_determinismE0ES3_S7_PKlNS0_17constant_iteratorIjlEEPlSE_SE_S6_NS0_8equal_toIlEEEE10hipError_tPvRmT2_T3_mT4_T5_T6_T7_T8_P12ihipStream_tbENKUlT_T0_E_clISt17integral_constantIbLb1EESX_IbLb0EEEEDaST_SU_EUlST_E_NS1_11comp_targetILNS1_3genE8ELNS1_11target_archE1030ELNS1_3gpuE2ELNS1_3repE0EEENS1_30default_config_static_selectorELNS0_4arch9wavefront6targetE0EEEvT1_.has_recursion, 0
	.set _ZN7rocprim17ROCPRIM_400000_NS6detail17trampoline_kernelINS0_14default_configENS1_33run_length_encode_config_selectorIljNS0_4plusIjEEEEZZNS1_33reduce_by_key_impl_wrapped_configILNS1_25lookback_scan_determinismE0ES3_S7_PKlNS0_17constant_iteratorIjlEEPlSE_SE_S6_NS0_8equal_toIlEEEE10hipError_tPvRmT2_T3_mT4_T5_T6_T7_T8_P12ihipStream_tbENKUlT_T0_E_clISt17integral_constantIbLb1EESX_IbLb0EEEEDaST_SU_EUlST_E_NS1_11comp_targetILNS1_3genE8ELNS1_11target_archE1030ELNS1_3gpuE2ELNS1_3repE0EEENS1_30default_config_static_selectorELNS0_4arch9wavefront6targetE0EEEvT1_.has_indirect_call, 0
	.section	.AMDGPU.csdata,"",@progbits
; Kernel info:
; codeLenInByte = 0
; TotalNumSgprs: 0
; NumVgprs: 0
; ScratchSize: 0
; MemoryBound: 0
; FloatMode: 240
; IeeeMode: 1
; LDSByteSize: 0 bytes/workgroup (compile time only)
; SGPRBlocks: 0
; VGPRBlocks: 0
; NumSGPRsForWavesPerEU: 1
; NumVGPRsForWavesPerEU: 1
; NamedBarCnt: 0
; Occupancy: 16
; WaveLimiterHint : 0
; COMPUTE_PGM_RSRC2:SCRATCH_EN: 0
; COMPUTE_PGM_RSRC2:USER_SGPR: 2
; COMPUTE_PGM_RSRC2:TRAP_HANDLER: 0
; COMPUTE_PGM_RSRC2:TGID_X_EN: 1
; COMPUTE_PGM_RSRC2:TGID_Y_EN: 0
; COMPUTE_PGM_RSRC2:TGID_Z_EN: 0
; COMPUTE_PGM_RSRC2:TIDIG_COMP_CNT: 0
	.section	.text._ZN7rocprim17ROCPRIM_400000_NS6detail17trampoline_kernelINS0_14default_configENS1_33run_length_encode_config_selectorIljNS0_4plusIjEEEEZZNS1_33reduce_by_key_impl_wrapped_configILNS1_25lookback_scan_determinismE0ES3_S7_PKlNS0_17constant_iteratorIjlEEPlSE_SE_S6_NS0_8equal_toIlEEEE10hipError_tPvRmT2_T3_mT4_T5_T6_T7_T8_P12ihipStream_tbENKUlT_T0_E_clISt17integral_constantIbLb0EESX_IbLb1EEEEDaST_SU_EUlST_E_NS1_11comp_targetILNS1_3genE0ELNS1_11target_archE4294967295ELNS1_3gpuE0ELNS1_3repE0EEENS1_30default_config_static_selectorELNS0_4arch9wavefront6targetE0EEEvT1_,"axG",@progbits,_ZN7rocprim17ROCPRIM_400000_NS6detail17trampoline_kernelINS0_14default_configENS1_33run_length_encode_config_selectorIljNS0_4plusIjEEEEZZNS1_33reduce_by_key_impl_wrapped_configILNS1_25lookback_scan_determinismE0ES3_S7_PKlNS0_17constant_iteratorIjlEEPlSE_SE_S6_NS0_8equal_toIlEEEE10hipError_tPvRmT2_T3_mT4_T5_T6_T7_T8_P12ihipStream_tbENKUlT_T0_E_clISt17integral_constantIbLb0EESX_IbLb1EEEEDaST_SU_EUlST_E_NS1_11comp_targetILNS1_3genE0ELNS1_11target_archE4294967295ELNS1_3gpuE0ELNS1_3repE0EEENS1_30default_config_static_selectorELNS0_4arch9wavefront6targetE0EEEvT1_,comdat
	.protected	_ZN7rocprim17ROCPRIM_400000_NS6detail17trampoline_kernelINS0_14default_configENS1_33run_length_encode_config_selectorIljNS0_4plusIjEEEEZZNS1_33reduce_by_key_impl_wrapped_configILNS1_25lookback_scan_determinismE0ES3_S7_PKlNS0_17constant_iteratorIjlEEPlSE_SE_S6_NS0_8equal_toIlEEEE10hipError_tPvRmT2_T3_mT4_T5_T6_T7_T8_P12ihipStream_tbENKUlT_T0_E_clISt17integral_constantIbLb0EESX_IbLb1EEEEDaST_SU_EUlST_E_NS1_11comp_targetILNS1_3genE0ELNS1_11target_archE4294967295ELNS1_3gpuE0ELNS1_3repE0EEENS1_30default_config_static_selectorELNS0_4arch9wavefront6targetE0EEEvT1_ ; -- Begin function _ZN7rocprim17ROCPRIM_400000_NS6detail17trampoline_kernelINS0_14default_configENS1_33run_length_encode_config_selectorIljNS0_4plusIjEEEEZZNS1_33reduce_by_key_impl_wrapped_configILNS1_25lookback_scan_determinismE0ES3_S7_PKlNS0_17constant_iteratorIjlEEPlSE_SE_S6_NS0_8equal_toIlEEEE10hipError_tPvRmT2_T3_mT4_T5_T6_T7_T8_P12ihipStream_tbENKUlT_T0_E_clISt17integral_constantIbLb0EESX_IbLb1EEEEDaST_SU_EUlST_E_NS1_11comp_targetILNS1_3genE0ELNS1_11target_archE4294967295ELNS1_3gpuE0ELNS1_3repE0EEENS1_30default_config_static_selectorELNS0_4arch9wavefront6targetE0EEEvT1_
	.globl	_ZN7rocprim17ROCPRIM_400000_NS6detail17trampoline_kernelINS0_14default_configENS1_33run_length_encode_config_selectorIljNS0_4plusIjEEEEZZNS1_33reduce_by_key_impl_wrapped_configILNS1_25lookback_scan_determinismE0ES3_S7_PKlNS0_17constant_iteratorIjlEEPlSE_SE_S6_NS0_8equal_toIlEEEE10hipError_tPvRmT2_T3_mT4_T5_T6_T7_T8_P12ihipStream_tbENKUlT_T0_E_clISt17integral_constantIbLb0EESX_IbLb1EEEEDaST_SU_EUlST_E_NS1_11comp_targetILNS1_3genE0ELNS1_11target_archE4294967295ELNS1_3gpuE0ELNS1_3repE0EEENS1_30default_config_static_selectorELNS0_4arch9wavefront6targetE0EEEvT1_
	.p2align	8
	.type	_ZN7rocprim17ROCPRIM_400000_NS6detail17trampoline_kernelINS0_14default_configENS1_33run_length_encode_config_selectorIljNS0_4plusIjEEEEZZNS1_33reduce_by_key_impl_wrapped_configILNS1_25lookback_scan_determinismE0ES3_S7_PKlNS0_17constant_iteratorIjlEEPlSE_SE_S6_NS0_8equal_toIlEEEE10hipError_tPvRmT2_T3_mT4_T5_T6_T7_T8_P12ihipStream_tbENKUlT_T0_E_clISt17integral_constantIbLb0EESX_IbLb1EEEEDaST_SU_EUlST_E_NS1_11comp_targetILNS1_3genE0ELNS1_11target_archE4294967295ELNS1_3gpuE0ELNS1_3repE0EEENS1_30default_config_static_selectorELNS0_4arch9wavefront6targetE0EEEvT1_,@function
_ZN7rocprim17ROCPRIM_400000_NS6detail17trampoline_kernelINS0_14default_configENS1_33run_length_encode_config_selectorIljNS0_4plusIjEEEEZZNS1_33reduce_by_key_impl_wrapped_configILNS1_25lookback_scan_determinismE0ES3_S7_PKlNS0_17constant_iteratorIjlEEPlSE_SE_S6_NS0_8equal_toIlEEEE10hipError_tPvRmT2_T3_mT4_T5_T6_T7_T8_P12ihipStream_tbENKUlT_T0_E_clISt17integral_constantIbLb0EESX_IbLb1EEEEDaST_SU_EUlST_E_NS1_11comp_targetILNS1_3genE0ELNS1_11target_archE4294967295ELNS1_3gpuE0ELNS1_3repE0EEENS1_30default_config_static_selectorELNS0_4arch9wavefront6targetE0EEEvT1_: ; @_ZN7rocprim17ROCPRIM_400000_NS6detail17trampoline_kernelINS0_14default_configENS1_33run_length_encode_config_selectorIljNS0_4plusIjEEEEZZNS1_33reduce_by_key_impl_wrapped_configILNS1_25lookback_scan_determinismE0ES3_S7_PKlNS0_17constant_iteratorIjlEEPlSE_SE_S6_NS0_8equal_toIlEEEE10hipError_tPvRmT2_T3_mT4_T5_T6_T7_T8_P12ihipStream_tbENKUlT_T0_E_clISt17integral_constantIbLb0EESX_IbLb1EEEEDaST_SU_EUlST_E_NS1_11comp_targetILNS1_3genE0ELNS1_11target_archE4294967295ELNS1_3gpuE0ELNS1_3repE0EEENS1_30default_config_static_selectorELNS0_4arch9wavefront6targetE0EEEvT1_
; %bb.0:
	s_clause 0x5
	s_load_b32 s8, s[0:1], 0x10
	s_load_b128 s[28:31], s[0:1], 0x20
	s_load_b64 s[34:35], s[0:1], 0x30
	s_load_b64 s[40:41], s[0:1], 0x70
	s_load_b128 s[36:39], s[0:1], 0x60
	s_load_b256 s[20:27], s[0:1], 0x40
	v_cmp_ne_u32_e64 s3, 0, v0
	v_cmp_eq_u32_e64 s2, 0, v0
	s_and_saveexec_b32 s4, s2
	s_cbranch_execz .LBB538_4
; %bb.1:
	s_mov_b32 s6, exec_lo
	s_mov_b32 s5, exec_lo
	v_mbcnt_lo_u32_b32 v1, s6, 0
                                        ; implicit-def: $vgpr2
	s_delay_alu instid0(VALU_DEP_1)
	v_cmpx_eq_u32_e32 0, v1
	s_cbranch_execz .LBB538_3
; %bb.2:
	s_load_b64 s[10:11], s[0:1], 0x78
	s_bcnt1_i32_b32 s6, s6
	s_delay_alu instid0(SALU_CYCLE_1)
	v_dual_mov_b32 v2, 0 :: v_dual_mov_b32 v3, s6
	s_wait_xcnt 0x0
	s_wait_kmcnt 0x0
	global_atomic_add_u32 v2, v2, v3, s[10:11] th:TH_ATOMIC_RETURN scope:SCOPE_DEV
.LBB538_3:
	s_wait_xcnt 0x0
	s_or_b32 exec_lo, exec_lo, s5
	s_wait_loadcnt 0x0
	v_readfirstlane_b32 s5, v2
	s_delay_alu instid0(VALU_DEP_1)
	v_dual_mov_b32 v2, 0 :: v_dual_add_nc_u32 v1, s5, v1
	ds_store_b32 v2, v1
.LBB538_4:
	s_or_b32 exec_lo, exec_lo, s4
	v_mov_b32_e32 v3, 0
	s_wait_dscnt 0x0
	s_barrier_signal -1
	s_barrier_wait -1
	ds_load_b32 v1, v3
	s_load_b128 s[4:7], s[0:1], 0x0
	s_wait_kmcnt 0x0
	s_mul_u64 s[0:1], s[24:25], s[22:23]
	s_mov_b32 s25, 0
	s_wait_dscnt 0x0
	s_barrier_signal -1
	s_barrier_wait -1
	v_mul_lo_u32 v2, 0xf00, v1
	v_readfirstlane_b32 s24, v1
	s_lshl_b64 s[6:7], s[6:7], 3
	s_delay_alu instid0(SALU_CYCLE_1)
	s_add_nc_u64 s[4:5], s[4:5], s[6:7]
	s_add_nc_u64 s[6:7], s[26:27], -1
	s_add_nc_u64 s[16:17], s[0:1], s[24:25]
	s_mul_i32 s33, s6, 0xfffff100
	s_cmp_eq_u64 s[16:17], s[6:7]
	s_cselect_b32 s19, -1, 0
	v_lshlrev_b64_e32 v[2:3], 3, v[2:3]
	s_cmp_lg_u64 s[16:17], s[6:7]
	s_cselect_b32 s0, -1, 0
	s_and_b32 vcc_lo, exec_lo, s19
	s_delay_alu instid0(VALU_DEP_1)
	v_add_nc_u64_e32 v[44:45], s[4:5], v[2:3]
	s_cbranch_vccnz .LBB538_6
; %bb.5:
	s_delay_alu instid0(VALU_DEP_1) | instskip(NEXT) | instid1(VALU_DEP_2)
	v_readfirstlane_b32 s4, v44
	v_readfirstlane_b32 s5, v45
	v_lshlrev_b32_e32 v1, 3, v0
	s_mov_b32 s1, 0
	s_mov_b32 s25, -1
	s_clause 0xe
	global_load_b64 v[2:3], v0, s[4:5] scale_offset
	global_load_b64 v[4:5], v0, s[4:5] offset:2048 scale_offset
	global_load_b64 v[6:7], v0, s[4:5] offset:4096 scale_offset
	;; [unrolled: 1-line block ×14, first 2 shown]
	v_mad_u32_u24 v32, 0x70, v0, v1
	s_wait_loadcnt 0xd
	ds_store_2addr_stride64_b64 v1, v[2:3], v[4:5] offset1:4
	s_wait_loadcnt 0xb
	ds_store_2addr_stride64_b64 v1, v[6:7], v[8:9] offset0:8 offset1:12
	s_wait_loadcnt 0x9
	ds_store_2addr_stride64_b64 v1, v[10:11], v[12:13] offset0:16 offset1:20
	;; [unrolled: 2-line block ×6, first 2 shown]
	s_wait_loadcnt 0x0
	ds_store_b64 v1, v[30:31] offset:28672
	s_wait_dscnt 0x0
	s_barrier_signal -1
	s_barrier_wait -1
	ds_load_2addr_b64 v[26:29], v32 offset1:1
	ds_load_2addr_b64 v[22:25], v32 offset0:2 offset1:3
	ds_load_2addr_b64 v[18:21], v32 offset0:4 offset1:5
	;; [unrolled: 1-line block ×6, first 2 shown]
	ds_load_b64 v[42:43], v32 offset:112
	s_wait_dscnt 0x7
	v_dual_mov_b32 v30, v26 :: v_dual_mov_b32 v31, v27
	s_wait_dscnt 0x6
	v_dual_mov_b32 v32, v22 :: v_dual_mov_b32 v33, v23
	;; [unrolled: 2-line block ×7, first 2 shown]
	s_branch .LBB538_7
.LBB538_6:
	s_mov_b32 s1, -1
                                        ; implicit-def: $vgpr42_vgpr43
                                        ; implicit-def: $vgpr2_vgpr3
                                        ; implicit-def: $vgpr6_vgpr7
                                        ; implicit-def: $vgpr10_vgpr11
                                        ; implicit-def: $vgpr14_vgpr15
                                        ; implicit-def: $vgpr18_vgpr19
                                        ; implicit-def: $vgpr22_vgpr23
                                        ; implicit-def: $vgpr26_vgpr27
                                        ; implicit-def: $vgpr38_vgpr39_vgpr40_vgpr41
                                        ; implicit-def: $vgpr34_vgpr35_vgpr36_vgpr37
                                        ; implicit-def: $vgpr30_vgpr31_vgpr32_vgpr33
                                        ; implicit-def: $vgpr46_vgpr47
.LBB538_7:
	v_dual_mov_b32 v68, s8 :: v_dual_mov_b32 v69, s8
	v_dual_mov_b32 v70, s8 :: v_dual_mov_b32 v71, s8
	;; [unrolled: 1-line block ×7, first 2 shown]
	s_and_not1_b32 vcc_lo, exec_lo, s1
	s_add_co_i32 s33, s33, s36
                                        ; implicit-def: $vgpr96
	s_cbranch_vccnz .LBB538_39
; %bb.8:
	s_mov_b32 s1, exec_lo
                                        ; implicit-def: $vgpr2_vgpr3
	v_cmpx_gt_u32_e64 s33, v0
	s_cbranch_execz .LBB538_10
; %bb.9:
	v_readfirstlane_b32 s4, v44
	v_readfirstlane_b32 s5, v45
	global_load_b64 v[2:3], v0, s[4:5] scale_offset
.LBB538_10:
	s_wait_xcnt 0x0
	s_or_b32 exec_lo, exec_lo, s1
	v_or_b32_e32 v1, 0x100, v0
	s_mov_b32 s1, exec_lo
                                        ; implicit-def: $vgpr4_vgpr5
	s_delay_alu instid0(VALU_DEP_1)
	v_cmpx_gt_u32_e64 s33, v1
	s_cbranch_execz .LBB538_12
; %bb.11:
	v_readfirstlane_b32 s4, v44
	v_readfirstlane_b32 s5, v45
	global_load_b64 v[4:5], v0, s[4:5] offset:2048 scale_offset
.LBB538_12:
	s_wait_xcnt 0x0
	s_or_b32 exec_lo, exec_lo, s1
	v_or_b32_e32 v1, 0x200, v0
	s_mov_b32 s1, exec_lo
                                        ; implicit-def: $vgpr6_vgpr7
	s_delay_alu instid0(VALU_DEP_1)
	v_cmpx_gt_u32_e64 s33, v1
	s_cbranch_execz .LBB538_14
; %bb.13:
	v_readfirstlane_b32 s4, v44
	v_readfirstlane_b32 s5, v45
	global_load_b64 v[6:7], v0, s[4:5] offset:4096 scale_offset
.LBB538_14:
	s_wait_xcnt 0x0
	s_or_b32 exec_lo, exec_lo, s1
	v_or_b32_e32 v1, 0x300, v0
	s_mov_b32 s1, exec_lo
                                        ; implicit-def: $vgpr8_vgpr9
	s_delay_alu instid0(VALU_DEP_1)
	v_cmpx_gt_u32_e64 s33, v1
	s_cbranch_execz .LBB538_16
; %bb.15:
	v_readfirstlane_b32 s4, v44
	v_readfirstlane_b32 s5, v45
	global_load_b64 v[8:9], v0, s[4:5] offset:6144 scale_offset
.LBB538_16:
	s_wait_xcnt 0x0
	s_or_b32 exec_lo, exec_lo, s1
	v_or_b32_e32 v1, 0x400, v0
	s_mov_b32 s1, exec_lo
                                        ; implicit-def: $vgpr10_vgpr11
	s_delay_alu instid0(VALU_DEP_1)
	v_cmpx_gt_u32_e64 s33, v1
	s_cbranch_execz .LBB538_18
; %bb.17:
	v_readfirstlane_b32 s4, v44
	v_readfirstlane_b32 s5, v45
	global_load_b64 v[10:11], v0, s[4:5] offset:8192 scale_offset
.LBB538_18:
	s_wait_xcnt 0x0
	s_or_b32 exec_lo, exec_lo, s1
	v_or_b32_e32 v1, 0x500, v0
	s_mov_b32 s1, exec_lo
                                        ; implicit-def: $vgpr12_vgpr13
	s_delay_alu instid0(VALU_DEP_1)
	v_cmpx_gt_u32_e64 s33, v1
	s_cbranch_execz .LBB538_20
; %bb.19:
	v_readfirstlane_b32 s4, v44
	v_readfirstlane_b32 s5, v45
	global_load_b64 v[12:13], v0, s[4:5] offset:10240 scale_offset
.LBB538_20:
	s_wait_xcnt 0x0
	s_or_b32 exec_lo, exec_lo, s1
	v_or_b32_e32 v1, 0x600, v0
	s_mov_b32 s1, exec_lo
                                        ; implicit-def: $vgpr14_vgpr15
	s_delay_alu instid0(VALU_DEP_1)
	v_cmpx_gt_u32_e64 s33, v1
	s_cbranch_execz .LBB538_22
; %bb.21:
	v_readfirstlane_b32 s4, v44
	v_readfirstlane_b32 s5, v45
	global_load_b64 v[14:15], v0, s[4:5] offset:12288 scale_offset
.LBB538_22:
	s_wait_xcnt 0x0
	s_or_b32 exec_lo, exec_lo, s1
	v_or_b32_e32 v1, 0x700, v0
	s_mov_b32 s1, exec_lo
                                        ; implicit-def: $vgpr16_vgpr17
	s_delay_alu instid0(VALU_DEP_1)
	v_cmpx_gt_u32_e64 s33, v1
	s_cbranch_execz .LBB538_24
; %bb.23:
	v_readfirstlane_b32 s4, v44
	v_readfirstlane_b32 s5, v45
	global_load_b64 v[16:17], v0, s[4:5] offset:14336 scale_offset
.LBB538_24:
	s_wait_xcnt 0x0
	s_or_b32 exec_lo, exec_lo, s1
	v_or_b32_e32 v1, 0x800, v0
	s_mov_b32 s1, exec_lo
                                        ; implicit-def: $vgpr18_vgpr19
	s_delay_alu instid0(VALU_DEP_1)
	v_cmpx_gt_u32_e64 s33, v1
	s_cbranch_execz .LBB538_26
; %bb.25:
	v_readfirstlane_b32 s4, v44
	v_readfirstlane_b32 s5, v45
	global_load_b64 v[18:19], v0, s[4:5] offset:16384 scale_offset
.LBB538_26:
	s_wait_xcnt 0x0
	s_or_b32 exec_lo, exec_lo, s1
	v_or_b32_e32 v1, 0x900, v0
	s_mov_b32 s1, exec_lo
                                        ; implicit-def: $vgpr20_vgpr21
	s_delay_alu instid0(VALU_DEP_1)
	v_cmpx_gt_u32_e64 s33, v1
	s_cbranch_execz .LBB538_28
; %bb.27:
	v_readfirstlane_b32 s4, v44
	v_readfirstlane_b32 s5, v45
	global_load_b64 v[20:21], v0, s[4:5] offset:18432 scale_offset
.LBB538_28:
	s_wait_xcnt 0x0
	s_or_b32 exec_lo, exec_lo, s1
	v_or_b32_e32 v1, 0xa00, v0
	s_mov_b32 s1, exec_lo
                                        ; implicit-def: $vgpr22_vgpr23
	s_delay_alu instid0(VALU_DEP_1)
	v_cmpx_gt_u32_e64 s33, v1
	s_cbranch_execz .LBB538_30
; %bb.29:
	v_readfirstlane_b32 s4, v44
	v_readfirstlane_b32 s5, v45
	global_load_b64 v[22:23], v0, s[4:5] offset:20480 scale_offset
.LBB538_30:
	s_wait_xcnt 0x0
	s_or_b32 exec_lo, exec_lo, s1
	v_or_b32_e32 v1, 0xb00, v0
	s_mov_b32 s1, exec_lo
                                        ; implicit-def: $vgpr24_vgpr25
	s_delay_alu instid0(VALU_DEP_1)
	v_cmpx_gt_u32_e64 s33, v1
	s_cbranch_execz .LBB538_32
; %bb.31:
	v_readfirstlane_b32 s4, v44
	v_readfirstlane_b32 s5, v45
	global_load_b64 v[24:25], v0, s[4:5] offset:22528 scale_offset
.LBB538_32:
	s_wait_xcnt 0x0
	s_or_b32 exec_lo, exec_lo, s1
	v_or_b32_e32 v1, 0xc00, v0
	s_mov_b32 s1, exec_lo
                                        ; implicit-def: $vgpr26_vgpr27
	s_delay_alu instid0(VALU_DEP_1)
	v_cmpx_gt_u32_e64 s33, v1
	s_cbranch_execz .LBB538_34
; %bb.33:
	v_readfirstlane_b32 s4, v44
	v_readfirstlane_b32 s5, v45
	global_load_b64 v[26:27], v0, s[4:5] offset:24576 scale_offset
.LBB538_34:
	s_wait_xcnt 0x0
	s_or_b32 exec_lo, exec_lo, s1
	v_or_b32_e32 v1, 0xd00, v0
	s_mov_b32 s1, exec_lo
                                        ; implicit-def: $vgpr28_vgpr29
	s_delay_alu instid0(VALU_DEP_1)
	v_cmpx_gt_u32_e64 s33, v1
	s_cbranch_execz .LBB538_36
; %bb.35:
	v_readfirstlane_b32 s4, v44
	v_readfirstlane_b32 s5, v45
	global_load_b64 v[28:29], v0, s[4:5] offset:26624 scale_offset
.LBB538_36:
	s_wait_xcnt 0x0
	s_or_b32 exec_lo, exec_lo, s1
	v_or_b32_e32 v1, 0xe00, v0
	s_mov_b32 s1, exec_lo
                                        ; implicit-def: $vgpr30_vgpr31
	s_delay_alu instid0(VALU_DEP_1)
	v_cmpx_gt_u32_e64 s33, v1
	s_cbranch_execz .LBB538_38
; %bb.37:
	v_readfirstlane_b32 s4, v44
	v_readfirstlane_b32 s5, v45
	global_load_b64 v[30:31], v0, s[4:5] offset:28672 scale_offset
.LBB538_38:
	s_wait_xcnt 0x0
	s_or_b32 exec_lo, exec_lo, s1
	v_lshlrev_b32_e32 v1, 3, v0
	s_wait_loadcnt 0x0
	ds_store_2addr_stride64_b64 v1, v[2:3], v[4:5] offset1:4
	ds_store_2addr_stride64_b64 v1, v[6:7], v[8:9] offset0:8 offset1:12
	ds_store_2addr_stride64_b64 v1, v[10:11], v[12:13] offset0:16 offset1:20
	;; [unrolled: 1-line block ×6, first 2 shown]
	ds_store_b64 v1, v[30:31] offset:28672
	v_mul_u32_u24_e32 v30, 15, v0
	v_mad_u32_u24 v1, 0x70, v0, v1
	v_mad_u32_u24 v31, v0, 15, 1
	s_wait_dscnt 0x0
	s_barrier_signal -1
	v_cmp_gt_u32_e32 vcc_lo, s33, v30
	s_barrier_wait -1
	ds_load_2addr_b64 v[26:29], v1 offset1:1
	ds_load_2addr_b64 v[22:25], v1 offset0:2 offset1:3
	ds_load_2addr_b64 v[18:21], v1 offset0:4 offset1:5
	;; [unrolled: 1-line block ×6, first 2 shown]
	ds_load_b64 v[42:43], v1 offset:112
	v_mad_u32_u24 v1, v0, 15, 2
	v_cndmask_b32_e64 v75, 0, s8, vcc_lo
	v_cmp_gt_u32_e32 vcc_lo, s33, v31
	v_mad_u32_u24 v30, v0, 15, 3
	v_mad_u32_u24 v31, v0, 15, 5
	v_mov_b32_e32 v96, 0
	v_cndmask_b32_e64 v72, 0, s8, vcc_lo
	v_cmp_gt_u32_e32 vcc_lo, s33, v1
	v_mad_u32_u24 v1, v0, 15, 4
	v_cndmask_b32_e64 v74, 0, s8, vcc_lo
	v_cmp_gt_u32_e32 vcc_lo, s33, v30
	v_mad_u32_u24 v30, v0, 15, 6
	s_wait_dscnt 0x5
	v_dual_mov_b32 v33, v23 :: v_dual_mov_b32 v34, v18
	s_wait_dscnt 0x4
	v_dual_mov_b32 v35, v19 :: v_dual_mov_b32 v36, v14
	v_cndmask_b32_e64 v92, 0, s8, vcc_lo
	v_cmp_gt_u32_e32 vcc_lo, s33, v1
	v_mad_u32_u24 v1, v0, 15, 7
	s_wait_dscnt 0x3
	v_dual_mov_b32 v37, v15 :: v_dual_mov_b32 v38, v10
	s_wait_dscnt 0x2
	v_dual_mov_b32 v39, v11 :: v_dual_mov_b32 v40, v6
	v_cndmask_b32_e64 v94, 0, s8, vcc_lo
	v_cmp_gt_u32_e32 vcc_lo, s33, v31
	v_mad_u32_u24 v31, v0, 15, 9
	s_wait_dscnt 0x1
	v_dual_mov_b32 v41, v7 :: v_dual_mov_b32 v46, v2
	v_mov_b32_e32 v47, v3
	v_cndmask_b32_e64 v90, 0, s8, vcc_lo
	v_cmp_gt_u32_e32 vcc_lo, s33, v30
	v_mad_u32_u24 v30, v0, 15, 8
	v_mov_b32_e32 v32, v22
	v_cndmask_b32_e64 v89, 0, s8, vcc_lo
	v_cmp_gt_u32_e32 vcc_lo, s33, v1
	v_mad_u32_u24 v1, v0, 15, 10
	v_cndmask_b32_e64 v93, 0, s8, vcc_lo
	v_cmp_gt_u32_e32 vcc_lo, s33, v30
	v_mad_u32_u24 v30, v0, 15, 11
	;; [unrolled: 3-line block ×5, first 2 shown]
	v_cndmask_b32_e64 v70, 0, s8, vcc_lo
	v_cmp_gt_u32_e32 vcc_lo, s33, v1
	s_delay_alu instid0(VALU_DEP_3)
	v_cmp_gt_u32_e64 s25, s33, v30
	v_mov_b32_e32 v30, v26
	v_cndmask_b32_e64 v69, 0, s8, vcc_lo
	v_cmp_gt_u32_e32 vcc_lo, s33, v31
	v_mov_b32_e32 v31, v27
	v_cndmask_b32_e64 v68, 0, s8, vcc_lo
.LBB538_39:
	s_and_saveexec_b32 s1, s25
; %bb.40:
	v_mov_b32_e32 v96, s8
; %bb.41:
	s_or_b32 exec_lo, exec_lo, s1
	s_cmp_eq_u64 s[16:17], 0
	s_wait_dscnt 0x0
	s_cselect_b32 s25, -1, 0
	s_cmp_lg_u64 s[16:17], 0
	s_barrier_signal -1
	s_cselect_b32 s26, -1, 0
	s_and_b32 vcc_lo, exec_lo, s0
	s_barrier_wait -1
	s_cbranch_vccz .LBB538_46
; %bb.42:
	s_and_b32 vcc_lo, exec_lo, s26
	s_cbranch_vccz .LBB538_47
; %bb.43:
	global_load_b64 v[48:49], v[44:45], off offset:-8
	v_lshlrev_b32_e32 v1, 3, v0
	ds_store_b64 v1, v[42:43]
	s_wait_loadcnt_dscnt 0x0
	s_barrier_signal -1
	s_barrier_wait -1
	s_and_saveexec_b32 s0, s3
; %bb.44:
	v_add_nc_u32_e32 v1, -8, v1
	ds_load_b64 v[48:49], v1
; %bb.45:
	s_or_b32 exec_lo, exec_lo, s0
	v_cmp_ne_u64_e32 vcc_lo, v[30:31], v[28:29]
	s_wait_dscnt 0x0
	v_cmp_ne_u64_e64 s15, v[48:49], v[26:27]
	s_mov_b32 s18, -1
	v_cndmask_b32_e64 v88, 0, 1, vcc_lo
	v_cmp_ne_u64_e32 vcc_lo, v[32:33], v[28:29]
	v_cndmask_b32_e64 v87, 0, 1, vcc_lo
	v_cmp_ne_u64_e32 vcc_lo, v[32:33], v[24:25]
	;; [unrolled: 2-line block ×13, first 2 shown]
	v_cndmask_b32_e64 v86, 0, 1, vcc_lo
	s_branch .LBB538_51
.LBB538_46:
	s_mov_b32 s18, 0
                                        ; implicit-def: $sgpr15
                                        ; implicit-def: $vgpr86
                                        ; implicit-def: $vgpr81
                                        ; implicit-def: $vgpr82
                                        ; implicit-def: $vgpr1
                                        ; implicit-def: $vgpr76
                                        ; implicit-def: $vgpr77
                                        ; implicit-def: $vgpr78
                                        ; implicit-def: $vgpr79
                                        ; implicit-def: $vgpr83
                                        ; implicit-def: $vgpr80
                                        ; implicit-def: $vgpr84
                                        ; implicit-def: $vgpr85
                                        ; implicit-def: $vgpr87
                                        ; implicit-def: $vgpr88
	s_cbranch_execnz .LBB538_52
	s_branch .LBB538_60
.LBB538_47:
	s_mov_b32 s18, 0
                                        ; implicit-def: $sgpr15
                                        ; implicit-def: $vgpr86
                                        ; implicit-def: $vgpr81
                                        ; implicit-def: $vgpr82
                                        ; implicit-def: $vgpr1
                                        ; implicit-def: $vgpr76
                                        ; implicit-def: $vgpr77
                                        ; implicit-def: $vgpr78
                                        ; implicit-def: $vgpr79
                                        ; implicit-def: $vgpr83
                                        ; implicit-def: $vgpr80
                                        ; implicit-def: $vgpr84
                                        ; implicit-def: $vgpr85
                                        ; implicit-def: $vgpr87
                                        ; implicit-def: $vgpr88
	s_cbranch_execz .LBB538_51
; %bb.48:
	v_cmp_ne_u64_e64 s0, v[4:5], v[46:47]
	v_cmp_ne_u64_e64 s1, v[46:47], v[8:9]
	;; [unrolled: 1-line block ×13, first 2 shown]
	v_lshlrev_b32_e32 v1, 3, v0
	v_cmp_ne_u64_e32 vcc_lo, v[4:5], v[42:43]
                                        ; implicit-def: $sgpr15
	ds_store_b64 v1, v[42:43]
	s_wait_dscnt 0x0
	s_barrier_signal -1
	s_barrier_wait -1
	s_and_saveexec_b32 s27, s3
	s_delay_alu instid0(SALU_CYCLE_1)
	s_xor_b32 s27, exec_lo, s27
	s_cbranch_execz .LBB538_50
; %bb.49:
	v_add_nc_u32_e32 v1, -8, v1
	s_or_b32 s18, s18, exec_lo
	ds_load_b64 v[30:31], v1
	s_wait_dscnt 0x0
	v_cmp_ne_u64_e64 s15, v[30:31], v[26:27]
.LBB538_50:
	s_or_b32 exec_lo, exec_lo, s27
	v_cndmask_b32_e64 v88, 0, 1, s14
	v_cndmask_b32_e64 v87, 0, 1, s13
	;; [unrolled: 1-line block ×13, first 2 shown]
	v_cndmask_b32_e64 v86, 0, 1, vcc_lo
.LBB538_51:
	s_branch .LBB538_60
.LBB538_52:
	s_mov_b64 s[0:1], 0xfffffffffffff100
	v_cmp_ne_u64_e64 s14, v[4:5], v[42:43]
	s_mul_u64 s[16:17], s[16:17], s[0:1]
	v_cmp_ne_u64_e64 s15, v[2:3], v[4:5]
	v_cmp_ne_u64_e64 s12, v[8:9], v[2:3]
	;; [unrolled: 1-line block ×13, first 2 shown]
	v_mad_u32_u24 v30, v0, 15, 14
	v_mad_u32_u24 v60, v0, 15, 13
	;; [unrolled: 1-line block ×14, first 2 shown]
	s_and_b32 vcc_lo, exec_lo, s26
	s_add_nc_u64 s[26:27], s[16:17], s[36:37]
	s_cbranch_vccz .LBB538_56
; %bb.53:
	global_load_b64 v[44:45], v[44:45], off offset:-8
	v_dual_lshlrev_b32 v1, 3, v0 :: v_dual_mov_b32 v31, 0
	v_mul_u32_u24_e32 v62, 15, v0
	ds_store_b64 v1, v[42:43]
	v_dual_mov_b32 v61, v31 :: v_dual_mov_b32 v59, v31
	v_cmp_gt_u64_e32 vcc_lo, s[26:27], v[30:31]
	v_dual_mov_b32 v57, v31 :: v_dual_mov_b32 v55, v31
	s_delay_alu instid0(VALU_DEP_3) | instskip(SKIP_2) | instid1(VALU_DEP_4)
	v_cmp_gt_u64_e64 s16, s[26:27], v[60:61]
	v_dual_mov_b32 v53, v31 :: v_dual_mov_b32 v51, v31
	v_cmp_gt_u64_e64 s17, s[26:27], v[58:59]
	v_cmp_gt_u64_e64 s18, s[26:27], v[56:57]
	s_and_b32 s36, vcc_lo, s14
	v_cmp_gt_u64_e32 vcc_lo, s[26:27], v[54:55]
	s_and_b32 s37, s16, s15
	v_cmp_gt_u64_e64 s14, s[26:27], v[52:53]
	v_cmp_gt_u64_e64 s15, s[26:27], v[50:51]
	v_dual_mov_b32 v49, v31 :: v_dual_mov_b32 v47, v31
	v_dual_mov_b32 v41, v31 :: v_dual_mov_b32 v39, v31
	;; [unrolled: 1-line block ×3, first 2 shown]
	v_mov_b32_e32 v33, v31
	s_and_b32 s42, s17, s12
	s_and_b32 s18, s18, s13
	s_and_b32 s16, vcc_lo, s9
	s_and_b32 s17, s14, s10
	s_and_b32 s15, s15, s11
	v_cmp_gt_u64_e32 vcc_lo, s[26:27], v[48:49]
	v_cmp_gt_u64_e64 s9, s[26:27], v[46:47]
	v_cmp_gt_u64_e64 s10, s[26:27], v[40:41]
	;; [unrolled: 1-line block ×6, first 2 shown]
	s_and_b32 s0, vcc_lo, s0
	s_and_b32 s1, s9, s1
	s_and_b32 s4, s10, s4
	;; [unrolled: 1-line block ×6, first 2 shown]
	s_wait_loadcnt_dscnt 0x0
	s_barrier_signal -1
	s_barrier_wait -1
	s_and_saveexec_b32 s9, s3
; %bb.54:
	v_add_nc_u32_e32 v1, -8, v1
	ds_load_b64 v[44:45], v1
; %bb.55:
	s_or_b32 exec_lo, exec_lo, s9
	v_mov_b32_e32 v63, v31
	v_cndmask_b32_e64 v79, 0, 1, s0
	s_wait_dscnt 0x0
	v_cmp_ne_u64_e64 s0, v[44:45], v[26:27]
	v_cndmask_b32_e64 v86, 0, 1, s36
	v_cndmask_b32_e64 v81, 0, 1, s37
	v_cmp_gt_u64_e32 vcc_lo, s[26:27], v[62:63]
	v_cndmask_b32_e64 v82, 0, 1, s42
	v_cndmask_b32_e64 v1, 0, 1, s18
	;; [unrolled: 1-line block ×11, first 2 shown]
	s_and_b32 s15, vcc_lo, s0
	s_mov_b32 s18, -1
	s_branch .LBB538_60
.LBB538_56:
                                        ; implicit-def: $sgpr15
                                        ; implicit-def: $vgpr86
                                        ; implicit-def: $vgpr81
                                        ; implicit-def: $vgpr82
                                        ; implicit-def: $vgpr1
                                        ; implicit-def: $vgpr76
                                        ; implicit-def: $vgpr77
                                        ; implicit-def: $vgpr78
                                        ; implicit-def: $vgpr79
                                        ; implicit-def: $vgpr83
                                        ; implicit-def: $vgpr80
                                        ; implicit-def: $vgpr84
                                        ; implicit-def: $vgpr85
                                        ; implicit-def: $vgpr87
                                        ; implicit-def: $vgpr88
	s_cbranch_execz .LBB538_60
; %bb.57:
	v_dual_mov_b32 v31, 0 :: v_dual_lshlrev_b32 v1, 3, v0
	v_cmp_ne_u64_e32 vcc_lo, v[4:5], v[42:43]
	v_cmp_ne_u64_e64 s0, v[2:3], v[4:5]
	v_cmp_ne_u64_e64 s1, v[8:9], v[2:3]
	s_delay_alu instid0(VALU_DEP_4) | instskip(SKIP_2) | instid1(VALU_DEP_3)
	v_dual_mov_b32 v61, v31 :: v_dual_mov_b32 v59, v31
	v_cmp_gt_u64_e64 s5, s[26:27], v[30:31]
	v_dual_mov_b32 v57, v31 :: v_dual_mov_b32 v55, v31
	v_cmp_gt_u64_e64 s6, s[26:27], v[60:61]
	v_dual_mov_b32 v53, v31 :: v_dual_mov_b32 v51, v31
	v_cmp_ne_u64_e64 s4, v[6:7], v[8:9]
	v_cmp_gt_u64_e64 s7, s[26:27], v[58:59]
	v_cmp_gt_u64_e64 s8, s[26:27], v[56:57]
	s_and_b32 s16, s5, vcc_lo
	s_and_b32 s17, s6, s0
	v_cmp_gt_u64_e32 vcc_lo, s[26:27], v[54:55]
	v_cmp_ne_u64_e64 s0, v[12:13], v[6:7]
	v_cmp_gt_u64_e64 s5, s[26:27], v[52:53]
	v_cmp_ne_u64_e64 s6, v[10:11], v[12:13]
	v_cmp_gt_u64_e64 s9, s[26:27], v[50:51]
	v_cmp_ne_u64_e64 s10, v[16:17], v[10:11]
	v_dual_mov_b32 v49, v31 :: v_dual_mov_b32 v47, v31
	v_dual_mov_b32 v41, v31 :: v_dual_mov_b32 v39, v31
	;; [unrolled: 1-line block ×3, first 2 shown]
	v_mov_b32_e32 v33, v31
	s_and_b32 s36, s7, s1
	s_and_b32 s37, s8, s4
	s_and_b32 s42, vcc_lo, s0
	s_and_b32 s43, s5, s6
	s_and_b32 s44, s9, s10
	v_cmp_gt_u64_e32 vcc_lo, s[26:27], v[48:49]
	v_cmp_ne_u64_e64 s0, v[14:15], v[16:17]
	v_cmp_gt_u64_e64 s1, s[26:27], v[46:47]
	v_cmp_ne_u64_e64 s4, v[20:21], v[14:15]
	v_cmp_gt_u64_e64 s5, s[26:27], v[40:41]
	;; [unrolled: 2-line block ×6, first 2 shown]
	v_cmp_ne_u64_e64 s14, v[26:27], v[28:29]
	s_and_b32 s45, vcc_lo, s0
	s_and_b32 s1, s1, s4
	s_and_b32 s4, s5, s6
	;; [unrolled: 1-line block ×6, first 2 shown]
	ds_store_b64 v1, v[42:43]
	s_wait_dscnt 0x0
	s_barrier_signal -1
	s_barrier_wait -1
                                        ; implicit-def: $sgpr15
	s_and_saveexec_b32 s9, s3
	s_cbranch_execz .LBB538_59
; %bb.58:
	v_add_nc_u32_e32 v1, -8, v1
	v_mul_u32_u24_e32 v30, 15, v0
	s_or_b32 s18, s18, exec_lo
	ds_load_b64 v[32:33], v1
	v_cmp_gt_u64_e32 vcc_lo, s[26:27], v[30:31]
	s_wait_dscnt 0x0
	v_cmp_ne_u64_e64 s0, v[32:33], v[26:27]
	s_and_b32 s15, vcc_lo, s0
.LBB538_59:
	s_or_b32 exec_lo, exec_lo, s9
	v_cndmask_b32_e64 v86, 0, 1, s16
	v_cndmask_b32_e64 v81, 0, 1, s17
	v_cndmask_b32_e64 v82, 0, 1, s36
	v_cndmask_b32_e64 v1, 0, 1, s37
	v_cndmask_b32_e64 v76, 0, 1, s42
	v_cndmask_b32_e64 v77, 0, 1, s43
	v_cndmask_b32_e64 v78, 0, 1, s44
	v_cndmask_b32_e64 v79, 0, 1, s45
	v_cndmask_b32_e64 v83, 0, 1, s1
	v_cndmask_b32_e64 v80, 0, 1, s4
	v_cndmask_b32_e64 v84, 0, 1, s5
	v_cndmask_b32_e64 v85, 0, 1, s6
	v_cndmask_b32_e64 v87, 0, 1, s7
	v_cndmask_b32_e64 v88, 0, 1, s8
.LBB538_60:
	v_mov_b32_e32 v95, 1
	s_and_saveexec_b32 s0, s18
; %bb.61:
	v_cndmask_b32_e64 v95, 0, 1, s15
; %bb.62:
	s_or_b32 exec_lo, exec_lo, s0
	s_delay_alu instid0(VALU_DEP_1)
	v_add3_u32 v30, v88, v95, v87
	v_cmp_eq_u32_e64 s13, 0, v88
	v_cmp_eq_u32_e64 s12, 0, v87
	;; [unrolled: 1-line block ×4, first 2 shown]
	v_add3_u32 v100, v30, v85, v84
	v_cmp_eq_u32_e64 s9, 0, v80
	v_cmp_eq_u32_e64 s8, 0, v83
	;; [unrolled: 1-line block ×9, first 2 shown]
	v_mbcnt_lo_u32_b32 v97, -1, 0
	v_dual_lshrrev_b32 v98, 5, v0 :: v_dual_bitop2_b32 v99, 31, v0 bitop3:0x54
	s_cmp_eq_u64 s[22:23], 0
	v_cmp_eq_u32_e32 vcc_lo, 0, v86
	s_cselect_b32 s17, -1, 0
	s_cmp_lg_u32 s24, 0
	s_cbranch_scc0 .LBB538_83
; %bb.63:
	v_dual_cndmask_b32 v30, 0, v75, s13 :: v_dual_bitop2_b32 v33, 15, v97 bitop3:0x40
	v_add3_u32 v31, v100, v80, v83
	s_delay_alu instid0(VALU_DEP_2) | instskip(NEXT) | instid1(VALU_DEP_2)
	v_add_nc_u32_e32 v30, v30, v72
	v_add3_u32 v31, v31, v79, v78
	s_delay_alu instid0(VALU_DEP_2) | instskip(NEXT) | instid1(VALU_DEP_2)
	v_cndmask_b32_e64 v30, 0, v30, s12
	v_add3_u32 v31, v31, v77, v76
	s_delay_alu instid0(VALU_DEP_2) | instskip(NEXT) | instid1(VALU_DEP_2)
	v_add_nc_u32_e32 v30, v30, v74
	v_add3_u32 v31, v31, v1, v82
	s_delay_alu instid0(VALU_DEP_1) | instskip(NEXT) | instid1(VALU_DEP_3)
	v_add3_u32 v31, v31, v81, v86
	v_cndmask_b32_e64 v30, 0, v30, s11
	s_delay_alu instid0(VALU_DEP_2) | instskip(NEXT) | instid1(VALU_DEP_2)
	v_mov_b32_dpp v34, v31 row_shr:1 row_mask:0xf bank_mask:0xf
	v_add_nc_u32_e32 v30, v30, v92
	s_delay_alu instid0(VALU_DEP_1) | instskip(NEXT) | instid1(VALU_DEP_1)
	v_cndmask_b32_e64 v30, 0, v30, s10
	v_add_nc_u32_e32 v30, v30, v94
	s_delay_alu instid0(VALU_DEP_1) | instskip(NEXT) | instid1(VALU_DEP_1)
	v_cndmask_b32_e64 v30, 0, v30, s9
	;; [unrolled: 3-line block ×10, first 2 shown]
	v_add_nc_u32_e32 v30, v30, v68
	s_delay_alu instid0(VALU_DEP_1) | instskip(SKIP_1) | instid1(VALU_DEP_2)
	v_cndmask_b32_e32 v30, 0, v30, vcc_lo
	v_cmp_eq_u32_e32 vcc_lo, 0, v31
	v_add_nc_u32_e32 v30, v30, v96
	s_delay_alu instid0(VALU_DEP_1) | instskip(NEXT) | instid1(VALU_DEP_1)
	v_mov_b32_dpp v32, v30 row_shr:1 row_mask:0xf bank_mask:0xf
	v_cndmask_b32_e32 v32, 0, v32, vcc_lo
	v_cmp_eq_u32_e32 vcc_lo, 0, v33
	v_cndmask_b32_e64 v34, v34, 0, vcc_lo
	s_delay_alu instid0(VALU_DEP_3) | instskip(SKIP_1) | instid1(VALU_DEP_2)
	v_cndmask_b32_e64 v32, v32, 0, vcc_lo
	v_cmp_lt_u32_e32 vcc_lo, 1, v33
	v_dual_add_nc_u32 v31, v34, v31 :: v_dual_add_nc_u32 v30, v32, v30
	s_delay_alu instid0(VALU_DEP_1) | instskip(SKIP_1) | instid1(VALU_DEP_3)
	v_mov_b32_dpp v32, v31 row_shr:2 row_mask:0xf bank_mask:0xf
	v_cmp_eq_u32_e64 s14, 0, v31
	v_mov_b32_dpp v34, v30 row_shr:2 row_mask:0xf bank_mask:0xf
	s_delay_alu instid0(VALU_DEP_3) | instskip(SKIP_1) | instid1(VALU_DEP_2)
	v_cndmask_b32_e32 v32, 0, v32, vcc_lo
	s_and_b32 vcc_lo, vcc_lo, s14
	v_cndmask_b32_e32 v34, 0, v34, vcc_lo
	v_cmp_lt_u32_e32 vcc_lo, 3, v33
	s_delay_alu instid0(VALU_DEP_2) | instskip(NEXT) | instid1(VALU_DEP_1)
	v_dual_add_nc_u32 v31, v31, v32 :: v_dual_add_nc_u32 v30, v34, v30
	v_mov_b32_dpp v32, v31 row_shr:4 row_mask:0xf bank_mask:0xf
	v_cmp_eq_u32_e64 s14, 0, v31
	s_delay_alu instid0(VALU_DEP_3) | instskip(NEXT) | instid1(VALU_DEP_3)
	v_mov_b32_dpp v34, v30 row_shr:4 row_mask:0xf bank_mask:0xf
	v_cndmask_b32_e32 v32, 0, v32, vcc_lo
	s_and_b32 vcc_lo, vcc_lo, s14
	s_delay_alu instid0(VALU_DEP_2) | instskip(SKIP_1) | instid1(VALU_DEP_2)
	v_cndmask_b32_e32 v34, 0, v34, vcc_lo
	v_cmp_lt_u32_e32 vcc_lo, 7, v33
	v_dual_add_nc_u32 v31, v32, v31 :: v_dual_add_nc_u32 v30, v30, v34
	v_bfe_i32 v34, v97, 4, 1
	s_delay_alu instid0(VALU_DEP_2) | instskip(SKIP_1) | instid1(VALU_DEP_4)
	v_mov_b32_dpp v32, v31 row_shr:8 row_mask:0xf bank_mask:0xf
	v_cmp_eq_u32_e64 s14, 0, v31
	v_mov_b32_dpp v33, v30 row_shr:8 row_mask:0xf bank_mask:0xf
	s_delay_alu instid0(VALU_DEP_3) | instskip(SKIP_2) | instid1(VALU_DEP_2)
	v_cndmask_b32_e32 v32, 0, v32, vcc_lo
	s_and_b32 vcc_lo, vcc_lo, s14
	s_mov_b32 s14, exec_lo
	v_cndmask_b32_e32 v33, 0, v33, vcc_lo
	s_delay_alu instid0(VALU_DEP_1)
	v_dual_add_nc_u32 v33, v33, v30 :: v_dual_add_nc_u32 v30, v32, v31
	ds_swizzle_b32 v31, v33 offset:swizzle(BROADCAST,32,15)
	ds_swizzle_b32 v32, v30 offset:swizzle(BROADCAST,32,15)
	v_cmp_eq_u32_e32 vcc_lo, 0, v30
	s_wait_dscnt 0x0
	v_dual_cndmask_b32 v31, 0, v31, vcc_lo :: v_dual_bitop2_b32 v32, v34, v32 bitop3:0x40
	s_delay_alu instid0(VALU_DEP_1) | instskip(NEXT) | instid1(VALU_DEP_1)
	v_dual_add_nc_u32 v30, v32, v30 :: v_dual_bitop2_b32 v31, v34, v31 bitop3:0x40
	v_dual_lshlrev_b32 v32, 3, v98 :: v_dual_add_nc_u32 v31, v31, v33
	v_cmpx_eq_u32_e64 v0, v99
; %bb.64:
	ds_store_b64 v32, v[30:31] offset:4112
; %bb.65:
	s_or_b32 exec_lo, exec_lo, s14
	s_delay_alu instid0(SALU_CYCLE_1)
	s_mov_b32 s15, exec_lo
	s_wait_dscnt 0x0
	s_barrier_signal -1
	s_barrier_wait -1
	v_cmpx_gt_u32_e32 8, v0
	s_cbranch_execz .LBB538_67
; %bb.66:
	v_dual_lshlrev_b32 v33, 3, v0 :: v_dual_bitop2_b32 v37, 7, v97 bitop3:0x40
	ds_load_b64 v[34:35], v33 offset:4112
	s_wait_dscnt 0x0
	v_mov_b32_dpp v36, v35 row_shr:1 row_mask:0xf bank_mask:0xf
	v_cmp_eq_u32_e32 vcc_lo, 0, v34
	v_mov_b32_dpp v38, v34 row_shr:1 row_mask:0xf bank_mask:0xf
	s_delay_alu instid0(VALU_DEP_3) | instskip(SKIP_1) | instid1(VALU_DEP_3)
	v_cndmask_b32_e32 v36, 0, v36, vcc_lo
	v_cmp_eq_u32_e32 vcc_lo, 0, v37
	v_cndmask_b32_e64 v38, v38, 0, vcc_lo
	s_delay_alu instid0(VALU_DEP_1) | instskip(NEXT) | instid1(VALU_DEP_4)
	v_add_nc_u32_e32 v34, v38, v34
	v_cndmask_b32_e64 v36, v36, 0, vcc_lo
	v_cmp_lt_u32_e32 vcc_lo, 1, v37
	s_delay_alu instid0(VALU_DEP_3) | instskip(NEXT) | instid1(VALU_DEP_3)
	v_cmp_eq_u32_e64 s14, 0, v34
	v_add_nc_u32_e32 v35, v36, v35
	v_mov_b32_dpp v36, v34 row_shr:2 row_mask:0xf bank_mask:0xf
	s_delay_alu instid0(VALU_DEP_1) | instskip(NEXT) | instid1(VALU_DEP_3)
	v_cndmask_b32_e32 v36, 0, v36, vcc_lo
	v_mov_b32_dpp v38, v35 row_shr:2 row_mask:0xf bank_mask:0xf
	s_and_b32 vcc_lo, vcc_lo, s14
	s_delay_alu instid0(VALU_DEP_2) | instskip(NEXT) | instid1(VALU_DEP_1)
	v_add_nc_u32_e32 v34, v36, v34
	v_mov_b32_dpp v36, v34 row_shr:4 row_mask:0xf bank_mask:0xf
	s_delay_alu instid0(VALU_DEP_3) | instskip(SKIP_1) | instid1(VALU_DEP_2)
	v_cndmask_b32_e32 v38, 0, v38, vcc_lo
	v_cmp_lt_u32_e32 vcc_lo, 3, v37
	v_dual_cndmask_b32 v36, 0, v36 :: v_dual_add_nc_u32 v35, v38, v35
	v_cmp_eq_u32_e64 s14, 0, v34
	s_delay_alu instid0(VALU_DEP_2) | instskip(NEXT) | instid1(VALU_DEP_3)
	v_add_nc_u32_e32 v34, v36, v34
	v_mov_b32_dpp v37, v35 row_shr:4 row_mask:0xf bank_mask:0xf
	s_and_b32 vcc_lo, vcc_lo, s14
	s_delay_alu instid0(VALU_DEP_1) | instskip(NEXT) | instid1(VALU_DEP_1)
	v_cndmask_b32_e32 v37, 0, v37, vcc_lo
	v_add_nc_u32_e32 v35, v37, v35
	ds_store_b64 v33, v[34:35] offset:4112
.LBB538_67:
	s_or_b32 exec_lo, exec_lo, s15
	v_dual_mov_b32 v38, 0 :: v_dual_mov_b32 v39, 0
	s_mov_b32 s15, exec_lo
	v_cmp_gt_u32_e32 vcc_lo, 32, v0
	s_wait_dscnt 0x0
	s_barrier_signal -1
	s_barrier_wait -1
	v_cmpx_lt_u32_e32 31, v0
	s_cbranch_execz .LBB538_69
; %bb.68:
	ds_load_b64 v[38:39], v32 offset:4104
	v_cmp_eq_u32_e64 s14, 0, v30
	s_wait_dscnt 0x0
	s_delay_alu instid0(VALU_DEP_1) | instskip(NEXT) | instid1(VALU_DEP_1)
	v_dual_cndmask_b32 v32, 0, v39, s14 :: v_dual_add_nc_u32 v30, v38, v30
	v_add_nc_u32_e32 v31, v32, v31
.LBB538_69:
	s_or_b32 exec_lo, exec_lo, s15
	v_sub_co_u32 v32, s14, v97, 1
	s_delay_alu instid0(VALU_DEP_1) | instskip(NEXT) | instid1(VALU_DEP_1)
	v_cmp_gt_i32_e64 s15, 0, v32
	v_cndmask_b32_e64 v32, v32, v97, s15
	s_delay_alu instid0(VALU_DEP_1)
	v_lshlrev_b32_e32 v32, 2, v32
	ds_bpermute_b32 v46, v32, v30
	ds_bpermute_b32 v47, v32, v31
	s_and_saveexec_b32 s18, vcc_lo
	s_cbranch_execz .LBB538_88
; %bb.70:
	v_mov_b32_e32 v33, 0
	ds_load_b64 v[30:31], v33 offset:4168
	s_and_saveexec_b32 s15, s14
	s_cbranch_execz .LBB538_72
; %bb.71:
	s_add_co_i32 s22, s24, 32
	s_mov_b32 s23, 0
	v_mov_b32_e32 v32, 1
	s_lshl_b64 s[22:23], s[22:23], 4
	s_delay_alu instid0(SALU_CYCLE_1) | instskip(NEXT) | instid1(SALU_CYCLE_1)
	s_add_nc_u64 s[22:23], s[20:21], s[22:23]
	v_mov_b64_e32 v[34:35], s[22:23]
	s_wait_dscnt 0x0
	;;#ASMSTART
	global_store_b128 v[34:35], v[30:33] off scope:SCOPE_DEV	
s_wait_storecnt 0x0
	;;#ASMEND
.LBB538_72:
	s_or_b32 exec_lo, exec_lo, s15
	v_xad_u32 v40, v97, -1, s24
	s_mov_b32 s16, 0
	s_mov_b32 s15, exec_lo
	s_delay_alu instid0(VALU_DEP_1) | instskip(NEXT) | instid1(VALU_DEP_1)
	v_add_nc_u32_e32 v32, 32, v40
	v_lshl_add_u64 v[32:33], v[32:33], 4, s[20:21]
	;;#ASMSTART
	global_load_b128 v[34:37], v[32:33] off scope:SCOPE_DEV	
s_wait_loadcnt 0x0
	;;#ASMEND
	v_and_b32_e32 v37, 0xff, v36
	s_delay_alu instid0(VALU_DEP_1)
	v_cmpx_eq_u16_e32 0, v37
	s_cbranch_execz .LBB538_75
.LBB538_73:                             ; =>This Inner Loop Header: Depth=1
	;;#ASMSTART
	global_load_b128 v[34:37], v[32:33] off scope:SCOPE_DEV	
s_wait_loadcnt 0x0
	;;#ASMEND
	v_and_b32_e32 v37, 0xff, v36
	s_delay_alu instid0(VALU_DEP_1) | instskip(SKIP_1) | instid1(SALU_CYCLE_1)
	v_cmp_ne_u16_e32 vcc_lo, 0, v37
	s_or_b32 s16, vcc_lo, s16
	s_and_not1_b32 exec_lo, exec_lo, s16
	s_cbranch_execnz .LBB538_73
; %bb.74:
	s_or_b32 exec_lo, exec_lo, s16
.LBB538_75:
	s_delay_alu instid0(SALU_CYCLE_1)
	s_or_b32 exec_lo, exec_lo, s15
	v_cmp_ne_u32_e32 vcc_lo, 31, v97
	v_lshlrev_b32_e64 v49, v97, -1
	v_cmp_gt_u32_e64 s16, 30, v97
	v_lshl_or_b32 v56, v97, 2, 64
	v_add_nc_u32_e32 v51, 2, v97
	v_add_co_ci_u32_e64 v32, null, 0, v97, vcc_lo
	s_delay_alu instid0(VALU_DEP_4) | instskip(SKIP_1) | instid1(VALU_DEP_3)
	v_cndmask_b32_e64 v41, 0, 2, s16
	v_dual_add_nc_u32 v53, 4, v97 :: v_dual_add_nc_u32 v55, 8, v97
	v_lshlrev_b32_e32 v48, 2, v32
	v_and_b32_e32 v32, 0xff, v36
	s_delay_alu instid0(VALU_DEP_4)
	v_add_lshl_u32 v50, v41, v97, 2
	v_add_nc_u32_e32 v57, 16, v97
	ds_bpermute_b32 v33, v48, v34
	v_cmp_eq_u16_e32 vcc_lo, 2, v32
	v_and_or_b32 v37, vcc_lo, v49, 0x80000000
	v_cmp_eq_u32_e32 vcc_lo, 0, v34
	s_delay_alu instid0(VALU_DEP_2) | instskip(NEXT) | instid1(VALU_DEP_1)
	v_ctz_i32_b32_e32 v37, v37
	v_cmp_lt_u32_e64 s15, v97, v37
	s_wait_dscnt 0x0
	s_delay_alu instid0(VALU_DEP_1) | instskip(SKIP_4) | instid1(VALU_DEP_1)
	v_cndmask_b32_e64 v33, 0, v33, s15
	ds_bpermute_b32 v32, v48, v35
	s_and_b32 vcc_lo, s15, vcc_lo
	s_wait_dscnt 0x0
	v_dual_cndmask_b32 v32, 0, v32 :: v_dual_add_nc_u32 v33, v33, v34
	v_cmp_eq_u32_e32 vcc_lo, 0, v33
	s_delay_alu instid0(VALU_DEP_2)
	v_add_nc_u32_e32 v32, v32, v35
	ds_bpermute_b32 v35, v50, v32
	s_wait_dscnt 0x0
	v_cndmask_b32_e32 v34, 0, v35, vcc_lo
	ds_bpermute_b32 v35, v50, v33
	v_cmp_gt_u32_e32 vcc_lo, 28, v97
	v_cndmask_b32_e64 v41, 0, 4, vcc_lo
	v_cmp_gt_u32_e32 vcc_lo, v51, v37
	s_delay_alu instid0(VALU_DEP_2) | instskip(SKIP_2) | instid1(VALU_DEP_1)
	v_add_lshl_u32 v52, v41, v97, 2
	s_wait_dscnt 0x0
	v_cndmask_b32_e64 v35, v35, 0, vcc_lo
	v_add_nc_u32_e32 v33, v33, v35
	v_cndmask_b32_e64 v34, v34, 0, vcc_lo
	ds_bpermute_b32 v35, v52, v33
	v_add_nc_u32_e32 v32, v34, v32
	v_cmp_eq_u32_e32 vcc_lo, 0, v33
	ds_bpermute_b32 v34, v52, v32
	s_wait_dscnt 0x0
	v_cndmask_b32_e32 v34, 0, v34, vcc_lo
	v_cmp_gt_u32_e32 vcc_lo, 24, v97
	v_cndmask_b32_e64 v41, 0, 8, vcc_lo
	v_cmp_gt_u32_e32 vcc_lo, v53, v37
	s_delay_alu instid0(VALU_DEP_2) | instskip(SKIP_1) | instid1(VALU_DEP_1)
	v_add_lshl_u32 v54, v41, v97, 2
	v_cndmask_b32_e64 v35, v35, 0, vcc_lo
	v_dual_mov_b32 v41, 0 :: v_dual_add_nc_u32 v33, v33, v35
	v_cndmask_b32_e64 v34, v34, 0, vcc_lo
	ds_bpermute_b32 v35, v54, v33
	v_add_nc_u32_e32 v32, v32, v34
	v_cmp_eq_u32_e32 vcc_lo, 0, v33
	ds_bpermute_b32 v34, v54, v32
	s_wait_dscnt 0x0
	v_cndmask_b32_e32 v34, 0, v34, vcc_lo
	v_cmp_gt_u32_e32 vcc_lo, v55, v37
	s_delay_alu instid0(VALU_DEP_2) | instskip(NEXT) | instid1(VALU_DEP_1)
	v_cndmask_b32_e64 v34, v34, 0, vcc_lo
	v_add_nc_u32_e32 v32, v32, v34
	v_cndmask_b32_e64 v34, v35, 0, vcc_lo
	s_delay_alu instid0(VALU_DEP_1)
	v_add_nc_u32_e32 v33, v33, v34
	ds_bpermute_b32 v35, v56, v32
	ds_bpermute_b32 v34, v56, v33
	v_cmp_eq_u32_e32 vcc_lo, 0, v33
	s_wait_dscnt 0x1
	v_cndmask_b32_e32 v35, 0, v35, vcc_lo
	v_cmp_gt_u32_e32 vcc_lo, v57, v37
	s_wait_dscnt 0x0
	v_cndmask_b32_e64 v34, v34, 0, vcc_lo
	s_delay_alu instid0(VALU_DEP_1) | instskip(SKIP_1) | instid1(VALU_DEP_1)
	v_add_nc_u32_e32 v34, v34, v33
	v_cndmask_b32_e64 v35, v35, 0, vcc_lo
	v_add_nc_u32_e32 v35, v35, v32
	s_branch .LBB538_79
.LBB538_76:                             ;   in Loop: Header=BB538_79 Depth=1
	s_or_b32 exec_lo, exec_lo, s16
.LBB538_77:                             ;   in Loop: Header=BB538_79 Depth=1
	s_delay_alu instid0(SALU_CYCLE_1)
	s_or_b32 exec_lo, exec_lo, s15
	v_and_b32_e32 v37, 0xff, v36
	ds_bpermute_b32 v44, v48, v34
	v_subrev_nc_u32_e32 v40, 32, v40
	v_cmp_eq_u16_e32 vcc_lo, 2, v37
	ds_bpermute_b32 v37, v48, v35
	v_and_or_b32 v45, vcc_lo, v49, 0x80000000
	v_cmp_eq_u32_e32 vcc_lo, 0, v34
	s_delay_alu instid0(VALU_DEP_2) | instskip(NEXT) | instid1(VALU_DEP_1)
	v_ctz_i32_b32_e32 v45, v45
	v_cmp_lt_u32_e64 s15, v97, v45
	s_and_b32 vcc_lo, s15, vcc_lo
	s_wait_dscnt 0x0
	v_dual_cndmask_b32 v44, 0, v44, s15 :: v_dual_cndmask_b32 v37, 0, v37, vcc_lo
	s_mov_b32 s15, 0
	s_delay_alu instid0(VALU_DEP_1)
	v_dual_add_nc_u32 v34, v44, v34 :: v_dual_add_nc_u32 v35, v37, v35
	ds_bpermute_b32 v44, v50, v34
	ds_bpermute_b32 v37, v50, v35
	v_cmp_eq_u32_e32 vcc_lo, 0, v34
	s_wait_dscnt 0x0
	v_cndmask_b32_e32 v37, 0, v37, vcc_lo
	v_cmp_gt_u32_e32 vcc_lo, v51, v45
	v_cndmask_b32_e64 v44, v44, 0, vcc_lo
	s_delay_alu instid0(VALU_DEP_1) | instskip(NEXT) | instid1(VALU_DEP_4)
	v_add_nc_u32_e32 v34, v34, v44
	v_cndmask_b32_e64 v37, v37, 0, vcc_lo
	s_delay_alu instid0(VALU_DEP_2) | instskip(NEXT) | instid1(VALU_DEP_2)
	v_cmp_eq_u32_e32 vcc_lo, 0, v34
	v_add_nc_u32_e32 v35, v37, v35
	ds_bpermute_b32 v44, v52, v34
	ds_bpermute_b32 v37, v52, v35
	s_wait_dscnt 0x0
	v_cndmask_b32_e32 v37, 0, v37, vcc_lo
	v_cmp_gt_u32_e32 vcc_lo, v53, v45
	s_delay_alu instid0(VALU_DEP_2) | instskip(SKIP_1) | instid1(VALU_DEP_1)
	v_cndmask_b32_e64 v37, v37, 0, vcc_lo
	v_cndmask_b32_e64 v44, v44, 0, vcc_lo
	v_dual_add_nc_u32 v35, v35, v37 :: v_dual_add_nc_u32 v34, v34, v44
	ds_bpermute_b32 v37, v54, v35
	ds_bpermute_b32 v44, v54, v34
	v_cmp_eq_u32_e32 vcc_lo, 0, v34
	s_wait_dscnt 0x1
	v_cndmask_b32_e32 v37, 0, v37, vcc_lo
	v_cmp_gt_u32_e32 vcc_lo, v55, v45
	s_wait_dscnt 0x0
	v_cndmask_b32_e64 v44, v44, 0, vcc_lo
	s_delay_alu instid0(VALU_DEP_1) | instskip(SKIP_1) | instid1(VALU_DEP_2)
	v_add_nc_u32_e32 v34, v34, v44
	v_cndmask_b32_e64 v37, v37, 0, vcc_lo
	v_cmp_eq_u32_e32 vcc_lo, 0, v34
	s_delay_alu instid0(VALU_DEP_2)
	v_add_nc_u32_e32 v35, v35, v37
	ds_bpermute_b32 v44, v56, v34
	ds_bpermute_b32 v37, v56, v35
	s_wait_dscnt 0x0
	v_cndmask_b32_e32 v37, 0, v37, vcc_lo
	v_cmp_gt_u32_e32 vcc_lo, v57, v45
	s_delay_alu instid0(VALU_DEP_2) | instskip(NEXT) | instid1(VALU_DEP_1)
	v_cndmask_b32_e64 v37, v37, 0, vcc_lo
	v_add_nc_u32_e32 v35, v37, v35
	v_cndmask_b32_e64 v37, v44, 0, vcc_lo
	v_cmp_eq_u32_e32 vcc_lo, 0, v32
	s_delay_alu instid0(VALU_DEP_2) | instskip(NEXT) | instid1(VALU_DEP_4)
	v_add3_u32 v34, v34, v32, v37
	v_cndmask_b32_e32 v35, 0, v35, vcc_lo
	s_delay_alu instid0(VALU_DEP_1)
	v_add_nc_u32_e32 v35, v35, v33
.LBB538_78:                             ;   in Loop: Header=BB538_79 Depth=1
	s_and_b32 vcc_lo, exec_lo, s15
	s_cbranch_vccnz .LBB538_84
.LBB538_79:                             ; =>This Loop Header: Depth=1
                                        ;     Child Loop BB538_82 Depth 2
	v_and_b32_e32 v32, 0xff, v36
	s_delay_alu instid0(VALU_DEP_2) | instskip(SKIP_1) | instid1(VALU_DEP_2)
	v_mov_b32_e32 v33, v35
	s_mov_b32 s15, -1
                                        ; implicit-def: $vgpr35
                                        ; implicit-def: $vgpr36
	v_cmp_ne_u16_e32 vcc_lo, 2, v32
	v_mov_b32_e32 v32, v34
                                        ; implicit-def: $vgpr34
	s_cmp_lg_u32 vcc_lo, exec_lo
	s_cbranch_scc1 .LBB538_78
; %bb.80:                               ;   in Loop: Header=BB538_79 Depth=1
	v_lshl_add_u64 v[44:45], v[40:41], 4, s[20:21]
	;;#ASMSTART
	global_load_b128 v[34:37], v[44:45] off scope:SCOPE_DEV	
s_wait_loadcnt 0x0
	;;#ASMEND
	v_and_b32_e32 v37, 0xff, v36
	s_mov_b32 s15, exec_lo
	s_delay_alu instid0(VALU_DEP_1)
	v_cmpx_eq_u16_e32 0, v37
	s_cbranch_execz .LBB538_77
; %bb.81:                               ;   in Loop: Header=BB538_79 Depth=1
	s_mov_b32 s16, 0
.LBB538_82:                             ;   Parent Loop BB538_79 Depth=1
                                        ; =>  This Inner Loop Header: Depth=2
	;;#ASMSTART
	global_load_b128 v[34:37], v[44:45] off scope:SCOPE_DEV	
s_wait_loadcnt 0x0
	;;#ASMEND
	v_and_b32_e32 v37, 0xff, v36
	s_delay_alu instid0(VALU_DEP_1) | instskip(SKIP_1) | instid1(SALU_CYCLE_1)
	v_cmp_ne_u16_e32 vcc_lo, 0, v37
	s_or_b32 s16, vcc_lo, s16
	s_and_not1_b32 exec_lo, exec_lo, s16
	s_cbranch_execnz .LBB538_82
	s_branch .LBB538_76
.LBB538_83:
                                        ; implicit-def: $vgpr30
                                        ; implicit-def: $vgpr34
                                        ; implicit-def: $vgpr36_vgpr37
                                        ; implicit-def: $vgpr44_vgpr45
                                        ; implicit-def: $vgpr50_vgpr51
                                        ; implicit-def: $vgpr46_vgpr47
                                        ; implicit-def: $vgpr62_vgpr63
                                        ; implicit-def: $vgpr66_vgpr67
                                        ; implicit-def: $vgpr64_vgpr65
                                        ; implicit-def: $vgpr60_vgpr61
                                        ; implicit-def: $vgpr56_vgpr57
                                        ; implicit-def: $vgpr52_vgpr53
                                        ; implicit-def: $vgpr48_vgpr49
                                        ; implicit-def: $vgpr54_vgpr55
                                        ; implicit-def: $vgpr58_vgpr59
                                        ; implicit-def: $vgpr38_vgpr39
                                        ; implicit-def: $vgpr40_vgpr41
	s_cbranch_execnz .LBB538_89
	s_branch .LBB538_100
.LBB538_84:
	s_and_saveexec_b32 s15, s14
	s_cbranch_execz .LBB538_86
; %bb.85:
	v_cmp_eq_u32_e32 vcc_lo, 0, v30
	s_mov_b32 s23, 0
	s_add_co_i32 s22, s24, 32
	v_mov_b32_e32 v37, 0
	s_lshl_b64 s[22:23], s[22:23], 4
	v_dual_cndmask_b32 v35, 0, v33 :: v_dual_add_nc_u32 v34, v32, v30
	s_add_nc_u64 s[22:23], s[20:21], s[22:23]
	v_mov_b32_e32 v36, 2
	v_mov_b64_e32 v[40:41], s[22:23]
	s_delay_alu instid0(VALU_DEP_3)
	v_add_nc_u32_e32 v35, v35, v31
	;;#ASMSTART
	global_store_b128 v[40:41], v[34:37] off scope:SCOPE_DEV	
s_wait_storecnt 0x0
	;;#ASMEND
	ds_store_b128 v37, v[30:33] offset:4096
.LBB538_86:
	s_or_b32 exec_lo, exec_lo, s15
	s_delay_alu instid0(SALU_CYCLE_1)
	s_and_b32 exec_lo, exec_lo, s2
; %bb.87:
	v_mov_b32_e32 v30, 0
	ds_store_b64 v30, v[32:33] offset:4168
.LBB538_88:
	s_or_b32 exec_lo, exec_lo, s18
	s_wait_dscnt 0x1
	v_dual_mov_b32 v32, 0 :: v_dual_cndmask_b32 v33, v46, v38, s14
	s_wait_dscnt 0x0
	s_barrier_signal -1
	s_barrier_wait -1
	ds_load_b64 v[30:31], v32 offset:4168
	v_cmp_eq_u32_e32 vcc_lo, 0, v33
	v_cndmask_b32_e64 v34, v47, v39, s14
	s_wait_dscnt 0x0
	s_barrier_signal -1
	s_barrier_wait -1
	v_cndmask_b32_e32 v35, 0, v31, vcc_lo
	v_cmp_eq_u32_e32 vcc_lo, 0, v95
	s_delay_alu instid0(VALU_DEP_2) | instskip(NEXT) | instid1(VALU_DEP_1)
	v_add_nc_u32_e32 v34, v35, v34
	v_cndmask_b32_e64 v63, v34, v31, s2
	s_delay_alu instid0(VALU_DEP_1) | instskip(NEXT) | instid1(VALU_DEP_1)
	v_cndmask_b32_e32 v31, 0, v63, vcc_lo
	v_add_nc_u32_e32 v67, v31, v75
	s_delay_alu instid0(VALU_DEP_1) | instskip(NEXT) | instid1(VALU_DEP_1)
	v_cndmask_b32_e64 v31, 0, v67, s13
	v_add_nc_u32_e32 v65, v31, v72
	s_delay_alu instid0(VALU_DEP_1) | instskip(NEXT) | instid1(VALU_DEP_1)
	v_cndmask_b32_e64 v31, 0, v65, s12
	v_add_nc_u32_e32 v61, v31, v74
	s_delay_alu instid0(VALU_DEP_1) | instskip(NEXT) | instid1(VALU_DEP_1)
	v_cndmask_b32_e64 v31, 0, v61, s11
	v_add_nc_u32_e32 v57, v31, v92
	s_delay_alu instid0(VALU_DEP_1) | instskip(NEXT) | instid1(VALU_DEP_1)
	v_cndmask_b32_e64 v31, 0, v57, s10
	v_add_nc_u32_e32 v53, v31, v94
	s_delay_alu instid0(VALU_DEP_1) | instskip(NEXT) | instid1(VALU_DEP_1)
	v_cndmask_b32_e64 v31, 0, v53, s9
	v_add_nc_u32_e32 v49, v31, v90
	v_cndmask_b32_e64 v31, v33, 0, s2
	s_delay_alu instid0(VALU_DEP_1) | instskip(NEXT) | instid1(VALU_DEP_1)
	v_dual_cndmask_b32 v33, 0, v49, s8 :: v_dual_add_nc_u32 v62, v30, v31
	v_dual_add_nc_u32 v55, v33, v89 :: v_dual_add_nc_u32 v66, v62, v95
	s_delay_alu instid0(VALU_DEP_1) | instskip(NEXT) | instid1(VALU_DEP_1)
	v_dual_cndmask_b32 v30, 0, v55, s7 :: v_dual_add_nc_u32 v64, v66, v88
	v_dual_add_nc_u32 v59, v30, v93 :: v_dual_add_nc_u32 v60, v64, v87
	;; [unrolled: 3-line block ×4, first 2 shown]
	s_delay_alu instid0(VALU_DEP_1) | instskip(NEXT) | instid1(VALU_DEP_1)
	v_dual_cndmask_b32 v30, 0, v41, s4 :: v_dual_add_nc_u32 v58, v54, v79
	v_add_nc_u32_e32 v38, v58, v78
	s_delay_alu instid0(VALU_DEP_1) | instskip(NEXT) | instid1(VALU_DEP_3)
	v_add_nc_u32_e32 v40, v38, v77
	v_add_nc_u32_e32 v47, v30, v71
	ds_load_b128 v[30:33], v32 offset:4096
	v_dual_add_nc_u32 v46, v40, v76 :: v_dual_cndmask_b32 v34, 0, v47, s3
	s_delay_alu instid0(VALU_DEP_1) | instskip(NEXT) | instid1(VALU_DEP_1)
	v_add_nc_u32_e32 v51, v34, v70
	v_cndmask_b32_e64 v34, 0, v51, s1
	s_delay_alu instid0(VALU_DEP_1) | instskip(SKIP_2) | instid1(VALU_DEP_2)
	v_add_nc_u32_e32 v45, v34, v69
	s_wait_dscnt 0x0
	v_cmp_eq_u32_e32 vcc_lo, 0, v30
	v_cndmask_b32_e64 v34, 0, v45, s0
	v_cndmask_b32_e32 v33, 0, v33, vcc_lo
	s_delay_alu instid0(VALU_DEP_2) | instskip(NEXT) | instid1(VALU_DEP_2)
	v_add_nc_u32_e32 v37, v34, v68
	v_dual_add_nc_u32 v50, v46, v1 :: v_dual_add_nc_u32 v34, v33, v31
	s_delay_alu instid0(VALU_DEP_1) | instskip(NEXT) | instid1(VALU_DEP_1)
	v_add_nc_u32_e32 v44, v50, v82
	v_add_nc_u32_e32 v36, v44, v81
	s_branch .LBB538_100
.LBB538_89:
	s_cmp_eq_u64 s[40:41], 0
	v_mov_b32_e32 v34, v75
	s_cselect_b32 s0, -1, 0
	s_delay_alu instid0(SALU_CYCLE_1) | instskip(NEXT) | instid1(SALU_CYCLE_1)
	s_or_b32 s0, s17, s0
	s_and_b32 vcc_lo, exec_lo, s0
	s_cbranch_vccnz .LBB538_91
; %bb.90:
	v_mov_b32_e32 v30, 0
	global_load_b32 v34, v30, s[40:41]
.LBB538_91:
	v_add3_u32 v31, v100, v80, v83
	v_cmp_eq_u32_e64 s7, 0, v88
	v_cmp_eq_u32_e64 s8, 0, v87
	;; [unrolled: 1-line block ×4, first 2 shown]
	v_add3_u32 v31, v31, v79, v78
	s_wait_xcnt 0x0
	v_dual_cndmask_b32 v30, 0, v75, s7 :: v_dual_bitop2_b32 v33, 15, v97 bitop3:0x40
	v_cmp_eq_u32_e64 s11, 0, v80
	v_cmp_eq_u32_e64 s12, 0, v83
	v_add3_u32 v31, v31, v77, v76
	v_cmp_eq_u32_e64 s6, 0, v79
	v_cmp_eq_u32_e64 s5, 0, v78
	;; [unrolled: 1-line block ×4, first 2 shown]
	v_add3_u32 v31, v31, v1, v82
	v_cmp_eq_u32_e64 s1, 0, v1
	v_cmp_eq_u32_e32 vcc_lo, 0, v82
	v_cmp_eq_u32_e64 s0, 0, v81
	v_cmp_eq_u32_e64 s13, 0, v86
	v_add3_u32 v31, v31, v81, v86
	v_add_nc_u32_e32 v30, v30, v72
	s_delay_alu instid0(VALU_DEP_2) | instskip(NEXT) | instid1(VALU_DEP_2)
	v_mov_b32_dpp v35, v31 row_shr:1 row_mask:0xf bank_mask:0xf
	v_cndmask_b32_e64 v30, 0, v30, s8
	s_delay_alu instid0(VALU_DEP_1) | instskip(NEXT) | instid1(VALU_DEP_1)
	v_add_nc_u32_e32 v30, v30, v74
	v_cndmask_b32_e64 v30, 0, v30, s9
	s_delay_alu instid0(VALU_DEP_1) | instskip(NEXT) | instid1(VALU_DEP_1)
	v_add_nc_u32_e32 v30, v30, v92
	;; [unrolled: 3-line block ×10, first 2 shown]
	v_cndmask_b32_e32 v30, 0, v30, vcc_lo
	s_delay_alu instid0(VALU_DEP_1) | instskip(NEXT) | instid1(VALU_DEP_1)
	v_add_nc_u32_e32 v30, v30, v69
	v_cndmask_b32_e64 v30, 0, v30, s0
	s_delay_alu instid0(VALU_DEP_1) | instskip(NEXT) | instid1(VALU_DEP_1)
	v_add_nc_u32_e32 v30, v30, v68
	v_cndmask_b32_e64 v30, 0, v30, s13
	v_cmp_eq_u32_e64 s13, 0, v31
	s_delay_alu instid0(VALU_DEP_2) | instskip(NEXT) | instid1(VALU_DEP_1)
	v_add_nc_u32_e32 v30, v30, v96
	v_mov_b32_dpp v32, v30 row_shr:1 row_mask:0xf bank_mask:0xf
	s_delay_alu instid0(VALU_DEP_1) | instskip(SKIP_1) | instid1(VALU_DEP_1)
	v_cndmask_b32_e64 v32, 0, v32, s13
	v_cmp_eq_u32_e64 s13, 0, v33
	v_cndmask_b32_e64 v35, v35, 0, s13
	s_delay_alu instid0(VALU_DEP_3) | instskip(SKIP_1) | instid1(VALU_DEP_2)
	v_cndmask_b32_e64 v32, v32, 0, s13
	v_cmp_lt_u32_e64 s13, 1, v33
	v_dual_add_nc_u32 v31, v35, v31 :: v_dual_add_nc_u32 v30, v32, v30
	s_delay_alu instid0(VALU_DEP_1) | instskip(SKIP_1) | instid1(VALU_DEP_3)
	v_mov_b32_dpp v32, v31 row_shr:2 row_mask:0xf bank_mask:0xf
	v_cmp_eq_u32_e64 s14, 0, v31
	v_mov_b32_dpp v35, v30 row_shr:2 row_mask:0xf bank_mask:0xf
	s_delay_alu instid0(VALU_DEP_3)
	v_cndmask_b32_e64 v32, 0, v32, s13
	s_and_b32 s13, s13, s14
	s_delay_alu instid0(VALU_DEP_2) | instid1(SALU_CYCLE_1)
	v_cndmask_b32_e64 v35, 0, v35, s13
	v_cmp_lt_u32_e64 s13, 3, v33
	s_delay_alu instid0(VALU_DEP_3) | instskip(NEXT) | instid1(VALU_DEP_3)
	v_add_nc_u32_e32 v31, v31, v32
	v_add_nc_u32_e32 v30, v35, v30
	s_delay_alu instid0(VALU_DEP_2) | instskip(SKIP_1) | instid1(VALU_DEP_3)
	v_mov_b32_dpp v32, v31 row_shr:4 row_mask:0xf bank_mask:0xf
	v_cmp_eq_u32_e64 s14, 0, v31
	v_mov_b32_dpp v35, v30 row_shr:4 row_mask:0xf bank_mask:0xf
	s_delay_alu instid0(VALU_DEP_3)
	v_cndmask_b32_e64 v32, 0, v32, s13
	s_and_b32 s13, s13, s14
	s_delay_alu instid0(VALU_DEP_2) | instid1(SALU_CYCLE_1)
	v_cndmask_b32_e64 v35, 0, v35, s13
	v_cmp_lt_u32_e64 s13, 7, v33
	s_delay_alu instid0(VALU_DEP_3) | instskip(NEXT) | instid1(VALU_DEP_3)
	v_add_nc_u32_e32 v31, v32, v31
	v_add_nc_u32_e32 v30, v30, v35
	v_bfe_i32 v35, v97, 4, 1
	s_delay_alu instid0(VALU_DEP_3) | instskip(SKIP_1) | instid1(VALU_DEP_4)
	v_mov_b32_dpp v32, v31 row_shr:8 row_mask:0xf bank_mask:0xf
	v_cmp_eq_u32_e64 s14, 0, v31
	v_mov_b32_dpp v33, v30 row_shr:8 row_mask:0xf bank_mask:0xf
	s_delay_alu instid0(VALU_DEP_3) | instskip(SKIP_2) | instid1(VALU_DEP_2)
	v_cndmask_b32_e64 v32, 0, v32, s13
	s_and_b32 s13, s13, s14
	s_mov_b32 s14, exec_lo
	v_cndmask_b32_e64 v33, 0, v33, s13
	s_delay_alu instid0(VALU_DEP_1) | instskip(SKIP_4) | instid1(VALU_DEP_1)
	v_dual_add_nc_u32 v33, v33, v30 :: v_dual_add_nc_u32 v30, v32, v31
	ds_swizzle_b32 v31, v33 offset:swizzle(BROADCAST,32,15)
	ds_swizzle_b32 v32, v30 offset:swizzle(BROADCAST,32,15)
	v_cmp_eq_u32_e64 s13, 0, v30
	s_wait_dscnt 0x0
	v_dual_cndmask_b32 v31, 0, v31, s13 :: v_dual_bitop2_b32 v32, v35, v32 bitop3:0x40
	s_delay_alu instid0(VALU_DEP_1) | instskip(NEXT) | instid1(VALU_DEP_1)
	v_dual_add_nc_u32 v30, v32, v30 :: v_dual_bitop2_b32 v31, v35, v31 bitop3:0x40
	v_dual_add_nc_u32 v31, v31, v33 :: v_dual_lshlrev_b32 v33, 3, v98
	v_cmpx_eq_u32_e64 v0, v99
; %bb.92:
	ds_store_b64 v33, v[30:31] offset:4112
; %bb.93:
	s_or_b32 exec_lo, exec_lo, s14
	s_delay_alu instid0(SALU_CYCLE_1)
	s_mov_b32 s15, exec_lo
	s_wait_loadcnt_dscnt 0x0
	s_barrier_signal -1
	s_barrier_wait -1
	v_cmpx_gt_u32_e32 8, v0
	s_cbranch_execz .LBB538_95
; %bb.94:
	v_dual_lshlrev_b32 v32, 3, v0 :: v_dual_bitop2_b32 v38, 7, v97 bitop3:0x40
	ds_load_b64 v[36:37], v32 offset:4112
	s_wait_dscnt 0x0
	v_mov_b32_dpp v35, v37 row_shr:1 row_mask:0xf bank_mask:0xf
	v_cmp_eq_u32_e64 s13, 0, v36
	v_mov_b32_dpp v39, v36 row_shr:1 row_mask:0xf bank_mask:0xf
	s_delay_alu instid0(VALU_DEP_2) | instskip(SKIP_1) | instid1(VALU_DEP_1)
	v_cndmask_b32_e64 v35, 0, v35, s13
	v_cmp_eq_u32_e64 s13, 0, v38
	v_cndmask_b32_e64 v39, v39, 0, s13
	s_delay_alu instid0(VALU_DEP_1) | instskip(NEXT) | instid1(VALU_DEP_4)
	v_add_nc_u32_e32 v36, v39, v36
	v_cndmask_b32_e64 v35, v35, 0, s13
	v_cmp_lt_u32_e64 s13, 1, v38
	s_delay_alu instid0(VALU_DEP_3) | instskip(NEXT) | instid1(VALU_DEP_3)
	v_cmp_eq_u32_e64 s14, 0, v36
	v_add_nc_u32_e32 v35, v35, v37
	v_mov_b32_dpp v37, v36 row_shr:2 row_mask:0xf bank_mask:0xf
	s_delay_alu instid0(VALU_DEP_1) | instskip(NEXT) | instid1(VALU_DEP_3)
	v_cndmask_b32_e64 v37, 0, v37, s13
	v_mov_b32_dpp v39, v35 row_shr:2 row_mask:0xf bank_mask:0xf
	s_and_b32 s13, s13, s14
	s_delay_alu instid0(VALU_DEP_1) | instid1(SALU_CYCLE_1)
	v_dual_add_nc_u32 v36, v37, v36 :: v_dual_cndmask_b32 v39, 0, v39, s13
	v_cmp_lt_u32_e64 s13, 3, v38
	s_delay_alu instid0(VALU_DEP_2) | instskip(NEXT) | instid1(VALU_DEP_3)
	v_mov_b32_dpp v37, v36 row_shr:4 row_mask:0xf bank_mask:0xf
	v_add_nc_u32_e32 v35, v39, v35
	v_cmp_eq_u32_e64 s14, 0, v36
	s_delay_alu instid0(VALU_DEP_3) | instskip(NEXT) | instid1(VALU_DEP_3)
	v_cndmask_b32_e64 v37, 0, v37, s13
	v_mov_b32_dpp v38, v35 row_shr:4 row_mask:0xf bank_mask:0xf
	s_and_b32 s13, s13, s14
	s_delay_alu instid0(VALU_DEP_1) | instid1(SALU_CYCLE_1)
	v_dual_add_nc_u32 v36, v37, v36 :: v_dual_cndmask_b32 v38, 0, v38, s13
	s_delay_alu instid0(VALU_DEP_1)
	v_add_nc_u32_e32 v37, v38, v35
	ds_store_b64 v32, v[36:37] offset:4112
.LBB538_95:
	s_or_b32 exec_lo, exec_lo, s15
	v_dual_mov_b32 v35, 0 :: v_dual_mov_b32 v32, 0
	v_mov_b32_e32 v36, v34
	s_mov_b32 s14, exec_lo
	s_wait_dscnt 0x0
	s_barrier_signal -1
	s_barrier_wait -1
	v_cmpx_lt_u32_e32 31, v0
	s_cbranch_execz .LBB538_97
; %bb.96:
	ds_load_b64 v[32:33], v33 offset:4104
	s_wait_dscnt 0x0
	v_cmp_eq_u32_e64 s13, 0, v32
	s_delay_alu instid0(VALU_DEP_1) | instskip(NEXT) | instid1(VALU_DEP_1)
	v_cndmask_b32_e64 v36, 0, v34, s13
	v_add_nc_u32_e32 v36, v36, v33
.LBB538_97:
	s_or_b32 exec_lo, exec_lo, s14
	v_sub_co_u32 v33, s13, v97, 1
	s_delay_alu instid0(VALU_DEP_1) | instskip(NEXT) | instid1(VALU_DEP_1)
	v_cmp_gt_i32_e64 s14, 0, v33
	v_cndmask_b32_e64 v33, v33, v97, s14
	v_cmp_eq_u32_e64 s14, 0, v30
	s_delay_alu instid0(VALU_DEP_1) | instskip(NEXT) | instid1(VALU_DEP_3)
	v_dual_cndmask_b32 v37, 0, v36, s14 :: v_dual_add_nc_u32 v30, v32, v30
	v_lshlrev_b32_e32 v33, 2, v33
	ds_bpermute_b32 v30, v33, v30
	s_wait_dscnt 0x0
	v_dual_add_nc_u32 v31, v37, v31 :: v_dual_cndmask_b32 v30, v30, v32, s13
	ds_bpermute_b32 v31, v33, v31
	v_cndmask_b32_e64 v62, v30, 0, s2
	s_delay_alu instid0(VALU_DEP_1) | instskip(NEXT) | instid1(VALU_DEP_1)
	v_add_nc_u32_e32 v66, v62, v95
	v_add_nc_u32_e32 v64, v66, v88
	s_wait_dscnt 0x0
	s_delay_alu instid0(VALU_DEP_1) | instskip(SKIP_1) | instid1(VALU_DEP_2)
	v_dual_add_nc_u32 v60, v64, v87 :: v_dual_cndmask_b32 v31, v31, v36, s13
	v_cmp_eq_u32_e64 s13, 0, v95
	v_dual_add_nc_u32 v56, v60, v85 :: v_dual_cndmask_b32 v63, v31, v34, s2
	s_delay_alu instid0(VALU_DEP_1) | instskip(NEXT) | instid1(VALU_DEP_1)
	v_dual_add_nc_u32 v52, v56, v84 :: v_dual_cndmask_b32 v31, 0, v63, s13
	v_add_nc_u32_e32 v67, v31, v75
	s_delay_alu instid0(VALU_DEP_1) | instskip(NEXT) | instid1(VALU_DEP_1)
	v_cndmask_b32_e64 v31, 0, v67, s7
	v_add_nc_u32_e32 v65, v31, v72
	s_delay_alu instid0(VALU_DEP_1) | instskip(NEXT) | instid1(VALU_DEP_1)
	v_cndmask_b32_e64 v31, 0, v65, s8
	;; [unrolled: 3-line block ×8, first 2 shown]
	v_add_nc_u32_e32 v39, v30, v91
	s_delay_alu instid0(VALU_DEP_1) | instskip(NEXT) | instid1(VALU_DEP_1)
	v_dual_cndmask_b32 v30, 0, v39, s4 :: v_dual_add_nc_u32 v48, v52, v80
	v_dual_add_nc_u32 v41, v30, v73 :: v_dual_add_nc_u32 v54, v48, v83
	s_delay_alu instid0(VALU_DEP_1) | instskip(NEXT) | instid1(VALU_DEP_1)
	v_cndmask_b32_e64 v30, 0, v41, s3
	v_add_nc_u32_e32 v47, v30, v71
	ds_load_b64 v[30:31], v35 offset:4168
	v_cndmask_b32_e64 v32, 0, v47, s1
	s_delay_alu instid0(VALU_DEP_1) | instskip(NEXT) | instid1(VALU_DEP_1)
	v_dual_add_nc_u32 v58, v54, v79 :: v_dual_add_nc_u32 v51, v32, v70
	v_dual_add_nc_u32 v38, v58, v78 :: v_dual_cndmask_b32 v32, 0, v51, vcc_lo
	s_delay_alu instid0(VALU_DEP_1) | instskip(NEXT) | instid1(VALU_DEP_1)
	v_add_nc_u32_e32 v40, v38, v77
	v_add_nc_u32_e32 v46, v40, v76
	s_wait_dscnt 0x0
	v_cmp_eq_u32_e32 vcc_lo, 0, v30
	s_delay_alu instid0(VALU_DEP_2) | instskip(NEXT) | instid1(VALU_DEP_1)
	v_dual_cndmask_b32 v33, 0, v34 :: v_dual_add_nc_u32 v50, v46, v1
	v_dual_add_nc_u32 v45, v32, v69 :: v_dual_add_nc_u32 v44, v50, v82
	s_delay_alu instid0(VALU_DEP_1) | instskip(NEXT) | instid1(VALU_DEP_2)
	v_dual_add_nc_u32 v34, v33, v31 :: v_dual_cndmask_b32 v32, 0, v45, s0
	v_add_nc_u32_e32 v36, v44, v81
	s_delay_alu instid0(VALU_DEP_2)
	v_add_nc_u32_e32 v37, v32, v68
	s_and_saveexec_b32 s0, s2
	s_cbranch_execz .LBB538_99
; %bb.98:
	s_add_nc_u64 s[4:5], s[20:21], 0x200
	v_dual_mov_b32 v32, 2 :: v_dual_mov_b32 v33, 0
	v_mov_b32_e32 v31, v34
	v_mov_b64_e32 v[68:69], s[4:5]
	;;#ASMSTART
	global_store_b128 v[68:69], v[30:33] off scope:SCOPE_DEV	
s_wait_storecnt 0x0
	;;#ASMEND
.LBB538_99:
	s_or_b32 exec_lo, exec_lo, s0
	v_mov_b32_e32 v32, 0
.LBB538_100:
	s_cmp_eq_u64 s[38:39], 0
	v_mov_b64_e32 v[68:69], 0
	s_cselect_b32 s0, -1, 0
	s_delay_alu instid0(SALU_CYCLE_1)
	s_or_b32 s0, s17, s0
	s_barrier_signal -1
	s_and_b32 vcc_lo, exec_lo, s0
	s_barrier_wait -1
	s_cbranch_vccnz .LBB538_102
; %bb.101:
	v_mov_b32_e32 v31, 0
	global_load_b64 v[68:69], v31, s[38:39]
.LBB538_102:
	v_cmp_eq_u32_e32 vcc_lo, 0, v95
	s_wait_loadcnt 0x0
	v_lshlrev_b64_e32 v[70:71], 3, v[68:69]
	v_cmp_ne_u32_e64 s15, 0, v95
	v_cmp_ne_u32_e64 s14, 0, v88
	;; [unrolled: 1-line block ×3, first 2 shown]
	v_cndmask_b32_e64 v31, 1, 2, vcc_lo
	v_cmp_eq_u32_e32 vcc_lo, 0, v88
	v_cmp_ne_u32_e64 s12, 0, v85
	v_add_nc_u64_e32 v[74:75], s[28:29], v[70:71]
	v_cmp_ne_u32_e64 s11, 0, v84
	v_cmp_ne_u32_e64 s10, 0, v80
	v_cndmask_b32_e64 v33, 1, 2, vcc_lo
	v_cmp_eq_u32_e32 vcc_lo, 0, v87
	v_cmp_ne_u32_e64 s9, 0, v83
	v_cmp_ne_u32_e64 s8, 0, v79
	;; [unrolled: 1-line block ×4, first 2 shown]
	v_cndmask_b32_e64 v35, 1, 2, vcc_lo
	v_cmp_eq_u32_e32 vcc_lo, 0, v85
	v_cmp_ne_u32_e64 s5, 0, v76
	v_cmp_ne_u32_e64 s4, 0, v1
	;; [unrolled: 1-line block ×3, first 2 shown]
	v_bitop3_b16 v31, v33, v35, v31 bitop3:0x80
	v_cndmask_b32_e64 v35, 1, 2, vcc_lo
	v_cmp_eq_u32_e32 vcc_lo, 0, v84
	v_mov_b32_e32 v33, 0
	v_cmp_ne_u32_e64 s1, 0, v81
	v_cmp_ne_u32_e64 s0, 0, v86
	s_mov_b32 s17, -1
	v_cndmask_b32_e64 v72, 1, 2, vcc_lo
	v_cmp_eq_u32_e32 vcc_lo, 0, v80
	s_delay_alu instid0(VALU_DEP_2)
	v_bitop3_b16 v31, v31, v72, v35 bitop3:0x80
	v_cndmask_b32_e64 v35, 1, 2, vcc_lo
	v_cmp_eq_u32_e32 vcc_lo, 0, v83
	v_lshlrev_b64_e32 v[72:73], 3, v[32:33]
	v_cndmask_b32_e64 v89, 1, 2, vcc_lo
	v_cmp_eq_u32_e32 vcc_lo, 0, v79
	s_delay_alu instid0(VALU_DEP_3) | instskip(NEXT) | instid1(VALU_DEP_3)
	v_add_nc_u64_e32 v[74:75], v[74:75], v[72:73]
	v_bitop3_b16 v31, v31, v89, v35 bitop3:0x80
	v_cndmask_b32_e64 v35, 1, 2, vcc_lo
	v_cmp_eq_u32_e32 vcc_lo, 0, v78
	v_cndmask_b32_e64 v89, 1, 2, vcc_lo
	v_cmp_eq_u32_e32 vcc_lo, 0, v77
	s_delay_alu instid0(VALU_DEP_2) | instskip(SKIP_4) | instid1(VALU_DEP_2)
	v_bitop3_b16 v31, v31, v89, v35 bitop3:0x80
	v_cndmask_b32_e64 v35, 1, 2, vcc_lo
	v_cmp_eq_u32_e32 vcc_lo, 0, v76
	v_cndmask_b32_e64 v89, 1, 2, vcc_lo
	v_cmp_eq_u32_e32 vcc_lo, 0, v1
	v_bitop3_b16 v31, v31, v89, v35 bitop3:0x80
	v_cndmask_b32_e64 v35, 1, 2, vcc_lo
	v_cmp_eq_u32_e32 vcc_lo, 0, v82
	v_cndmask_b32_e64 v89, 1, 2, vcc_lo
	v_cmp_eq_u32_e32 vcc_lo, 0, v81
	s_delay_alu instid0(VALU_DEP_2) | instskip(SKIP_4) | instid1(VALU_DEP_2)
	v_bitop3_b16 v31, v31, v89, v35 bitop3:0x80
	v_cndmask_b32_e64 v35, 1, 2, vcc_lo
	v_cmp_eq_u32_e32 vcc_lo, 0, v86
	v_cndmask_b32_e64 v89, 1, 2, vcc_lo
	v_cmp_gt_u32_e32 vcc_lo, 0x100, v30
	v_bitop3_b16 v31, v31, v89, v35 bitop3:0x80
	s_delay_alu instid0(VALU_DEP_1)
	v_cmp_gt_i16_e64 s16, 2, v31
	s_cbranch_vccz .LBB538_109
; %bb.103:
	s_and_saveexec_b32 s17, s16
	s_cbranch_execz .LBB538_108
; %bb.104:
	s_mov_b32 s18, 0
	s_mov_b32 s16, exec_lo
	v_cmpx_ne_u16_e32 1, v31
	s_xor_b32 s16, exec_lo, s16
	s_cbranch_execnz .LBB538_140
; %bb.105:
	s_and_not1_saveexec_b32 s16, s16
	s_cbranch_execnz .LBB538_156
.LBB538_106:
	s_or_b32 exec_lo, exec_lo, s16
	s_delay_alu instid0(SALU_CYCLE_1)
	s_and_b32 exec_lo, exec_lo, s18
	s_cbranch_execz .LBB538_108
.LBB538_107:
	v_sub_nc_u32_e32 v35, v36, v32
	v_readfirstlane_b32 s20, v74
	v_readfirstlane_b32 s21, v75
	global_store_b64 v35, v[42:43], s[20:21] scale_offset
.LBB538_108:
	s_wait_xcnt 0x0
	s_or_b32 exec_lo, exec_lo, s17
	s_mov_b32 s17, 0
.LBB538_109:
	s_delay_alu instid0(SALU_CYCLE_1)
	s_and_b32 vcc_lo, exec_lo, s17
	s_cbranch_vccz .LBB538_119
; %bb.110:
	s_mov_b32 s16, exec_lo
	v_cmpx_gt_i16_e32 2, v31
	s_cbranch_execz .LBB538_115
; %bb.111:
	s_mov_b32 s18, 0
	s_mov_b32 s17, exec_lo
	v_cmpx_ne_u16_e32 1, v31
	s_xor_b32 s17, exec_lo, s17
	s_cbranch_execnz .LBB538_157
; %bb.112:
	s_and_not1_saveexec_b32 s0, s17
	s_cbranch_execnz .LBB538_173
.LBB538_113:
	s_or_b32 exec_lo, exec_lo, s0
	s_delay_alu instid0(SALU_CYCLE_1)
	s_and_b32 exec_lo, exec_lo, s18
.LBB538_114:
	v_sub_nc_u32_e32 v2, v36, v32
	s_delay_alu instid0(VALU_DEP_1)
	v_lshlrev_b32_e32 v2, 3, v2
	ds_store_b64 v2, v[42:43]
.LBB538_115:
	s_or_b32 exec_lo, exec_lo, s16
	s_delay_alu instid0(SALU_CYCLE_1)
	s_mov_b32 s0, exec_lo
	s_wait_storecnt_dscnt 0x0
	s_barrier_signal -1
	s_barrier_wait -1
	v_cmpx_lt_u32_e64 v0, v30
	s_cbranch_execz .LBB538_118
; %bb.116:
	v_dual_mov_b32 v3, v0 :: v_dual_lshlrev_b32 v2, 3, v0
	s_mov_b32 s1, 0
.LBB538_117:                            ; =>This Inner Loop Header: Depth=1
	ds_load_b64 v[4:5], v2
	v_readfirstlane_b32 s4, v74
	v_readfirstlane_b32 s5, v75
	v_add_nc_u32_e32 v2, 0x800, v2
	s_wait_dscnt 0x0
	global_store_b64 v3, v[4:5], s[4:5] scale_offset
	s_wait_xcnt 0x0
	v_add_nc_u32_e32 v3, 0x100, v3
	s_delay_alu instid0(VALU_DEP_1) | instskip(SKIP_1) | instid1(SALU_CYCLE_1)
	v_cmp_ge_u32_e32 vcc_lo, v3, v30
	s_or_b32 s1, vcc_lo, s1
	s_and_not1_b32 exec_lo, exec_lo, s1
	s_cbranch_execnz .LBB538_117
.LBB538_118:
	s_or_b32 exec_lo, exec_lo, s0
.LBB538_119:
	s_cmp_lg_u32 s33, 0xf00
	v_cndmask_b32_e64 v6, 0, 1, s25
	s_cselect_b32 s0, -1, 0
	v_mad_i32_i24 v4, v0, -15, s33
	s_and_b32 s0, s0, s19
	s_and_b32 s1, s2, s25
	v_cndmask_b32_e64 v3, 0, 1, s0
	s_mul_hi_u32 s0, s33, 0x88888889
	v_sub_nc_u32_e32 v2, v30, v6
	s_lshr_b32 s0, s0, 3
	v_cndmask_b32_e64 v5, v95, 0, s1
	v_cmp_eq_u32_e32 vcc_lo, s0, v0
	v_cmp_ne_u32_e64 s0, 0, v4
	v_add_nc_u32_e32 v8, v2, v3
	s_mov_b32 s16, -1
	s_wait_storecnt 0x0
	s_and_b32 vcc_lo, vcc_lo, s19
	v_cndmask_b32_e64 v2, 1, v5, s0
	v_cmp_ne_u32_e64 s0, 1, v4
	s_barrier_signal -1
	s_barrier_wait -1
	s_delay_alu instid0(VALU_DEP_1) | instskip(SKIP_1) | instid1(VALU_DEP_2)
	v_cndmask_b32_e64 v3, 1, v88, s0
	v_cmp_ne_u32_e64 s0, 2, v4
	v_cndmask_b32_e32 v21, v88, v3, vcc_lo
	s_delay_alu instid0(VALU_DEP_2) | instskip(SKIP_1) | instid1(VALU_DEP_3)
	v_cndmask_b32_e64 v7, 1, v87, s0
	v_cmp_ne_u32_e64 s0, 3, v4
	v_cmp_ne_u32_e64 s13, 0, v21
	s_delay_alu instid0(VALU_DEP_2) | instskip(SKIP_1) | instid1(VALU_DEP_2)
	v_cndmask_b32_e64 v9, 1, v85, s0
	v_cmp_ne_u32_e64 s0, 4, v4
	v_dual_cndmask_b32 v7, v87, v7, vcc_lo :: v_dual_cndmask_b32 v9, v85, v9, vcc_lo
	s_delay_alu instid0(VALU_DEP_2) | instskip(SKIP_1) | instid1(VALU_DEP_3)
	v_cndmask_b32_e64 v10, 1, v84, s0
	v_cmp_ne_u32_e64 s0, 5, v4
	v_cmp_ne_u32_e64 s12, 0, v7
	s_delay_alu instid0(VALU_DEP_4) | instskip(NEXT) | instid1(VALU_DEP_3)
	v_cmp_ne_u32_e64 s11, 0, v9
	v_cndmask_b32_e64 v11, 1, v80, s0
	v_cmp_ne_u32_e64 s0, 6, v4
	s_delay_alu instid0(VALU_DEP_1) | instskip(SKIP_1) | instid1(VALU_DEP_2)
	v_cndmask_b32_e64 v12, 1, v83, s0
	v_cmp_ne_u32_e64 s0, 7, v4
	v_dual_cndmask_b32 v10, v84, v10, vcc_lo :: v_dual_cndmask_b32 v12, v83, v12, vcc_lo
	s_delay_alu instid0(VALU_DEP_2) | instskip(SKIP_2) | instid1(VALU_DEP_4)
	v_cndmask_b32_e64 v13, 1, v79, s0
	v_cmp_ne_u32_e64 s0, 8, v4
	v_cndmask_b32_e32 v11, v80, v11, vcc_lo
	v_cmp_ne_u32_e64 s10, 0, v10
	v_cmp_ne_u32_e64 s8, 0, v12
	s_delay_alu instid0(VALU_DEP_4) | instskip(SKIP_1) | instid1(VALU_DEP_2)
	v_dual_cndmask_b32 v13, v79, v13, vcc_lo :: v_dual_cndmask_b32 v14, 1, v78, s0
	v_cmp_ne_u32_e64 s0, 9, v4
	v_cmp_ne_u32_e64 s7, 0, v13
	s_delay_alu instid0(VALU_DEP_2) | instskip(SKIP_1) | instid1(VALU_DEP_1)
	v_cndmask_b32_e64 v15, 1, v77, s0
	v_cmp_ne_u32_e64 s0, 10, v4
	v_dual_cndmask_b32 v14, v78, v14, vcc_lo :: v_dual_cndmask_b32 v16, 1, v76, s0
	v_cmp_ne_u32_e64 s0, 11, v4
	s_delay_alu instid0(VALU_DEP_2) | instskip(NEXT) | instid1(VALU_DEP_2)
	v_cmp_ne_u32_e64 s6, 0, v14
	v_cndmask_b32_e64 v17, 1, v1, s0
	v_cmp_ne_u32_e64 s0, 14, v4
	v_dual_cndmask_b32 v15, v77, v15 :: v_dual_cndmask_b32 v16, v76, v16
	s_delay_alu instid0(VALU_DEP_2) | instskip(SKIP_2) | instid1(VALU_DEP_4)
	v_dual_cndmask_b32 v17, v1, v17, vcc_lo :: v_dual_cndmask_b32 v18, 1, v86, s0
	v_cmp_ne_u32_e64 s0, 13, v4
	v_add_nc_u32_e32 v1, v32, v6
	v_cmp_ne_u32_e64 s5, 0, v15
	v_cmp_ne_u32_e64 s4, 0, v16
	;; [unrolled: 1-line block ×3, first 2 shown]
	v_cndmask_b32_e64 v19, 1, v81, s0
	v_cmp_ne_u32_e64 s0, 12, v4
	s_delay_alu instid0(VALU_DEP_2) | instskip(NEXT) | instid1(VALU_DEP_2)
	v_dual_cndmask_b32 v18, v86, v18 :: v_dual_cndmask_b32 v19, v81, v19
	v_cndmask_b32_e64 v4, 1, v82, s0
	v_cndmask_b32_e32 v20, v5, v2, vcc_lo
	v_add_nc_u64_e32 v[2:3], s[30:31], v[70:71]
	s_delay_alu instid0(VALU_DEP_4) | instskip(NEXT) | instid1(VALU_DEP_4)
	v_cmp_ne_u32_e64 s1, 0, v19
	v_cndmask_b32_e32 v22, v82, v4, vcc_lo
	s_delay_alu instid0(VALU_DEP_4)
	v_cmp_eq_u32_e64 s0, 0, v20
	v_cmp_eq_u32_e32 vcc_lo, 0, v15
	v_cmp_ne_u32_e64 s14, 0, v20
	v_add_nc_u64_e32 v[2:3], v[2:3], v[72:73]
	v_cmp_ne_u32_e64 s2, 0, v22
	v_cndmask_b32_e64 v4, 1, 2, s0
	v_cmp_eq_u32_e64 s0, 0, v21
	s_delay_alu instid0(VALU_DEP_1) | instskip(SKIP_1) | instid1(VALU_DEP_1)
	v_cndmask_b32_e64 v5, 1, 2, s0
	v_cmp_eq_u32_e64 s0, 0, v7
	v_cndmask_b32_e64 v23, 1, 2, s0
	v_cmp_eq_u32_e64 s0, 0, v9
	s_delay_alu instid0(VALU_DEP_2) | instskip(NEXT) | instid1(VALU_DEP_2)
	v_bitop3_b16 v23, v5, v23, v4 bitop3:0x80
	v_cndmask_b32_e64 v24, 1, 2, s0
	v_cmp_eq_u32_e64 s0, 0, v10
	v_dual_mov_b32 v5, 0 :: v_dual_lshlrev_b32 v4, 3, v6
	v_cmp_ne_u32_e64 s9, 0, v11
	s_delay_alu instid0(VALU_DEP_3) | instskip(SKIP_1) | instid1(VALU_DEP_4)
	v_cndmask_b32_e64 v25, 1, 2, s0
	v_cmp_eq_u32_e64 s0, 0, v11
	v_add_nc_u64_e32 v[4:5], v[2:3], v[4:5]
	s_delay_alu instid0(VALU_DEP_3) | instskip(NEXT) | instid1(VALU_DEP_3)
	v_bitop3_b16 v23, v23, v25, v24 bitop3:0x80
	v_cndmask_b32_e64 v24, 1, 2, s0
	v_cmp_eq_u32_e64 s0, 0, v12
	s_delay_alu instid0(VALU_DEP_4) | instskip(NEXT) | instid1(VALU_DEP_2)
	v_add_nc_u64_e32 v[4:5], -8, v[4:5]
	v_cndmask_b32_e64 v25, 1, 2, s0
	v_cmp_eq_u32_e64 s0, 0, v13
	s_delay_alu instid0(VALU_DEP_2) | instskip(NEXT) | instid1(VALU_DEP_2)
	v_bitop3_b16 v23, v23, v25, v24 bitop3:0x80
	v_cndmask_b32_e64 v24, 1, 2, s0
	v_cmp_eq_u32_e64 s0, 0, v14
	s_delay_alu instid0(VALU_DEP_1) | instskip(SKIP_1) | instid1(VALU_DEP_2)
	v_cndmask_b32_e64 v25, 1, 2, s0
	v_cmp_ne_u32_e64 s0, 0, v18
	v_bitop3_b16 v6, v23, v25, v24 bitop3:0x80
	v_cndmask_b32_e64 v23, 1, 2, vcc_lo
	v_cmp_eq_u32_e32 vcc_lo, 0, v16
	v_cndmask_b32_e64 v24, 1, 2, vcc_lo
	v_cmp_eq_u32_e32 vcc_lo, 0, v17
	s_delay_alu instid0(VALU_DEP_2) | instskip(SKIP_4) | instid1(VALU_DEP_2)
	v_bitop3_b16 v6, v6, v24, v23 bitop3:0x80
	v_cndmask_b32_e64 v7, 1, 2, vcc_lo
	v_cmp_eq_u32_e32 vcc_lo, 0, v22
	v_cndmask_b32_e64 v9, 1, 2, vcc_lo
	v_cmp_eq_u32_e32 vcc_lo, 0, v19
	v_bitop3_b16 v6, v6, v9, v7 bitop3:0x80
	v_cndmask_b32_e64 v7, 1, 2, vcc_lo
	v_cmp_eq_u32_e32 vcc_lo, 0, v18
	v_cndmask_b32_e64 v9, 1, 2, vcc_lo
	v_cmp_gt_u32_e32 vcc_lo, 0x100, v8
	s_delay_alu instid0(VALU_DEP_2) | instskip(NEXT) | instid1(VALU_DEP_1)
	v_bitop3_b16 v6, v6, v9, v7 bitop3:0x80
	v_cmp_gt_i16_e64 s15, 2, v6
	s_cbranch_vccnz .LBB538_123
; %bb.120:
	s_and_b32 vcc_lo, exec_lo, s16
	s_cbranch_vccnz .LBB538_129
.LBB538_121:
	v_cmp_eq_u32_e32 vcc_lo, 0xff, v0
	s_and_b32 s0, vcc_lo, s19
	s_delay_alu instid0(SALU_CYCLE_1)
	s_and_saveexec_b32 s1, s0
	s_cbranch_execnz .LBB538_138
.LBB538_122:
	s_sendmsg sendmsg(MSG_DEALLOC_VGPRS)
	s_endpgm
.LBB538_123:
	s_and_saveexec_b32 s16, s15
	s_cbranch_execz .LBB538_128
; %bb.124:
	s_mov_b32 s17, 0
	s_mov_b32 s15, exec_lo
	v_cmpx_ne_u16_e32 1, v6
	s_xor_b32 s15, exec_lo, s15
	s_cbranch_execnz .LBB538_174
; %bb.125:
	s_and_not1_saveexec_b32 s15, s15
	s_cbranch_execnz .LBB538_190
.LBB538_126:
	s_or_b32 exec_lo, exec_lo, s15
	s_delay_alu instid0(SALU_CYCLE_1)
	s_and_b32 exec_lo, exec_lo, s17
	s_cbranch_execz .LBB538_128
.LBB538_127:
	v_dual_mov_b32 v11, 0 :: v_dual_mov_b32 v10, v37
	v_sub_nc_u32_e32 v7, v36, v1
	v_readfirstlane_b32 s20, v4
	v_readfirstlane_b32 s21, v5
	global_store_b64 v7, v[10:11], s[20:21] scale_offset
.LBB538_128:
	s_wait_xcnt 0x0
	s_or_b32 exec_lo, exec_lo, s16
	s_branch .LBB538_121
.LBB538_129:
	s_mov_b32 s15, exec_lo
	v_cmpx_gt_i16_e32 2, v6
	s_cbranch_execz .LBB538_134
; %bb.130:
	s_mov_b32 s17, 0
	s_mov_b32 s16, exec_lo
	v_cmpx_ne_u16_e32 1, v6
	s_xor_b32 s16, exec_lo, s16
	s_cbranch_execnz .LBB538_191
; %bb.131:
	s_and_not1_saveexec_b32 s0, s16
	s_cbranch_execnz .LBB538_207
.LBB538_132:
	s_or_b32 exec_lo, exec_lo, s0
	s_delay_alu instid0(SALU_CYCLE_1)
	s_and_b32 exec_lo, exec_lo, s17
.LBB538_133:
	v_sub_nc_u32_e32 v1, v36, v1
	s_delay_alu instid0(VALU_DEP_1)
	v_lshlrev_b32_e32 v1, 2, v1
	ds_store_b32 v1, v37
.LBB538_134:
	s_or_b32 exec_lo, exec_lo, s15
	s_delay_alu instid0(SALU_CYCLE_1)
	s_mov_b32 s0, exec_lo
	s_wait_storecnt_dscnt 0x0
	s_barrier_signal -1
	s_barrier_wait -1
	v_cmpx_lt_u32_e64 v0, v8
	s_cbranch_execz .LBB538_137
; %bb.135:
	v_dual_lshlrev_b32 v1, 2, v0 :: v_dual_mov_b32 v7, 0
	v_mov_b32_e32 v9, v0
	s_mov_b32 s1, 0
.LBB538_136:                            ; =>This Inner Loop Header: Depth=1
	ds_load_b32 v6, v1
	v_readfirstlane_b32 s2, v4
	v_readfirstlane_b32 s3, v5
	v_add_nc_u32_e32 v1, 0x400, v1
	s_wait_dscnt 0x0
	global_store_b64 v9, v[6:7], s[2:3] scale_offset
	s_wait_xcnt 0x0
	v_add_nc_u32_e32 v9, 0x100, v9
	s_delay_alu instid0(VALU_DEP_1) | instskip(SKIP_1) | instid1(SALU_CYCLE_1)
	v_cmp_ge_u32_e32 vcc_lo, v9, v8
	s_or_b32 s1, vcc_lo, s1
	s_and_not1_b32 exec_lo, exec_lo, s1
	s_cbranch_execnz .LBB538_136
.LBB538_137:
	s_or_b32 exec_lo, exec_lo, s0
	v_cmp_eq_u32_e32 vcc_lo, 0xff, v0
	s_and_b32 s0, vcc_lo, s19
	s_delay_alu instid0(SALU_CYCLE_1)
	s_and_saveexec_b32 s1, s0
	s_cbranch_execz .LBB538_122
.LBB538_138:
	v_mov_b32_e32 v31, 0
	s_cmp_lg_u32 s33, 0xf00
	s_delay_alu instid0(VALU_DEP_1) | instskip(NEXT) | instid1(VALU_DEP_1)
	v_add_nc_u64_e32 v[0:1], v[30:31], v[32:33]
	v_add_nc_u64_e32 v[0:1], v[0:1], v[68:69]
	global_store_b64 v31, v[0:1], s[34:35]
	s_cbranch_scc1 .LBB538_122
; %bb.139:
	s_wait_xcnt 0x0
	v_lshlrev_b64_e32 v[0:1], 3, v[30:31]
	v_mov_b32_e32 v35, v31
	s_delay_alu instid0(VALU_DEP_2)
	v_add_nc_u64_e32 v[0:1], v[2:3], v[0:1]
	global_store_b64 v[0:1], v[34:35], off offset:-8
	s_sendmsg sendmsg(MSG_DEALLOC_VGPRS)
	s_endpgm
.LBB538_140:
	s_and_saveexec_b32 s18, s15
	s_cbranch_execnz .LBB538_208
; %bb.141:
	s_or_b32 exec_lo, exec_lo, s18
	s_and_saveexec_b32 s18, s14
	s_cbranch_execnz .LBB538_209
.LBB538_142:
	s_or_b32 exec_lo, exec_lo, s18
	s_and_saveexec_b32 s18, s13
	s_cbranch_execnz .LBB538_210
.LBB538_143:
	s_or_b32 exec_lo, exec_lo, s18
	s_and_saveexec_b32 s18, s12
	s_cbranch_execnz .LBB538_211
.LBB538_144:
	s_or_b32 exec_lo, exec_lo, s18
	s_and_saveexec_b32 s18, s11
	s_cbranch_execnz .LBB538_212
.LBB538_145:
	s_or_b32 exec_lo, exec_lo, s18
	s_and_saveexec_b32 s18, s10
	s_cbranch_execnz .LBB538_213
.LBB538_146:
	s_or_b32 exec_lo, exec_lo, s18
	s_and_saveexec_b32 s18, s9
	s_cbranch_execnz .LBB538_214
.LBB538_147:
	s_or_b32 exec_lo, exec_lo, s18
	s_and_saveexec_b32 s18, s8
	s_cbranch_execnz .LBB538_215
.LBB538_148:
	s_or_b32 exec_lo, exec_lo, s18
	s_and_saveexec_b32 s18, s7
	s_cbranch_execnz .LBB538_216
.LBB538_149:
	s_or_b32 exec_lo, exec_lo, s18
	s_and_saveexec_b32 s18, s6
	s_cbranch_execnz .LBB538_217
.LBB538_150:
	s_or_b32 exec_lo, exec_lo, s18
	s_and_saveexec_b32 s18, s5
	s_cbranch_execnz .LBB538_218
.LBB538_151:
	s_or_b32 exec_lo, exec_lo, s18
	s_and_saveexec_b32 s18, s4
	s_cbranch_execnz .LBB538_219
.LBB538_152:
	s_or_b32 exec_lo, exec_lo, s18
	s_and_saveexec_b32 s18, s3
	s_cbranch_execnz .LBB538_220
.LBB538_153:
	s_or_b32 exec_lo, exec_lo, s18
	s_and_saveexec_b32 s18, s1
	s_cbranch_execz .LBB538_155
.LBB538_154:
	v_sub_nc_u32_e32 v35, v44, v32
	v_readfirstlane_b32 s20, v74
	v_readfirstlane_b32 s21, v75
	global_store_b64 v35, v[4:5], s[20:21] scale_offset
.LBB538_155:
	s_wait_xcnt 0x0
	s_or_b32 exec_lo, exec_lo, s18
	s_delay_alu instid0(SALU_CYCLE_1)
	s_and_b32 s18, s0, exec_lo
	s_and_not1_saveexec_b32 s16, s16
	s_cbranch_execz .LBB538_106
.LBB538_156:
	v_dual_sub_nc_u32 v35, v62, v32 :: v_dual_sub_nc_u32 v90, v64, v32
	v_readfirstlane_b32 s20, v74
	v_readfirstlane_b32 s21, v75
	v_dual_sub_nc_u32 v89, v66, v32 :: v_dual_sub_nc_u32 v91, v60, v32
	s_clause 0x2
	global_store_b64 v35, v[26:27], s[20:21] scale_offset
	global_store_b64 v89, v[28:29], s[20:21] scale_offset
	;; [unrolled: 1-line block ×3, first 2 shown]
	s_wait_xcnt 0x2
	v_sub_nc_u32_e32 v35, v56, v32
	s_wait_xcnt 0x1
	v_sub_nc_u32_e32 v89, v52, v32
	s_wait_xcnt 0x0
	v_sub_nc_u32_e32 v90, v48, v32
	global_store_b64 v91, v[24:25], s[20:21] scale_offset
	s_wait_xcnt 0x0
	v_sub_nc_u32_e32 v91, v54, v32
	global_store_b64 v35, v[18:19], s[20:21] scale_offset
	s_wait_xcnt 0x0
	v_sub_nc_u32_e32 v35, v58, v32
	s_clause 0x2
	global_store_b64 v89, v[20:21], s[20:21] scale_offset
	global_store_b64 v90, v[14:15], s[20:21] scale_offset
	;; [unrolled: 1-line block ×3, first 2 shown]
	s_wait_xcnt 0x2
	v_sub_nc_u32_e32 v89, v38, v32
	s_wait_xcnt 0x0
	v_sub_nc_u32_e32 v91, v50, v32
	v_sub_nc_u32_e32 v90, v46, v32
	global_store_b64 v35, v[10:11], s[20:21] scale_offset
	s_wait_xcnt 0x0
	v_sub_nc_u32_e32 v35, v40, v32
	global_store_b64 v89, v[12:13], s[20:21] scale_offset
	s_wait_xcnt 0x0
	v_sub_nc_u32_e32 v89, v44, v32
	s_or_b32 s18, s18, exec_lo
	s_clause 0x3
	global_store_b64 v35, v[6:7], s[20:21] scale_offset
	global_store_b64 v90, v[8:9], s[20:21] scale_offset
	global_store_b64 v91, v[2:3], s[20:21] scale_offset
	global_store_b64 v89, v[4:5], s[20:21] scale_offset
	s_wait_xcnt 0x0
	s_or_b32 exec_lo, exec_lo, s16
	s_delay_alu instid0(SALU_CYCLE_1)
	s_and_b32 exec_lo, exec_lo, s18
	s_cbranch_execnz .LBB538_107
	s_branch .LBB538_108
.LBB538_157:
	s_and_saveexec_b32 s18, s15
	s_cbranch_execnz .LBB538_221
; %bb.158:
	s_or_b32 exec_lo, exec_lo, s18
	s_and_saveexec_b32 s15, s14
	s_cbranch_execnz .LBB538_222
.LBB538_159:
	s_or_b32 exec_lo, exec_lo, s15
	s_and_saveexec_b32 s14, s13
	s_cbranch_execnz .LBB538_223
.LBB538_160:
	s_or_b32 exec_lo, exec_lo, s14
	s_and_saveexec_b32 s13, s12
	s_cbranch_execnz .LBB538_224
.LBB538_161:
	s_or_b32 exec_lo, exec_lo, s13
	s_and_saveexec_b32 s12, s11
	s_cbranch_execnz .LBB538_225
.LBB538_162:
	s_or_b32 exec_lo, exec_lo, s12
	s_and_saveexec_b32 s11, s10
	s_cbranch_execnz .LBB538_226
.LBB538_163:
	s_or_b32 exec_lo, exec_lo, s11
	s_and_saveexec_b32 s10, s9
	s_cbranch_execnz .LBB538_227
.LBB538_164:
	s_or_b32 exec_lo, exec_lo, s10
	s_and_saveexec_b32 s9, s8
	s_cbranch_execnz .LBB538_228
.LBB538_165:
	s_or_b32 exec_lo, exec_lo, s9
	s_and_saveexec_b32 s8, s7
	s_cbranch_execnz .LBB538_229
.LBB538_166:
	s_or_b32 exec_lo, exec_lo, s8
	s_and_saveexec_b32 s7, s6
	s_cbranch_execnz .LBB538_230
.LBB538_167:
	s_or_b32 exec_lo, exec_lo, s7
	s_and_saveexec_b32 s6, s5
	s_cbranch_execnz .LBB538_231
.LBB538_168:
	s_or_b32 exec_lo, exec_lo, s6
	s_and_saveexec_b32 s5, s4
	s_cbranch_execnz .LBB538_232
.LBB538_169:
	s_or_b32 exec_lo, exec_lo, s5
	s_and_saveexec_b32 s4, s3
	s_cbranch_execnz .LBB538_233
.LBB538_170:
	s_or_b32 exec_lo, exec_lo, s4
	s_and_saveexec_b32 s3, s1
.LBB538_171:
	v_sub_nc_u32_e32 v2, v44, v32
	s_delay_alu instid0(VALU_DEP_1)
	v_lshlrev_b32_e32 v2, 3, v2
	ds_store_b64 v2, v[4:5]
.LBB538_172:
	s_or_b32 exec_lo, exec_lo, s3
	s_delay_alu instid0(SALU_CYCLE_1)
	s_and_b32 s18, s0, exec_lo
                                        ; implicit-def: $vgpr2_vgpr3
                                        ; implicit-def: $vgpr6_vgpr7
                                        ; implicit-def: $vgpr10_vgpr11
                                        ; implicit-def: $vgpr14_vgpr15
                                        ; implicit-def: $vgpr18_vgpr19
                                        ; implicit-def: $vgpr22_vgpr23
                                        ; implicit-def: $vgpr26_vgpr27
	s_and_not1_saveexec_b32 s0, s17
	s_cbranch_execz .LBB538_113
.LBB538_173:
	v_dual_sub_nc_u32 v31, v62, v32 :: v_dual_sub_nc_u32 v89, v64, v32
	v_dual_sub_nc_u32 v35, v66, v32 :: v_dual_sub_nc_u32 v90, v60, v32
	s_or_b32 s18, s18, exec_lo
	s_delay_alu instid0(VALU_DEP_2) | instskip(NEXT) | instid1(VALU_DEP_2)
	v_dual_lshlrev_b32 v31, 3, v31 :: v_dual_lshlrev_b32 v89, 3, v89
	v_dual_lshlrev_b32 v35, 3, v35 :: v_dual_lshlrev_b32 v90, 3, v90
	ds_store_b64 v31, v[26:27]
	ds_store_b64 v35, v[28:29]
	;; [unrolled: 1-line block ×3, first 2 shown]
	v_sub_nc_u32_e32 v22, v56, v32
	ds_store_b64 v90, v[24:25]
	v_dual_sub_nc_u32 v25, v54, v32 :: v_dual_sub_nc_u32 v23, v52, v32
	v_dual_sub_nc_u32 v24, v48, v32 :: v_dual_sub_nc_u32 v26, v58, v32
	s_delay_alu instid0(VALU_DEP_2) | instskip(NEXT) | instid1(VALU_DEP_2)
	v_dual_lshlrev_b32 v22, 3, v22 :: v_dual_lshlrev_b32 v25, 3, v25
	v_dual_lshlrev_b32 v23, 3, v23 :: v_dual_lshlrev_b32 v24, 3, v24
	ds_store_b64 v22, v[18:19]
	v_lshlrev_b32_e32 v18, 3, v26
	ds_store_b64 v23, v[20:21]
	ds_store_b64 v24, v[14:15]
	;; [unrolled: 1-line block ×3, first 2 shown]
	v_sub_nc_u32_e32 v14, v38, v32
	v_dual_sub_nc_u32 v15, v50, v32 :: v_dual_sub_nc_u32 v16, v44, v32
	ds_store_b64 v18, v[10:11]
	v_dual_sub_nc_u32 v10, v40, v32 :: v_dual_sub_nc_u32 v11, v46, v32
	v_dual_lshlrev_b32 v14, 3, v14 :: v_dual_lshlrev_b32 v15, 3, v15
	s_delay_alu instid0(VALU_DEP_2)
	v_dual_lshlrev_b32 v10, 3, v10 :: v_dual_lshlrev_b32 v11, 3, v11
	ds_store_b64 v14, v[12:13]
	v_lshlrev_b32_e32 v12, 3, v16
	ds_store_b64 v10, v[6:7]
	ds_store_b64 v11, v[8:9]
	;; [unrolled: 1-line block ×4, first 2 shown]
	s_or_b32 exec_lo, exec_lo, s0
	s_delay_alu instid0(SALU_CYCLE_1)
	s_and_b32 exec_lo, exec_lo, s18
	s_cbranch_execnz .LBB538_114
	s_branch .LBB538_115
.LBB538_174:
	s_and_saveexec_b32 s17, s14
	s_cbranch_execnz .LBB538_234
; %bb.175:
	s_or_b32 exec_lo, exec_lo, s17
	s_and_saveexec_b32 s17, s13
	s_cbranch_execnz .LBB538_235
.LBB538_176:
	s_or_b32 exec_lo, exec_lo, s17
	s_and_saveexec_b32 s17, s12
	s_cbranch_execnz .LBB538_236
.LBB538_177:
	s_or_b32 exec_lo, exec_lo, s17
	s_and_saveexec_b32 s17, s11
	s_cbranch_execnz .LBB538_237
.LBB538_178:
	s_or_b32 exec_lo, exec_lo, s17
	s_and_saveexec_b32 s17, s10
	s_cbranch_execnz .LBB538_238
.LBB538_179:
	s_or_b32 exec_lo, exec_lo, s17
	s_and_saveexec_b32 s17, s9
	s_cbranch_execnz .LBB538_239
.LBB538_180:
	s_or_b32 exec_lo, exec_lo, s17
	s_and_saveexec_b32 s17, s8
	s_cbranch_execnz .LBB538_240
.LBB538_181:
	s_or_b32 exec_lo, exec_lo, s17
	s_and_saveexec_b32 s17, s7
	s_cbranch_execnz .LBB538_241
.LBB538_182:
	s_or_b32 exec_lo, exec_lo, s17
	s_and_saveexec_b32 s17, s6
	s_cbranch_execnz .LBB538_242
.LBB538_183:
	s_or_b32 exec_lo, exec_lo, s17
	s_and_saveexec_b32 s17, s5
	s_cbranch_execnz .LBB538_243
.LBB538_184:
	s_or_b32 exec_lo, exec_lo, s17
	s_and_saveexec_b32 s17, s4
	s_cbranch_execnz .LBB538_244
.LBB538_185:
	s_or_b32 exec_lo, exec_lo, s17
	s_and_saveexec_b32 s17, s3
	s_cbranch_execnz .LBB538_245
.LBB538_186:
	s_or_b32 exec_lo, exec_lo, s17
	s_and_saveexec_b32 s17, s2
	s_cbranch_execnz .LBB538_246
.LBB538_187:
	s_or_b32 exec_lo, exec_lo, s17
	s_and_saveexec_b32 s17, s1
	s_cbranch_execz .LBB538_189
.LBB538_188:
	v_dual_sub_nc_u32 v7, v44, v1 :: v_dual_mov_b32 v11, 0
	v_mov_b32_e32 v10, v45
	v_readfirstlane_b32 s20, v4
	v_readfirstlane_b32 s21, v5
	global_store_b64 v7, v[10:11], s[20:21] scale_offset
.LBB538_189:
	s_wait_xcnt 0x0
	s_or_b32 exec_lo, exec_lo, s17
	s_delay_alu instid0(SALU_CYCLE_1)
	s_and_b32 s17, s0, exec_lo
	s_and_not1_saveexec_b32 s15, s15
	s_cbranch_execz .LBB538_126
.LBB538_190:
	v_dual_mov_b32 v11, 0 :: v_dual_mov_b32 v10, v63
	v_sub_nc_u32_e32 v7, v62, v1
	v_readfirstlane_b32 s20, v4
	v_readfirstlane_b32 s21, v5
	v_sub_nc_u32_e32 v9, v64, v1
	s_or_b32 s17, s17, exec_lo
	global_store_b64 v7, v[10:11], s[20:21] scale_offset
	s_wait_xcnt 0x0
	v_dual_mov_b32 v10, v67 :: v_dual_sub_nc_u32 v7, v66, v1
	global_store_b64 v7, v[10:11], s[20:21] scale_offset
	s_wait_xcnt 0x0
	v_dual_mov_b32 v10, v65 :: v_dual_sub_nc_u32 v7, v60, v1
	;; [unrolled: 3-line block ×12, first 2 shown]
	global_store_b64 v9, v[10:11], s[20:21] scale_offset
	s_wait_xcnt 0x0
	v_mov_b32_e32 v10, v45
	global_store_b64 v7, v[10:11], s[20:21] scale_offset
	s_wait_xcnt 0x0
	s_or_b32 exec_lo, exec_lo, s15
	s_delay_alu instid0(SALU_CYCLE_1)
	s_and_b32 exec_lo, exec_lo, s17
	s_cbranch_execnz .LBB538_127
	s_branch .LBB538_128
.LBB538_191:
	s_and_saveexec_b32 s17, s14
	s_cbranch_execnz .LBB538_247
; %bb.192:
	s_or_b32 exec_lo, exec_lo, s17
	s_and_saveexec_b32 s14, s13
	s_cbranch_execnz .LBB538_248
.LBB538_193:
	s_or_b32 exec_lo, exec_lo, s14
	s_and_saveexec_b32 s13, s12
	s_cbranch_execnz .LBB538_249
.LBB538_194:
	s_or_b32 exec_lo, exec_lo, s13
	s_and_saveexec_b32 s12, s11
	s_cbranch_execnz .LBB538_250
.LBB538_195:
	s_or_b32 exec_lo, exec_lo, s12
	s_and_saveexec_b32 s11, s10
	s_cbranch_execnz .LBB538_251
.LBB538_196:
	s_or_b32 exec_lo, exec_lo, s11
	s_and_saveexec_b32 s10, s9
	s_cbranch_execnz .LBB538_252
.LBB538_197:
	s_or_b32 exec_lo, exec_lo, s10
	s_and_saveexec_b32 s9, s8
	s_cbranch_execnz .LBB538_253
.LBB538_198:
	s_or_b32 exec_lo, exec_lo, s9
	s_and_saveexec_b32 s8, s7
	s_cbranch_execnz .LBB538_254
.LBB538_199:
	s_or_b32 exec_lo, exec_lo, s8
	s_and_saveexec_b32 s7, s6
	s_cbranch_execnz .LBB538_255
.LBB538_200:
	s_or_b32 exec_lo, exec_lo, s7
	s_and_saveexec_b32 s6, s5
	s_cbranch_execnz .LBB538_256
.LBB538_201:
	s_or_b32 exec_lo, exec_lo, s6
	s_and_saveexec_b32 s5, s4
	s_cbranch_execnz .LBB538_257
.LBB538_202:
	s_or_b32 exec_lo, exec_lo, s5
	s_and_saveexec_b32 s4, s3
	s_cbranch_execnz .LBB538_258
.LBB538_203:
	s_or_b32 exec_lo, exec_lo, s4
	s_and_saveexec_b32 s3, s2
	s_cbranch_execnz .LBB538_259
.LBB538_204:
	s_or_b32 exec_lo, exec_lo, s3
	s_and_saveexec_b32 s2, s1
.LBB538_205:
	v_sub_nc_u32_e32 v6, v44, v1
	s_delay_alu instid0(VALU_DEP_1)
	v_lshlrev_b32_e32 v6, 2, v6
	ds_store_b32 v6, v45
.LBB538_206:
	s_or_b32 exec_lo, exec_lo, s2
	s_delay_alu instid0(SALU_CYCLE_1)
	s_and_b32 s17, s0, exec_lo
                                        ; implicit-def: $vgpr44_vgpr45
                                        ; implicit-def: $vgpr50_vgpr51
                                        ; implicit-def: $vgpr46_vgpr47
                                        ; implicit-def: $vgpr62_vgpr63
                                        ; implicit-def: $vgpr66_vgpr67
                                        ; implicit-def: $vgpr64_vgpr65
                                        ; implicit-def: $vgpr60_vgpr61
                                        ; implicit-def: $vgpr56_vgpr57
                                        ; implicit-def: $vgpr52_vgpr53
                                        ; implicit-def: $vgpr48_vgpr49
                                        ; implicit-def: $vgpr54_vgpr55
                                        ; implicit-def: $vgpr58_vgpr59
                                        ; implicit-def: $vgpr38_vgpr39
                                        ; implicit-def: $vgpr40_vgpr41
	s_and_not1_saveexec_b32 s0, s16
	s_cbranch_execz .LBB538_132
.LBB538_207:
	v_dual_sub_nc_u32 v6, v62, v1 :: v_dual_sub_nc_u32 v9, v64, v1
	v_dual_sub_nc_u32 v7, v66, v1 :: v_dual_sub_nc_u32 v10, v60, v1
	s_or_b32 s17, s17, exec_lo
	s_delay_alu instid0(VALU_DEP_2) | instskip(NEXT) | instid1(VALU_DEP_2)
	v_dual_lshlrev_b32 v6, 2, v6 :: v_dual_lshlrev_b32 v9, 2, v9
	v_dual_lshlrev_b32 v7, 2, v7 :: v_dual_lshlrev_b32 v10, 2, v10
	ds_store_b32 v6, v63
	ds_store_b32 v7, v67
	;; [unrolled: 1-line block ×3, first 2 shown]
	v_sub_nc_u32_e32 v6, v56, v1
	ds_store_b32 v10, v61
	v_dual_sub_nc_u32 v10, v54, v1 :: v_dual_sub_nc_u32 v7, v52, v1
	v_dual_sub_nc_u32 v9, v48, v1 :: v_dual_sub_nc_u32 v11, v58, v1
	v_lshlrev_b32_e32 v6, 2, v6
	s_delay_alu instid0(VALU_DEP_3) | instskip(NEXT) | instid1(VALU_DEP_3)
	v_dual_lshlrev_b32 v10, 2, v10 :: v_dual_lshlrev_b32 v7, 2, v7
	v_lshlrev_b32_e32 v9, 2, v9
	ds_store_b32 v6, v57
	v_lshlrev_b32_e32 v6, 2, v11
	ds_store_b32 v7, v53
	ds_store_b32 v9, v49
	;; [unrolled: 1-line block ×3, first 2 shown]
	v_sub_nc_u32_e32 v7, v38, v1
	v_dual_sub_nc_u32 v10, v50, v1 :: v_dual_sub_nc_u32 v11, v44, v1
	ds_store_b32 v6, v59
	v_dual_sub_nc_u32 v6, v40, v1 :: v_dual_sub_nc_u32 v9, v46, v1
	v_dual_lshlrev_b32 v7, 2, v7 :: v_dual_lshlrev_b32 v10, 2, v10
	s_delay_alu instid0(VALU_DEP_2)
	v_dual_lshlrev_b32 v6, 2, v6 :: v_dual_lshlrev_b32 v9, 2, v9
	ds_store_b32 v7, v39
	v_lshlrev_b32_e32 v7, 2, v11
	ds_store_b32 v6, v41
	ds_store_b32 v9, v47
	;; [unrolled: 1-line block ×4, first 2 shown]
	s_or_b32 exec_lo, exec_lo, s0
	s_delay_alu instid0(SALU_CYCLE_1)
	s_and_b32 exec_lo, exec_lo, s17
	s_cbranch_execnz .LBB538_133
	s_branch .LBB538_134
.LBB538_208:
	v_sub_nc_u32_e32 v35, v62, v32
	v_readfirstlane_b32 s20, v74
	v_readfirstlane_b32 s21, v75
	global_store_b64 v35, v[26:27], s[20:21] scale_offset
	s_wait_xcnt 0x0
	s_or_b32 exec_lo, exec_lo, s18
	s_and_saveexec_b32 s18, s14
	s_cbranch_execz .LBB538_142
.LBB538_209:
	v_sub_nc_u32_e32 v35, v66, v32
	v_readfirstlane_b32 s20, v74
	v_readfirstlane_b32 s21, v75
	global_store_b64 v35, v[28:29], s[20:21] scale_offset
	s_wait_xcnt 0x0
	s_or_b32 exec_lo, exec_lo, s18
	s_and_saveexec_b32 s18, s13
	s_cbranch_execz .LBB538_143
.LBB538_210:
	v_sub_nc_u32_e32 v35, v64, v32
	v_readfirstlane_b32 s20, v74
	v_readfirstlane_b32 s21, v75
	global_store_b64 v35, v[22:23], s[20:21] scale_offset
	s_wait_xcnt 0x0
	s_or_b32 exec_lo, exec_lo, s18
	s_and_saveexec_b32 s18, s12
	s_cbranch_execz .LBB538_144
.LBB538_211:
	v_sub_nc_u32_e32 v35, v60, v32
	v_readfirstlane_b32 s20, v74
	v_readfirstlane_b32 s21, v75
	global_store_b64 v35, v[24:25], s[20:21] scale_offset
	s_wait_xcnt 0x0
	s_or_b32 exec_lo, exec_lo, s18
	s_and_saveexec_b32 s18, s11
	s_cbranch_execz .LBB538_145
.LBB538_212:
	v_sub_nc_u32_e32 v35, v56, v32
	v_readfirstlane_b32 s20, v74
	v_readfirstlane_b32 s21, v75
	global_store_b64 v35, v[18:19], s[20:21] scale_offset
	s_wait_xcnt 0x0
	s_or_b32 exec_lo, exec_lo, s18
	s_and_saveexec_b32 s18, s10
	s_cbranch_execz .LBB538_146
.LBB538_213:
	v_sub_nc_u32_e32 v35, v52, v32
	v_readfirstlane_b32 s20, v74
	v_readfirstlane_b32 s21, v75
	global_store_b64 v35, v[20:21], s[20:21] scale_offset
	s_wait_xcnt 0x0
	s_or_b32 exec_lo, exec_lo, s18
	s_and_saveexec_b32 s18, s9
	s_cbranch_execz .LBB538_147
.LBB538_214:
	v_sub_nc_u32_e32 v35, v48, v32
	v_readfirstlane_b32 s20, v74
	v_readfirstlane_b32 s21, v75
	global_store_b64 v35, v[14:15], s[20:21] scale_offset
	s_wait_xcnt 0x0
	s_or_b32 exec_lo, exec_lo, s18
	s_and_saveexec_b32 s18, s8
	s_cbranch_execz .LBB538_148
.LBB538_215:
	v_sub_nc_u32_e32 v35, v54, v32
	v_readfirstlane_b32 s20, v74
	v_readfirstlane_b32 s21, v75
	global_store_b64 v35, v[16:17], s[20:21] scale_offset
	s_wait_xcnt 0x0
	s_or_b32 exec_lo, exec_lo, s18
	s_and_saveexec_b32 s18, s7
	s_cbranch_execz .LBB538_149
.LBB538_216:
	v_sub_nc_u32_e32 v35, v58, v32
	v_readfirstlane_b32 s20, v74
	v_readfirstlane_b32 s21, v75
	global_store_b64 v35, v[10:11], s[20:21] scale_offset
	s_wait_xcnt 0x0
	s_or_b32 exec_lo, exec_lo, s18
	s_and_saveexec_b32 s18, s6
	s_cbranch_execz .LBB538_150
.LBB538_217:
	v_sub_nc_u32_e32 v35, v38, v32
	v_readfirstlane_b32 s20, v74
	v_readfirstlane_b32 s21, v75
	global_store_b64 v35, v[12:13], s[20:21] scale_offset
	s_wait_xcnt 0x0
	s_or_b32 exec_lo, exec_lo, s18
	s_and_saveexec_b32 s18, s5
	s_cbranch_execz .LBB538_151
.LBB538_218:
	v_sub_nc_u32_e32 v35, v40, v32
	v_readfirstlane_b32 s20, v74
	v_readfirstlane_b32 s21, v75
	global_store_b64 v35, v[6:7], s[20:21] scale_offset
	s_wait_xcnt 0x0
	s_or_b32 exec_lo, exec_lo, s18
	s_and_saveexec_b32 s18, s4
	s_cbranch_execz .LBB538_152
.LBB538_219:
	v_sub_nc_u32_e32 v35, v46, v32
	v_readfirstlane_b32 s20, v74
	v_readfirstlane_b32 s21, v75
	global_store_b64 v35, v[8:9], s[20:21] scale_offset
	s_wait_xcnt 0x0
	s_or_b32 exec_lo, exec_lo, s18
	s_and_saveexec_b32 s18, s3
	s_cbranch_execz .LBB538_153
.LBB538_220:
	v_sub_nc_u32_e32 v35, v50, v32
	v_readfirstlane_b32 s20, v74
	v_readfirstlane_b32 s21, v75
	global_store_b64 v35, v[2:3], s[20:21] scale_offset
	s_wait_xcnt 0x0
	s_or_b32 exec_lo, exec_lo, s18
	s_and_saveexec_b32 s18, s1
	s_cbranch_execnz .LBB538_154
	s_branch .LBB538_155
.LBB538_221:
	v_sub_nc_u32_e32 v31, v62, v32
	s_delay_alu instid0(VALU_DEP_1)
	v_lshlrev_b32_e32 v31, 3, v31
	ds_store_b64 v31, v[26:27]
	s_or_b32 exec_lo, exec_lo, s18
	s_and_saveexec_b32 s15, s14
	s_cbranch_execz .LBB538_159
.LBB538_222:
	v_sub_nc_u32_e32 v26, v66, v32
	s_delay_alu instid0(VALU_DEP_1)
	v_lshlrev_b32_e32 v26, 3, v26
	ds_store_b64 v26, v[28:29]
	s_or_b32 exec_lo, exec_lo, s15
	s_and_saveexec_b32 s14, s13
	s_cbranch_execz .LBB538_160
.LBB538_223:
	v_sub_nc_u32_e32 v26, v64, v32
	s_delay_alu instid0(VALU_DEP_1)
	v_lshlrev_b32_e32 v26, 3, v26
	ds_store_b64 v26, v[22:23]
	s_or_b32 exec_lo, exec_lo, s14
	s_and_saveexec_b32 s13, s12
	s_cbranch_execz .LBB538_161
.LBB538_224:
	v_sub_nc_u32_e32 v22, v60, v32
	s_delay_alu instid0(VALU_DEP_1)
	v_lshlrev_b32_e32 v22, 3, v22
	ds_store_b64 v22, v[24:25]
	s_or_b32 exec_lo, exec_lo, s13
	s_and_saveexec_b32 s12, s11
	s_cbranch_execz .LBB538_162
.LBB538_225:
	v_sub_nc_u32_e32 v22, v56, v32
	s_delay_alu instid0(VALU_DEP_1)
	v_lshlrev_b32_e32 v22, 3, v22
	ds_store_b64 v22, v[18:19]
	s_or_b32 exec_lo, exec_lo, s12
	s_and_saveexec_b32 s11, s10
	s_cbranch_execz .LBB538_163
.LBB538_226:
	v_sub_nc_u32_e32 v18, v52, v32
	s_delay_alu instid0(VALU_DEP_1)
	v_lshlrev_b32_e32 v18, 3, v18
	ds_store_b64 v18, v[20:21]
	s_or_b32 exec_lo, exec_lo, s11
	s_and_saveexec_b32 s10, s9
	s_cbranch_execz .LBB538_164
.LBB538_227:
	v_sub_nc_u32_e32 v18, v48, v32
	s_delay_alu instid0(VALU_DEP_1)
	v_lshlrev_b32_e32 v18, 3, v18
	ds_store_b64 v18, v[14:15]
	s_or_b32 exec_lo, exec_lo, s10
	s_and_saveexec_b32 s9, s8
	s_cbranch_execz .LBB538_165
.LBB538_228:
	v_sub_nc_u32_e32 v14, v54, v32
	s_delay_alu instid0(VALU_DEP_1)
	v_lshlrev_b32_e32 v14, 3, v14
	ds_store_b64 v14, v[16:17]
	s_or_b32 exec_lo, exec_lo, s9
	s_and_saveexec_b32 s8, s7
	s_cbranch_execz .LBB538_166
.LBB538_229:
	v_sub_nc_u32_e32 v14, v58, v32
	s_delay_alu instid0(VALU_DEP_1)
	v_lshlrev_b32_e32 v14, 3, v14
	ds_store_b64 v14, v[10:11]
	s_or_b32 exec_lo, exec_lo, s8
	s_and_saveexec_b32 s7, s6
	s_cbranch_execz .LBB538_167
.LBB538_230:
	v_sub_nc_u32_e32 v10, v38, v32
	s_delay_alu instid0(VALU_DEP_1)
	v_lshlrev_b32_e32 v10, 3, v10
	ds_store_b64 v10, v[12:13]
	s_or_b32 exec_lo, exec_lo, s7
	s_and_saveexec_b32 s6, s5
	s_cbranch_execz .LBB538_168
.LBB538_231:
	v_sub_nc_u32_e32 v10, v40, v32
	s_delay_alu instid0(VALU_DEP_1)
	v_lshlrev_b32_e32 v10, 3, v10
	ds_store_b64 v10, v[6:7]
	s_or_b32 exec_lo, exec_lo, s6
	s_and_saveexec_b32 s5, s4
	s_cbranch_execz .LBB538_169
.LBB538_232:
	v_sub_nc_u32_e32 v6, v46, v32
	s_delay_alu instid0(VALU_DEP_1)
	v_lshlrev_b32_e32 v6, 3, v6
	ds_store_b64 v6, v[8:9]
	s_or_b32 exec_lo, exec_lo, s5
	s_and_saveexec_b32 s4, s3
	s_cbranch_execz .LBB538_170
.LBB538_233:
	v_sub_nc_u32_e32 v6, v50, v32
	s_delay_alu instid0(VALU_DEP_1)
	v_lshlrev_b32_e32 v6, 3, v6
	ds_store_b64 v6, v[2:3]
	s_or_b32 exec_lo, exec_lo, s4
	s_and_saveexec_b32 s3, s1
	s_cbranch_execnz .LBB538_171
	s_branch .LBB538_172
.LBB538_234:
	v_dual_sub_nc_u32 v7, v62, v1 :: v_dual_mov_b32 v11, 0
	v_mov_b32_e32 v10, v63
	v_readfirstlane_b32 s20, v4
	v_readfirstlane_b32 s21, v5
	global_store_b64 v7, v[10:11], s[20:21] scale_offset
	s_wait_xcnt 0x0
	s_or_b32 exec_lo, exec_lo, s17
	s_and_saveexec_b32 s17, s13
	s_cbranch_execz .LBB538_176
.LBB538_235:
	v_dual_sub_nc_u32 v7, v66, v1 :: v_dual_mov_b32 v11, 0
	v_mov_b32_e32 v10, v67
	v_readfirstlane_b32 s20, v4
	v_readfirstlane_b32 s21, v5
	global_store_b64 v7, v[10:11], s[20:21] scale_offset
	s_wait_xcnt 0x0
	s_or_b32 exec_lo, exec_lo, s17
	s_and_saveexec_b32 s17, s12
	s_cbranch_execz .LBB538_177
.LBB538_236:
	v_dual_sub_nc_u32 v7, v64, v1 :: v_dual_mov_b32 v11, 0
	v_mov_b32_e32 v10, v65
	v_readfirstlane_b32 s20, v4
	v_readfirstlane_b32 s21, v5
	global_store_b64 v7, v[10:11], s[20:21] scale_offset
	s_wait_xcnt 0x0
	s_or_b32 exec_lo, exec_lo, s17
	s_and_saveexec_b32 s17, s11
	s_cbranch_execz .LBB538_178
.LBB538_237:
	v_dual_sub_nc_u32 v7, v60, v1 :: v_dual_mov_b32 v11, 0
	v_mov_b32_e32 v10, v61
	v_readfirstlane_b32 s20, v4
	v_readfirstlane_b32 s21, v5
	global_store_b64 v7, v[10:11], s[20:21] scale_offset
	s_wait_xcnt 0x0
	s_or_b32 exec_lo, exec_lo, s17
	s_and_saveexec_b32 s17, s10
	s_cbranch_execz .LBB538_179
.LBB538_238:
	v_dual_sub_nc_u32 v7, v56, v1 :: v_dual_mov_b32 v11, 0
	v_mov_b32_e32 v10, v57
	v_readfirstlane_b32 s20, v4
	v_readfirstlane_b32 s21, v5
	global_store_b64 v7, v[10:11], s[20:21] scale_offset
	s_wait_xcnt 0x0
	s_or_b32 exec_lo, exec_lo, s17
	s_and_saveexec_b32 s17, s9
	s_cbranch_execz .LBB538_180
.LBB538_239:
	v_dual_sub_nc_u32 v7, v52, v1 :: v_dual_mov_b32 v11, 0
	v_mov_b32_e32 v10, v53
	v_readfirstlane_b32 s20, v4
	v_readfirstlane_b32 s21, v5
	global_store_b64 v7, v[10:11], s[20:21] scale_offset
	s_wait_xcnt 0x0
	s_or_b32 exec_lo, exec_lo, s17
	s_and_saveexec_b32 s17, s8
	s_cbranch_execz .LBB538_181
.LBB538_240:
	v_dual_sub_nc_u32 v7, v48, v1 :: v_dual_mov_b32 v11, 0
	v_mov_b32_e32 v10, v49
	v_readfirstlane_b32 s20, v4
	v_readfirstlane_b32 s21, v5
	global_store_b64 v7, v[10:11], s[20:21] scale_offset
	s_wait_xcnt 0x0
	s_or_b32 exec_lo, exec_lo, s17
	s_and_saveexec_b32 s17, s7
	s_cbranch_execz .LBB538_182
.LBB538_241:
	v_dual_sub_nc_u32 v7, v54, v1 :: v_dual_mov_b32 v11, 0
	v_mov_b32_e32 v10, v55
	v_readfirstlane_b32 s20, v4
	v_readfirstlane_b32 s21, v5
	global_store_b64 v7, v[10:11], s[20:21] scale_offset
	s_wait_xcnt 0x0
	s_or_b32 exec_lo, exec_lo, s17
	s_and_saveexec_b32 s17, s6
	s_cbranch_execz .LBB538_183
.LBB538_242:
	v_dual_sub_nc_u32 v7, v58, v1 :: v_dual_mov_b32 v11, 0
	v_mov_b32_e32 v10, v59
	v_readfirstlane_b32 s20, v4
	v_readfirstlane_b32 s21, v5
	global_store_b64 v7, v[10:11], s[20:21] scale_offset
	s_wait_xcnt 0x0
	s_or_b32 exec_lo, exec_lo, s17
	s_and_saveexec_b32 s17, s5
	s_cbranch_execz .LBB538_184
.LBB538_243:
	v_dual_sub_nc_u32 v7, v38, v1 :: v_dual_mov_b32 v11, 0
	v_mov_b32_e32 v10, v39
	v_readfirstlane_b32 s20, v4
	v_readfirstlane_b32 s21, v5
	global_store_b64 v7, v[10:11], s[20:21] scale_offset
	s_wait_xcnt 0x0
	s_or_b32 exec_lo, exec_lo, s17
	s_and_saveexec_b32 s17, s4
	s_cbranch_execz .LBB538_185
.LBB538_244:
	v_dual_sub_nc_u32 v7, v40, v1 :: v_dual_mov_b32 v11, 0
	v_mov_b32_e32 v10, v41
	v_readfirstlane_b32 s20, v4
	v_readfirstlane_b32 s21, v5
	global_store_b64 v7, v[10:11], s[20:21] scale_offset
	s_wait_xcnt 0x0
	s_or_b32 exec_lo, exec_lo, s17
	s_and_saveexec_b32 s17, s3
	s_cbranch_execz .LBB538_186
.LBB538_245:
	v_dual_sub_nc_u32 v7, v46, v1 :: v_dual_mov_b32 v11, 0
	v_mov_b32_e32 v10, v47
	v_readfirstlane_b32 s20, v4
	v_readfirstlane_b32 s21, v5
	global_store_b64 v7, v[10:11], s[20:21] scale_offset
	s_wait_xcnt 0x0
	s_or_b32 exec_lo, exec_lo, s17
	s_and_saveexec_b32 s17, s2
	s_cbranch_execz .LBB538_187
.LBB538_246:
	v_dual_sub_nc_u32 v7, v50, v1 :: v_dual_mov_b32 v11, 0
	v_mov_b32_e32 v10, v51
	v_readfirstlane_b32 s20, v4
	v_readfirstlane_b32 s21, v5
	global_store_b64 v7, v[10:11], s[20:21] scale_offset
	s_wait_xcnt 0x0
	s_or_b32 exec_lo, exec_lo, s17
	s_and_saveexec_b32 s17, s1
	s_cbranch_execnz .LBB538_188
	s_branch .LBB538_189
.LBB538_247:
	v_sub_nc_u32_e32 v6, v62, v1
	s_delay_alu instid0(VALU_DEP_1)
	v_lshlrev_b32_e32 v6, 2, v6
	ds_store_b32 v6, v63
	s_or_b32 exec_lo, exec_lo, s17
	s_and_saveexec_b32 s14, s13
	s_cbranch_execz .LBB538_193
.LBB538_248:
	v_sub_nc_u32_e32 v6, v66, v1
	s_delay_alu instid0(VALU_DEP_1)
	v_lshlrev_b32_e32 v6, 2, v6
	ds_store_b32 v6, v67
	s_or_b32 exec_lo, exec_lo, s14
	s_and_saveexec_b32 s13, s12
	s_cbranch_execz .LBB538_194
.LBB538_249:
	v_sub_nc_u32_e32 v6, v64, v1
	s_delay_alu instid0(VALU_DEP_1)
	v_lshlrev_b32_e32 v6, 2, v6
	ds_store_b32 v6, v65
	s_or_b32 exec_lo, exec_lo, s13
	s_and_saveexec_b32 s12, s11
	s_cbranch_execz .LBB538_195
.LBB538_250:
	v_sub_nc_u32_e32 v6, v60, v1
	s_delay_alu instid0(VALU_DEP_1)
	v_lshlrev_b32_e32 v6, 2, v6
	ds_store_b32 v6, v61
	s_or_b32 exec_lo, exec_lo, s12
	s_and_saveexec_b32 s11, s10
	s_cbranch_execz .LBB538_196
.LBB538_251:
	v_sub_nc_u32_e32 v6, v56, v1
	s_delay_alu instid0(VALU_DEP_1)
	v_lshlrev_b32_e32 v6, 2, v6
	ds_store_b32 v6, v57
	s_or_b32 exec_lo, exec_lo, s11
	s_and_saveexec_b32 s10, s9
	s_cbranch_execz .LBB538_197
.LBB538_252:
	v_sub_nc_u32_e32 v6, v52, v1
	s_delay_alu instid0(VALU_DEP_1)
	v_lshlrev_b32_e32 v6, 2, v6
	ds_store_b32 v6, v53
	s_or_b32 exec_lo, exec_lo, s10
	s_and_saveexec_b32 s9, s8
	s_cbranch_execz .LBB538_198
.LBB538_253:
	v_sub_nc_u32_e32 v6, v48, v1
	s_delay_alu instid0(VALU_DEP_1)
	v_lshlrev_b32_e32 v6, 2, v6
	ds_store_b32 v6, v49
	s_or_b32 exec_lo, exec_lo, s9
	s_and_saveexec_b32 s8, s7
	s_cbranch_execz .LBB538_199
.LBB538_254:
	v_sub_nc_u32_e32 v6, v54, v1
	s_delay_alu instid0(VALU_DEP_1)
	v_lshlrev_b32_e32 v6, 2, v6
	ds_store_b32 v6, v55
	s_or_b32 exec_lo, exec_lo, s8
	s_and_saveexec_b32 s7, s6
	s_cbranch_execz .LBB538_200
.LBB538_255:
	v_sub_nc_u32_e32 v6, v58, v1
	s_delay_alu instid0(VALU_DEP_1)
	v_lshlrev_b32_e32 v6, 2, v6
	ds_store_b32 v6, v59
	s_or_b32 exec_lo, exec_lo, s7
	s_and_saveexec_b32 s6, s5
	s_cbranch_execz .LBB538_201
.LBB538_256:
	v_sub_nc_u32_e32 v6, v38, v1
	s_delay_alu instid0(VALU_DEP_1)
	v_lshlrev_b32_e32 v6, 2, v6
	ds_store_b32 v6, v39
	s_or_b32 exec_lo, exec_lo, s6
	s_and_saveexec_b32 s5, s4
	s_cbranch_execz .LBB538_202
.LBB538_257:
	v_sub_nc_u32_e32 v6, v40, v1
	s_delay_alu instid0(VALU_DEP_1)
	v_lshlrev_b32_e32 v6, 2, v6
	ds_store_b32 v6, v41
	s_or_b32 exec_lo, exec_lo, s5
	s_and_saveexec_b32 s4, s3
	s_cbranch_execz .LBB538_203
.LBB538_258:
	v_sub_nc_u32_e32 v6, v46, v1
	s_delay_alu instid0(VALU_DEP_1)
	v_lshlrev_b32_e32 v6, 2, v6
	ds_store_b32 v6, v47
	s_or_b32 exec_lo, exec_lo, s4
	s_and_saveexec_b32 s3, s2
	s_cbranch_execz .LBB538_204
.LBB538_259:
	v_sub_nc_u32_e32 v6, v50, v1
	s_delay_alu instid0(VALU_DEP_1)
	v_lshlrev_b32_e32 v6, 2, v6
	ds_store_b32 v6, v51
	s_or_b32 exec_lo, exec_lo, s3
	s_and_saveexec_b32 s2, s1
	s_cbranch_execnz .LBB538_205
	s_branch .LBB538_206
	.section	.rodata,"a",@progbits
	.p2align	6, 0x0
	.amdhsa_kernel _ZN7rocprim17ROCPRIM_400000_NS6detail17trampoline_kernelINS0_14default_configENS1_33run_length_encode_config_selectorIljNS0_4plusIjEEEEZZNS1_33reduce_by_key_impl_wrapped_configILNS1_25lookback_scan_determinismE0ES3_S7_PKlNS0_17constant_iteratorIjlEEPlSE_SE_S6_NS0_8equal_toIlEEEE10hipError_tPvRmT2_T3_mT4_T5_T6_T7_T8_P12ihipStream_tbENKUlT_T0_E_clISt17integral_constantIbLb0EESX_IbLb1EEEEDaST_SU_EUlST_E_NS1_11comp_targetILNS1_3genE0ELNS1_11target_archE4294967295ELNS1_3gpuE0ELNS1_3repE0EEENS1_30default_config_static_selectorELNS0_4arch9wavefront6targetE0EEEvT1_
		.amdhsa_group_segment_fixed_size 30720
		.amdhsa_private_segment_fixed_size 0
		.amdhsa_kernarg_size 128
		.amdhsa_user_sgpr_count 2
		.amdhsa_user_sgpr_dispatch_ptr 0
		.amdhsa_user_sgpr_queue_ptr 0
		.amdhsa_user_sgpr_kernarg_segment_ptr 1
		.amdhsa_user_sgpr_dispatch_id 0
		.amdhsa_user_sgpr_kernarg_preload_length 0
		.amdhsa_user_sgpr_kernarg_preload_offset 0
		.amdhsa_user_sgpr_private_segment_size 0
		.amdhsa_wavefront_size32 1
		.amdhsa_uses_dynamic_stack 0
		.amdhsa_enable_private_segment 0
		.amdhsa_system_sgpr_workgroup_id_x 1
		.amdhsa_system_sgpr_workgroup_id_y 0
		.amdhsa_system_sgpr_workgroup_id_z 0
		.amdhsa_system_sgpr_workgroup_info 0
		.amdhsa_system_vgpr_workitem_id 0
		.amdhsa_next_free_vgpr 101
		.amdhsa_next_free_sgpr 46
		.amdhsa_named_barrier_count 0
		.amdhsa_reserve_vcc 1
		.amdhsa_float_round_mode_32 0
		.amdhsa_float_round_mode_16_64 0
		.amdhsa_float_denorm_mode_32 3
		.amdhsa_float_denorm_mode_16_64 3
		.amdhsa_fp16_overflow 0
		.amdhsa_memory_ordered 1
		.amdhsa_forward_progress 1
		.amdhsa_inst_pref_size 118
		.amdhsa_round_robin_scheduling 0
		.amdhsa_exception_fp_ieee_invalid_op 0
		.amdhsa_exception_fp_denorm_src 0
		.amdhsa_exception_fp_ieee_div_zero 0
		.amdhsa_exception_fp_ieee_overflow 0
		.amdhsa_exception_fp_ieee_underflow 0
		.amdhsa_exception_fp_ieee_inexact 0
		.amdhsa_exception_int_div_zero 0
	.end_amdhsa_kernel
	.section	.text._ZN7rocprim17ROCPRIM_400000_NS6detail17trampoline_kernelINS0_14default_configENS1_33run_length_encode_config_selectorIljNS0_4plusIjEEEEZZNS1_33reduce_by_key_impl_wrapped_configILNS1_25lookback_scan_determinismE0ES3_S7_PKlNS0_17constant_iteratorIjlEEPlSE_SE_S6_NS0_8equal_toIlEEEE10hipError_tPvRmT2_T3_mT4_T5_T6_T7_T8_P12ihipStream_tbENKUlT_T0_E_clISt17integral_constantIbLb0EESX_IbLb1EEEEDaST_SU_EUlST_E_NS1_11comp_targetILNS1_3genE0ELNS1_11target_archE4294967295ELNS1_3gpuE0ELNS1_3repE0EEENS1_30default_config_static_selectorELNS0_4arch9wavefront6targetE0EEEvT1_,"axG",@progbits,_ZN7rocprim17ROCPRIM_400000_NS6detail17trampoline_kernelINS0_14default_configENS1_33run_length_encode_config_selectorIljNS0_4plusIjEEEEZZNS1_33reduce_by_key_impl_wrapped_configILNS1_25lookback_scan_determinismE0ES3_S7_PKlNS0_17constant_iteratorIjlEEPlSE_SE_S6_NS0_8equal_toIlEEEE10hipError_tPvRmT2_T3_mT4_T5_T6_T7_T8_P12ihipStream_tbENKUlT_T0_E_clISt17integral_constantIbLb0EESX_IbLb1EEEEDaST_SU_EUlST_E_NS1_11comp_targetILNS1_3genE0ELNS1_11target_archE4294967295ELNS1_3gpuE0ELNS1_3repE0EEENS1_30default_config_static_selectorELNS0_4arch9wavefront6targetE0EEEvT1_,comdat
.Lfunc_end538:
	.size	_ZN7rocprim17ROCPRIM_400000_NS6detail17trampoline_kernelINS0_14default_configENS1_33run_length_encode_config_selectorIljNS0_4plusIjEEEEZZNS1_33reduce_by_key_impl_wrapped_configILNS1_25lookback_scan_determinismE0ES3_S7_PKlNS0_17constant_iteratorIjlEEPlSE_SE_S6_NS0_8equal_toIlEEEE10hipError_tPvRmT2_T3_mT4_T5_T6_T7_T8_P12ihipStream_tbENKUlT_T0_E_clISt17integral_constantIbLb0EESX_IbLb1EEEEDaST_SU_EUlST_E_NS1_11comp_targetILNS1_3genE0ELNS1_11target_archE4294967295ELNS1_3gpuE0ELNS1_3repE0EEENS1_30default_config_static_selectorELNS0_4arch9wavefront6targetE0EEEvT1_, .Lfunc_end538-_ZN7rocprim17ROCPRIM_400000_NS6detail17trampoline_kernelINS0_14default_configENS1_33run_length_encode_config_selectorIljNS0_4plusIjEEEEZZNS1_33reduce_by_key_impl_wrapped_configILNS1_25lookback_scan_determinismE0ES3_S7_PKlNS0_17constant_iteratorIjlEEPlSE_SE_S6_NS0_8equal_toIlEEEE10hipError_tPvRmT2_T3_mT4_T5_T6_T7_T8_P12ihipStream_tbENKUlT_T0_E_clISt17integral_constantIbLb0EESX_IbLb1EEEEDaST_SU_EUlST_E_NS1_11comp_targetILNS1_3genE0ELNS1_11target_archE4294967295ELNS1_3gpuE0ELNS1_3repE0EEENS1_30default_config_static_selectorELNS0_4arch9wavefront6targetE0EEEvT1_
                                        ; -- End function
	.set _ZN7rocprim17ROCPRIM_400000_NS6detail17trampoline_kernelINS0_14default_configENS1_33run_length_encode_config_selectorIljNS0_4plusIjEEEEZZNS1_33reduce_by_key_impl_wrapped_configILNS1_25lookback_scan_determinismE0ES3_S7_PKlNS0_17constant_iteratorIjlEEPlSE_SE_S6_NS0_8equal_toIlEEEE10hipError_tPvRmT2_T3_mT4_T5_T6_T7_T8_P12ihipStream_tbENKUlT_T0_E_clISt17integral_constantIbLb0EESX_IbLb1EEEEDaST_SU_EUlST_E_NS1_11comp_targetILNS1_3genE0ELNS1_11target_archE4294967295ELNS1_3gpuE0ELNS1_3repE0EEENS1_30default_config_static_selectorELNS0_4arch9wavefront6targetE0EEEvT1_.num_vgpr, 101
	.set _ZN7rocprim17ROCPRIM_400000_NS6detail17trampoline_kernelINS0_14default_configENS1_33run_length_encode_config_selectorIljNS0_4plusIjEEEEZZNS1_33reduce_by_key_impl_wrapped_configILNS1_25lookback_scan_determinismE0ES3_S7_PKlNS0_17constant_iteratorIjlEEPlSE_SE_S6_NS0_8equal_toIlEEEE10hipError_tPvRmT2_T3_mT4_T5_T6_T7_T8_P12ihipStream_tbENKUlT_T0_E_clISt17integral_constantIbLb0EESX_IbLb1EEEEDaST_SU_EUlST_E_NS1_11comp_targetILNS1_3genE0ELNS1_11target_archE4294967295ELNS1_3gpuE0ELNS1_3repE0EEENS1_30default_config_static_selectorELNS0_4arch9wavefront6targetE0EEEvT1_.num_agpr, 0
	.set _ZN7rocprim17ROCPRIM_400000_NS6detail17trampoline_kernelINS0_14default_configENS1_33run_length_encode_config_selectorIljNS0_4plusIjEEEEZZNS1_33reduce_by_key_impl_wrapped_configILNS1_25lookback_scan_determinismE0ES3_S7_PKlNS0_17constant_iteratorIjlEEPlSE_SE_S6_NS0_8equal_toIlEEEE10hipError_tPvRmT2_T3_mT4_T5_T6_T7_T8_P12ihipStream_tbENKUlT_T0_E_clISt17integral_constantIbLb0EESX_IbLb1EEEEDaST_SU_EUlST_E_NS1_11comp_targetILNS1_3genE0ELNS1_11target_archE4294967295ELNS1_3gpuE0ELNS1_3repE0EEENS1_30default_config_static_selectorELNS0_4arch9wavefront6targetE0EEEvT1_.numbered_sgpr, 46
	.set _ZN7rocprim17ROCPRIM_400000_NS6detail17trampoline_kernelINS0_14default_configENS1_33run_length_encode_config_selectorIljNS0_4plusIjEEEEZZNS1_33reduce_by_key_impl_wrapped_configILNS1_25lookback_scan_determinismE0ES3_S7_PKlNS0_17constant_iteratorIjlEEPlSE_SE_S6_NS0_8equal_toIlEEEE10hipError_tPvRmT2_T3_mT4_T5_T6_T7_T8_P12ihipStream_tbENKUlT_T0_E_clISt17integral_constantIbLb0EESX_IbLb1EEEEDaST_SU_EUlST_E_NS1_11comp_targetILNS1_3genE0ELNS1_11target_archE4294967295ELNS1_3gpuE0ELNS1_3repE0EEENS1_30default_config_static_selectorELNS0_4arch9wavefront6targetE0EEEvT1_.num_named_barrier, 0
	.set _ZN7rocprim17ROCPRIM_400000_NS6detail17trampoline_kernelINS0_14default_configENS1_33run_length_encode_config_selectorIljNS0_4plusIjEEEEZZNS1_33reduce_by_key_impl_wrapped_configILNS1_25lookback_scan_determinismE0ES3_S7_PKlNS0_17constant_iteratorIjlEEPlSE_SE_S6_NS0_8equal_toIlEEEE10hipError_tPvRmT2_T3_mT4_T5_T6_T7_T8_P12ihipStream_tbENKUlT_T0_E_clISt17integral_constantIbLb0EESX_IbLb1EEEEDaST_SU_EUlST_E_NS1_11comp_targetILNS1_3genE0ELNS1_11target_archE4294967295ELNS1_3gpuE0ELNS1_3repE0EEENS1_30default_config_static_selectorELNS0_4arch9wavefront6targetE0EEEvT1_.private_seg_size, 0
	.set _ZN7rocprim17ROCPRIM_400000_NS6detail17trampoline_kernelINS0_14default_configENS1_33run_length_encode_config_selectorIljNS0_4plusIjEEEEZZNS1_33reduce_by_key_impl_wrapped_configILNS1_25lookback_scan_determinismE0ES3_S7_PKlNS0_17constant_iteratorIjlEEPlSE_SE_S6_NS0_8equal_toIlEEEE10hipError_tPvRmT2_T3_mT4_T5_T6_T7_T8_P12ihipStream_tbENKUlT_T0_E_clISt17integral_constantIbLb0EESX_IbLb1EEEEDaST_SU_EUlST_E_NS1_11comp_targetILNS1_3genE0ELNS1_11target_archE4294967295ELNS1_3gpuE0ELNS1_3repE0EEENS1_30default_config_static_selectorELNS0_4arch9wavefront6targetE0EEEvT1_.uses_vcc, 1
	.set _ZN7rocprim17ROCPRIM_400000_NS6detail17trampoline_kernelINS0_14default_configENS1_33run_length_encode_config_selectorIljNS0_4plusIjEEEEZZNS1_33reduce_by_key_impl_wrapped_configILNS1_25lookback_scan_determinismE0ES3_S7_PKlNS0_17constant_iteratorIjlEEPlSE_SE_S6_NS0_8equal_toIlEEEE10hipError_tPvRmT2_T3_mT4_T5_T6_T7_T8_P12ihipStream_tbENKUlT_T0_E_clISt17integral_constantIbLb0EESX_IbLb1EEEEDaST_SU_EUlST_E_NS1_11comp_targetILNS1_3genE0ELNS1_11target_archE4294967295ELNS1_3gpuE0ELNS1_3repE0EEENS1_30default_config_static_selectorELNS0_4arch9wavefront6targetE0EEEvT1_.uses_flat_scratch, 0
	.set _ZN7rocprim17ROCPRIM_400000_NS6detail17trampoline_kernelINS0_14default_configENS1_33run_length_encode_config_selectorIljNS0_4plusIjEEEEZZNS1_33reduce_by_key_impl_wrapped_configILNS1_25lookback_scan_determinismE0ES3_S7_PKlNS0_17constant_iteratorIjlEEPlSE_SE_S6_NS0_8equal_toIlEEEE10hipError_tPvRmT2_T3_mT4_T5_T6_T7_T8_P12ihipStream_tbENKUlT_T0_E_clISt17integral_constantIbLb0EESX_IbLb1EEEEDaST_SU_EUlST_E_NS1_11comp_targetILNS1_3genE0ELNS1_11target_archE4294967295ELNS1_3gpuE0ELNS1_3repE0EEENS1_30default_config_static_selectorELNS0_4arch9wavefront6targetE0EEEvT1_.has_dyn_sized_stack, 0
	.set _ZN7rocprim17ROCPRIM_400000_NS6detail17trampoline_kernelINS0_14default_configENS1_33run_length_encode_config_selectorIljNS0_4plusIjEEEEZZNS1_33reduce_by_key_impl_wrapped_configILNS1_25lookback_scan_determinismE0ES3_S7_PKlNS0_17constant_iteratorIjlEEPlSE_SE_S6_NS0_8equal_toIlEEEE10hipError_tPvRmT2_T3_mT4_T5_T6_T7_T8_P12ihipStream_tbENKUlT_T0_E_clISt17integral_constantIbLb0EESX_IbLb1EEEEDaST_SU_EUlST_E_NS1_11comp_targetILNS1_3genE0ELNS1_11target_archE4294967295ELNS1_3gpuE0ELNS1_3repE0EEENS1_30default_config_static_selectorELNS0_4arch9wavefront6targetE0EEEvT1_.has_recursion, 0
	.set _ZN7rocprim17ROCPRIM_400000_NS6detail17trampoline_kernelINS0_14default_configENS1_33run_length_encode_config_selectorIljNS0_4plusIjEEEEZZNS1_33reduce_by_key_impl_wrapped_configILNS1_25lookback_scan_determinismE0ES3_S7_PKlNS0_17constant_iteratorIjlEEPlSE_SE_S6_NS0_8equal_toIlEEEE10hipError_tPvRmT2_T3_mT4_T5_T6_T7_T8_P12ihipStream_tbENKUlT_T0_E_clISt17integral_constantIbLb0EESX_IbLb1EEEEDaST_SU_EUlST_E_NS1_11comp_targetILNS1_3genE0ELNS1_11target_archE4294967295ELNS1_3gpuE0ELNS1_3repE0EEENS1_30default_config_static_selectorELNS0_4arch9wavefront6targetE0EEEvT1_.has_indirect_call, 0
	.section	.AMDGPU.csdata,"",@progbits
; Kernel info:
; codeLenInByte = 14988
; TotalNumSgprs: 48
; NumVgprs: 101
; ScratchSize: 0
; MemoryBound: 0
; FloatMode: 240
; IeeeMode: 1
; LDSByteSize: 30720 bytes/workgroup (compile time only)
; SGPRBlocks: 0
; VGPRBlocks: 6
; NumSGPRsForWavesPerEU: 48
; NumVGPRsForWavesPerEU: 101
; NamedBarCnt: 0
; Occupancy: 9
; WaveLimiterHint : 1
; COMPUTE_PGM_RSRC2:SCRATCH_EN: 0
; COMPUTE_PGM_RSRC2:USER_SGPR: 2
; COMPUTE_PGM_RSRC2:TRAP_HANDLER: 0
; COMPUTE_PGM_RSRC2:TGID_X_EN: 1
; COMPUTE_PGM_RSRC2:TGID_Y_EN: 0
; COMPUTE_PGM_RSRC2:TGID_Z_EN: 0
; COMPUTE_PGM_RSRC2:TIDIG_COMP_CNT: 0
	.section	.text._ZN7rocprim17ROCPRIM_400000_NS6detail17trampoline_kernelINS0_14default_configENS1_33run_length_encode_config_selectorIljNS0_4plusIjEEEEZZNS1_33reduce_by_key_impl_wrapped_configILNS1_25lookback_scan_determinismE0ES3_S7_PKlNS0_17constant_iteratorIjlEEPlSE_SE_S6_NS0_8equal_toIlEEEE10hipError_tPvRmT2_T3_mT4_T5_T6_T7_T8_P12ihipStream_tbENKUlT_T0_E_clISt17integral_constantIbLb0EESX_IbLb1EEEEDaST_SU_EUlST_E_NS1_11comp_targetILNS1_3genE5ELNS1_11target_archE942ELNS1_3gpuE9ELNS1_3repE0EEENS1_30default_config_static_selectorELNS0_4arch9wavefront6targetE0EEEvT1_,"axG",@progbits,_ZN7rocprim17ROCPRIM_400000_NS6detail17trampoline_kernelINS0_14default_configENS1_33run_length_encode_config_selectorIljNS0_4plusIjEEEEZZNS1_33reduce_by_key_impl_wrapped_configILNS1_25lookback_scan_determinismE0ES3_S7_PKlNS0_17constant_iteratorIjlEEPlSE_SE_S6_NS0_8equal_toIlEEEE10hipError_tPvRmT2_T3_mT4_T5_T6_T7_T8_P12ihipStream_tbENKUlT_T0_E_clISt17integral_constantIbLb0EESX_IbLb1EEEEDaST_SU_EUlST_E_NS1_11comp_targetILNS1_3genE5ELNS1_11target_archE942ELNS1_3gpuE9ELNS1_3repE0EEENS1_30default_config_static_selectorELNS0_4arch9wavefront6targetE0EEEvT1_,comdat
	.protected	_ZN7rocprim17ROCPRIM_400000_NS6detail17trampoline_kernelINS0_14default_configENS1_33run_length_encode_config_selectorIljNS0_4plusIjEEEEZZNS1_33reduce_by_key_impl_wrapped_configILNS1_25lookback_scan_determinismE0ES3_S7_PKlNS0_17constant_iteratorIjlEEPlSE_SE_S6_NS0_8equal_toIlEEEE10hipError_tPvRmT2_T3_mT4_T5_T6_T7_T8_P12ihipStream_tbENKUlT_T0_E_clISt17integral_constantIbLb0EESX_IbLb1EEEEDaST_SU_EUlST_E_NS1_11comp_targetILNS1_3genE5ELNS1_11target_archE942ELNS1_3gpuE9ELNS1_3repE0EEENS1_30default_config_static_selectorELNS0_4arch9wavefront6targetE0EEEvT1_ ; -- Begin function _ZN7rocprim17ROCPRIM_400000_NS6detail17trampoline_kernelINS0_14default_configENS1_33run_length_encode_config_selectorIljNS0_4plusIjEEEEZZNS1_33reduce_by_key_impl_wrapped_configILNS1_25lookback_scan_determinismE0ES3_S7_PKlNS0_17constant_iteratorIjlEEPlSE_SE_S6_NS0_8equal_toIlEEEE10hipError_tPvRmT2_T3_mT4_T5_T6_T7_T8_P12ihipStream_tbENKUlT_T0_E_clISt17integral_constantIbLb0EESX_IbLb1EEEEDaST_SU_EUlST_E_NS1_11comp_targetILNS1_3genE5ELNS1_11target_archE942ELNS1_3gpuE9ELNS1_3repE0EEENS1_30default_config_static_selectorELNS0_4arch9wavefront6targetE0EEEvT1_
	.globl	_ZN7rocprim17ROCPRIM_400000_NS6detail17trampoline_kernelINS0_14default_configENS1_33run_length_encode_config_selectorIljNS0_4plusIjEEEEZZNS1_33reduce_by_key_impl_wrapped_configILNS1_25lookback_scan_determinismE0ES3_S7_PKlNS0_17constant_iteratorIjlEEPlSE_SE_S6_NS0_8equal_toIlEEEE10hipError_tPvRmT2_T3_mT4_T5_T6_T7_T8_P12ihipStream_tbENKUlT_T0_E_clISt17integral_constantIbLb0EESX_IbLb1EEEEDaST_SU_EUlST_E_NS1_11comp_targetILNS1_3genE5ELNS1_11target_archE942ELNS1_3gpuE9ELNS1_3repE0EEENS1_30default_config_static_selectorELNS0_4arch9wavefront6targetE0EEEvT1_
	.p2align	8
	.type	_ZN7rocprim17ROCPRIM_400000_NS6detail17trampoline_kernelINS0_14default_configENS1_33run_length_encode_config_selectorIljNS0_4plusIjEEEEZZNS1_33reduce_by_key_impl_wrapped_configILNS1_25lookback_scan_determinismE0ES3_S7_PKlNS0_17constant_iteratorIjlEEPlSE_SE_S6_NS0_8equal_toIlEEEE10hipError_tPvRmT2_T3_mT4_T5_T6_T7_T8_P12ihipStream_tbENKUlT_T0_E_clISt17integral_constantIbLb0EESX_IbLb1EEEEDaST_SU_EUlST_E_NS1_11comp_targetILNS1_3genE5ELNS1_11target_archE942ELNS1_3gpuE9ELNS1_3repE0EEENS1_30default_config_static_selectorELNS0_4arch9wavefront6targetE0EEEvT1_,@function
_ZN7rocprim17ROCPRIM_400000_NS6detail17trampoline_kernelINS0_14default_configENS1_33run_length_encode_config_selectorIljNS0_4plusIjEEEEZZNS1_33reduce_by_key_impl_wrapped_configILNS1_25lookback_scan_determinismE0ES3_S7_PKlNS0_17constant_iteratorIjlEEPlSE_SE_S6_NS0_8equal_toIlEEEE10hipError_tPvRmT2_T3_mT4_T5_T6_T7_T8_P12ihipStream_tbENKUlT_T0_E_clISt17integral_constantIbLb0EESX_IbLb1EEEEDaST_SU_EUlST_E_NS1_11comp_targetILNS1_3genE5ELNS1_11target_archE942ELNS1_3gpuE9ELNS1_3repE0EEENS1_30default_config_static_selectorELNS0_4arch9wavefront6targetE0EEEvT1_: ; @_ZN7rocprim17ROCPRIM_400000_NS6detail17trampoline_kernelINS0_14default_configENS1_33run_length_encode_config_selectorIljNS0_4plusIjEEEEZZNS1_33reduce_by_key_impl_wrapped_configILNS1_25lookback_scan_determinismE0ES3_S7_PKlNS0_17constant_iteratorIjlEEPlSE_SE_S6_NS0_8equal_toIlEEEE10hipError_tPvRmT2_T3_mT4_T5_T6_T7_T8_P12ihipStream_tbENKUlT_T0_E_clISt17integral_constantIbLb0EESX_IbLb1EEEEDaST_SU_EUlST_E_NS1_11comp_targetILNS1_3genE5ELNS1_11target_archE942ELNS1_3gpuE9ELNS1_3repE0EEENS1_30default_config_static_selectorELNS0_4arch9wavefront6targetE0EEEvT1_
; %bb.0:
	.section	.rodata,"a",@progbits
	.p2align	6, 0x0
	.amdhsa_kernel _ZN7rocprim17ROCPRIM_400000_NS6detail17trampoline_kernelINS0_14default_configENS1_33run_length_encode_config_selectorIljNS0_4plusIjEEEEZZNS1_33reduce_by_key_impl_wrapped_configILNS1_25lookback_scan_determinismE0ES3_S7_PKlNS0_17constant_iteratorIjlEEPlSE_SE_S6_NS0_8equal_toIlEEEE10hipError_tPvRmT2_T3_mT4_T5_T6_T7_T8_P12ihipStream_tbENKUlT_T0_E_clISt17integral_constantIbLb0EESX_IbLb1EEEEDaST_SU_EUlST_E_NS1_11comp_targetILNS1_3genE5ELNS1_11target_archE942ELNS1_3gpuE9ELNS1_3repE0EEENS1_30default_config_static_selectorELNS0_4arch9wavefront6targetE0EEEvT1_
		.amdhsa_group_segment_fixed_size 0
		.amdhsa_private_segment_fixed_size 0
		.amdhsa_kernarg_size 128
		.amdhsa_user_sgpr_count 2
		.amdhsa_user_sgpr_dispatch_ptr 0
		.amdhsa_user_sgpr_queue_ptr 0
		.amdhsa_user_sgpr_kernarg_segment_ptr 1
		.amdhsa_user_sgpr_dispatch_id 0
		.amdhsa_user_sgpr_kernarg_preload_length 0
		.amdhsa_user_sgpr_kernarg_preload_offset 0
		.amdhsa_user_sgpr_private_segment_size 0
		.amdhsa_wavefront_size32 1
		.amdhsa_uses_dynamic_stack 0
		.amdhsa_enable_private_segment 0
		.amdhsa_system_sgpr_workgroup_id_x 1
		.amdhsa_system_sgpr_workgroup_id_y 0
		.amdhsa_system_sgpr_workgroup_id_z 0
		.amdhsa_system_sgpr_workgroup_info 0
		.amdhsa_system_vgpr_workitem_id 0
		.amdhsa_next_free_vgpr 1
		.amdhsa_next_free_sgpr 1
		.amdhsa_named_barrier_count 0
		.amdhsa_reserve_vcc 0
		.amdhsa_float_round_mode_32 0
		.amdhsa_float_round_mode_16_64 0
		.amdhsa_float_denorm_mode_32 3
		.amdhsa_float_denorm_mode_16_64 3
		.amdhsa_fp16_overflow 0
		.amdhsa_memory_ordered 1
		.amdhsa_forward_progress 1
		.amdhsa_inst_pref_size 0
		.amdhsa_round_robin_scheduling 0
		.amdhsa_exception_fp_ieee_invalid_op 0
		.amdhsa_exception_fp_denorm_src 0
		.amdhsa_exception_fp_ieee_div_zero 0
		.amdhsa_exception_fp_ieee_overflow 0
		.amdhsa_exception_fp_ieee_underflow 0
		.amdhsa_exception_fp_ieee_inexact 0
		.amdhsa_exception_int_div_zero 0
	.end_amdhsa_kernel
	.section	.text._ZN7rocprim17ROCPRIM_400000_NS6detail17trampoline_kernelINS0_14default_configENS1_33run_length_encode_config_selectorIljNS0_4plusIjEEEEZZNS1_33reduce_by_key_impl_wrapped_configILNS1_25lookback_scan_determinismE0ES3_S7_PKlNS0_17constant_iteratorIjlEEPlSE_SE_S6_NS0_8equal_toIlEEEE10hipError_tPvRmT2_T3_mT4_T5_T6_T7_T8_P12ihipStream_tbENKUlT_T0_E_clISt17integral_constantIbLb0EESX_IbLb1EEEEDaST_SU_EUlST_E_NS1_11comp_targetILNS1_3genE5ELNS1_11target_archE942ELNS1_3gpuE9ELNS1_3repE0EEENS1_30default_config_static_selectorELNS0_4arch9wavefront6targetE0EEEvT1_,"axG",@progbits,_ZN7rocprim17ROCPRIM_400000_NS6detail17trampoline_kernelINS0_14default_configENS1_33run_length_encode_config_selectorIljNS0_4plusIjEEEEZZNS1_33reduce_by_key_impl_wrapped_configILNS1_25lookback_scan_determinismE0ES3_S7_PKlNS0_17constant_iteratorIjlEEPlSE_SE_S6_NS0_8equal_toIlEEEE10hipError_tPvRmT2_T3_mT4_T5_T6_T7_T8_P12ihipStream_tbENKUlT_T0_E_clISt17integral_constantIbLb0EESX_IbLb1EEEEDaST_SU_EUlST_E_NS1_11comp_targetILNS1_3genE5ELNS1_11target_archE942ELNS1_3gpuE9ELNS1_3repE0EEENS1_30default_config_static_selectorELNS0_4arch9wavefront6targetE0EEEvT1_,comdat
.Lfunc_end539:
	.size	_ZN7rocprim17ROCPRIM_400000_NS6detail17trampoline_kernelINS0_14default_configENS1_33run_length_encode_config_selectorIljNS0_4plusIjEEEEZZNS1_33reduce_by_key_impl_wrapped_configILNS1_25lookback_scan_determinismE0ES3_S7_PKlNS0_17constant_iteratorIjlEEPlSE_SE_S6_NS0_8equal_toIlEEEE10hipError_tPvRmT2_T3_mT4_T5_T6_T7_T8_P12ihipStream_tbENKUlT_T0_E_clISt17integral_constantIbLb0EESX_IbLb1EEEEDaST_SU_EUlST_E_NS1_11comp_targetILNS1_3genE5ELNS1_11target_archE942ELNS1_3gpuE9ELNS1_3repE0EEENS1_30default_config_static_selectorELNS0_4arch9wavefront6targetE0EEEvT1_, .Lfunc_end539-_ZN7rocprim17ROCPRIM_400000_NS6detail17trampoline_kernelINS0_14default_configENS1_33run_length_encode_config_selectorIljNS0_4plusIjEEEEZZNS1_33reduce_by_key_impl_wrapped_configILNS1_25lookback_scan_determinismE0ES3_S7_PKlNS0_17constant_iteratorIjlEEPlSE_SE_S6_NS0_8equal_toIlEEEE10hipError_tPvRmT2_T3_mT4_T5_T6_T7_T8_P12ihipStream_tbENKUlT_T0_E_clISt17integral_constantIbLb0EESX_IbLb1EEEEDaST_SU_EUlST_E_NS1_11comp_targetILNS1_3genE5ELNS1_11target_archE942ELNS1_3gpuE9ELNS1_3repE0EEENS1_30default_config_static_selectorELNS0_4arch9wavefront6targetE0EEEvT1_
                                        ; -- End function
	.set _ZN7rocprim17ROCPRIM_400000_NS6detail17trampoline_kernelINS0_14default_configENS1_33run_length_encode_config_selectorIljNS0_4plusIjEEEEZZNS1_33reduce_by_key_impl_wrapped_configILNS1_25lookback_scan_determinismE0ES3_S7_PKlNS0_17constant_iteratorIjlEEPlSE_SE_S6_NS0_8equal_toIlEEEE10hipError_tPvRmT2_T3_mT4_T5_T6_T7_T8_P12ihipStream_tbENKUlT_T0_E_clISt17integral_constantIbLb0EESX_IbLb1EEEEDaST_SU_EUlST_E_NS1_11comp_targetILNS1_3genE5ELNS1_11target_archE942ELNS1_3gpuE9ELNS1_3repE0EEENS1_30default_config_static_selectorELNS0_4arch9wavefront6targetE0EEEvT1_.num_vgpr, 0
	.set _ZN7rocprim17ROCPRIM_400000_NS6detail17trampoline_kernelINS0_14default_configENS1_33run_length_encode_config_selectorIljNS0_4plusIjEEEEZZNS1_33reduce_by_key_impl_wrapped_configILNS1_25lookback_scan_determinismE0ES3_S7_PKlNS0_17constant_iteratorIjlEEPlSE_SE_S6_NS0_8equal_toIlEEEE10hipError_tPvRmT2_T3_mT4_T5_T6_T7_T8_P12ihipStream_tbENKUlT_T0_E_clISt17integral_constantIbLb0EESX_IbLb1EEEEDaST_SU_EUlST_E_NS1_11comp_targetILNS1_3genE5ELNS1_11target_archE942ELNS1_3gpuE9ELNS1_3repE0EEENS1_30default_config_static_selectorELNS0_4arch9wavefront6targetE0EEEvT1_.num_agpr, 0
	.set _ZN7rocprim17ROCPRIM_400000_NS6detail17trampoline_kernelINS0_14default_configENS1_33run_length_encode_config_selectorIljNS0_4plusIjEEEEZZNS1_33reduce_by_key_impl_wrapped_configILNS1_25lookback_scan_determinismE0ES3_S7_PKlNS0_17constant_iteratorIjlEEPlSE_SE_S6_NS0_8equal_toIlEEEE10hipError_tPvRmT2_T3_mT4_T5_T6_T7_T8_P12ihipStream_tbENKUlT_T0_E_clISt17integral_constantIbLb0EESX_IbLb1EEEEDaST_SU_EUlST_E_NS1_11comp_targetILNS1_3genE5ELNS1_11target_archE942ELNS1_3gpuE9ELNS1_3repE0EEENS1_30default_config_static_selectorELNS0_4arch9wavefront6targetE0EEEvT1_.numbered_sgpr, 0
	.set _ZN7rocprim17ROCPRIM_400000_NS6detail17trampoline_kernelINS0_14default_configENS1_33run_length_encode_config_selectorIljNS0_4plusIjEEEEZZNS1_33reduce_by_key_impl_wrapped_configILNS1_25lookback_scan_determinismE0ES3_S7_PKlNS0_17constant_iteratorIjlEEPlSE_SE_S6_NS0_8equal_toIlEEEE10hipError_tPvRmT2_T3_mT4_T5_T6_T7_T8_P12ihipStream_tbENKUlT_T0_E_clISt17integral_constantIbLb0EESX_IbLb1EEEEDaST_SU_EUlST_E_NS1_11comp_targetILNS1_3genE5ELNS1_11target_archE942ELNS1_3gpuE9ELNS1_3repE0EEENS1_30default_config_static_selectorELNS0_4arch9wavefront6targetE0EEEvT1_.num_named_barrier, 0
	.set _ZN7rocprim17ROCPRIM_400000_NS6detail17trampoline_kernelINS0_14default_configENS1_33run_length_encode_config_selectorIljNS0_4plusIjEEEEZZNS1_33reduce_by_key_impl_wrapped_configILNS1_25lookback_scan_determinismE0ES3_S7_PKlNS0_17constant_iteratorIjlEEPlSE_SE_S6_NS0_8equal_toIlEEEE10hipError_tPvRmT2_T3_mT4_T5_T6_T7_T8_P12ihipStream_tbENKUlT_T0_E_clISt17integral_constantIbLb0EESX_IbLb1EEEEDaST_SU_EUlST_E_NS1_11comp_targetILNS1_3genE5ELNS1_11target_archE942ELNS1_3gpuE9ELNS1_3repE0EEENS1_30default_config_static_selectorELNS0_4arch9wavefront6targetE0EEEvT1_.private_seg_size, 0
	.set _ZN7rocprim17ROCPRIM_400000_NS6detail17trampoline_kernelINS0_14default_configENS1_33run_length_encode_config_selectorIljNS0_4plusIjEEEEZZNS1_33reduce_by_key_impl_wrapped_configILNS1_25lookback_scan_determinismE0ES3_S7_PKlNS0_17constant_iteratorIjlEEPlSE_SE_S6_NS0_8equal_toIlEEEE10hipError_tPvRmT2_T3_mT4_T5_T6_T7_T8_P12ihipStream_tbENKUlT_T0_E_clISt17integral_constantIbLb0EESX_IbLb1EEEEDaST_SU_EUlST_E_NS1_11comp_targetILNS1_3genE5ELNS1_11target_archE942ELNS1_3gpuE9ELNS1_3repE0EEENS1_30default_config_static_selectorELNS0_4arch9wavefront6targetE0EEEvT1_.uses_vcc, 0
	.set _ZN7rocprim17ROCPRIM_400000_NS6detail17trampoline_kernelINS0_14default_configENS1_33run_length_encode_config_selectorIljNS0_4plusIjEEEEZZNS1_33reduce_by_key_impl_wrapped_configILNS1_25lookback_scan_determinismE0ES3_S7_PKlNS0_17constant_iteratorIjlEEPlSE_SE_S6_NS0_8equal_toIlEEEE10hipError_tPvRmT2_T3_mT4_T5_T6_T7_T8_P12ihipStream_tbENKUlT_T0_E_clISt17integral_constantIbLb0EESX_IbLb1EEEEDaST_SU_EUlST_E_NS1_11comp_targetILNS1_3genE5ELNS1_11target_archE942ELNS1_3gpuE9ELNS1_3repE0EEENS1_30default_config_static_selectorELNS0_4arch9wavefront6targetE0EEEvT1_.uses_flat_scratch, 0
	.set _ZN7rocprim17ROCPRIM_400000_NS6detail17trampoline_kernelINS0_14default_configENS1_33run_length_encode_config_selectorIljNS0_4plusIjEEEEZZNS1_33reduce_by_key_impl_wrapped_configILNS1_25lookback_scan_determinismE0ES3_S7_PKlNS0_17constant_iteratorIjlEEPlSE_SE_S6_NS0_8equal_toIlEEEE10hipError_tPvRmT2_T3_mT4_T5_T6_T7_T8_P12ihipStream_tbENKUlT_T0_E_clISt17integral_constantIbLb0EESX_IbLb1EEEEDaST_SU_EUlST_E_NS1_11comp_targetILNS1_3genE5ELNS1_11target_archE942ELNS1_3gpuE9ELNS1_3repE0EEENS1_30default_config_static_selectorELNS0_4arch9wavefront6targetE0EEEvT1_.has_dyn_sized_stack, 0
	.set _ZN7rocprim17ROCPRIM_400000_NS6detail17trampoline_kernelINS0_14default_configENS1_33run_length_encode_config_selectorIljNS0_4plusIjEEEEZZNS1_33reduce_by_key_impl_wrapped_configILNS1_25lookback_scan_determinismE0ES3_S7_PKlNS0_17constant_iteratorIjlEEPlSE_SE_S6_NS0_8equal_toIlEEEE10hipError_tPvRmT2_T3_mT4_T5_T6_T7_T8_P12ihipStream_tbENKUlT_T0_E_clISt17integral_constantIbLb0EESX_IbLb1EEEEDaST_SU_EUlST_E_NS1_11comp_targetILNS1_3genE5ELNS1_11target_archE942ELNS1_3gpuE9ELNS1_3repE0EEENS1_30default_config_static_selectorELNS0_4arch9wavefront6targetE0EEEvT1_.has_recursion, 0
	.set _ZN7rocprim17ROCPRIM_400000_NS6detail17trampoline_kernelINS0_14default_configENS1_33run_length_encode_config_selectorIljNS0_4plusIjEEEEZZNS1_33reduce_by_key_impl_wrapped_configILNS1_25lookback_scan_determinismE0ES3_S7_PKlNS0_17constant_iteratorIjlEEPlSE_SE_S6_NS0_8equal_toIlEEEE10hipError_tPvRmT2_T3_mT4_T5_T6_T7_T8_P12ihipStream_tbENKUlT_T0_E_clISt17integral_constantIbLb0EESX_IbLb1EEEEDaST_SU_EUlST_E_NS1_11comp_targetILNS1_3genE5ELNS1_11target_archE942ELNS1_3gpuE9ELNS1_3repE0EEENS1_30default_config_static_selectorELNS0_4arch9wavefront6targetE0EEEvT1_.has_indirect_call, 0
	.section	.AMDGPU.csdata,"",@progbits
; Kernel info:
; codeLenInByte = 0
; TotalNumSgprs: 0
; NumVgprs: 0
; ScratchSize: 0
; MemoryBound: 0
; FloatMode: 240
; IeeeMode: 1
; LDSByteSize: 0 bytes/workgroup (compile time only)
; SGPRBlocks: 0
; VGPRBlocks: 0
; NumSGPRsForWavesPerEU: 1
; NumVGPRsForWavesPerEU: 1
; NamedBarCnt: 0
; Occupancy: 16
; WaveLimiterHint : 0
; COMPUTE_PGM_RSRC2:SCRATCH_EN: 0
; COMPUTE_PGM_RSRC2:USER_SGPR: 2
; COMPUTE_PGM_RSRC2:TRAP_HANDLER: 0
; COMPUTE_PGM_RSRC2:TGID_X_EN: 1
; COMPUTE_PGM_RSRC2:TGID_Y_EN: 0
; COMPUTE_PGM_RSRC2:TGID_Z_EN: 0
; COMPUTE_PGM_RSRC2:TIDIG_COMP_CNT: 0
	.section	.text._ZN7rocprim17ROCPRIM_400000_NS6detail17trampoline_kernelINS0_14default_configENS1_33run_length_encode_config_selectorIljNS0_4plusIjEEEEZZNS1_33reduce_by_key_impl_wrapped_configILNS1_25lookback_scan_determinismE0ES3_S7_PKlNS0_17constant_iteratorIjlEEPlSE_SE_S6_NS0_8equal_toIlEEEE10hipError_tPvRmT2_T3_mT4_T5_T6_T7_T8_P12ihipStream_tbENKUlT_T0_E_clISt17integral_constantIbLb0EESX_IbLb1EEEEDaST_SU_EUlST_E_NS1_11comp_targetILNS1_3genE4ELNS1_11target_archE910ELNS1_3gpuE8ELNS1_3repE0EEENS1_30default_config_static_selectorELNS0_4arch9wavefront6targetE0EEEvT1_,"axG",@progbits,_ZN7rocprim17ROCPRIM_400000_NS6detail17trampoline_kernelINS0_14default_configENS1_33run_length_encode_config_selectorIljNS0_4plusIjEEEEZZNS1_33reduce_by_key_impl_wrapped_configILNS1_25lookback_scan_determinismE0ES3_S7_PKlNS0_17constant_iteratorIjlEEPlSE_SE_S6_NS0_8equal_toIlEEEE10hipError_tPvRmT2_T3_mT4_T5_T6_T7_T8_P12ihipStream_tbENKUlT_T0_E_clISt17integral_constantIbLb0EESX_IbLb1EEEEDaST_SU_EUlST_E_NS1_11comp_targetILNS1_3genE4ELNS1_11target_archE910ELNS1_3gpuE8ELNS1_3repE0EEENS1_30default_config_static_selectorELNS0_4arch9wavefront6targetE0EEEvT1_,comdat
	.protected	_ZN7rocprim17ROCPRIM_400000_NS6detail17trampoline_kernelINS0_14default_configENS1_33run_length_encode_config_selectorIljNS0_4plusIjEEEEZZNS1_33reduce_by_key_impl_wrapped_configILNS1_25lookback_scan_determinismE0ES3_S7_PKlNS0_17constant_iteratorIjlEEPlSE_SE_S6_NS0_8equal_toIlEEEE10hipError_tPvRmT2_T3_mT4_T5_T6_T7_T8_P12ihipStream_tbENKUlT_T0_E_clISt17integral_constantIbLb0EESX_IbLb1EEEEDaST_SU_EUlST_E_NS1_11comp_targetILNS1_3genE4ELNS1_11target_archE910ELNS1_3gpuE8ELNS1_3repE0EEENS1_30default_config_static_selectorELNS0_4arch9wavefront6targetE0EEEvT1_ ; -- Begin function _ZN7rocprim17ROCPRIM_400000_NS6detail17trampoline_kernelINS0_14default_configENS1_33run_length_encode_config_selectorIljNS0_4plusIjEEEEZZNS1_33reduce_by_key_impl_wrapped_configILNS1_25lookback_scan_determinismE0ES3_S7_PKlNS0_17constant_iteratorIjlEEPlSE_SE_S6_NS0_8equal_toIlEEEE10hipError_tPvRmT2_T3_mT4_T5_T6_T7_T8_P12ihipStream_tbENKUlT_T0_E_clISt17integral_constantIbLb0EESX_IbLb1EEEEDaST_SU_EUlST_E_NS1_11comp_targetILNS1_3genE4ELNS1_11target_archE910ELNS1_3gpuE8ELNS1_3repE0EEENS1_30default_config_static_selectorELNS0_4arch9wavefront6targetE0EEEvT1_
	.globl	_ZN7rocprim17ROCPRIM_400000_NS6detail17trampoline_kernelINS0_14default_configENS1_33run_length_encode_config_selectorIljNS0_4plusIjEEEEZZNS1_33reduce_by_key_impl_wrapped_configILNS1_25lookback_scan_determinismE0ES3_S7_PKlNS0_17constant_iteratorIjlEEPlSE_SE_S6_NS0_8equal_toIlEEEE10hipError_tPvRmT2_T3_mT4_T5_T6_T7_T8_P12ihipStream_tbENKUlT_T0_E_clISt17integral_constantIbLb0EESX_IbLb1EEEEDaST_SU_EUlST_E_NS1_11comp_targetILNS1_3genE4ELNS1_11target_archE910ELNS1_3gpuE8ELNS1_3repE0EEENS1_30default_config_static_selectorELNS0_4arch9wavefront6targetE0EEEvT1_
	.p2align	8
	.type	_ZN7rocprim17ROCPRIM_400000_NS6detail17trampoline_kernelINS0_14default_configENS1_33run_length_encode_config_selectorIljNS0_4plusIjEEEEZZNS1_33reduce_by_key_impl_wrapped_configILNS1_25lookback_scan_determinismE0ES3_S7_PKlNS0_17constant_iteratorIjlEEPlSE_SE_S6_NS0_8equal_toIlEEEE10hipError_tPvRmT2_T3_mT4_T5_T6_T7_T8_P12ihipStream_tbENKUlT_T0_E_clISt17integral_constantIbLb0EESX_IbLb1EEEEDaST_SU_EUlST_E_NS1_11comp_targetILNS1_3genE4ELNS1_11target_archE910ELNS1_3gpuE8ELNS1_3repE0EEENS1_30default_config_static_selectorELNS0_4arch9wavefront6targetE0EEEvT1_,@function
_ZN7rocprim17ROCPRIM_400000_NS6detail17trampoline_kernelINS0_14default_configENS1_33run_length_encode_config_selectorIljNS0_4plusIjEEEEZZNS1_33reduce_by_key_impl_wrapped_configILNS1_25lookback_scan_determinismE0ES3_S7_PKlNS0_17constant_iteratorIjlEEPlSE_SE_S6_NS0_8equal_toIlEEEE10hipError_tPvRmT2_T3_mT4_T5_T6_T7_T8_P12ihipStream_tbENKUlT_T0_E_clISt17integral_constantIbLb0EESX_IbLb1EEEEDaST_SU_EUlST_E_NS1_11comp_targetILNS1_3genE4ELNS1_11target_archE910ELNS1_3gpuE8ELNS1_3repE0EEENS1_30default_config_static_selectorELNS0_4arch9wavefront6targetE0EEEvT1_: ; @_ZN7rocprim17ROCPRIM_400000_NS6detail17trampoline_kernelINS0_14default_configENS1_33run_length_encode_config_selectorIljNS0_4plusIjEEEEZZNS1_33reduce_by_key_impl_wrapped_configILNS1_25lookback_scan_determinismE0ES3_S7_PKlNS0_17constant_iteratorIjlEEPlSE_SE_S6_NS0_8equal_toIlEEEE10hipError_tPvRmT2_T3_mT4_T5_T6_T7_T8_P12ihipStream_tbENKUlT_T0_E_clISt17integral_constantIbLb0EESX_IbLb1EEEEDaST_SU_EUlST_E_NS1_11comp_targetILNS1_3genE4ELNS1_11target_archE910ELNS1_3gpuE8ELNS1_3repE0EEENS1_30default_config_static_selectorELNS0_4arch9wavefront6targetE0EEEvT1_
; %bb.0:
	.section	.rodata,"a",@progbits
	.p2align	6, 0x0
	.amdhsa_kernel _ZN7rocprim17ROCPRIM_400000_NS6detail17trampoline_kernelINS0_14default_configENS1_33run_length_encode_config_selectorIljNS0_4plusIjEEEEZZNS1_33reduce_by_key_impl_wrapped_configILNS1_25lookback_scan_determinismE0ES3_S7_PKlNS0_17constant_iteratorIjlEEPlSE_SE_S6_NS0_8equal_toIlEEEE10hipError_tPvRmT2_T3_mT4_T5_T6_T7_T8_P12ihipStream_tbENKUlT_T0_E_clISt17integral_constantIbLb0EESX_IbLb1EEEEDaST_SU_EUlST_E_NS1_11comp_targetILNS1_3genE4ELNS1_11target_archE910ELNS1_3gpuE8ELNS1_3repE0EEENS1_30default_config_static_selectorELNS0_4arch9wavefront6targetE0EEEvT1_
		.amdhsa_group_segment_fixed_size 0
		.amdhsa_private_segment_fixed_size 0
		.amdhsa_kernarg_size 128
		.amdhsa_user_sgpr_count 2
		.amdhsa_user_sgpr_dispatch_ptr 0
		.amdhsa_user_sgpr_queue_ptr 0
		.amdhsa_user_sgpr_kernarg_segment_ptr 1
		.amdhsa_user_sgpr_dispatch_id 0
		.amdhsa_user_sgpr_kernarg_preload_length 0
		.amdhsa_user_sgpr_kernarg_preload_offset 0
		.amdhsa_user_sgpr_private_segment_size 0
		.amdhsa_wavefront_size32 1
		.amdhsa_uses_dynamic_stack 0
		.amdhsa_enable_private_segment 0
		.amdhsa_system_sgpr_workgroup_id_x 1
		.amdhsa_system_sgpr_workgroup_id_y 0
		.amdhsa_system_sgpr_workgroup_id_z 0
		.amdhsa_system_sgpr_workgroup_info 0
		.amdhsa_system_vgpr_workitem_id 0
		.amdhsa_next_free_vgpr 1
		.amdhsa_next_free_sgpr 1
		.amdhsa_named_barrier_count 0
		.amdhsa_reserve_vcc 0
		.amdhsa_float_round_mode_32 0
		.amdhsa_float_round_mode_16_64 0
		.amdhsa_float_denorm_mode_32 3
		.amdhsa_float_denorm_mode_16_64 3
		.amdhsa_fp16_overflow 0
		.amdhsa_memory_ordered 1
		.amdhsa_forward_progress 1
		.amdhsa_inst_pref_size 0
		.amdhsa_round_robin_scheduling 0
		.amdhsa_exception_fp_ieee_invalid_op 0
		.amdhsa_exception_fp_denorm_src 0
		.amdhsa_exception_fp_ieee_div_zero 0
		.amdhsa_exception_fp_ieee_overflow 0
		.amdhsa_exception_fp_ieee_underflow 0
		.amdhsa_exception_fp_ieee_inexact 0
		.amdhsa_exception_int_div_zero 0
	.end_amdhsa_kernel
	.section	.text._ZN7rocprim17ROCPRIM_400000_NS6detail17trampoline_kernelINS0_14default_configENS1_33run_length_encode_config_selectorIljNS0_4plusIjEEEEZZNS1_33reduce_by_key_impl_wrapped_configILNS1_25lookback_scan_determinismE0ES3_S7_PKlNS0_17constant_iteratorIjlEEPlSE_SE_S6_NS0_8equal_toIlEEEE10hipError_tPvRmT2_T3_mT4_T5_T6_T7_T8_P12ihipStream_tbENKUlT_T0_E_clISt17integral_constantIbLb0EESX_IbLb1EEEEDaST_SU_EUlST_E_NS1_11comp_targetILNS1_3genE4ELNS1_11target_archE910ELNS1_3gpuE8ELNS1_3repE0EEENS1_30default_config_static_selectorELNS0_4arch9wavefront6targetE0EEEvT1_,"axG",@progbits,_ZN7rocprim17ROCPRIM_400000_NS6detail17trampoline_kernelINS0_14default_configENS1_33run_length_encode_config_selectorIljNS0_4plusIjEEEEZZNS1_33reduce_by_key_impl_wrapped_configILNS1_25lookback_scan_determinismE0ES3_S7_PKlNS0_17constant_iteratorIjlEEPlSE_SE_S6_NS0_8equal_toIlEEEE10hipError_tPvRmT2_T3_mT4_T5_T6_T7_T8_P12ihipStream_tbENKUlT_T0_E_clISt17integral_constantIbLb0EESX_IbLb1EEEEDaST_SU_EUlST_E_NS1_11comp_targetILNS1_3genE4ELNS1_11target_archE910ELNS1_3gpuE8ELNS1_3repE0EEENS1_30default_config_static_selectorELNS0_4arch9wavefront6targetE0EEEvT1_,comdat
.Lfunc_end540:
	.size	_ZN7rocprim17ROCPRIM_400000_NS6detail17trampoline_kernelINS0_14default_configENS1_33run_length_encode_config_selectorIljNS0_4plusIjEEEEZZNS1_33reduce_by_key_impl_wrapped_configILNS1_25lookback_scan_determinismE0ES3_S7_PKlNS0_17constant_iteratorIjlEEPlSE_SE_S6_NS0_8equal_toIlEEEE10hipError_tPvRmT2_T3_mT4_T5_T6_T7_T8_P12ihipStream_tbENKUlT_T0_E_clISt17integral_constantIbLb0EESX_IbLb1EEEEDaST_SU_EUlST_E_NS1_11comp_targetILNS1_3genE4ELNS1_11target_archE910ELNS1_3gpuE8ELNS1_3repE0EEENS1_30default_config_static_selectorELNS0_4arch9wavefront6targetE0EEEvT1_, .Lfunc_end540-_ZN7rocprim17ROCPRIM_400000_NS6detail17trampoline_kernelINS0_14default_configENS1_33run_length_encode_config_selectorIljNS0_4plusIjEEEEZZNS1_33reduce_by_key_impl_wrapped_configILNS1_25lookback_scan_determinismE0ES3_S7_PKlNS0_17constant_iteratorIjlEEPlSE_SE_S6_NS0_8equal_toIlEEEE10hipError_tPvRmT2_T3_mT4_T5_T6_T7_T8_P12ihipStream_tbENKUlT_T0_E_clISt17integral_constantIbLb0EESX_IbLb1EEEEDaST_SU_EUlST_E_NS1_11comp_targetILNS1_3genE4ELNS1_11target_archE910ELNS1_3gpuE8ELNS1_3repE0EEENS1_30default_config_static_selectorELNS0_4arch9wavefront6targetE0EEEvT1_
                                        ; -- End function
	.set _ZN7rocprim17ROCPRIM_400000_NS6detail17trampoline_kernelINS0_14default_configENS1_33run_length_encode_config_selectorIljNS0_4plusIjEEEEZZNS1_33reduce_by_key_impl_wrapped_configILNS1_25lookback_scan_determinismE0ES3_S7_PKlNS0_17constant_iteratorIjlEEPlSE_SE_S6_NS0_8equal_toIlEEEE10hipError_tPvRmT2_T3_mT4_T5_T6_T7_T8_P12ihipStream_tbENKUlT_T0_E_clISt17integral_constantIbLb0EESX_IbLb1EEEEDaST_SU_EUlST_E_NS1_11comp_targetILNS1_3genE4ELNS1_11target_archE910ELNS1_3gpuE8ELNS1_3repE0EEENS1_30default_config_static_selectorELNS0_4arch9wavefront6targetE0EEEvT1_.num_vgpr, 0
	.set _ZN7rocprim17ROCPRIM_400000_NS6detail17trampoline_kernelINS0_14default_configENS1_33run_length_encode_config_selectorIljNS0_4plusIjEEEEZZNS1_33reduce_by_key_impl_wrapped_configILNS1_25lookback_scan_determinismE0ES3_S7_PKlNS0_17constant_iteratorIjlEEPlSE_SE_S6_NS0_8equal_toIlEEEE10hipError_tPvRmT2_T3_mT4_T5_T6_T7_T8_P12ihipStream_tbENKUlT_T0_E_clISt17integral_constantIbLb0EESX_IbLb1EEEEDaST_SU_EUlST_E_NS1_11comp_targetILNS1_3genE4ELNS1_11target_archE910ELNS1_3gpuE8ELNS1_3repE0EEENS1_30default_config_static_selectorELNS0_4arch9wavefront6targetE0EEEvT1_.num_agpr, 0
	.set _ZN7rocprim17ROCPRIM_400000_NS6detail17trampoline_kernelINS0_14default_configENS1_33run_length_encode_config_selectorIljNS0_4plusIjEEEEZZNS1_33reduce_by_key_impl_wrapped_configILNS1_25lookback_scan_determinismE0ES3_S7_PKlNS0_17constant_iteratorIjlEEPlSE_SE_S6_NS0_8equal_toIlEEEE10hipError_tPvRmT2_T3_mT4_T5_T6_T7_T8_P12ihipStream_tbENKUlT_T0_E_clISt17integral_constantIbLb0EESX_IbLb1EEEEDaST_SU_EUlST_E_NS1_11comp_targetILNS1_3genE4ELNS1_11target_archE910ELNS1_3gpuE8ELNS1_3repE0EEENS1_30default_config_static_selectorELNS0_4arch9wavefront6targetE0EEEvT1_.numbered_sgpr, 0
	.set _ZN7rocprim17ROCPRIM_400000_NS6detail17trampoline_kernelINS0_14default_configENS1_33run_length_encode_config_selectorIljNS0_4plusIjEEEEZZNS1_33reduce_by_key_impl_wrapped_configILNS1_25lookback_scan_determinismE0ES3_S7_PKlNS0_17constant_iteratorIjlEEPlSE_SE_S6_NS0_8equal_toIlEEEE10hipError_tPvRmT2_T3_mT4_T5_T6_T7_T8_P12ihipStream_tbENKUlT_T0_E_clISt17integral_constantIbLb0EESX_IbLb1EEEEDaST_SU_EUlST_E_NS1_11comp_targetILNS1_3genE4ELNS1_11target_archE910ELNS1_3gpuE8ELNS1_3repE0EEENS1_30default_config_static_selectorELNS0_4arch9wavefront6targetE0EEEvT1_.num_named_barrier, 0
	.set _ZN7rocprim17ROCPRIM_400000_NS6detail17trampoline_kernelINS0_14default_configENS1_33run_length_encode_config_selectorIljNS0_4plusIjEEEEZZNS1_33reduce_by_key_impl_wrapped_configILNS1_25lookback_scan_determinismE0ES3_S7_PKlNS0_17constant_iteratorIjlEEPlSE_SE_S6_NS0_8equal_toIlEEEE10hipError_tPvRmT2_T3_mT4_T5_T6_T7_T8_P12ihipStream_tbENKUlT_T0_E_clISt17integral_constantIbLb0EESX_IbLb1EEEEDaST_SU_EUlST_E_NS1_11comp_targetILNS1_3genE4ELNS1_11target_archE910ELNS1_3gpuE8ELNS1_3repE0EEENS1_30default_config_static_selectorELNS0_4arch9wavefront6targetE0EEEvT1_.private_seg_size, 0
	.set _ZN7rocprim17ROCPRIM_400000_NS6detail17trampoline_kernelINS0_14default_configENS1_33run_length_encode_config_selectorIljNS0_4plusIjEEEEZZNS1_33reduce_by_key_impl_wrapped_configILNS1_25lookback_scan_determinismE0ES3_S7_PKlNS0_17constant_iteratorIjlEEPlSE_SE_S6_NS0_8equal_toIlEEEE10hipError_tPvRmT2_T3_mT4_T5_T6_T7_T8_P12ihipStream_tbENKUlT_T0_E_clISt17integral_constantIbLb0EESX_IbLb1EEEEDaST_SU_EUlST_E_NS1_11comp_targetILNS1_3genE4ELNS1_11target_archE910ELNS1_3gpuE8ELNS1_3repE0EEENS1_30default_config_static_selectorELNS0_4arch9wavefront6targetE0EEEvT1_.uses_vcc, 0
	.set _ZN7rocprim17ROCPRIM_400000_NS6detail17trampoline_kernelINS0_14default_configENS1_33run_length_encode_config_selectorIljNS0_4plusIjEEEEZZNS1_33reduce_by_key_impl_wrapped_configILNS1_25lookback_scan_determinismE0ES3_S7_PKlNS0_17constant_iteratorIjlEEPlSE_SE_S6_NS0_8equal_toIlEEEE10hipError_tPvRmT2_T3_mT4_T5_T6_T7_T8_P12ihipStream_tbENKUlT_T0_E_clISt17integral_constantIbLb0EESX_IbLb1EEEEDaST_SU_EUlST_E_NS1_11comp_targetILNS1_3genE4ELNS1_11target_archE910ELNS1_3gpuE8ELNS1_3repE0EEENS1_30default_config_static_selectorELNS0_4arch9wavefront6targetE0EEEvT1_.uses_flat_scratch, 0
	.set _ZN7rocprim17ROCPRIM_400000_NS6detail17trampoline_kernelINS0_14default_configENS1_33run_length_encode_config_selectorIljNS0_4plusIjEEEEZZNS1_33reduce_by_key_impl_wrapped_configILNS1_25lookback_scan_determinismE0ES3_S7_PKlNS0_17constant_iteratorIjlEEPlSE_SE_S6_NS0_8equal_toIlEEEE10hipError_tPvRmT2_T3_mT4_T5_T6_T7_T8_P12ihipStream_tbENKUlT_T0_E_clISt17integral_constantIbLb0EESX_IbLb1EEEEDaST_SU_EUlST_E_NS1_11comp_targetILNS1_3genE4ELNS1_11target_archE910ELNS1_3gpuE8ELNS1_3repE0EEENS1_30default_config_static_selectorELNS0_4arch9wavefront6targetE0EEEvT1_.has_dyn_sized_stack, 0
	.set _ZN7rocprim17ROCPRIM_400000_NS6detail17trampoline_kernelINS0_14default_configENS1_33run_length_encode_config_selectorIljNS0_4plusIjEEEEZZNS1_33reduce_by_key_impl_wrapped_configILNS1_25lookback_scan_determinismE0ES3_S7_PKlNS0_17constant_iteratorIjlEEPlSE_SE_S6_NS0_8equal_toIlEEEE10hipError_tPvRmT2_T3_mT4_T5_T6_T7_T8_P12ihipStream_tbENKUlT_T0_E_clISt17integral_constantIbLb0EESX_IbLb1EEEEDaST_SU_EUlST_E_NS1_11comp_targetILNS1_3genE4ELNS1_11target_archE910ELNS1_3gpuE8ELNS1_3repE0EEENS1_30default_config_static_selectorELNS0_4arch9wavefront6targetE0EEEvT1_.has_recursion, 0
	.set _ZN7rocprim17ROCPRIM_400000_NS6detail17trampoline_kernelINS0_14default_configENS1_33run_length_encode_config_selectorIljNS0_4plusIjEEEEZZNS1_33reduce_by_key_impl_wrapped_configILNS1_25lookback_scan_determinismE0ES3_S7_PKlNS0_17constant_iteratorIjlEEPlSE_SE_S6_NS0_8equal_toIlEEEE10hipError_tPvRmT2_T3_mT4_T5_T6_T7_T8_P12ihipStream_tbENKUlT_T0_E_clISt17integral_constantIbLb0EESX_IbLb1EEEEDaST_SU_EUlST_E_NS1_11comp_targetILNS1_3genE4ELNS1_11target_archE910ELNS1_3gpuE8ELNS1_3repE0EEENS1_30default_config_static_selectorELNS0_4arch9wavefront6targetE0EEEvT1_.has_indirect_call, 0
	.section	.AMDGPU.csdata,"",@progbits
; Kernel info:
; codeLenInByte = 0
; TotalNumSgprs: 0
; NumVgprs: 0
; ScratchSize: 0
; MemoryBound: 0
; FloatMode: 240
; IeeeMode: 1
; LDSByteSize: 0 bytes/workgroup (compile time only)
; SGPRBlocks: 0
; VGPRBlocks: 0
; NumSGPRsForWavesPerEU: 1
; NumVGPRsForWavesPerEU: 1
; NamedBarCnt: 0
; Occupancy: 16
; WaveLimiterHint : 0
; COMPUTE_PGM_RSRC2:SCRATCH_EN: 0
; COMPUTE_PGM_RSRC2:USER_SGPR: 2
; COMPUTE_PGM_RSRC2:TRAP_HANDLER: 0
; COMPUTE_PGM_RSRC2:TGID_X_EN: 1
; COMPUTE_PGM_RSRC2:TGID_Y_EN: 0
; COMPUTE_PGM_RSRC2:TGID_Z_EN: 0
; COMPUTE_PGM_RSRC2:TIDIG_COMP_CNT: 0
	.section	.text._ZN7rocprim17ROCPRIM_400000_NS6detail17trampoline_kernelINS0_14default_configENS1_33run_length_encode_config_selectorIljNS0_4plusIjEEEEZZNS1_33reduce_by_key_impl_wrapped_configILNS1_25lookback_scan_determinismE0ES3_S7_PKlNS0_17constant_iteratorIjlEEPlSE_SE_S6_NS0_8equal_toIlEEEE10hipError_tPvRmT2_T3_mT4_T5_T6_T7_T8_P12ihipStream_tbENKUlT_T0_E_clISt17integral_constantIbLb0EESX_IbLb1EEEEDaST_SU_EUlST_E_NS1_11comp_targetILNS1_3genE3ELNS1_11target_archE908ELNS1_3gpuE7ELNS1_3repE0EEENS1_30default_config_static_selectorELNS0_4arch9wavefront6targetE0EEEvT1_,"axG",@progbits,_ZN7rocprim17ROCPRIM_400000_NS6detail17trampoline_kernelINS0_14default_configENS1_33run_length_encode_config_selectorIljNS0_4plusIjEEEEZZNS1_33reduce_by_key_impl_wrapped_configILNS1_25lookback_scan_determinismE0ES3_S7_PKlNS0_17constant_iteratorIjlEEPlSE_SE_S6_NS0_8equal_toIlEEEE10hipError_tPvRmT2_T3_mT4_T5_T6_T7_T8_P12ihipStream_tbENKUlT_T0_E_clISt17integral_constantIbLb0EESX_IbLb1EEEEDaST_SU_EUlST_E_NS1_11comp_targetILNS1_3genE3ELNS1_11target_archE908ELNS1_3gpuE7ELNS1_3repE0EEENS1_30default_config_static_selectorELNS0_4arch9wavefront6targetE0EEEvT1_,comdat
	.protected	_ZN7rocprim17ROCPRIM_400000_NS6detail17trampoline_kernelINS0_14default_configENS1_33run_length_encode_config_selectorIljNS0_4plusIjEEEEZZNS1_33reduce_by_key_impl_wrapped_configILNS1_25lookback_scan_determinismE0ES3_S7_PKlNS0_17constant_iteratorIjlEEPlSE_SE_S6_NS0_8equal_toIlEEEE10hipError_tPvRmT2_T3_mT4_T5_T6_T7_T8_P12ihipStream_tbENKUlT_T0_E_clISt17integral_constantIbLb0EESX_IbLb1EEEEDaST_SU_EUlST_E_NS1_11comp_targetILNS1_3genE3ELNS1_11target_archE908ELNS1_3gpuE7ELNS1_3repE0EEENS1_30default_config_static_selectorELNS0_4arch9wavefront6targetE0EEEvT1_ ; -- Begin function _ZN7rocprim17ROCPRIM_400000_NS6detail17trampoline_kernelINS0_14default_configENS1_33run_length_encode_config_selectorIljNS0_4plusIjEEEEZZNS1_33reduce_by_key_impl_wrapped_configILNS1_25lookback_scan_determinismE0ES3_S7_PKlNS0_17constant_iteratorIjlEEPlSE_SE_S6_NS0_8equal_toIlEEEE10hipError_tPvRmT2_T3_mT4_T5_T6_T7_T8_P12ihipStream_tbENKUlT_T0_E_clISt17integral_constantIbLb0EESX_IbLb1EEEEDaST_SU_EUlST_E_NS1_11comp_targetILNS1_3genE3ELNS1_11target_archE908ELNS1_3gpuE7ELNS1_3repE0EEENS1_30default_config_static_selectorELNS0_4arch9wavefront6targetE0EEEvT1_
	.globl	_ZN7rocprim17ROCPRIM_400000_NS6detail17trampoline_kernelINS0_14default_configENS1_33run_length_encode_config_selectorIljNS0_4plusIjEEEEZZNS1_33reduce_by_key_impl_wrapped_configILNS1_25lookback_scan_determinismE0ES3_S7_PKlNS0_17constant_iteratorIjlEEPlSE_SE_S6_NS0_8equal_toIlEEEE10hipError_tPvRmT2_T3_mT4_T5_T6_T7_T8_P12ihipStream_tbENKUlT_T0_E_clISt17integral_constantIbLb0EESX_IbLb1EEEEDaST_SU_EUlST_E_NS1_11comp_targetILNS1_3genE3ELNS1_11target_archE908ELNS1_3gpuE7ELNS1_3repE0EEENS1_30default_config_static_selectorELNS0_4arch9wavefront6targetE0EEEvT1_
	.p2align	8
	.type	_ZN7rocprim17ROCPRIM_400000_NS6detail17trampoline_kernelINS0_14default_configENS1_33run_length_encode_config_selectorIljNS0_4plusIjEEEEZZNS1_33reduce_by_key_impl_wrapped_configILNS1_25lookback_scan_determinismE0ES3_S7_PKlNS0_17constant_iteratorIjlEEPlSE_SE_S6_NS0_8equal_toIlEEEE10hipError_tPvRmT2_T3_mT4_T5_T6_T7_T8_P12ihipStream_tbENKUlT_T0_E_clISt17integral_constantIbLb0EESX_IbLb1EEEEDaST_SU_EUlST_E_NS1_11comp_targetILNS1_3genE3ELNS1_11target_archE908ELNS1_3gpuE7ELNS1_3repE0EEENS1_30default_config_static_selectorELNS0_4arch9wavefront6targetE0EEEvT1_,@function
_ZN7rocprim17ROCPRIM_400000_NS6detail17trampoline_kernelINS0_14default_configENS1_33run_length_encode_config_selectorIljNS0_4plusIjEEEEZZNS1_33reduce_by_key_impl_wrapped_configILNS1_25lookback_scan_determinismE0ES3_S7_PKlNS0_17constant_iteratorIjlEEPlSE_SE_S6_NS0_8equal_toIlEEEE10hipError_tPvRmT2_T3_mT4_T5_T6_T7_T8_P12ihipStream_tbENKUlT_T0_E_clISt17integral_constantIbLb0EESX_IbLb1EEEEDaST_SU_EUlST_E_NS1_11comp_targetILNS1_3genE3ELNS1_11target_archE908ELNS1_3gpuE7ELNS1_3repE0EEENS1_30default_config_static_selectorELNS0_4arch9wavefront6targetE0EEEvT1_: ; @_ZN7rocprim17ROCPRIM_400000_NS6detail17trampoline_kernelINS0_14default_configENS1_33run_length_encode_config_selectorIljNS0_4plusIjEEEEZZNS1_33reduce_by_key_impl_wrapped_configILNS1_25lookback_scan_determinismE0ES3_S7_PKlNS0_17constant_iteratorIjlEEPlSE_SE_S6_NS0_8equal_toIlEEEE10hipError_tPvRmT2_T3_mT4_T5_T6_T7_T8_P12ihipStream_tbENKUlT_T0_E_clISt17integral_constantIbLb0EESX_IbLb1EEEEDaST_SU_EUlST_E_NS1_11comp_targetILNS1_3genE3ELNS1_11target_archE908ELNS1_3gpuE7ELNS1_3repE0EEENS1_30default_config_static_selectorELNS0_4arch9wavefront6targetE0EEEvT1_
; %bb.0:
	.section	.rodata,"a",@progbits
	.p2align	6, 0x0
	.amdhsa_kernel _ZN7rocprim17ROCPRIM_400000_NS6detail17trampoline_kernelINS0_14default_configENS1_33run_length_encode_config_selectorIljNS0_4plusIjEEEEZZNS1_33reduce_by_key_impl_wrapped_configILNS1_25lookback_scan_determinismE0ES3_S7_PKlNS0_17constant_iteratorIjlEEPlSE_SE_S6_NS0_8equal_toIlEEEE10hipError_tPvRmT2_T3_mT4_T5_T6_T7_T8_P12ihipStream_tbENKUlT_T0_E_clISt17integral_constantIbLb0EESX_IbLb1EEEEDaST_SU_EUlST_E_NS1_11comp_targetILNS1_3genE3ELNS1_11target_archE908ELNS1_3gpuE7ELNS1_3repE0EEENS1_30default_config_static_selectorELNS0_4arch9wavefront6targetE0EEEvT1_
		.amdhsa_group_segment_fixed_size 0
		.amdhsa_private_segment_fixed_size 0
		.amdhsa_kernarg_size 128
		.amdhsa_user_sgpr_count 2
		.amdhsa_user_sgpr_dispatch_ptr 0
		.amdhsa_user_sgpr_queue_ptr 0
		.amdhsa_user_sgpr_kernarg_segment_ptr 1
		.amdhsa_user_sgpr_dispatch_id 0
		.amdhsa_user_sgpr_kernarg_preload_length 0
		.amdhsa_user_sgpr_kernarg_preload_offset 0
		.amdhsa_user_sgpr_private_segment_size 0
		.amdhsa_wavefront_size32 1
		.amdhsa_uses_dynamic_stack 0
		.amdhsa_enable_private_segment 0
		.amdhsa_system_sgpr_workgroup_id_x 1
		.amdhsa_system_sgpr_workgroup_id_y 0
		.amdhsa_system_sgpr_workgroup_id_z 0
		.amdhsa_system_sgpr_workgroup_info 0
		.amdhsa_system_vgpr_workitem_id 0
		.amdhsa_next_free_vgpr 1
		.amdhsa_next_free_sgpr 1
		.amdhsa_named_barrier_count 0
		.amdhsa_reserve_vcc 0
		.amdhsa_float_round_mode_32 0
		.amdhsa_float_round_mode_16_64 0
		.amdhsa_float_denorm_mode_32 3
		.amdhsa_float_denorm_mode_16_64 3
		.amdhsa_fp16_overflow 0
		.amdhsa_memory_ordered 1
		.amdhsa_forward_progress 1
		.amdhsa_inst_pref_size 0
		.amdhsa_round_robin_scheduling 0
		.amdhsa_exception_fp_ieee_invalid_op 0
		.amdhsa_exception_fp_denorm_src 0
		.amdhsa_exception_fp_ieee_div_zero 0
		.amdhsa_exception_fp_ieee_overflow 0
		.amdhsa_exception_fp_ieee_underflow 0
		.amdhsa_exception_fp_ieee_inexact 0
		.amdhsa_exception_int_div_zero 0
	.end_amdhsa_kernel
	.section	.text._ZN7rocprim17ROCPRIM_400000_NS6detail17trampoline_kernelINS0_14default_configENS1_33run_length_encode_config_selectorIljNS0_4plusIjEEEEZZNS1_33reduce_by_key_impl_wrapped_configILNS1_25lookback_scan_determinismE0ES3_S7_PKlNS0_17constant_iteratorIjlEEPlSE_SE_S6_NS0_8equal_toIlEEEE10hipError_tPvRmT2_T3_mT4_T5_T6_T7_T8_P12ihipStream_tbENKUlT_T0_E_clISt17integral_constantIbLb0EESX_IbLb1EEEEDaST_SU_EUlST_E_NS1_11comp_targetILNS1_3genE3ELNS1_11target_archE908ELNS1_3gpuE7ELNS1_3repE0EEENS1_30default_config_static_selectorELNS0_4arch9wavefront6targetE0EEEvT1_,"axG",@progbits,_ZN7rocprim17ROCPRIM_400000_NS6detail17trampoline_kernelINS0_14default_configENS1_33run_length_encode_config_selectorIljNS0_4plusIjEEEEZZNS1_33reduce_by_key_impl_wrapped_configILNS1_25lookback_scan_determinismE0ES3_S7_PKlNS0_17constant_iteratorIjlEEPlSE_SE_S6_NS0_8equal_toIlEEEE10hipError_tPvRmT2_T3_mT4_T5_T6_T7_T8_P12ihipStream_tbENKUlT_T0_E_clISt17integral_constantIbLb0EESX_IbLb1EEEEDaST_SU_EUlST_E_NS1_11comp_targetILNS1_3genE3ELNS1_11target_archE908ELNS1_3gpuE7ELNS1_3repE0EEENS1_30default_config_static_selectorELNS0_4arch9wavefront6targetE0EEEvT1_,comdat
.Lfunc_end541:
	.size	_ZN7rocprim17ROCPRIM_400000_NS6detail17trampoline_kernelINS0_14default_configENS1_33run_length_encode_config_selectorIljNS0_4plusIjEEEEZZNS1_33reduce_by_key_impl_wrapped_configILNS1_25lookback_scan_determinismE0ES3_S7_PKlNS0_17constant_iteratorIjlEEPlSE_SE_S6_NS0_8equal_toIlEEEE10hipError_tPvRmT2_T3_mT4_T5_T6_T7_T8_P12ihipStream_tbENKUlT_T0_E_clISt17integral_constantIbLb0EESX_IbLb1EEEEDaST_SU_EUlST_E_NS1_11comp_targetILNS1_3genE3ELNS1_11target_archE908ELNS1_3gpuE7ELNS1_3repE0EEENS1_30default_config_static_selectorELNS0_4arch9wavefront6targetE0EEEvT1_, .Lfunc_end541-_ZN7rocprim17ROCPRIM_400000_NS6detail17trampoline_kernelINS0_14default_configENS1_33run_length_encode_config_selectorIljNS0_4plusIjEEEEZZNS1_33reduce_by_key_impl_wrapped_configILNS1_25lookback_scan_determinismE0ES3_S7_PKlNS0_17constant_iteratorIjlEEPlSE_SE_S6_NS0_8equal_toIlEEEE10hipError_tPvRmT2_T3_mT4_T5_T6_T7_T8_P12ihipStream_tbENKUlT_T0_E_clISt17integral_constantIbLb0EESX_IbLb1EEEEDaST_SU_EUlST_E_NS1_11comp_targetILNS1_3genE3ELNS1_11target_archE908ELNS1_3gpuE7ELNS1_3repE0EEENS1_30default_config_static_selectorELNS0_4arch9wavefront6targetE0EEEvT1_
                                        ; -- End function
	.set _ZN7rocprim17ROCPRIM_400000_NS6detail17trampoline_kernelINS0_14default_configENS1_33run_length_encode_config_selectorIljNS0_4plusIjEEEEZZNS1_33reduce_by_key_impl_wrapped_configILNS1_25lookback_scan_determinismE0ES3_S7_PKlNS0_17constant_iteratorIjlEEPlSE_SE_S6_NS0_8equal_toIlEEEE10hipError_tPvRmT2_T3_mT4_T5_T6_T7_T8_P12ihipStream_tbENKUlT_T0_E_clISt17integral_constantIbLb0EESX_IbLb1EEEEDaST_SU_EUlST_E_NS1_11comp_targetILNS1_3genE3ELNS1_11target_archE908ELNS1_3gpuE7ELNS1_3repE0EEENS1_30default_config_static_selectorELNS0_4arch9wavefront6targetE0EEEvT1_.num_vgpr, 0
	.set _ZN7rocprim17ROCPRIM_400000_NS6detail17trampoline_kernelINS0_14default_configENS1_33run_length_encode_config_selectorIljNS0_4plusIjEEEEZZNS1_33reduce_by_key_impl_wrapped_configILNS1_25lookback_scan_determinismE0ES3_S7_PKlNS0_17constant_iteratorIjlEEPlSE_SE_S6_NS0_8equal_toIlEEEE10hipError_tPvRmT2_T3_mT4_T5_T6_T7_T8_P12ihipStream_tbENKUlT_T0_E_clISt17integral_constantIbLb0EESX_IbLb1EEEEDaST_SU_EUlST_E_NS1_11comp_targetILNS1_3genE3ELNS1_11target_archE908ELNS1_3gpuE7ELNS1_3repE0EEENS1_30default_config_static_selectorELNS0_4arch9wavefront6targetE0EEEvT1_.num_agpr, 0
	.set _ZN7rocprim17ROCPRIM_400000_NS6detail17trampoline_kernelINS0_14default_configENS1_33run_length_encode_config_selectorIljNS0_4plusIjEEEEZZNS1_33reduce_by_key_impl_wrapped_configILNS1_25lookback_scan_determinismE0ES3_S7_PKlNS0_17constant_iteratorIjlEEPlSE_SE_S6_NS0_8equal_toIlEEEE10hipError_tPvRmT2_T3_mT4_T5_T6_T7_T8_P12ihipStream_tbENKUlT_T0_E_clISt17integral_constantIbLb0EESX_IbLb1EEEEDaST_SU_EUlST_E_NS1_11comp_targetILNS1_3genE3ELNS1_11target_archE908ELNS1_3gpuE7ELNS1_3repE0EEENS1_30default_config_static_selectorELNS0_4arch9wavefront6targetE0EEEvT1_.numbered_sgpr, 0
	.set _ZN7rocprim17ROCPRIM_400000_NS6detail17trampoline_kernelINS0_14default_configENS1_33run_length_encode_config_selectorIljNS0_4plusIjEEEEZZNS1_33reduce_by_key_impl_wrapped_configILNS1_25lookback_scan_determinismE0ES3_S7_PKlNS0_17constant_iteratorIjlEEPlSE_SE_S6_NS0_8equal_toIlEEEE10hipError_tPvRmT2_T3_mT4_T5_T6_T7_T8_P12ihipStream_tbENKUlT_T0_E_clISt17integral_constantIbLb0EESX_IbLb1EEEEDaST_SU_EUlST_E_NS1_11comp_targetILNS1_3genE3ELNS1_11target_archE908ELNS1_3gpuE7ELNS1_3repE0EEENS1_30default_config_static_selectorELNS0_4arch9wavefront6targetE0EEEvT1_.num_named_barrier, 0
	.set _ZN7rocprim17ROCPRIM_400000_NS6detail17trampoline_kernelINS0_14default_configENS1_33run_length_encode_config_selectorIljNS0_4plusIjEEEEZZNS1_33reduce_by_key_impl_wrapped_configILNS1_25lookback_scan_determinismE0ES3_S7_PKlNS0_17constant_iteratorIjlEEPlSE_SE_S6_NS0_8equal_toIlEEEE10hipError_tPvRmT2_T3_mT4_T5_T6_T7_T8_P12ihipStream_tbENKUlT_T0_E_clISt17integral_constantIbLb0EESX_IbLb1EEEEDaST_SU_EUlST_E_NS1_11comp_targetILNS1_3genE3ELNS1_11target_archE908ELNS1_3gpuE7ELNS1_3repE0EEENS1_30default_config_static_selectorELNS0_4arch9wavefront6targetE0EEEvT1_.private_seg_size, 0
	.set _ZN7rocprim17ROCPRIM_400000_NS6detail17trampoline_kernelINS0_14default_configENS1_33run_length_encode_config_selectorIljNS0_4plusIjEEEEZZNS1_33reduce_by_key_impl_wrapped_configILNS1_25lookback_scan_determinismE0ES3_S7_PKlNS0_17constant_iteratorIjlEEPlSE_SE_S6_NS0_8equal_toIlEEEE10hipError_tPvRmT2_T3_mT4_T5_T6_T7_T8_P12ihipStream_tbENKUlT_T0_E_clISt17integral_constantIbLb0EESX_IbLb1EEEEDaST_SU_EUlST_E_NS1_11comp_targetILNS1_3genE3ELNS1_11target_archE908ELNS1_3gpuE7ELNS1_3repE0EEENS1_30default_config_static_selectorELNS0_4arch9wavefront6targetE0EEEvT1_.uses_vcc, 0
	.set _ZN7rocprim17ROCPRIM_400000_NS6detail17trampoline_kernelINS0_14default_configENS1_33run_length_encode_config_selectorIljNS0_4plusIjEEEEZZNS1_33reduce_by_key_impl_wrapped_configILNS1_25lookback_scan_determinismE0ES3_S7_PKlNS0_17constant_iteratorIjlEEPlSE_SE_S6_NS0_8equal_toIlEEEE10hipError_tPvRmT2_T3_mT4_T5_T6_T7_T8_P12ihipStream_tbENKUlT_T0_E_clISt17integral_constantIbLb0EESX_IbLb1EEEEDaST_SU_EUlST_E_NS1_11comp_targetILNS1_3genE3ELNS1_11target_archE908ELNS1_3gpuE7ELNS1_3repE0EEENS1_30default_config_static_selectorELNS0_4arch9wavefront6targetE0EEEvT1_.uses_flat_scratch, 0
	.set _ZN7rocprim17ROCPRIM_400000_NS6detail17trampoline_kernelINS0_14default_configENS1_33run_length_encode_config_selectorIljNS0_4plusIjEEEEZZNS1_33reduce_by_key_impl_wrapped_configILNS1_25lookback_scan_determinismE0ES3_S7_PKlNS0_17constant_iteratorIjlEEPlSE_SE_S6_NS0_8equal_toIlEEEE10hipError_tPvRmT2_T3_mT4_T5_T6_T7_T8_P12ihipStream_tbENKUlT_T0_E_clISt17integral_constantIbLb0EESX_IbLb1EEEEDaST_SU_EUlST_E_NS1_11comp_targetILNS1_3genE3ELNS1_11target_archE908ELNS1_3gpuE7ELNS1_3repE0EEENS1_30default_config_static_selectorELNS0_4arch9wavefront6targetE0EEEvT1_.has_dyn_sized_stack, 0
	.set _ZN7rocprim17ROCPRIM_400000_NS6detail17trampoline_kernelINS0_14default_configENS1_33run_length_encode_config_selectorIljNS0_4plusIjEEEEZZNS1_33reduce_by_key_impl_wrapped_configILNS1_25lookback_scan_determinismE0ES3_S7_PKlNS0_17constant_iteratorIjlEEPlSE_SE_S6_NS0_8equal_toIlEEEE10hipError_tPvRmT2_T3_mT4_T5_T6_T7_T8_P12ihipStream_tbENKUlT_T0_E_clISt17integral_constantIbLb0EESX_IbLb1EEEEDaST_SU_EUlST_E_NS1_11comp_targetILNS1_3genE3ELNS1_11target_archE908ELNS1_3gpuE7ELNS1_3repE0EEENS1_30default_config_static_selectorELNS0_4arch9wavefront6targetE0EEEvT1_.has_recursion, 0
	.set _ZN7rocprim17ROCPRIM_400000_NS6detail17trampoline_kernelINS0_14default_configENS1_33run_length_encode_config_selectorIljNS0_4plusIjEEEEZZNS1_33reduce_by_key_impl_wrapped_configILNS1_25lookback_scan_determinismE0ES3_S7_PKlNS0_17constant_iteratorIjlEEPlSE_SE_S6_NS0_8equal_toIlEEEE10hipError_tPvRmT2_T3_mT4_T5_T6_T7_T8_P12ihipStream_tbENKUlT_T0_E_clISt17integral_constantIbLb0EESX_IbLb1EEEEDaST_SU_EUlST_E_NS1_11comp_targetILNS1_3genE3ELNS1_11target_archE908ELNS1_3gpuE7ELNS1_3repE0EEENS1_30default_config_static_selectorELNS0_4arch9wavefront6targetE0EEEvT1_.has_indirect_call, 0
	.section	.AMDGPU.csdata,"",@progbits
; Kernel info:
; codeLenInByte = 0
; TotalNumSgprs: 0
; NumVgprs: 0
; ScratchSize: 0
; MemoryBound: 0
; FloatMode: 240
; IeeeMode: 1
; LDSByteSize: 0 bytes/workgroup (compile time only)
; SGPRBlocks: 0
; VGPRBlocks: 0
; NumSGPRsForWavesPerEU: 1
; NumVGPRsForWavesPerEU: 1
; NamedBarCnt: 0
; Occupancy: 16
; WaveLimiterHint : 0
; COMPUTE_PGM_RSRC2:SCRATCH_EN: 0
; COMPUTE_PGM_RSRC2:USER_SGPR: 2
; COMPUTE_PGM_RSRC2:TRAP_HANDLER: 0
; COMPUTE_PGM_RSRC2:TGID_X_EN: 1
; COMPUTE_PGM_RSRC2:TGID_Y_EN: 0
; COMPUTE_PGM_RSRC2:TGID_Z_EN: 0
; COMPUTE_PGM_RSRC2:TIDIG_COMP_CNT: 0
	.section	.text._ZN7rocprim17ROCPRIM_400000_NS6detail17trampoline_kernelINS0_14default_configENS1_33run_length_encode_config_selectorIljNS0_4plusIjEEEEZZNS1_33reduce_by_key_impl_wrapped_configILNS1_25lookback_scan_determinismE0ES3_S7_PKlNS0_17constant_iteratorIjlEEPlSE_SE_S6_NS0_8equal_toIlEEEE10hipError_tPvRmT2_T3_mT4_T5_T6_T7_T8_P12ihipStream_tbENKUlT_T0_E_clISt17integral_constantIbLb0EESX_IbLb1EEEEDaST_SU_EUlST_E_NS1_11comp_targetILNS1_3genE2ELNS1_11target_archE906ELNS1_3gpuE6ELNS1_3repE0EEENS1_30default_config_static_selectorELNS0_4arch9wavefront6targetE0EEEvT1_,"axG",@progbits,_ZN7rocprim17ROCPRIM_400000_NS6detail17trampoline_kernelINS0_14default_configENS1_33run_length_encode_config_selectorIljNS0_4plusIjEEEEZZNS1_33reduce_by_key_impl_wrapped_configILNS1_25lookback_scan_determinismE0ES3_S7_PKlNS0_17constant_iteratorIjlEEPlSE_SE_S6_NS0_8equal_toIlEEEE10hipError_tPvRmT2_T3_mT4_T5_T6_T7_T8_P12ihipStream_tbENKUlT_T0_E_clISt17integral_constantIbLb0EESX_IbLb1EEEEDaST_SU_EUlST_E_NS1_11comp_targetILNS1_3genE2ELNS1_11target_archE906ELNS1_3gpuE6ELNS1_3repE0EEENS1_30default_config_static_selectorELNS0_4arch9wavefront6targetE0EEEvT1_,comdat
	.protected	_ZN7rocprim17ROCPRIM_400000_NS6detail17trampoline_kernelINS0_14default_configENS1_33run_length_encode_config_selectorIljNS0_4plusIjEEEEZZNS1_33reduce_by_key_impl_wrapped_configILNS1_25lookback_scan_determinismE0ES3_S7_PKlNS0_17constant_iteratorIjlEEPlSE_SE_S6_NS0_8equal_toIlEEEE10hipError_tPvRmT2_T3_mT4_T5_T6_T7_T8_P12ihipStream_tbENKUlT_T0_E_clISt17integral_constantIbLb0EESX_IbLb1EEEEDaST_SU_EUlST_E_NS1_11comp_targetILNS1_3genE2ELNS1_11target_archE906ELNS1_3gpuE6ELNS1_3repE0EEENS1_30default_config_static_selectorELNS0_4arch9wavefront6targetE0EEEvT1_ ; -- Begin function _ZN7rocprim17ROCPRIM_400000_NS6detail17trampoline_kernelINS0_14default_configENS1_33run_length_encode_config_selectorIljNS0_4plusIjEEEEZZNS1_33reduce_by_key_impl_wrapped_configILNS1_25lookback_scan_determinismE0ES3_S7_PKlNS0_17constant_iteratorIjlEEPlSE_SE_S6_NS0_8equal_toIlEEEE10hipError_tPvRmT2_T3_mT4_T5_T6_T7_T8_P12ihipStream_tbENKUlT_T0_E_clISt17integral_constantIbLb0EESX_IbLb1EEEEDaST_SU_EUlST_E_NS1_11comp_targetILNS1_3genE2ELNS1_11target_archE906ELNS1_3gpuE6ELNS1_3repE0EEENS1_30default_config_static_selectorELNS0_4arch9wavefront6targetE0EEEvT1_
	.globl	_ZN7rocprim17ROCPRIM_400000_NS6detail17trampoline_kernelINS0_14default_configENS1_33run_length_encode_config_selectorIljNS0_4plusIjEEEEZZNS1_33reduce_by_key_impl_wrapped_configILNS1_25lookback_scan_determinismE0ES3_S7_PKlNS0_17constant_iteratorIjlEEPlSE_SE_S6_NS0_8equal_toIlEEEE10hipError_tPvRmT2_T3_mT4_T5_T6_T7_T8_P12ihipStream_tbENKUlT_T0_E_clISt17integral_constantIbLb0EESX_IbLb1EEEEDaST_SU_EUlST_E_NS1_11comp_targetILNS1_3genE2ELNS1_11target_archE906ELNS1_3gpuE6ELNS1_3repE0EEENS1_30default_config_static_selectorELNS0_4arch9wavefront6targetE0EEEvT1_
	.p2align	8
	.type	_ZN7rocprim17ROCPRIM_400000_NS6detail17trampoline_kernelINS0_14default_configENS1_33run_length_encode_config_selectorIljNS0_4plusIjEEEEZZNS1_33reduce_by_key_impl_wrapped_configILNS1_25lookback_scan_determinismE0ES3_S7_PKlNS0_17constant_iteratorIjlEEPlSE_SE_S6_NS0_8equal_toIlEEEE10hipError_tPvRmT2_T3_mT4_T5_T6_T7_T8_P12ihipStream_tbENKUlT_T0_E_clISt17integral_constantIbLb0EESX_IbLb1EEEEDaST_SU_EUlST_E_NS1_11comp_targetILNS1_3genE2ELNS1_11target_archE906ELNS1_3gpuE6ELNS1_3repE0EEENS1_30default_config_static_selectorELNS0_4arch9wavefront6targetE0EEEvT1_,@function
_ZN7rocprim17ROCPRIM_400000_NS6detail17trampoline_kernelINS0_14default_configENS1_33run_length_encode_config_selectorIljNS0_4plusIjEEEEZZNS1_33reduce_by_key_impl_wrapped_configILNS1_25lookback_scan_determinismE0ES3_S7_PKlNS0_17constant_iteratorIjlEEPlSE_SE_S6_NS0_8equal_toIlEEEE10hipError_tPvRmT2_T3_mT4_T5_T6_T7_T8_P12ihipStream_tbENKUlT_T0_E_clISt17integral_constantIbLb0EESX_IbLb1EEEEDaST_SU_EUlST_E_NS1_11comp_targetILNS1_3genE2ELNS1_11target_archE906ELNS1_3gpuE6ELNS1_3repE0EEENS1_30default_config_static_selectorELNS0_4arch9wavefront6targetE0EEEvT1_: ; @_ZN7rocprim17ROCPRIM_400000_NS6detail17trampoline_kernelINS0_14default_configENS1_33run_length_encode_config_selectorIljNS0_4plusIjEEEEZZNS1_33reduce_by_key_impl_wrapped_configILNS1_25lookback_scan_determinismE0ES3_S7_PKlNS0_17constant_iteratorIjlEEPlSE_SE_S6_NS0_8equal_toIlEEEE10hipError_tPvRmT2_T3_mT4_T5_T6_T7_T8_P12ihipStream_tbENKUlT_T0_E_clISt17integral_constantIbLb0EESX_IbLb1EEEEDaST_SU_EUlST_E_NS1_11comp_targetILNS1_3genE2ELNS1_11target_archE906ELNS1_3gpuE6ELNS1_3repE0EEENS1_30default_config_static_selectorELNS0_4arch9wavefront6targetE0EEEvT1_
; %bb.0:
	.section	.rodata,"a",@progbits
	.p2align	6, 0x0
	.amdhsa_kernel _ZN7rocprim17ROCPRIM_400000_NS6detail17trampoline_kernelINS0_14default_configENS1_33run_length_encode_config_selectorIljNS0_4plusIjEEEEZZNS1_33reduce_by_key_impl_wrapped_configILNS1_25lookback_scan_determinismE0ES3_S7_PKlNS0_17constant_iteratorIjlEEPlSE_SE_S6_NS0_8equal_toIlEEEE10hipError_tPvRmT2_T3_mT4_T5_T6_T7_T8_P12ihipStream_tbENKUlT_T0_E_clISt17integral_constantIbLb0EESX_IbLb1EEEEDaST_SU_EUlST_E_NS1_11comp_targetILNS1_3genE2ELNS1_11target_archE906ELNS1_3gpuE6ELNS1_3repE0EEENS1_30default_config_static_selectorELNS0_4arch9wavefront6targetE0EEEvT1_
		.amdhsa_group_segment_fixed_size 0
		.amdhsa_private_segment_fixed_size 0
		.amdhsa_kernarg_size 128
		.amdhsa_user_sgpr_count 2
		.amdhsa_user_sgpr_dispatch_ptr 0
		.amdhsa_user_sgpr_queue_ptr 0
		.amdhsa_user_sgpr_kernarg_segment_ptr 1
		.amdhsa_user_sgpr_dispatch_id 0
		.amdhsa_user_sgpr_kernarg_preload_length 0
		.amdhsa_user_sgpr_kernarg_preload_offset 0
		.amdhsa_user_sgpr_private_segment_size 0
		.amdhsa_wavefront_size32 1
		.amdhsa_uses_dynamic_stack 0
		.amdhsa_enable_private_segment 0
		.amdhsa_system_sgpr_workgroup_id_x 1
		.amdhsa_system_sgpr_workgroup_id_y 0
		.amdhsa_system_sgpr_workgroup_id_z 0
		.amdhsa_system_sgpr_workgroup_info 0
		.amdhsa_system_vgpr_workitem_id 0
		.amdhsa_next_free_vgpr 1
		.amdhsa_next_free_sgpr 1
		.amdhsa_named_barrier_count 0
		.amdhsa_reserve_vcc 0
		.amdhsa_float_round_mode_32 0
		.amdhsa_float_round_mode_16_64 0
		.amdhsa_float_denorm_mode_32 3
		.amdhsa_float_denorm_mode_16_64 3
		.amdhsa_fp16_overflow 0
		.amdhsa_memory_ordered 1
		.amdhsa_forward_progress 1
		.amdhsa_inst_pref_size 0
		.amdhsa_round_robin_scheduling 0
		.amdhsa_exception_fp_ieee_invalid_op 0
		.amdhsa_exception_fp_denorm_src 0
		.amdhsa_exception_fp_ieee_div_zero 0
		.amdhsa_exception_fp_ieee_overflow 0
		.amdhsa_exception_fp_ieee_underflow 0
		.amdhsa_exception_fp_ieee_inexact 0
		.amdhsa_exception_int_div_zero 0
	.end_amdhsa_kernel
	.section	.text._ZN7rocprim17ROCPRIM_400000_NS6detail17trampoline_kernelINS0_14default_configENS1_33run_length_encode_config_selectorIljNS0_4plusIjEEEEZZNS1_33reduce_by_key_impl_wrapped_configILNS1_25lookback_scan_determinismE0ES3_S7_PKlNS0_17constant_iteratorIjlEEPlSE_SE_S6_NS0_8equal_toIlEEEE10hipError_tPvRmT2_T3_mT4_T5_T6_T7_T8_P12ihipStream_tbENKUlT_T0_E_clISt17integral_constantIbLb0EESX_IbLb1EEEEDaST_SU_EUlST_E_NS1_11comp_targetILNS1_3genE2ELNS1_11target_archE906ELNS1_3gpuE6ELNS1_3repE0EEENS1_30default_config_static_selectorELNS0_4arch9wavefront6targetE0EEEvT1_,"axG",@progbits,_ZN7rocprim17ROCPRIM_400000_NS6detail17trampoline_kernelINS0_14default_configENS1_33run_length_encode_config_selectorIljNS0_4plusIjEEEEZZNS1_33reduce_by_key_impl_wrapped_configILNS1_25lookback_scan_determinismE0ES3_S7_PKlNS0_17constant_iteratorIjlEEPlSE_SE_S6_NS0_8equal_toIlEEEE10hipError_tPvRmT2_T3_mT4_T5_T6_T7_T8_P12ihipStream_tbENKUlT_T0_E_clISt17integral_constantIbLb0EESX_IbLb1EEEEDaST_SU_EUlST_E_NS1_11comp_targetILNS1_3genE2ELNS1_11target_archE906ELNS1_3gpuE6ELNS1_3repE0EEENS1_30default_config_static_selectorELNS0_4arch9wavefront6targetE0EEEvT1_,comdat
.Lfunc_end542:
	.size	_ZN7rocprim17ROCPRIM_400000_NS6detail17trampoline_kernelINS0_14default_configENS1_33run_length_encode_config_selectorIljNS0_4plusIjEEEEZZNS1_33reduce_by_key_impl_wrapped_configILNS1_25lookback_scan_determinismE0ES3_S7_PKlNS0_17constant_iteratorIjlEEPlSE_SE_S6_NS0_8equal_toIlEEEE10hipError_tPvRmT2_T3_mT4_T5_T6_T7_T8_P12ihipStream_tbENKUlT_T0_E_clISt17integral_constantIbLb0EESX_IbLb1EEEEDaST_SU_EUlST_E_NS1_11comp_targetILNS1_3genE2ELNS1_11target_archE906ELNS1_3gpuE6ELNS1_3repE0EEENS1_30default_config_static_selectorELNS0_4arch9wavefront6targetE0EEEvT1_, .Lfunc_end542-_ZN7rocprim17ROCPRIM_400000_NS6detail17trampoline_kernelINS0_14default_configENS1_33run_length_encode_config_selectorIljNS0_4plusIjEEEEZZNS1_33reduce_by_key_impl_wrapped_configILNS1_25lookback_scan_determinismE0ES3_S7_PKlNS0_17constant_iteratorIjlEEPlSE_SE_S6_NS0_8equal_toIlEEEE10hipError_tPvRmT2_T3_mT4_T5_T6_T7_T8_P12ihipStream_tbENKUlT_T0_E_clISt17integral_constantIbLb0EESX_IbLb1EEEEDaST_SU_EUlST_E_NS1_11comp_targetILNS1_3genE2ELNS1_11target_archE906ELNS1_3gpuE6ELNS1_3repE0EEENS1_30default_config_static_selectorELNS0_4arch9wavefront6targetE0EEEvT1_
                                        ; -- End function
	.set _ZN7rocprim17ROCPRIM_400000_NS6detail17trampoline_kernelINS0_14default_configENS1_33run_length_encode_config_selectorIljNS0_4plusIjEEEEZZNS1_33reduce_by_key_impl_wrapped_configILNS1_25lookback_scan_determinismE0ES3_S7_PKlNS0_17constant_iteratorIjlEEPlSE_SE_S6_NS0_8equal_toIlEEEE10hipError_tPvRmT2_T3_mT4_T5_T6_T7_T8_P12ihipStream_tbENKUlT_T0_E_clISt17integral_constantIbLb0EESX_IbLb1EEEEDaST_SU_EUlST_E_NS1_11comp_targetILNS1_3genE2ELNS1_11target_archE906ELNS1_3gpuE6ELNS1_3repE0EEENS1_30default_config_static_selectorELNS0_4arch9wavefront6targetE0EEEvT1_.num_vgpr, 0
	.set _ZN7rocprim17ROCPRIM_400000_NS6detail17trampoline_kernelINS0_14default_configENS1_33run_length_encode_config_selectorIljNS0_4plusIjEEEEZZNS1_33reduce_by_key_impl_wrapped_configILNS1_25lookback_scan_determinismE0ES3_S7_PKlNS0_17constant_iteratorIjlEEPlSE_SE_S6_NS0_8equal_toIlEEEE10hipError_tPvRmT2_T3_mT4_T5_T6_T7_T8_P12ihipStream_tbENKUlT_T0_E_clISt17integral_constantIbLb0EESX_IbLb1EEEEDaST_SU_EUlST_E_NS1_11comp_targetILNS1_3genE2ELNS1_11target_archE906ELNS1_3gpuE6ELNS1_3repE0EEENS1_30default_config_static_selectorELNS0_4arch9wavefront6targetE0EEEvT1_.num_agpr, 0
	.set _ZN7rocprim17ROCPRIM_400000_NS6detail17trampoline_kernelINS0_14default_configENS1_33run_length_encode_config_selectorIljNS0_4plusIjEEEEZZNS1_33reduce_by_key_impl_wrapped_configILNS1_25lookback_scan_determinismE0ES3_S7_PKlNS0_17constant_iteratorIjlEEPlSE_SE_S6_NS0_8equal_toIlEEEE10hipError_tPvRmT2_T3_mT4_T5_T6_T7_T8_P12ihipStream_tbENKUlT_T0_E_clISt17integral_constantIbLb0EESX_IbLb1EEEEDaST_SU_EUlST_E_NS1_11comp_targetILNS1_3genE2ELNS1_11target_archE906ELNS1_3gpuE6ELNS1_3repE0EEENS1_30default_config_static_selectorELNS0_4arch9wavefront6targetE0EEEvT1_.numbered_sgpr, 0
	.set _ZN7rocprim17ROCPRIM_400000_NS6detail17trampoline_kernelINS0_14default_configENS1_33run_length_encode_config_selectorIljNS0_4plusIjEEEEZZNS1_33reduce_by_key_impl_wrapped_configILNS1_25lookback_scan_determinismE0ES3_S7_PKlNS0_17constant_iteratorIjlEEPlSE_SE_S6_NS0_8equal_toIlEEEE10hipError_tPvRmT2_T3_mT4_T5_T6_T7_T8_P12ihipStream_tbENKUlT_T0_E_clISt17integral_constantIbLb0EESX_IbLb1EEEEDaST_SU_EUlST_E_NS1_11comp_targetILNS1_3genE2ELNS1_11target_archE906ELNS1_3gpuE6ELNS1_3repE0EEENS1_30default_config_static_selectorELNS0_4arch9wavefront6targetE0EEEvT1_.num_named_barrier, 0
	.set _ZN7rocprim17ROCPRIM_400000_NS6detail17trampoline_kernelINS0_14default_configENS1_33run_length_encode_config_selectorIljNS0_4plusIjEEEEZZNS1_33reduce_by_key_impl_wrapped_configILNS1_25lookback_scan_determinismE0ES3_S7_PKlNS0_17constant_iteratorIjlEEPlSE_SE_S6_NS0_8equal_toIlEEEE10hipError_tPvRmT2_T3_mT4_T5_T6_T7_T8_P12ihipStream_tbENKUlT_T0_E_clISt17integral_constantIbLb0EESX_IbLb1EEEEDaST_SU_EUlST_E_NS1_11comp_targetILNS1_3genE2ELNS1_11target_archE906ELNS1_3gpuE6ELNS1_3repE0EEENS1_30default_config_static_selectorELNS0_4arch9wavefront6targetE0EEEvT1_.private_seg_size, 0
	.set _ZN7rocprim17ROCPRIM_400000_NS6detail17trampoline_kernelINS0_14default_configENS1_33run_length_encode_config_selectorIljNS0_4plusIjEEEEZZNS1_33reduce_by_key_impl_wrapped_configILNS1_25lookback_scan_determinismE0ES3_S7_PKlNS0_17constant_iteratorIjlEEPlSE_SE_S6_NS0_8equal_toIlEEEE10hipError_tPvRmT2_T3_mT4_T5_T6_T7_T8_P12ihipStream_tbENKUlT_T0_E_clISt17integral_constantIbLb0EESX_IbLb1EEEEDaST_SU_EUlST_E_NS1_11comp_targetILNS1_3genE2ELNS1_11target_archE906ELNS1_3gpuE6ELNS1_3repE0EEENS1_30default_config_static_selectorELNS0_4arch9wavefront6targetE0EEEvT1_.uses_vcc, 0
	.set _ZN7rocprim17ROCPRIM_400000_NS6detail17trampoline_kernelINS0_14default_configENS1_33run_length_encode_config_selectorIljNS0_4plusIjEEEEZZNS1_33reduce_by_key_impl_wrapped_configILNS1_25lookback_scan_determinismE0ES3_S7_PKlNS0_17constant_iteratorIjlEEPlSE_SE_S6_NS0_8equal_toIlEEEE10hipError_tPvRmT2_T3_mT4_T5_T6_T7_T8_P12ihipStream_tbENKUlT_T0_E_clISt17integral_constantIbLb0EESX_IbLb1EEEEDaST_SU_EUlST_E_NS1_11comp_targetILNS1_3genE2ELNS1_11target_archE906ELNS1_3gpuE6ELNS1_3repE0EEENS1_30default_config_static_selectorELNS0_4arch9wavefront6targetE0EEEvT1_.uses_flat_scratch, 0
	.set _ZN7rocprim17ROCPRIM_400000_NS6detail17trampoline_kernelINS0_14default_configENS1_33run_length_encode_config_selectorIljNS0_4plusIjEEEEZZNS1_33reduce_by_key_impl_wrapped_configILNS1_25lookback_scan_determinismE0ES3_S7_PKlNS0_17constant_iteratorIjlEEPlSE_SE_S6_NS0_8equal_toIlEEEE10hipError_tPvRmT2_T3_mT4_T5_T6_T7_T8_P12ihipStream_tbENKUlT_T0_E_clISt17integral_constantIbLb0EESX_IbLb1EEEEDaST_SU_EUlST_E_NS1_11comp_targetILNS1_3genE2ELNS1_11target_archE906ELNS1_3gpuE6ELNS1_3repE0EEENS1_30default_config_static_selectorELNS0_4arch9wavefront6targetE0EEEvT1_.has_dyn_sized_stack, 0
	.set _ZN7rocprim17ROCPRIM_400000_NS6detail17trampoline_kernelINS0_14default_configENS1_33run_length_encode_config_selectorIljNS0_4plusIjEEEEZZNS1_33reduce_by_key_impl_wrapped_configILNS1_25lookback_scan_determinismE0ES3_S7_PKlNS0_17constant_iteratorIjlEEPlSE_SE_S6_NS0_8equal_toIlEEEE10hipError_tPvRmT2_T3_mT4_T5_T6_T7_T8_P12ihipStream_tbENKUlT_T0_E_clISt17integral_constantIbLb0EESX_IbLb1EEEEDaST_SU_EUlST_E_NS1_11comp_targetILNS1_3genE2ELNS1_11target_archE906ELNS1_3gpuE6ELNS1_3repE0EEENS1_30default_config_static_selectorELNS0_4arch9wavefront6targetE0EEEvT1_.has_recursion, 0
	.set _ZN7rocprim17ROCPRIM_400000_NS6detail17trampoline_kernelINS0_14default_configENS1_33run_length_encode_config_selectorIljNS0_4plusIjEEEEZZNS1_33reduce_by_key_impl_wrapped_configILNS1_25lookback_scan_determinismE0ES3_S7_PKlNS0_17constant_iteratorIjlEEPlSE_SE_S6_NS0_8equal_toIlEEEE10hipError_tPvRmT2_T3_mT4_T5_T6_T7_T8_P12ihipStream_tbENKUlT_T0_E_clISt17integral_constantIbLb0EESX_IbLb1EEEEDaST_SU_EUlST_E_NS1_11comp_targetILNS1_3genE2ELNS1_11target_archE906ELNS1_3gpuE6ELNS1_3repE0EEENS1_30default_config_static_selectorELNS0_4arch9wavefront6targetE0EEEvT1_.has_indirect_call, 0
	.section	.AMDGPU.csdata,"",@progbits
; Kernel info:
; codeLenInByte = 0
; TotalNumSgprs: 0
; NumVgprs: 0
; ScratchSize: 0
; MemoryBound: 0
; FloatMode: 240
; IeeeMode: 1
; LDSByteSize: 0 bytes/workgroup (compile time only)
; SGPRBlocks: 0
; VGPRBlocks: 0
; NumSGPRsForWavesPerEU: 1
; NumVGPRsForWavesPerEU: 1
; NamedBarCnt: 0
; Occupancy: 16
; WaveLimiterHint : 0
; COMPUTE_PGM_RSRC2:SCRATCH_EN: 0
; COMPUTE_PGM_RSRC2:USER_SGPR: 2
; COMPUTE_PGM_RSRC2:TRAP_HANDLER: 0
; COMPUTE_PGM_RSRC2:TGID_X_EN: 1
; COMPUTE_PGM_RSRC2:TGID_Y_EN: 0
; COMPUTE_PGM_RSRC2:TGID_Z_EN: 0
; COMPUTE_PGM_RSRC2:TIDIG_COMP_CNT: 0
	.section	.text._ZN7rocprim17ROCPRIM_400000_NS6detail17trampoline_kernelINS0_14default_configENS1_33run_length_encode_config_selectorIljNS0_4plusIjEEEEZZNS1_33reduce_by_key_impl_wrapped_configILNS1_25lookback_scan_determinismE0ES3_S7_PKlNS0_17constant_iteratorIjlEEPlSE_SE_S6_NS0_8equal_toIlEEEE10hipError_tPvRmT2_T3_mT4_T5_T6_T7_T8_P12ihipStream_tbENKUlT_T0_E_clISt17integral_constantIbLb0EESX_IbLb1EEEEDaST_SU_EUlST_E_NS1_11comp_targetILNS1_3genE10ELNS1_11target_archE1201ELNS1_3gpuE5ELNS1_3repE0EEENS1_30default_config_static_selectorELNS0_4arch9wavefront6targetE0EEEvT1_,"axG",@progbits,_ZN7rocprim17ROCPRIM_400000_NS6detail17trampoline_kernelINS0_14default_configENS1_33run_length_encode_config_selectorIljNS0_4plusIjEEEEZZNS1_33reduce_by_key_impl_wrapped_configILNS1_25lookback_scan_determinismE0ES3_S7_PKlNS0_17constant_iteratorIjlEEPlSE_SE_S6_NS0_8equal_toIlEEEE10hipError_tPvRmT2_T3_mT4_T5_T6_T7_T8_P12ihipStream_tbENKUlT_T0_E_clISt17integral_constantIbLb0EESX_IbLb1EEEEDaST_SU_EUlST_E_NS1_11comp_targetILNS1_3genE10ELNS1_11target_archE1201ELNS1_3gpuE5ELNS1_3repE0EEENS1_30default_config_static_selectorELNS0_4arch9wavefront6targetE0EEEvT1_,comdat
	.protected	_ZN7rocprim17ROCPRIM_400000_NS6detail17trampoline_kernelINS0_14default_configENS1_33run_length_encode_config_selectorIljNS0_4plusIjEEEEZZNS1_33reduce_by_key_impl_wrapped_configILNS1_25lookback_scan_determinismE0ES3_S7_PKlNS0_17constant_iteratorIjlEEPlSE_SE_S6_NS0_8equal_toIlEEEE10hipError_tPvRmT2_T3_mT4_T5_T6_T7_T8_P12ihipStream_tbENKUlT_T0_E_clISt17integral_constantIbLb0EESX_IbLb1EEEEDaST_SU_EUlST_E_NS1_11comp_targetILNS1_3genE10ELNS1_11target_archE1201ELNS1_3gpuE5ELNS1_3repE0EEENS1_30default_config_static_selectorELNS0_4arch9wavefront6targetE0EEEvT1_ ; -- Begin function _ZN7rocprim17ROCPRIM_400000_NS6detail17trampoline_kernelINS0_14default_configENS1_33run_length_encode_config_selectorIljNS0_4plusIjEEEEZZNS1_33reduce_by_key_impl_wrapped_configILNS1_25lookback_scan_determinismE0ES3_S7_PKlNS0_17constant_iteratorIjlEEPlSE_SE_S6_NS0_8equal_toIlEEEE10hipError_tPvRmT2_T3_mT4_T5_T6_T7_T8_P12ihipStream_tbENKUlT_T0_E_clISt17integral_constantIbLb0EESX_IbLb1EEEEDaST_SU_EUlST_E_NS1_11comp_targetILNS1_3genE10ELNS1_11target_archE1201ELNS1_3gpuE5ELNS1_3repE0EEENS1_30default_config_static_selectorELNS0_4arch9wavefront6targetE0EEEvT1_
	.globl	_ZN7rocprim17ROCPRIM_400000_NS6detail17trampoline_kernelINS0_14default_configENS1_33run_length_encode_config_selectorIljNS0_4plusIjEEEEZZNS1_33reduce_by_key_impl_wrapped_configILNS1_25lookback_scan_determinismE0ES3_S7_PKlNS0_17constant_iteratorIjlEEPlSE_SE_S6_NS0_8equal_toIlEEEE10hipError_tPvRmT2_T3_mT4_T5_T6_T7_T8_P12ihipStream_tbENKUlT_T0_E_clISt17integral_constantIbLb0EESX_IbLb1EEEEDaST_SU_EUlST_E_NS1_11comp_targetILNS1_3genE10ELNS1_11target_archE1201ELNS1_3gpuE5ELNS1_3repE0EEENS1_30default_config_static_selectorELNS0_4arch9wavefront6targetE0EEEvT1_
	.p2align	8
	.type	_ZN7rocprim17ROCPRIM_400000_NS6detail17trampoline_kernelINS0_14default_configENS1_33run_length_encode_config_selectorIljNS0_4plusIjEEEEZZNS1_33reduce_by_key_impl_wrapped_configILNS1_25lookback_scan_determinismE0ES3_S7_PKlNS0_17constant_iteratorIjlEEPlSE_SE_S6_NS0_8equal_toIlEEEE10hipError_tPvRmT2_T3_mT4_T5_T6_T7_T8_P12ihipStream_tbENKUlT_T0_E_clISt17integral_constantIbLb0EESX_IbLb1EEEEDaST_SU_EUlST_E_NS1_11comp_targetILNS1_3genE10ELNS1_11target_archE1201ELNS1_3gpuE5ELNS1_3repE0EEENS1_30default_config_static_selectorELNS0_4arch9wavefront6targetE0EEEvT1_,@function
_ZN7rocprim17ROCPRIM_400000_NS6detail17trampoline_kernelINS0_14default_configENS1_33run_length_encode_config_selectorIljNS0_4plusIjEEEEZZNS1_33reduce_by_key_impl_wrapped_configILNS1_25lookback_scan_determinismE0ES3_S7_PKlNS0_17constant_iteratorIjlEEPlSE_SE_S6_NS0_8equal_toIlEEEE10hipError_tPvRmT2_T3_mT4_T5_T6_T7_T8_P12ihipStream_tbENKUlT_T0_E_clISt17integral_constantIbLb0EESX_IbLb1EEEEDaST_SU_EUlST_E_NS1_11comp_targetILNS1_3genE10ELNS1_11target_archE1201ELNS1_3gpuE5ELNS1_3repE0EEENS1_30default_config_static_selectorELNS0_4arch9wavefront6targetE0EEEvT1_: ; @_ZN7rocprim17ROCPRIM_400000_NS6detail17trampoline_kernelINS0_14default_configENS1_33run_length_encode_config_selectorIljNS0_4plusIjEEEEZZNS1_33reduce_by_key_impl_wrapped_configILNS1_25lookback_scan_determinismE0ES3_S7_PKlNS0_17constant_iteratorIjlEEPlSE_SE_S6_NS0_8equal_toIlEEEE10hipError_tPvRmT2_T3_mT4_T5_T6_T7_T8_P12ihipStream_tbENKUlT_T0_E_clISt17integral_constantIbLb0EESX_IbLb1EEEEDaST_SU_EUlST_E_NS1_11comp_targetILNS1_3genE10ELNS1_11target_archE1201ELNS1_3gpuE5ELNS1_3repE0EEENS1_30default_config_static_selectorELNS0_4arch9wavefront6targetE0EEEvT1_
; %bb.0:
	.section	.rodata,"a",@progbits
	.p2align	6, 0x0
	.amdhsa_kernel _ZN7rocprim17ROCPRIM_400000_NS6detail17trampoline_kernelINS0_14default_configENS1_33run_length_encode_config_selectorIljNS0_4plusIjEEEEZZNS1_33reduce_by_key_impl_wrapped_configILNS1_25lookback_scan_determinismE0ES3_S7_PKlNS0_17constant_iteratorIjlEEPlSE_SE_S6_NS0_8equal_toIlEEEE10hipError_tPvRmT2_T3_mT4_T5_T6_T7_T8_P12ihipStream_tbENKUlT_T0_E_clISt17integral_constantIbLb0EESX_IbLb1EEEEDaST_SU_EUlST_E_NS1_11comp_targetILNS1_3genE10ELNS1_11target_archE1201ELNS1_3gpuE5ELNS1_3repE0EEENS1_30default_config_static_selectorELNS0_4arch9wavefront6targetE0EEEvT1_
		.amdhsa_group_segment_fixed_size 0
		.amdhsa_private_segment_fixed_size 0
		.amdhsa_kernarg_size 128
		.amdhsa_user_sgpr_count 2
		.amdhsa_user_sgpr_dispatch_ptr 0
		.amdhsa_user_sgpr_queue_ptr 0
		.amdhsa_user_sgpr_kernarg_segment_ptr 1
		.amdhsa_user_sgpr_dispatch_id 0
		.amdhsa_user_sgpr_kernarg_preload_length 0
		.amdhsa_user_sgpr_kernarg_preload_offset 0
		.amdhsa_user_sgpr_private_segment_size 0
		.amdhsa_wavefront_size32 1
		.amdhsa_uses_dynamic_stack 0
		.amdhsa_enable_private_segment 0
		.amdhsa_system_sgpr_workgroup_id_x 1
		.amdhsa_system_sgpr_workgroup_id_y 0
		.amdhsa_system_sgpr_workgroup_id_z 0
		.amdhsa_system_sgpr_workgroup_info 0
		.amdhsa_system_vgpr_workitem_id 0
		.amdhsa_next_free_vgpr 1
		.amdhsa_next_free_sgpr 1
		.amdhsa_named_barrier_count 0
		.amdhsa_reserve_vcc 0
		.amdhsa_float_round_mode_32 0
		.amdhsa_float_round_mode_16_64 0
		.amdhsa_float_denorm_mode_32 3
		.amdhsa_float_denorm_mode_16_64 3
		.amdhsa_fp16_overflow 0
		.amdhsa_memory_ordered 1
		.amdhsa_forward_progress 1
		.amdhsa_inst_pref_size 0
		.amdhsa_round_robin_scheduling 0
		.amdhsa_exception_fp_ieee_invalid_op 0
		.amdhsa_exception_fp_denorm_src 0
		.amdhsa_exception_fp_ieee_div_zero 0
		.amdhsa_exception_fp_ieee_overflow 0
		.amdhsa_exception_fp_ieee_underflow 0
		.amdhsa_exception_fp_ieee_inexact 0
		.amdhsa_exception_int_div_zero 0
	.end_amdhsa_kernel
	.section	.text._ZN7rocprim17ROCPRIM_400000_NS6detail17trampoline_kernelINS0_14default_configENS1_33run_length_encode_config_selectorIljNS0_4plusIjEEEEZZNS1_33reduce_by_key_impl_wrapped_configILNS1_25lookback_scan_determinismE0ES3_S7_PKlNS0_17constant_iteratorIjlEEPlSE_SE_S6_NS0_8equal_toIlEEEE10hipError_tPvRmT2_T3_mT4_T5_T6_T7_T8_P12ihipStream_tbENKUlT_T0_E_clISt17integral_constantIbLb0EESX_IbLb1EEEEDaST_SU_EUlST_E_NS1_11comp_targetILNS1_3genE10ELNS1_11target_archE1201ELNS1_3gpuE5ELNS1_3repE0EEENS1_30default_config_static_selectorELNS0_4arch9wavefront6targetE0EEEvT1_,"axG",@progbits,_ZN7rocprim17ROCPRIM_400000_NS6detail17trampoline_kernelINS0_14default_configENS1_33run_length_encode_config_selectorIljNS0_4plusIjEEEEZZNS1_33reduce_by_key_impl_wrapped_configILNS1_25lookback_scan_determinismE0ES3_S7_PKlNS0_17constant_iteratorIjlEEPlSE_SE_S6_NS0_8equal_toIlEEEE10hipError_tPvRmT2_T3_mT4_T5_T6_T7_T8_P12ihipStream_tbENKUlT_T0_E_clISt17integral_constantIbLb0EESX_IbLb1EEEEDaST_SU_EUlST_E_NS1_11comp_targetILNS1_3genE10ELNS1_11target_archE1201ELNS1_3gpuE5ELNS1_3repE0EEENS1_30default_config_static_selectorELNS0_4arch9wavefront6targetE0EEEvT1_,comdat
.Lfunc_end543:
	.size	_ZN7rocprim17ROCPRIM_400000_NS6detail17trampoline_kernelINS0_14default_configENS1_33run_length_encode_config_selectorIljNS0_4plusIjEEEEZZNS1_33reduce_by_key_impl_wrapped_configILNS1_25lookback_scan_determinismE0ES3_S7_PKlNS0_17constant_iteratorIjlEEPlSE_SE_S6_NS0_8equal_toIlEEEE10hipError_tPvRmT2_T3_mT4_T5_T6_T7_T8_P12ihipStream_tbENKUlT_T0_E_clISt17integral_constantIbLb0EESX_IbLb1EEEEDaST_SU_EUlST_E_NS1_11comp_targetILNS1_3genE10ELNS1_11target_archE1201ELNS1_3gpuE5ELNS1_3repE0EEENS1_30default_config_static_selectorELNS0_4arch9wavefront6targetE0EEEvT1_, .Lfunc_end543-_ZN7rocprim17ROCPRIM_400000_NS6detail17trampoline_kernelINS0_14default_configENS1_33run_length_encode_config_selectorIljNS0_4plusIjEEEEZZNS1_33reduce_by_key_impl_wrapped_configILNS1_25lookback_scan_determinismE0ES3_S7_PKlNS0_17constant_iteratorIjlEEPlSE_SE_S6_NS0_8equal_toIlEEEE10hipError_tPvRmT2_T3_mT4_T5_T6_T7_T8_P12ihipStream_tbENKUlT_T0_E_clISt17integral_constantIbLb0EESX_IbLb1EEEEDaST_SU_EUlST_E_NS1_11comp_targetILNS1_3genE10ELNS1_11target_archE1201ELNS1_3gpuE5ELNS1_3repE0EEENS1_30default_config_static_selectorELNS0_4arch9wavefront6targetE0EEEvT1_
                                        ; -- End function
	.set _ZN7rocprim17ROCPRIM_400000_NS6detail17trampoline_kernelINS0_14default_configENS1_33run_length_encode_config_selectorIljNS0_4plusIjEEEEZZNS1_33reduce_by_key_impl_wrapped_configILNS1_25lookback_scan_determinismE0ES3_S7_PKlNS0_17constant_iteratorIjlEEPlSE_SE_S6_NS0_8equal_toIlEEEE10hipError_tPvRmT2_T3_mT4_T5_T6_T7_T8_P12ihipStream_tbENKUlT_T0_E_clISt17integral_constantIbLb0EESX_IbLb1EEEEDaST_SU_EUlST_E_NS1_11comp_targetILNS1_3genE10ELNS1_11target_archE1201ELNS1_3gpuE5ELNS1_3repE0EEENS1_30default_config_static_selectorELNS0_4arch9wavefront6targetE0EEEvT1_.num_vgpr, 0
	.set _ZN7rocprim17ROCPRIM_400000_NS6detail17trampoline_kernelINS0_14default_configENS1_33run_length_encode_config_selectorIljNS0_4plusIjEEEEZZNS1_33reduce_by_key_impl_wrapped_configILNS1_25lookback_scan_determinismE0ES3_S7_PKlNS0_17constant_iteratorIjlEEPlSE_SE_S6_NS0_8equal_toIlEEEE10hipError_tPvRmT2_T3_mT4_T5_T6_T7_T8_P12ihipStream_tbENKUlT_T0_E_clISt17integral_constantIbLb0EESX_IbLb1EEEEDaST_SU_EUlST_E_NS1_11comp_targetILNS1_3genE10ELNS1_11target_archE1201ELNS1_3gpuE5ELNS1_3repE0EEENS1_30default_config_static_selectorELNS0_4arch9wavefront6targetE0EEEvT1_.num_agpr, 0
	.set _ZN7rocprim17ROCPRIM_400000_NS6detail17trampoline_kernelINS0_14default_configENS1_33run_length_encode_config_selectorIljNS0_4plusIjEEEEZZNS1_33reduce_by_key_impl_wrapped_configILNS1_25lookback_scan_determinismE0ES3_S7_PKlNS0_17constant_iteratorIjlEEPlSE_SE_S6_NS0_8equal_toIlEEEE10hipError_tPvRmT2_T3_mT4_T5_T6_T7_T8_P12ihipStream_tbENKUlT_T0_E_clISt17integral_constantIbLb0EESX_IbLb1EEEEDaST_SU_EUlST_E_NS1_11comp_targetILNS1_3genE10ELNS1_11target_archE1201ELNS1_3gpuE5ELNS1_3repE0EEENS1_30default_config_static_selectorELNS0_4arch9wavefront6targetE0EEEvT1_.numbered_sgpr, 0
	.set _ZN7rocprim17ROCPRIM_400000_NS6detail17trampoline_kernelINS0_14default_configENS1_33run_length_encode_config_selectorIljNS0_4plusIjEEEEZZNS1_33reduce_by_key_impl_wrapped_configILNS1_25lookback_scan_determinismE0ES3_S7_PKlNS0_17constant_iteratorIjlEEPlSE_SE_S6_NS0_8equal_toIlEEEE10hipError_tPvRmT2_T3_mT4_T5_T6_T7_T8_P12ihipStream_tbENKUlT_T0_E_clISt17integral_constantIbLb0EESX_IbLb1EEEEDaST_SU_EUlST_E_NS1_11comp_targetILNS1_3genE10ELNS1_11target_archE1201ELNS1_3gpuE5ELNS1_3repE0EEENS1_30default_config_static_selectorELNS0_4arch9wavefront6targetE0EEEvT1_.num_named_barrier, 0
	.set _ZN7rocprim17ROCPRIM_400000_NS6detail17trampoline_kernelINS0_14default_configENS1_33run_length_encode_config_selectorIljNS0_4plusIjEEEEZZNS1_33reduce_by_key_impl_wrapped_configILNS1_25lookback_scan_determinismE0ES3_S7_PKlNS0_17constant_iteratorIjlEEPlSE_SE_S6_NS0_8equal_toIlEEEE10hipError_tPvRmT2_T3_mT4_T5_T6_T7_T8_P12ihipStream_tbENKUlT_T0_E_clISt17integral_constantIbLb0EESX_IbLb1EEEEDaST_SU_EUlST_E_NS1_11comp_targetILNS1_3genE10ELNS1_11target_archE1201ELNS1_3gpuE5ELNS1_3repE0EEENS1_30default_config_static_selectorELNS0_4arch9wavefront6targetE0EEEvT1_.private_seg_size, 0
	.set _ZN7rocprim17ROCPRIM_400000_NS6detail17trampoline_kernelINS0_14default_configENS1_33run_length_encode_config_selectorIljNS0_4plusIjEEEEZZNS1_33reduce_by_key_impl_wrapped_configILNS1_25lookback_scan_determinismE0ES3_S7_PKlNS0_17constant_iteratorIjlEEPlSE_SE_S6_NS0_8equal_toIlEEEE10hipError_tPvRmT2_T3_mT4_T5_T6_T7_T8_P12ihipStream_tbENKUlT_T0_E_clISt17integral_constantIbLb0EESX_IbLb1EEEEDaST_SU_EUlST_E_NS1_11comp_targetILNS1_3genE10ELNS1_11target_archE1201ELNS1_3gpuE5ELNS1_3repE0EEENS1_30default_config_static_selectorELNS0_4arch9wavefront6targetE0EEEvT1_.uses_vcc, 0
	.set _ZN7rocprim17ROCPRIM_400000_NS6detail17trampoline_kernelINS0_14default_configENS1_33run_length_encode_config_selectorIljNS0_4plusIjEEEEZZNS1_33reduce_by_key_impl_wrapped_configILNS1_25lookback_scan_determinismE0ES3_S7_PKlNS0_17constant_iteratorIjlEEPlSE_SE_S6_NS0_8equal_toIlEEEE10hipError_tPvRmT2_T3_mT4_T5_T6_T7_T8_P12ihipStream_tbENKUlT_T0_E_clISt17integral_constantIbLb0EESX_IbLb1EEEEDaST_SU_EUlST_E_NS1_11comp_targetILNS1_3genE10ELNS1_11target_archE1201ELNS1_3gpuE5ELNS1_3repE0EEENS1_30default_config_static_selectorELNS0_4arch9wavefront6targetE0EEEvT1_.uses_flat_scratch, 0
	.set _ZN7rocprim17ROCPRIM_400000_NS6detail17trampoline_kernelINS0_14default_configENS1_33run_length_encode_config_selectorIljNS0_4plusIjEEEEZZNS1_33reduce_by_key_impl_wrapped_configILNS1_25lookback_scan_determinismE0ES3_S7_PKlNS0_17constant_iteratorIjlEEPlSE_SE_S6_NS0_8equal_toIlEEEE10hipError_tPvRmT2_T3_mT4_T5_T6_T7_T8_P12ihipStream_tbENKUlT_T0_E_clISt17integral_constantIbLb0EESX_IbLb1EEEEDaST_SU_EUlST_E_NS1_11comp_targetILNS1_3genE10ELNS1_11target_archE1201ELNS1_3gpuE5ELNS1_3repE0EEENS1_30default_config_static_selectorELNS0_4arch9wavefront6targetE0EEEvT1_.has_dyn_sized_stack, 0
	.set _ZN7rocprim17ROCPRIM_400000_NS6detail17trampoline_kernelINS0_14default_configENS1_33run_length_encode_config_selectorIljNS0_4plusIjEEEEZZNS1_33reduce_by_key_impl_wrapped_configILNS1_25lookback_scan_determinismE0ES3_S7_PKlNS0_17constant_iteratorIjlEEPlSE_SE_S6_NS0_8equal_toIlEEEE10hipError_tPvRmT2_T3_mT4_T5_T6_T7_T8_P12ihipStream_tbENKUlT_T0_E_clISt17integral_constantIbLb0EESX_IbLb1EEEEDaST_SU_EUlST_E_NS1_11comp_targetILNS1_3genE10ELNS1_11target_archE1201ELNS1_3gpuE5ELNS1_3repE0EEENS1_30default_config_static_selectorELNS0_4arch9wavefront6targetE0EEEvT1_.has_recursion, 0
	.set _ZN7rocprim17ROCPRIM_400000_NS6detail17trampoline_kernelINS0_14default_configENS1_33run_length_encode_config_selectorIljNS0_4plusIjEEEEZZNS1_33reduce_by_key_impl_wrapped_configILNS1_25lookback_scan_determinismE0ES3_S7_PKlNS0_17constant_iteratorIjlEEPlSE_SE_S6_NS0_8equal_toIlEEEE10hipError_tPvRmT2_T3_mT4_T5_T6_T7_T8_P12ihipStream_tbENKUlT_T0_E_clISt17integral_constantIbLb0EESX_IbLb1EEEEDaST_SU_EUlST_E_NS1_11comp_targetILNS1_3genE10ELNS1_11target_archE1201ELNS1_3gpuE5ELNS1_3repE0EEENS1_30default_config_static_selectorELNS0_4arch9wavefront6targetE0EEEvT1_.has_indirect_call, 0
	.section	.AMDGPU.csdata,"",@progbits
; Kernel info:
; codeLenInByte = 0
; TotalNumSgprs: 0
; NumVgprs: 0
; ScratchSize: 0
; MemoryBound: 0
; FloatMode: 240
; IeeeMode: 1
; LDSByteSize: 0 bytes/workgroup (compile time only)
; SGPRBlocks: 0
; VGPRBlocks: 0
; NumSGPRsForWavesPerEU: 1
; NumVGPRsForWavesPerEU: 1
; NamedBarCnt: 0
; Occupancy: 16
; WaveLimiterHint : 0
; COMPUTE_PGM_RSRC2:SCRATCH_EN: 0
; COMPUTE_PGM_RSRC2:USER_SGPR: 2
; COMPUTE_PGM_RSRC2:TRAP_HANDLER: 0
; COMPUTE_PGM_RSRC2:TGID_X_EN: 1
; COMPUTE_PGM_RSRC2:TGID_Y_EN: 0
; COMPUTE_PGM_RSRC2:TGID_Z_EN: 0
; COMPUTE_PGM_RSRC2:TIDIG_COMP_CNT: 0
	.section	.text._ZN7rocprim17ROCPRIM_400000_NS6detail17trampoline_kernelINS0_14default_configENS1_33run_length_encode_config_selectorIljNS0_4plusIjEEEEZZNS1_33reduce_by_key_impl_wrapped_configILNS1_25lookback_scan_determinismE0ES3_S7_PKlNS0_17constant_iteratorIjlEEPlSE_SE_S6_NS0_8equal_toIlEEEE10hipError_tPvRmT2_T3_mT4_T5_T6_T7_T8_P12ihipStream_tbENKUlT_T0_E_clISt17integral_constantIbLb0EESX_IbLb1EEEEDaST_SU_EUlST_E_NS1_11comp_targetILNS1_3genE10ELNS1_11target_archE1200ELNS1_3gpuE4ELNS1_3repE0EEENS1_30default_config_static_selectorELNS0_4arch9wavefront6targetE0EEEvT1_,"axG",@progbits,_ZN7rocprim17ROCPRIM_400000_NS6detail17trampoline_kernelINS0_14default_configENS1_33run_length_encode_config_selectorIljNS0_4plusIjEEEEZZNS1_33reduce_by_key_impl_wrapped_configILNS1_25lookback_scan_determinismE0ES3_S7_PKlNS0_17constant_iteratorIjlEEPlSE_SE_S6_NS0_8equal_toIlEEEE10hipError_tPvRmT2_T3_mT4_T5_T6_T7_T8_P12ihipStream_tbENKUlT_T0_E_clISt17integral_constantIbLb0EESX_IbLb1EEEEDaST_SU_EUlST_E_NS1_11comp_targetILNS1_3genE10ELNS1_11target_archE1200ELNS1_3gpuE4ELNS1_3repE0EEENS1_30default_config_static_selectorELNS0_4arch9wavefront6targetE0EEEvT1_,comdat
	.protected	_ZN7rocprim17ROCPRIM_400000_NS6detail17trampoline_kernelINS0_14default_configENS1_33run_length_encode_config_selectorIljNS0_4plusIjEEEEZZNS1_33reduce_by_key_impl_wrapped_configILNS1_25lookback_scan_determinismE0ES3_S7_PKlNS0_17constant_iteratorIjlEEPlSE_SE_S6_NS0_8equal_toIlEEEE10hipError_tPvRmT2_T3_mT4_T5_T6_T7_T8_P12ihipStream_tbENKUlT_T0_E_clISt17integral_constantIbLb0EESX_IbLb1EEEEDaST_SU_EUlST_E_NS1_11comp_targetILNS1_3genE10ELNS1_11target_archE1200ELNS1_3gpuE4ELNS1_3repE0EEENS1_30default_config_static_selectorELNS0_4arch9wavefront6targetE0EEEvT1_ ; -- Begin function _ZN7rocprim17ROCPRIM_400000_NS6detail17trampoline_kernelINS0_14default_configENS1_33run_length_encode_config_selectorIljNS0_4plusIjEEEEZZNS1_33reduce_by_key_impl_wrapped_configILNS1_25lookback_scan_determinismE0ES3_S7_PKlNS0_17constant_iteratorIjlEEPlSE_SE_S6_NS0_8equal_toIlEEEE10hipError_tPvRmT2_T3_mT4_T5_T6_T7_T8_P12ihipStream_tbENKUlT_T0_E_clISt17integral_constantIbLb0EESX_IbLb1EEEEDaST_SU_EUlST_E_NS1_11comp_targetILNS1_3genE10ELNS1_11target_archE1200ELNS1_3gpuE4ELNS1_3repE0EEENS1_30default_config_static_selectorELNS0_4arch9wavefront6targetE0EEEvT1_
	.globl	_ZN7rocprim17ROCPRIM_400000_NS6detail17trampoline_kernelINS0_14default_configENS1_33run_length_encode_config_selectorIljNS0_4plusIjEEEEZZNS1_33reduce_by_key_impl_wrapped_configILNS1_25lookback_scan_determinismE0ES3_S7_PKlNS0_17constant_iteratorIjlEEPlSE_SE_S6_NS0_8equal_toIlEEEE10hipError_tPvRmT2_T3_mT4_T5_T6_T7_T8_P12ihipStream_tbENKUlT_T0_E_clISt17integral_constantIbLb0EESX_IbLb1EEEEDaST_SU_EUlST_E_NS1_11comp_targetILNS1_3genE10ELNS1_11target_archE1200ELNS1_3gpuE4ELNS1_3repE0EEENS1_30default_config_static_selectorELNS0_4arch9wavefront6targetE0EEEvT1_
	.p2align	8
	.type	_ZN7rocprim17ROCPRIM_400000_NS6detail17trampoline_kernelINS0_14default_configENS1_33run_length_encode_config_selectorIljNS0_4plusIjEEEEZZNS1_33reduce_by_key_impl_wrapped_configILNS1_25lookback_scan_determinismE0ES3_S7_PKlNS0_17constant_iteratorIjlEEPlSE_SE_S6_NS0_8equal_toIlEEEE10hipError_tPvRmT2_T3_mT4_T5_T6_T7_T8_P12ihipStream_tbENKUlT_T0_E_clISt17integral_constantIbLb0EESX_IbLb1EEEEDaST_SU_EUlST_E_NS1_11comp_targetILNS1_3genE10ELNS1_11target_archE1200ELNS1_3gpuE4ELNS1_3repE0EEENS1_30default_config_static_selectorELNS0_4arch9wavefront6targetE0EEEvT1_,@function
_ZN7rocprim17ROCPRIM_400000_NS6detail17trampoline_kernelINS0_14default_configENS1_33run_length_encode_config_selectorIljNS0_4plusIjEEEEZZNS1_33reduce_by_key_impl_wrapped_configILNS1_25lookback_scan_determinismE0ES3_S7_PKlNS0_17constant_iteratorIjlEEPlSE_SE_S6_NS0_8equal_toIlEEEE10hipError_tPvRmT2_T3_mT4_T5_T6_T7_T8_P12ihipStream_tbENKUlT_T0_E_clISt17integral_constantIbLb0EESX_IbLb1EEEEDaST_SU_EUlST_E_NS1_11comp_targetILNS1_3genE10ELNS1_11target_archE1200ELNS1_3gpuE4ELNS1_3repE0EEENS1_30default_config_static_selectorELNS0_4arch9wavefront6targetE0EEEvT1_: ; @_ZN7rocprim17ROCPRIM_400000_NS6detail17trampoline_kernelINS0_14default_configENS1_33run_length_encode_config_selectorIljNS0_4plusIjEEEEZZNS1_33reduce_by_key_impl_wrapped_configILNS1_25lookback_scan_determinismE0ES3_S7_PKlNS0_17constant_iteratorIjlEEPlSE_SE_S6_NS0_8equal_toIlEEEE10hipError_tPvRmT2_T3_mT4_T5_T6_T7_T8_P12ihipStream_tbENKUlT_T0_E_clISt17integral_constantIbLb0EESX_IbLb1EEEEDaST_SU_EUlST_E_NS1_11comp_targetILNS1_3genE10ELNS1_11target_archE1200ELNS1_3gpuE4ELNS1_3repE0EEENS1_30default_config_static_selectorELNS0_4arch9wavefront6targetE0EEEvT1_
; %bb.0:
	.section	.rodata,"a",@progbits
	.p2align	6, 0x0
	.amdhsa_kernel _ZN7rocprim17ROCPRIM_400000_NS6detail17trampoline_kernelINS0_14default_configENS1_33run_length_encode_config_selectorIljNS0_4plusIjEEEEZZNS1_33reduce_by_key_impl_wrapped_configILNS1_25lookback_scan_determinismE0ES3_S7_PKlNS0_17constant_iteratorIjlEEPlSE_SE_S6_NS0_8equal_toIlEEEE10hipError_tPvRmT2_T3_mT4_T5_T6_T7_T8_P12ihipStream_tbENKUlT_T0_E_clISt17integral_constantIbLb0EESX_IbLb1EEEEDaST_SU_EUlST_E_NS1_11comp_targetILNS1_3genE10ELNS1_11target_archE1200ELNS1_3gpuE4ELNS1_3repE0EEENS1_30default_config_static_selectorELNS0_4arch9wavefront6targetE0EEEvT1_
		.amdhsa_group_segment_fixed_size 0
		.amdhsa_private_segment_fixed_size 0
		.amdhsa_kernarg_size 128
		.amdhsa_user_sgpr_count 2
		.amdhsa_user_sgpr_dispatch_ptr 0
		.amdhsa_user_sgpr_queue_ptr 0
		.amdhsa_user_sgpr_kernarg_segment_ptr 1
		.amdhsa_user_sgpr_dispatch_id 0
		.amdhsa_user_sgpr_kernarg_preload_length 0
		.amdhsa_user_sgpr_kernarg_preload_offset 0
		.amdhsa_user_sgpr_private_segment_size 0
		.amdhsa_wavefront_size32 1
		.amdhsa_uses_dynamic_stack 0
		.amdhsa_enable_private_segment 0
		.amdhsa_system_sgpr_workgroup_id_x 1
		.amdhsa_system_sgpr_workgroup_id_y 0
		.amdhsa_system_sgpr_workgroup_id_z 0
		.amdhsa_system_sgpr_workgroup_info 0
		.amdhsa_system_vgpr_workitem_id 0
		.amdhsa_next_free_vgpr 1
		.amdhsa_next_free_sgpr 1
		.amdhsa_named_barrier_count 0
		.amdhsa_reserve_vcc 0
		.amdhsa_float_round_mode_32 0
		.amdhsa_float_round_mode_16_64 0
		.amdhsa_float_denorm_mode_32 3
		.amdhsa_float_denorm_mode_16_64 3
		.amdhsa_fp16_overflow 0
		.amdhsa_memory_ordered 1
		.amdhsa_forward_progress 1
		.amdhsa_inst_pref_size 0
		.amdhsa_round_robin_scheduling 0
		.amdhsa_exception_fp_ieee_invalid_op 0
		.amdhsa_exception_fp_denorm_src 0
		.amdhsa_exception_fp_ieee_div_zero 0
		.amdhsa_exception_fp_ieee_overflow 0
		.amdhsa_exception_fp_ieee_underflow 0
		.amdhsa_exception_fp_ieee_inexact 0
		.amdhsa_exception_int_div_zero 0
	.end_amdhsa_kernel
	.section	.text._ZN7rocprim17ROCPRIM_400000_NS6detail17trampoline_kernelINS0_14default_configENS1_33run_length_encode_config_selectorIljNS0_4plusIjEEEEZZNS1_33reduce_by_key_impl_wrapped_configILNS1_25lookback_scan_determinismE0ES3_S7_PKlNS0_17constant_iteratorIjlEEPlSE_SE_S6_NS0_8equal_toIlEEEE10hipError_tPvRmT2_T3_mT4_T5_T6_T7_T8_P12ihipStream_tbENKUlT_T0_E_clISt17integral_constantIbLb0EESX_IbLb1EEEEDaST_SU_EUlST_E_NS1_11comp_targetILNS1_3genE10ELNS1_11target_archE1200ELNS1_3gpuE4ELNS1_3repE0EEENS1_30default_config_static_selectorELNS0_4arch9wavefront6targetE0EEEvT1_,"axG",@progbits,_ZN7rocprim17ROCPRIM_400000_NS6detail17trampoline_kernelINS0_14default_configENS1_33run_length_encode_config_selectorIljNS0_4plusIjEEEEZZNS1_33reduce_by_key_impl_wrapped_configILNS1_25lookback_scan_determinismE0ES3_S7_PKlNS0_17constant_iteratorIjlEEPlSE_SE_S6_NS0_8equal_toIlEEEE10hipError_tPvRmT2_T3_mT4_T5_T6_T7_T8_P12ihipStream_tbENKUlT_T0_E_clISt17integral_constantIbLb0EESX_IbLb1EEEEDaST_SU_EUlST_E_NS1_11comp_targetILNS1_3genE10ELNS1_11target_archE1200ELNS1_3gpuE4ELNS1_3repE0EEENS1_30default_config_static_selectorELNS0_4arch9wavefront6targetE0EEEvT1_,comdat
.Lfunc_end544:
	.size	_ZN7rocprim17ROCPRIM_400000_NS6detail17trampoline_kernelINS0_14default_configENS1_33run_length_encode_config_selectorIljNS0_4plusIjEEEEZZNS1_33reduce_by_key_impl_wrapped_configILNS1_25lookback_scan_determinismE0ES3_S7_PKlNS0_17constant_iteratorIjlEEPlSE_SE_S6_NS0_8equal_toIlEEEE10hipError_tPvRmT2_T3_mT4_T5_T6_T7_T8_P12ihipStream_tbENKUlT_T0_E_clISt17integral_constantIbLb0EESX_IbLb1EEEEDaST_SU_EUlST_E_NS1_11comp_targetILNS1_3genE10ELNS1_11target_archE1200ELNS1_3gpuE4ELNS1_3repE0EEENS1_30default_config_static_selectorELNS0_4arch9wavefront6targetE0EEEvT1_, .Lfunc_end544-_ZN7rocprim17ROCPRIM_400000_NS6detail17trampoline_kernelINS0_14default_configENS1_33run_length_encode_config_selectorIljNS0_4plusIjEEEEZZNS1_33reduce_by_key_impl_wrapped_configILNS1_25lookback_scan_determinismE0ES3_S7_PKlNS0_17constant_iteratorIjlEEPlSE_SE_S6_NS0_8equal_toIlEEEE10hipError_tPvRmT2_T3_mT4_T5_T6_T7_T8_P12ihipStream_tbENKUlT_T0_E_clISt17integral_constantIbLb0EESX_IbLb1EEEEDaST_SU_EUlST_E_NS1_11comp_targetILNS1_3genE10ELNS1_11target_archE1200ELNS1_3gpuE4ELNS1_3repE0EEENS1_30default_config_static_selectorELNS0_4arch9wavefront6targetE0EEEvT1_
                                        ; -- End function
	.set _ZN7rocprim17ROCPRIM_400000_NS6detail17trampoline_kernelINS0_14default_configENS1_33run_length_encode_config_selectorIljNS0_4plusIjEEEEZZNS1_33reduce_by_key_impl_wrapped_configILNS1_25lookback_scan_determinismE0ES3_S7_PKlNS0_17constant_iteratorIjlEEPlSE_SE_S6_NS0_8equal_toIlEEEE10hipError_tPvRmT2_T3_mT4_T5_T6_T7_T8_P12ihipStream_tbENKUlT_T0_E_clISt17integral_constantIbLb0EESX_IbLb1EEEEDaST_SU_EUlST_E_NS1_11comp_targetILNS1_3genE10ELNS1_11target_archE1200ELNS1_3gpuE4ELNS1_3repE0EEENS1_30default_config_static_selectorELNS0_4arch9wavefront6targetE0EEEvT1_.num_vgpr, 0
	.set _ZN7rocprim17ROCPRIM_400000_NS6detail17trampoline_kernelINS0_14default_configENS1_33run_length_encode_config_selectorIljNS0_4plusIjEEEEZZNS1_33reduce_by_key_impl_wrapped_configILNS1_25lookback_scan_determinismE0ES3_S7_PKlNS0_17constant_iteratorIjlEEPlSE_SE_S6_NS0_8equal_toIlEEEE10hipError_tPvRmT2_T3_mT4_T5_T6_T7_T8_P12ihipStream_tbENKUlT_T0_E_clISt17integral_constantIbLb0EESX_IbLb1EEEEDaST_SU_EUlST_E_NS1_11comp_targetILNS1_3genE10ELNS1_11target_archE1200ELNS1_3gpuE4ELNS1_3repE0EEENS1_30default_config_static_selectorELNS0_4arch9wavefront6targetE0EEEvT1_.num_agpr, 0
	.set _ZN7rocprim17ROCPRIM_400000_NS6detail17trampoline_kernelINS0_14default_configENS1_33run_length_encode_config_selectorIljNS0_4plusIjEEEEZZNS1_33reduce_by_key_impl_wrapped_configILNS1_25lookback_scan_determinismE0ES3_S7_PKlNS0_17constant_iteratorIjlEEPlSE_SE_S6_NS0_8equal_toIlEEEE10hipError_tPvRmT2_T3_mT4_T5_T6_T7_T8_P12ihipStream_tbENKUlT_T0_E_clISt17integral_constantIbLb0EESX_IbLb1EEEEDaST_SU_EUlST_E_NS1_11comp_targetILNS1_3genE10ELNS1_11target_archE1200ELNS1_3gpuE4ELNS1_3repE0EEENS1_30default_config_static_selectorELNS0_4arch9wavefront6targetE0EEEvT1_.numbered_sgpr, 0
	.set _ZN7rocprim17ROCPRIM_400000_NS6detail17trampoline_kernelINS0_14default_configENS1_33run_length_encode_config_selectorIljNS0_4plusIjEEEEZZNS1_33reduce_by_key_impl_wrapped_configILNS1_25lookback_scan_determinismE0ES3_S7_PKlNS0_17constant_iteratorIjlEEPlSE_SE_S6_NS0_8equal_toIlEEEE10hipError_tPvRmT2_T3_mT4_T5_T6_T7_T8_P12ihipStream_tbENKUlT_T0_E_clISt17integral_constantIbLb0EESX_IbLb1EEEEDaST_SU_EUlST_E_NS1_11comp_targetILNS1_3genE10ELNS1_11target_archE1200ELNS1_3gpuE4ELNS1_3repE0EEENS1_30default_config_static_selectorELNS0_4arch9wavefront6targetE0EEEvT1_.num_named_barrier, 0
	.set _ZN7rocprim17ROCPRIM_400000_NS6detail17trampoline_kernelINS0_14default_configENS1_33run_length_encode_config_selectorIljNS0_4plusIjEEEEZZNS1_33reduce_by_key_impl_wrapped_configILNS1_25lookback_scan_determinismE0ES3_S7_PKlNS0_17constant_iteratorIjlEEPlSE_SE_S6_NS0_8equal_toIlEEEE10hipError_tPvRmT2_T3_mT4_T5_T6_T7_T8_P12ihipStream_tbENKUlT_T0_E_clISt17integral_constantIbLb0EESX_IbLb1EEEEDaST_SU_EUlST_E_NS1_11comp_targetILNS1_3genE10ELNS1_11target_archE1200ELNS1_3gpuE4ELNS1_3repE0EEENS1_30default_config_static_selectorELNS0_4arch9wavefront6targetE0EEEvT1_.private_seg_size, 0
	.set _ZN7rocprim17ROCPRIM_400000_NS6detail17trampoline_kernelINS0_14default_configENS1_33run_length_encode_config_selectorIljNS0_4plusIjEEEEZZNS1_33reduce_by_key_impl_wrapped_configILNS1_25lookback_scan_determinismE0ES3_S7_PKlNS0_17constant_iteratorIjlEEPlSE_SE_S6_NS0_8equal_toIlEEEE10hipError_tPvRmT2_T3_mT4_T5_T6_T7_T8_P12ihipStream_tbENKUlT_T0_E_clISt17integral_constantIbLb0EESX_IbLb1EEEEDaST_SU_EUlST_E_NS1_11comp_targetILNS1_3genE10ELNS1_11target_archE1200ELNS1_3gpuE4ELNS1_3repE0EEENS1_30default_config_static_selectorELNS0_4arch9wavefront6targetE0EEEvT1_.uses_vcc, 0
	.set _ZN7rocprim17ROCPRIM_400000_NS6detail17trampoline_kernelINS0_14default_configENS1_33run_length_encode_config_selectorIljNS0_4plusIjEEEEZZNS1_33reduce_by_key_impl_wrapped_configILNS1_25lookback_scan_determinismE0ES3_S7_PKlNS0_17constant_iteratorIjlEEPlSE_SE_S6_NS0_8equal_toIlEEEE10hipError_tPvRmT2_T3_mT4_T5_T6_T7_T8_P12ihipStream_tbENKUlT_T0_E_clISt17integral_constantIbLb0EESX_IbLb1EEEEDaST_SU_EUlST_E_NS1_11comp_targetILNS1_3genE10ELNS1_11target_archE1200ELNS1_3gpuE4ELNS1_3repE0EEENS1_30default_config_static_selectorELNS0_4arch9wavefront6targetE0EEEvT1_.uses_flat_scratch, 0
	.set _ZN7rocprim17ROCPRIM_400000_NS6detail17trampoline_kernelINS0_14default_configENS1_33run_length_encode_config_selectorIljNS0_4plusIjEEEEZZNS1_33reduce_by_key_impl_wrapped_configILNS1_25lookback_scan_determinismE0ES3_S7_PKlNS0_17constant_iteratorIjlEEPlSE_SE_S6_NS0_8equal_toIlEEEE10hipError_tPvRmT2_T3_mT4_T5_T6_T7_T8_P12ihipStream_tbENKUlT_T0_E_clISt17integral_constantIbLb0EESX_IbLb1EEEEDaST_SU_EUlST_E_NS1_11comp_targetILNS1_3genE10ELNS1_11target_archE1200ELNS1_3gpuE4ELNS1_3repE0EEENS1_30default_config_static_selectorELNS0_4arch9wavefront6targetE0EEEvT1_.has_dyn_sized_stack, 0
	.set _ZN7rocprim17ROCPRIM_400000_NS6detail17trampoline_kernelINS0_14default_configENS1_33run_length_encode_config_selectorIljNS0_4plusIjEEEEZZNS1_33reduce_by_key_impl_wrapped_configILNS1_25lookback_scan_determinismE0ES3_S7_PKlNS0_17constant_iteratorIjlEEPlSE_SE_S6_NS0_8equal_toIlEEEE10hipError_tPvRmT2_T3_mT4_T5_T6_T7_T8_P12ihipStream_tbENKUlT_T0_E_clISt17integral_constantIbLb0EESX_IbLb1EEEEDaST_SU_EUlST_E_NS1_11comp_targetILNS1_3genE10ELNS1_11target_archE1200ELNS1_3gpuE4ELNS1_3repE0EEENS1_30default_config_static_selectorELNS0_4arch9wavefront6targetE0EEEvT1_.has_recursion, 0
	.set _ZN7rocprim17ROCPRIM_400000_NS6detail17trampoline_kernelINS0_14default_configENS1_33run_length_encode_config_selectorIljNS0_4plusIjEEEEZZNS1_33reduce_by_key_impl_wrapped_configILNS1_25lookback_scan_determinismE0ES3_S7_PKlNS0_17constant_iteratorIjlEEPlSE_SE_S6_NS0_8equal_toIlEEEE10hipError_tPvRmT2_T3_mT4_T5_T6_T7_T8_P12ihipStream_tbENKUlT_T0_E_clISt17integral_constantIbLb0EESX_IbLb1EEEEDaST_SU_EUlST_E_NS1_11comp_targetILNS1_3genE10ELNS1_11target_archE1200ELNS1_3gpuE4ELNS1_3repE0EEENS1_30default_config_static_selectorELNS0_4arch9wavefront6targetE0EEEvT1_.has_indirect_call, 0
	.section	.AMDGPU.csdata,"",@progbits
; Kernel info:
; codeLenInByte = 0
; TotalNumSgprs: 0
; NumVgprs: 0
; ScratchSize: 0
; MemoryBound: 0
; FloatMode: 240
; IeeeMode: 1
; LDSByteSize: 0 bytes/workgroup (compile time only)
; SGPRBlocks: 0
; VGPRBlocks: 0
; NumSGPRsForWavesPerEU: 1
; NumVGPRsForWavesPerEU: 1
; NamedBarCnt: 0
; Occupancy: 16
; WaveLimiterHint : 0
; COMPUTE_PGM_RSRC2:SCRATCH_EN: 0
; COMPUTE_PGM_RSRC2:USER_SGPR: 2
; COMPUTE_PGM_RSRC2:TRAP_HANDLER: 0
; COMPUTE_PGM_RSRC2:TGID_X_EN: 1
; COMPUTE_PGM_RSRC2:TGID_Y_EN: 0
; COMPUTE_PGM_RSRC2:TGID_Z_EN: 0
; COMPUTE_PGM_RSRC2:TIDIG_COMP_CNT: 0
	.section	.text._ZN7rocprim17ROCPRIM_400000_NS6detail17trampoline_kernelINS0_14default_configENS1_33run_length_encode_config_selectorIljNS0_4plusIjEEEEZZNS1_33reduce_by_key_impl_wrapped_configILNS1_25lookback_scan_determinismE0ES3_S7_PKlNS0_17constant_iteratorIjlEEPlSE_SE_S6_NS0_8equal_toIlEEEE10hipError_tPvRmT2_T3_mT4_T5_T6_T7_T8_P12ihipStream_tbENKUlT_T0_E_clISt17integral_constantIbLb0EESX_IbLb1EEEEDaST_SU_EUlST_E_NS1_11comp_targetILNS1_3genE9ELNS1_11target_archE1100ELNS1_3gpuE3ELNS1_3repE0EEENS1_30default_config_static_selectorELNS0_4arch9wavefront6targetE0EEEvT1_,"axG",@progbits,_ZN7rocprim17ROCPRIM_400000_NS6detail17trampoline_kernelINS0_14default_configENS1_33run_length_encode_config_selectorIljNS0_4plusIjEEEEZZNS1_33reduce_by_key_impl_wrapped_configILNS1_25lookback_scan_determinismE0ES3_S7_PKlNS0_17constant_iteratorIjlEEPlSE_SE_S6_NS0_8equal_toIlEEEE10hipError_tPvRmT2_T3_mT4_T5_T6_T7_T8_P12ihipStream_tbENKUlT_T0_E_clISt17integral_constantIbLb0EESX_IbLb1EEEEDaST_SU_EUlST_E_NS1_11comp_targetILNS1_3genE9ELNS1_11target_archE1100ELNS1_3gpuE3ELNS1_3repE0EEENS1_30default_config_static_selectorELNS0_4arch9wavefront6targetE0EEEvT1_,comdat
	.protected	_ZN7rocprim17ROCPRIM_400000_NS6detail17trampoline_kernelINS0_14default_configENS1_33run_length_encode_config_selectorIljNS0_4plusIjEEEEZZNS1_33reduce_by_key_impl_wrapped_configILNS1_25lookback_scan_determinismE0ES3_S7_PKlNS0_17constant_iteratorIjlEEPlSE_SE_S6_NS0_8equal_toIlEEEE10hipError_tPvRmT2_T3_mT4_T5_T6_T7_T8_P12ihipStream_tbENKUlT_T0_E_clISt17integral_constantIbLb0EESX_IbLb1EEEEDaST_SU_EUlST_E_NS1_11comp_targetILNS1_3genE9ELNS1_11target_archE1100ELNS1_3gpuE3ELNS1_3repE0EEENS1_30default_config_static_selectorELNS0_4arch9wavefront6targetE0EEEvT1_ ; -- Begin function _ZN7rocprim17ROCPRIM_400000_NS6detail17trampoline_kernelINS0_14default_configENS1_33run_length_encode_config_selectorIljNS0_4plusIjEEEEZZNS1_33reduce_by_key_impl_wrapped_configILNS1_25lookback_scan_determinismE0ES3_S7_PKlNS0_17constant_iteratorIjlEEPlSE_SE_S6_NS0_8equal_toIlEEEE10hipError_tPvRmT2_T3_mT4_T5_T6_T7_T8_P12ihipStream_tbENKUlT_T0_E_clISt17integral_constantIbLb0EESX_IbLb1EEEEDaST_SU_EUlST_E_NS1_11comp_targetILNS1_3genE9ELNS1_11target_archE1100ELNS1_3gpuE3ELNS1_3repE0EEENS1_30default_config_static_selectorELNS0_4arch9wavefront6targetE0EEEvT1_
	.globl	_ZN7rocprim17ROCPRIM_400000_NS6detail17trampoline_kernelINS0_14default_configENS1_33run_length_encode_config_selectorIljNS0_4plusIjEEEEZZNS1_33reduce_by_key_impl_wrapped_configILNS1_25lookback_scan_determinismE0ES3_S7_PKlNS0_17constant_iteratorIjlEEPlSE_SE_S6_NS0_8equal_toIlEEEE10hipError_tPvRmT2_T3_mT4_T5_T6_T7_T8_P12ihipStream_tbENKUlT_T0_E_clISt17integral_constantIbLb0EESX_IbLb1EEEEDaST_SU_EUlST_E_NS1_11comp_targetILNS1_3genE9ELNS1_11target_archE1100ELNS1_3gpuE3ELNS1_3repE0EEENS1_30default_config_static_selectorELNS0_4arch9wavefront6targetE0EEEvT1_
	.p2align	8
	.type	_ZN7rocprim17ROCPRIM_400000_NS6detail17trampoline_kernelINS0_14default_configENS1_33run_length_encode_config_selectorIljNS0_4plusIjEEEEZZNS1_33reduce_by_key_impl_wrapped_configILNS1_25lookback_scan_determinismE0ES3_S7_PKlNS0_17constant_iteratorIjlEEPlSE_SE_S6_NS0_8equal_toIlEEEE10hipError_tPvRmT2_T3_mT4_T5_T6_T7_T8_P12ihipStream_tbENKUlT_T0_E_clISt17integral_constantIbLb0EESX_IbLb1EEEEDaST_SU_EUlST_E_NS1_11comp_targetILNS1_3genE9ELNS1_11target_archE1100ELNS1_3gpuE3ELNS1_3repE0EEENS1_30default_config_static_selectorELNS0_4arch9wavefront6targetE0EEEvT1_,@function
_ZN7rocprim17ROCPRIM_400000_NS6detail17trampoline_kernelINS0_14default_configENS1_33run_length_encode_config_selectorIljNS0_4plusIjEEEEZZNS1_33reduce_by_key_impl_wrapped_configILNS1_25lookback_scan_determinismE0ES3_S7_PKlNS0_17constant_iteratorIjlEEPlSE_SE_S6_NS0_8equal_toIlEEEE10hipError_tPvRmT2_T3_mT4_T5_T6_T7_T8_P12ihipStream_tbENKUlT_T0_E_clISt17integral_constantIbLb0EESX_IbLb1EEEEDaST_SU_EUlST_E_NS1_11comp_targetILNS1_3genE9ELNS1_11target_archE1100ELNS1_3gpuE3ELNS1_3repE0EEENS1_30default_config_static_selectorELNS0_4arch9wavefront6targetE0EEEvT1_: ; @_ZN7rocprim17ROCPRIM_400000_NS6detail17trampoline_kernelINS0_14default_configENS1_33run_length_encode_config_selectorIljNS0_4plusIjEEEEZZNS1_33reduce_by_key_impl_wrapped_configILNS1_25lookback_scan_determinismE0ES3_S7_PKlNS0_17constant_iteratorIjlEEPlSE_SE_S6_NS0_8equal_toIlEEEE10hipError_tPvRmT2_T3_mT4_T5_T6_T7_T8_P12ihipStream_tbENKUlT_T0_E_clISt17integral_constantIbLb0EESX_IbLb1EEEEDaST_SU_EUlST_E_NS1_11comp_targetILNS1_3genE9ELNS1_11target_archE1100ELNS1_3gpuE3ELNS1_3repE0EEENS1_30default_config_static_selectorELNS0_4arch9wavefront6targetE0EEEvT1_
; %bb.0:
	.section	.rodata,"a",@progbits
	.p2align	6, 0x0
	.amdhsa_kernel _ZN7rocprim17ROCPRIM_400000_NS6detail17trampoline_kernelINS0_14default_configENS1_33run_length_encode_config_selectorIljNS0_4plusIjEEEEZZNS1_33reduce_by_key_impl_wrapped_configILNS1_25lookback_scan_determinismE0ES3_S7_PKlNS0_17constant_iteratorIjlEEPlSE_SE_S6_NS0_8equal_toIlEEEE10hipError_tPvRmT2_T3_mT4_T5_T6_T7_T8_P12ihipStream_tbENKUlT_T0_E_clISt17integral_constantIbLb0EESX_IbLb1EEEEDaST_SU_EUlST_E_NS1_11comp_targetILNS1_3genE9ELNS1_11target_archE1100ELNS1_3gpuE3ELNS1_3repE0EEENS1_30default_config_static_selectorELNS0_4arch9wavefront6targetE0EEEvT1_
		.amdhsa_group_segment_fixed_size 0
		.amdhsa_private_segment_fixed_size 0
		.amdhsa_kernarg_size 128
		.amdhsa_user_sgpr_count 2
		.amdhsa_user_sgpr_dispatch_ptr 0
		.amdhsa_user_sgpr_queue_ptr 0
		.amdhsa_user_sgpr_kernarg_segment_ptr 1
		.amdhsa_user_sgpr_dispatch_id 0
		.amdhsa_user_sgpr_kernarg_preload_length 0
		.amdhsa_user_sgpr_kernarg_preload_offset 0
		.amdhsa_user_sgpr_private_segment_size 0
		.amdhsa_wavefront_size32 1
		.amdhsa_uses_dynamic_stack 0
		.amdhsa_enable_private_segment 0
		.amdhsa_system_sgpr_workgroup_id_x 1
		.amdhsa_system_sgpr_workgroup_id_y 0
		.amdhsa_system_sgpr_workgroup_id_z 0
		.amdhsa_system_sgpr_workgroup_info 0
		.amdhsa_system_vgpr_workitem_id 0
		.amdhsa_next_free_vgpr 1
		.amdhsa_next_free_sgpr 1
		.amdhsa_named_barrier_count 0
		.amdhsa_reserve_vcc 0
		.amdhsa_float_round_mode_32 0
		.amdhsa_float_round_mode_16_64 0
		.amdhsa_float_denorm_mode_32 3
		.amdhsa_float_denorm_mode_16_64 3
		.amdhsa_fp16_overflow 0
		.amdhsa_memory_ordered 1
		.amdhsa_forward_progress 1
		.amdhsa_inst_pref_size 0
		.amdhsa_round_robin_scheduling 0
		.amdhsa_exception_fp_ieee_invalid_op 0
		.amdhsa_exception_fp_denorm_src 0
		.amdhsa_exception_fp_ieee_div_zero 0
		.amdhsa_exception_fp_ieee_overflow 0
		.amdhsa_exception_fp_ieee_underflow 0
		.amdhsa_exception_fp_ieee_inexact 0
		.amdhsa_exception_int_div_zero 0
	.end_amdhsa_kernel
	.section	.text._ZN7rocprim17ROCPRIM_400000_NS6detail17trampoline_kernelINS0_14default_configENS1_33run_length_encode_config_selectorIljNS0_4plusIjEEEEZZNS1_33reduce_by_key_impl_wrapped_configILNS1_25lookback_scan_determinismE0ES3_S7_PKlNS0_17constant_iteratorIjlEEPlSE_SE_S6_NS0_8equal_toIlEEEE10hipError_tPvRmT2_T3_mT4_T5_T6_T7_T8_P12ihipStream_tbENKUlT_T0_E_clISt17integral_constantIbLb0EESX_IbLb1EEEEDaST_SU_EUlST_E_NS1_11comp_targetILNS1_3genE9ELNS1_11target_archE1100ELNS1_3gpuE3ELNS1_3repE0EEENS1_30default_config_static_selectorELNS0_4arch9wavefront6targetE0EEEvT1_,"axG",@progbits,_ZN7rocprim17ROCPRIM_400000_NS6detail17trampoline_kernelINS0_14default_configENS1_33run_length_encode_config_selectorIljNS0_4plusIjEEEEZZNS1_33reduce_by_key_impl_wrapped_configILNS1_25lookback_scan_determinismE0ES3_S7_PKlNS0_17constant_iteratorIjlEEPlSE_SE_S6_NS0_8equal_toIlEEEE10hipError_tPvRmT2_T3_mT4_T5_T6_T7_T8_P12ihipStream_tbENKUlT_T0_E_clISt17integral_constantIbLb0EESX_IbLb1EEEEDaST_SU_EUlST_E_NS1_11comp_targetILNS1_3genE9ELNS1_11target_archE1100ELNS1_3gpuE3ELNS1_3repE0EEENS1_30default_config_static_selectorELNS0_4arch9wavefront6targetE0EEEvT1_,comdat
.Lfunc_end545:
	.size	_ZN7rocprim17ROCPRIM_400000_NS6detail17trampoline_kernelINS0_14default_configENS1_33run_length_encode_config_selectorIljNS0_4plusIjEEEEZZNS1_33reduce_by_key_impl_wrapped_configILNS1_25lookback_scan_determinismE0ES3_S7_PKlNS0_17constant_iteratorIjlEEPlSE_SE_S6_NS0_8equal_toIlEEEE10hipError_tPvRmT2_T3_mT4_T5_T6_T7_T8_P12ihipStream_tbENKUlT_T0_E_clISt17integral_constantIbLb0EESX_IbLb1EEEEDaST_SU_EUlST_E_NS1_11comp_targetILNS1_3genE9ELNS1_11target_archE1100ELNS1_3gpuE3ELNS1_3repE0EEENS1_30default_config_static_selectorELNS0_4arch9wavefront6targetE0EEEvT1_, .Lfunc_end545-_ZN7rocprim17ROCPRIM_400000_NS6detail17trampoline_kernelINS0_14default_configENS1_33run_length_encode_config_selectorIljNS0_4plusIjEEEEZZNS1_33reduce_by_key_impl_wrapped_configILNS1_25lookback_scan_determinismE0ES3_S7_PKlNS0_17constant_iteratorIjlEEPlSE_SE_S6_NS0_8equal_toIlEEEE10hipError_tPvRmT2_T3_mT4_T5_T6_T7_T8_P12ihipStream_tbENKUlT_T0_E_clISt17integral_constantIbLb0EESX_IbLb1EEEEDaST_SU_EUlST_E_NS1_11comp_targetILNS1_3genE9ELNS1_11target_archE1100ELNS1_3gpuE3ELNS1_3repE0EEENS1_30default_config_static_selectorELNS0_4arch9wavefront6targetE0EEEvT1_
                                        ; -- End function
	.set _ZN7rocprim17ROCPRIM_400000_NS6detail17trampoline_kernelINS0_14default_configENS1_33run_length_encode_config_selectorIljNS0_4plusIjEEEEZZNS1_33reduce_by_key_impl_wrapped_configILNS1_25lookback_scan_determinismE0ES3_S7_PKlNS0_17constant_iteratorIjlEEPlSE_SE_S6_NS0_8equal_toIlEEEE10hipError_tPvRmT2_T3_mT4_T5_T6_T7_T8_P12ihipStream_tbENKUlT_T0_E_clISt17integral_constantIbLb0EESX_IbLb1EEEEDaST_SU_EUlST_E_NS1_11comp_targetILNS1_3genE9ELNS1_11target_archE1100ELNS1_3gpuE3ELNS1_3repE0EEENS1_30default_config_static_selectorELNS0_4arch9wavefront6targetE0EEEvT1_.num_vgpr, 0
	.set _ZN7rocprim17ROCPRIM_400000_NS6detail17trampoline_kernelINS0_14default_configENS1_33run_length_encode_config_selectorIljNS0_4plusIjEEEEZZNS1_33reduce_by_key_impl_wrapped_configILNS1_25lookback_scan_determinismE0ES3_S7_PKlNS0_17constant_iteratorIjlEEPlSE_SE_S6_NS0_8equal_toIlEEEE10hipError_tPvRmT2_T3_mT4_T5_T6_T7_T8_P12ihipStream_tbENKUlT_T0_E_clISt17integral_constantIbLb0EESX_IbLb1EEEEDaST_SU_EUlST_E_NS1_11comp_targetILNS1_3genE9ELNS1_11target_archE1100ELNS1_3gpuE3ELNS1_3repE0EEENS1_30default_config_static_selectorELNS0_4arch9wavefront6targetE0EEEvT1_.num_agpr, 0
	.set _ZN7rocprim17ROCPRIM_400000_NS6detail17trampoline_kernelINS0_14default_configENS1_33run_length_encode_config_selectorIljNS0_4plusIjEEEEZZNS1_33reduce_by_key_impl_wrapped_configILNS1_25lookback_scan_determinismE0ES3_S7_PKlNS0_17constant_iteratorIjlEEPlSE_SE_S6_NS0_8equal_toIlEEEE10hipError_tPvRmT2_T3_mT4_T5_T6_T7_T8_P12ihipStream_tbENKUlT_T0_E_clISt17integral_constantIbLb0EESX_IbLb1EEEEDaST_SU_EUlST_E_NS1_11comp_targetILNS1_3genE9ELNS1_11target_archE1100ELNS1_3gpuE3ELNS1_3repE0EEENS1_30default_config_static_selectorELNS0_4arch9wavefront6targetE0EEEvT1_.numbered_sgpr, 0
	.set _ZN7rocprim17ROCPRIM_400000_NS6detail17trampoline_kernelINS0_14default_configENS1_33run_length_encode_config_selectorIljNS0_4plusIjEEEEZZNS1_33reduce_by_key_impl_wrapped_configILNS1_25lookback_scan_determinismE0ES3_S7_PKlNS0_17constant_iteratorIjlEEPlSE_SE_S6_NS0_8equal_toIlEEEE10hipError_tPvRmT2_T3_mT4_T5_T6_T7_T8_P12ihipStream_tbENKUlT_T0_E_clISt17integral_constantIbLb0EESX_IbLb1EEEEDaST_SU_EUlST_E_NS1_11comp_targetILNS1_3genE9ELNS1_11target_archE1100ELNS1_3gpuE3ELNS1_3repE0EEENS1_30default_config_static_selectorELNS0_4arch9wavefront6targetE0EEEvT1_.num_named_barrier, 0
	.set _ZN7rocprim17ROCPRIM_400000_NS6detail17trampoline_kernelINS0_14default_configENS1_33run_length_encode_config_selectorIljNS0_4plusIjEEEEZZNS1_33reduce_by_key_impl_wrapped_configILNS1_25lookback_scan_determinismE0ES3_S7_PKlNS0_17constant_iteratorIjlEEPlSE_SE_S6_NS0_8equal_toIlEEEE10hipError_tPvRmT2_T3_mT4_T5_T6_T7_T8_P12ihipStream_tbENKUlT_T0_E_clISt17integral_constantIbLb0EESX_IbLb1EEEEDaST_SU_EUlST_E_NS1_11comp_targetILNS1_3genE9ELNS1_11target_archE1100ELNS1_3gpuE3ELNS1_3repE0EEENS1_30default_config_static_selectorELNS0_4arch9wavefront6targetE0EEEvT1_.private_seg_size, 0
	.set _ZN7rocprim17ROCPRIM_400000_NS6detail17trampoline_kernelINS0_14default_configENS1_33run_length_encode_config_selectorIljNS0_4plusIjEEEEZZNS1_33reduce_by_key_impl_wrapped_configILNS1_25lookback_scan_determinismE0ES3_S7_PKlNS0_17constant_iteratorIjlEEPlSE_SE_S6_NS0_8equal_toIlEEEE10hipError_tPvRmT2_T3_mT4_T5_T6_T7_T8_P12ihipStream_tbENKUlT_T0_E_clISt17integral_constantIbLb0EESX_IbLb1EEEEDaST_SU_EUlST_E_NS1_11comp_targetILNS1_3genE9ELNS1_11target_archE1100ELNS1_3gpuE3ELNS1_3repE0EEENS1_30default_config_static_selectorELNS0_4arch9wavefront6targetE0EEEvT1_.uses_vcc, 0
	.set _ZN7rocprim17ROCPRIM_400000_NS6detail17trampoline_kernelINS0_14default_configENS1_33run_length_encode_config_selectorIljNS0_4plusIjEEEEZZNS1_33reduce_by_key_impl_wrapped_configILNS1_25lookback_scan_determinismE0ES3_S7_PKlNS0_17constant_iteratorIjlEEPlSE_SE_S6_NS0_8equal_toIlEEEE10hipError_tPvRmT2_T3_mT4_T5_T6_T7_T8_P12ihipStream_tbENKUlT_T0_E_clISt17integral_constantIbLb0EESX_IbLb1EEEEDaST_SU_EUlST_E_NS1_11comp_targetILNS1_3genE9ELNS1_11target_archE1100ELNS1_3gpuE3ELNS1_3repE0EEENS1_30default_config_static_selectorELNS0_4arch9wavefront6targetE0EEEvT1_.uses_flat_scratch, 0
	.set _ZN7rocprim17ROCPRIM_400000_NS6detail17trampoline_kernelINS0_14default_configENS1_33run_length_encode_config_selectorIljNS0_4plusIjEEEEZZNS1_33reduce_by_key_impl_wrapped_configILNS1_25lookback_scan_determinismE0ES3_S7_PKlNS0_17constant_iteratorIjlEEPlSE_SE_S6_NS0_8equal_toIlEEEE10hipError_tPvRmT2_T3_mT4_T5_T6_T7_T8_P12ihipStream_tbENKUlT_T0_E_clISt17integral_constantIbLb0EESX_IbLb1EEEEDaST_SU_EUlST_E_NS1_11comp_targetILNS1_3genE9ELNS1_11target_archE1100ELNS1_3gpuE3ELNS1_3repE0EEENS1_30default_config_static_selectorELNS0_4arch9wavefront6targetE0EEEvT1_.has_dyn_sized_stack, 0
	.set _ZN7rocprim17ROCPRIM_400000_NS6detail17trampoline_kernelINS0_14default_configENS1_33run_length_encode_config_selectorIljNS0_4plusIjEEEEZZNS1_33reduce_by_key_impl_wrapped_configILNS1_25lookback_scan_determinismE0ES3_S7_PKlNS0_17constant_iteratorIjlEEPlSE_SE_S6_NS0_8equal_toIlEEEE10hipError_tPvRmT2_T3_mT4_T5_T6_T7_T8_P12ihipStream_tbENKUlT_T0_E_clISt17integral_constantIbLb0EESX_IbLb1EEEEDaST_SU_EUlST_E_NS1_11comp_targetILNS1_3genE9ELNS1_11target_archE1100ELNS1_3gpuE3ELNS1_3repE0EEENS1_30default_config_static_selectorELNS0_4arch9wavefront6targetE0EEEvT1_.has_recursion, 0
	.set _ZN7rocprim17ROCPRIM_400000_NS6detail17trampoline_kernelINS0_14default_configENS1_33run_length_encode_config_selectorIljNS0_4plusIjEEEEZZNS1_33reduce_by_key_impl_wrapped_configILNS1_25lookback_scan_determinismE0ES3_S7_PKlNS0_17constant_iteratorIjlEEPlSE_SE_S6_NS0_8equal_toIlEEEE10hipError_tPvRmT2_T3_mT4_T5_T6_T7_T8_P12ihipStream_tbENKUlT_T0_E_clISt17integral_constantIbLb0EESX_IbLb1EEEEDaST_SU_EUlST_E_NS1_11comp_targetILNS1_3genE9ELNS1_11target_archE1100ELNS1_3gpuE3ELNS1_3repE0EEENS1_30default_config_static_selectorELNS0_4arch9wavefront6targetE0EEEvT1_.has_indirect_call, 0
	.section	.AMDGPU.csdata,"",@progbits
; Kernel info:
; codeLenInByte = 0
; TotalNumSgprs: 0
; NumVgprs: 0
; ScratchSize: 0
; MemoryBound: 0
; FloatMode: 240
; IeeeMode: 1
; LDSByteSize: 0 bytes/workgroup (compile time only)
; SGPRBlocks: 0
; VGPRBlocks: 0
; NumSGPRsForWavesPerEU: 1
; NumVGPRsForWavesPerEU: 1
; NamedBarCnt: 0
; Occupancy: 16
; WaveLimiterHint : 0
; COMPUTE_PGM_RSRC2:SCRATCH_EN: 0
; COMPUTE_PGM_RSRC2:USER_SGPR: 2
; COMPUTE_PGM_RSRC2:TRAP_HANDLER: 0
; COMPUTE_PGM_RSRC2:TGID_X_EN: 1
; COMPUTE_PGM_RSRC2:TGID_Y_EN: 0
; COMPUTE_PGM_RSRC2:TGID_Z_EN: 0
; COMPUTE_PGM_RSRC2:TIDIG_COMP_CNT: 0
	.section	.text._ZN7rocprim17ROCPRIM_400000_NS6detail17trampoline_kernelINS0_14default_configENS1_33run_length_encode_config_selectorIljNS0_4plusIjEEEEZZNS1_33reduce_by_key_impl_wrapped_configILNS1_25lookback_scan_determinismE0ES3_S7_PKlNS0_17constant_iteratorIjlEEPlSE_SE_S6_NS0_8equal_toIlEEEE10hipError_tPvRmT2_T3_mT4_T5_T6_T7_T8_P12ihipStream_tbENKUlT_T0_E_clISt17integral_constantIbLb0EESX_IbLb1EEEEDaST_SU_EUlST_E_NS1_11comp_targetILNS1_3genE8ELNS1_11target_archE1030ELNS1_3gpuE2ELNS1_3repE0EEENS1_30default_config_static_selectorELNS0_4arch9wavefront6targetE0EEEvT1_,"axG",@progbits,_ZN7rocprim17ROCPRIM_400000_NS6detail17trampoline_kernelINS0_14default_configENS1_33run_length_encode_config_selectorIljNS0_4plusIjEEEEZZNS1_33reduce_by_key_impl_wrapped_configILNS1_25lookback_scan_determinismE0ES3_S7_PKlNS0_17constant_iteratorIjlEEPlSE_SE_S6_NS0_8equal_toIlEEEE10hipError_tPvRmT2_T3_mT4_T5_T6_T7_T8_P12ihipStream_tbENKUlT_T0_E_clISt17integral_constantIbLb0EESX_IbLb1EEEEDaST_SU_EUlST_E_NS1_11comp_targetILNS1_3genE8ELNS1_11target_archE1030ELNS1_3gpuE2ELNS1_3repE0EEENS1_30default_config_static_selectorELNS0_4arch9wavefront6targetE0EEEvT1_,comdat
	.protected	_ZN7rocprim17ROCPRIM_400000_NS6detail17trampoline_kernelINS0_14default_configENS1_33run_length_encode_config_selectorIljNS0_4plusIjEEEEZZNS1_33reduce_by_key_impl_wrapped_configILNS1_25lookback_scan_determinismE0ES3_S7_PKlNS0_17constant_iteratorIjlEEPlSE_SE_S6_NS0_8equal_toIlEEEE10hipError_tPvRmT2_T3_mT4_T5_T6_T7_T8_P12ihipStream_tbENKUlT_T0_E_clISt17integral_constantIbLb0EESX_IbLb1EEEEDaST_SU_EUlST_E_NS1_11comp_targetILNS1_3genE8ELNS1_11target_archE1030ELNS1_3gpuE2ELNS1_3repE0EEENS1_30default_config_static_selectorELNS0_4arch9wavefront6targetE0EEEvT1_ ; -- Begin function _ZN7rocprim17ROCPRIM_400000_NS6detail17trampoline_kernelINS0_14default_configENS1_33run_length_encode_config_selectorIljNS0_4plusIjEEEEZZNS1_33reduce_by_key_impl_wrapped_configILNS1_25lookback_scan_determinismE0ES3_S7_PKlNS0_17constant_iteratorIjlEEPlSE_SE_S6_NS0_8equal_toIlEEEE10hipError_tPvRmT2_T3_mT4_T5_T6_T7_T8_P12ihipStream_tbENKUlT_T0_E_clISt17integral_constantIbLb0EESX_IbLb1EEEEDaST_SU_EUlST_E_NS1_11comp_targetILNS1_3genE8ELNS1_11target_archE1030ELNS1_3gpuE2ELNS1_3repE0EEENS1_30default_config_static_selectorELNS0_4arch9wavefront6targetE0EEEvT1_
	.globl	_ZN7rocprim17ROCPRIM_400000_NS6detail17trampoline_kernelINS0_14default_configENS1_33run_length_encode_config_selectorIljNS0_4plusIjEEEEZZNS1_33reduce_by_key_impl_wrapped_configILNS1_25lookback_scan_determinismE0ES3_S7_PKlNS0_17constant_iteratorIjlEEPlSE_SE_S6_NS0_8equal_toIlEEEE10hipError_tPvRmT2_T3_mT4_T5_T6_T7_T8_P12ihipStream_tbENKUlT_T0_E_clISt17integral_constantIbLb0EESX_IbLb1EEEEDaST_SU_EUlST_E_NS1_11comp_targetILNS1_3genE8ELNS1_11target_archE1030ELNS1_3gpuE2ELNS1_3repE0EEENS1_30default_config_static_selectorELNS0_4arch9wavefront6targetE0EEEvT1_
	.p2align	8
	.type	_ZN7rocprim17ROCPRIM_400000_NS6detail17trampoline_kernelINS0_14default_configENS1_33run_length_encode_config_selectorIljNS0_4plusIjEEEEZZNS1_33reduce_by_key_impl_wrapped_configILNS1_25lookback_scan_determinismE0ES3_S7_PKlNS0_17constant_iteratorIjlEEPlSE_SE_S6_NS0_8equal_toIlEEEE10hipError_tPvRmT2_T3_mT4_T5_T6_T7_T8_P12ihipStream_tbENKUlT_T0_E_clISt17integral_constantIbLb0EESX_IbLb1EEEEDaST_SU_EUlST_E_NS1_11comp_targetILNS1_3genE8ELNS1_11target_archE1030ELNS1_3gpuE2ELNS1_3repE0EEENS1_30default_config_static_selectorELNS0_4arch9wavefront6targetE0EEEvT1_,@function
_ZN7rocprim17ROCPRIM_400000_NS6detail17trampoline_kernelINS0_14default_configENS1_33run_length_encode_config_selectorIljNS0_4plusIjEEEEZZNS1_33reduce_by_key_impl_wrapped_configILNS1_25lookback_scan_determinismE0ES3_S7_PKlNS0_17constant_iteratorIjlEEPlSE_SE_S6_NS0_8equal_toIlEEEE10hipError_tPvRmT2_T3_mT4_T5_T6_T7_T8_P12ihipStream_tbENKUlT_T0_E_clISt17integral_constantIbLb0EESX_IbLb1EEEEDaST_SU_EUlST_E_NS1_11comp_targetILNS1_3genE8ELNS1_11target_archE1030ELNS1_3gpuE2ELNS1_3repE0EEENS1_30default_config_static_selectorELNS0_4arch9wavefront6targetE0EEEvT1_: ; @_ZN7rocprim17ROCPRIM_400000_NS6detail17trampoline_kernelINS0_14default_configENS1_33run_length_encode_config_selectorIljNS0_4plusIjEEEEZZNS1_33reduce_by_key_impl_wrapped_configILNS1_25lookback_scan_determinismE0ES3_S7_PKlNS0_17constant_iteratorIjlEEPlSE_SE_S6_NS0_8equal_toIlEEEE10hipError_tPvRmT2_T3_mT4_T5_T6_T7_T8_P12ihipStream_tbENKUlT_T0_E_clISt17integral_constantIbLb0EESX_IbLb1EEEEDaST_SU_EUlST_E_NS1_11comp_targetILNS1_3genE8ELNS1_11target_archE1030ELNS1_3gpuE2ELNS1_3repE0EEENS1_30default_config_static_selectorELNS0_4arch9wavefront6targetE0EEEvT1_
; %bb.0:
	.section	.rodata,"a",@progbits
	.p2align	6, 0x0
	.amdhsa_kernel _ZN7rocprim17ROCPRIM_400000_NS6detail17trampoline_kernelINS0_14default_configENS1_33run_length_encode_config_selectorIljNS0_4plusIjEEEEZZNS1_33reduce_by_key_impl_wrapped_configILNS1_25lookback_scan_determinismE0ES3_S7_PKlNS0_17constant_iteratorIjlEEPlSE_SE_S6_NS0_8equal_toIlEEEE10hipError_tPvRmT2_T3_mT4_T5_T6_T7_T8_P12ihipStream_tbENKUlT_T0_E_clISt17integral_constantIbLb0EESX_IbLb1EEEEDaST_SU_EUlST_E_NS1_11comp_targetILNS1_3genE8ELNS1_11target_archE1030ELNS1_3gpuE2ELNS1_3repE0EEENS1_30default_config_static_selectorELNS0_4arch9wavefront6targetE0EEEvT1_
		.amdhsa_group_segment_fixed_size 0
		.amdhsa_private_segment_fixed_size 0
		.amdhsa_kernarg_size 128
		.amdhsa_user_sgpr_count 2
		.amdhsa_user_sgpr_dispatch_ptr 0
		.amdhsa_user_sgpr_queue_ptr 0
		.amdhsa_user_sgpr_kernarg_segment_ptr 1
		.amdhsa_user_sgpr_dispatch_id 0
		.amdhsa_user_sgpr_kernarg_preload_length 0
		.amdhsa_user_sgpr_kernarg_preload_offset 0
		.amdhsa_user_sgpr_private_segment_size 0
		.amdhsa_wavefront_size32 1
		.amdhsa_uses_dynamic_stack 0
		.amdhsa_enable_private_segment 0
		.amdhsa_system_sgpr_workgroup_id_x 1
		.amdhsa_system_sgpr_workgroup_id_y 0
		.amdhsa_system_sgpr_workgroup_id_z 0
		.amdhsa_system_sgpr_workgroup_info 0
		.amdhsa_system_vgpr_workitem_id 0
		.amdhsa_next_free_vgpr 1
		.amdhsa_next_free_sgpr 1
		.amdhsa_named_barrier_count 0
		.amdhsa_reserve_vcc 0
		.amdhsa_float_round_mode_32 0
		.amdhsa_float_round_mode_16_64 0
		.amdhsa_float_denorm_mode_32 3
		.amdhsa_float_denorm_mode_16_64 3
		.amdhsa_fp16_overflow 0
		.amdhsa_memory_ordered 1
		.amdhsa_forward_progress 1
		.amdhsa_inst_pref_size 0
		.amdhsa_round_robin_scheduling 0
		.amdhsa_exception_fp_ieee_invalid_op 0
		.amdhsa_exception_fp_denorm_src 0
		.amdhsa_exception_fp_ieee_div_zero 0
		.amdhsa_exception_fp_ieee_overflow 0
		.amdhsa_exception_fp_ieee_underflow 0
		.amdhsa_exception_fp_ieee_inexact 0
		.amdhsa_exception_int_div_zero 0
	.end_amdhsa_kernel
	.section	.text._ZN7rocprim17ROCPRIM_400000_NS6detail17trampoline_kernelINS0_14default_configENS1_33run_length_encode_config_selectorIljNS0_4plusIjEEEEZZNS1_33reduce_by_key_impl_wrapped_configILNS1_25lookback_scan_determinismE0ES3_S7_PKlNS0_17constant_iteratorIjlEEPlSE_SE_S6_NS0_8equal_toIlEEEE10hipError_tPvRmT2_T3_mT4_T5_T6_T7_T8_P12ihipStream_tbENKUlT_T0_E_clISt17integral_constantIbLb0EESX_IbLb1EEEEDaST_SU_EUlST_E_NS1_11comp_targetILNS1_3genE8ELNS1_11target_archE1030ELNS1_3gpuE2ELNS1_3repE0EEENS1_30default_config_static_selectorELNS0_4arch9wavefront6targetE0EEEvT1_,"axG",@progbits,_ZN7rocprim17ROCPRIM_400000_NS6detail17trampoline_kernelINS0_14default_configENS1_33run_length_encode_config_selectorIljNS0_4plusIjEEEEZZNS1_33reduce_by_key_impl_wrapped_configILNS1_25lookback_scan_determinismE0ES3_S7_PKlNS0_17constant_iteratorIjlEEPlSE_SE_S6_NS0_8equal_toIlEEEE10hipError_tPvRmT2_T3_mT4_T5_T6_T7_T8_P12ihipStream_tbENKUlT_T0_E_clISt17integral_constantIbLb0EESX_IbLb1EEEEDaST_SU_EUlST_E_NS1_11comp_targetILNS1_3genE8ELNS1_11target_archE1030ELNS1_3gpuE2ELNS1_3repE0EEENS1_30default_config_static_selectorELNS0_4arch9wavefront6targetE0EEEvT1_,comdat
.Lfunc_end546:
	.size	_ZN7rocprim17ROCPRIM_400000_NS6detail17trampoline_kernelINS0_14default_configENS1_33run_length_encode_config_selectorIljNS0_4plusIjEEEEZZNS1_33reduce_by_key_impl_wrapped_configILNS1_25lookback_scan_determinismE0ES3_S7_PKlNS0_17constant_iteratorIjlEEPlSE_SE_S6_NS0_8equal_toIlEEEE10hipError_tPvRmT2_T3_mT4_T5_T6_T7_T8_P12ihipStream_tbENKUlT_T0_E_clISt17integral_constantIbLb0EESX_IbLb1EEEEDaST_SU_EUlST_E_NS1_11comp_targetILNS1_3genE8ELNS1_11target_archE1030ELNS1_3gpuE2ELNS1_3repE0EEENS1_30default_config_static_selectorELNS0_4arch9wavefront6targetE0EEEvT1_, .Lfunc_end546-_ZN7rocprim17ROCPRIM_400000_NS6detail17trampoline_kernelINS0_14default_configENS1_33run_length_encode_config_selectorIljNS0_4plusIjEEEEZZNS1_33reduce_by_key_impl_wrapped_configILNS1_25lookback_scan_determinismE0ES3_S7_PKlNS0_17constant_iteratorIjlEEPlSE_SE_S6_NS0_8equal_toIlEEEE10hipError_tPvRmT2_T3_mT4_T5_T6_T7_T8_P12ihipStream_tbENKUlT_T0_E_clISt17integral_constantIbLb0EESX_IbLb1EEEEDaST_SU_EUlST_E_NS1_11comp_targetILNS1_3genE8ELNS1_11target_archE1030ELNS1_3gpuE2ELNS1_3repE0EEENS1_30default_config_static_selectorELNS0_4arch9wavefront6targetE0EEEvT1_
                                        ; -- End function
	.set _ZN7rocprim17ROCPRIM_400000_NS6detail17trampoline_kernelINS0_14default_configENS1_33run_length_encode_config_selectorIljNS0_4plusIjEEEEZZNS1_33reduce_by_key_impl_wrapped_configILNS1_25lookback_scan_determinismE0ES3_S7_PKlNS0_17constant_iteratorIjlEEPlSE_SE_S6_NS0_8equal_toIlEEEE10hipError_tPvRmT2_T3_mT4_T5_T6_T7_T8_P12ihipStream_tbENKUlT_T0_E_clISt17integral_constantIbLb0EESX_IbLb1EEEEDaST_SU_EUlST_E_NS1_11comp_targetILNS1_3genE8ELNS1_11target_archE1030ELNS1_3gpuE2ELNS1_3repE0EEENS1_30default_config_static_selectorELNS0_4arch9wavefront6targetE0EEEvT1_.num_vgpr, 0
	.set _ZN7rocprim17ROCPRIM_400000_NS6detail17trampoline_kernelINS0_14default_configENS1_33run_length_encode_config_selectorIljNS0_4plusIjEEEEZZNS1_33reduce_by_key_impl_wrapped_configILNS1_25lookback_scan_determinismE0ES3_S7_PKlNS0_17constant_iteratorIjlEEPlSE_SE_S6_NS0_8equal_toIlEEEE10hipError_tPvRmT2_T3_mT4_T5_T6_T7_T8_P12ihipStream_tbENKUlT_T0_E_clISt17integral_constantIbLb0EESX_IbLb1EEEEDaST_SU_EUlST_E_NS1_11comp_targetILNS1_3genE8ELNS1_11target_archE1030ELNS1_3gpuE2ELNS1_3repE0EEENS1_30default_config_static_selectorELNS0_4arch9wavefront6targetE0EEEvT1_.num_agpr, 0
	.set _ZN7rocprim17ROCPRIM_400000_NS6detail17trampoline_kernelINS0_14default_configENS1_33run_length_encode_config_selectorIljNS0_4plusIjEEEEZZNS1_33reduce_by_key_impl_wrapped_configILNS1_25lookback_scan_determinismE0ES3_S7_PKlNS0_17constant_iteratorIjlEEPlSE_SE_S6_NS0_8equal_toIlEEEE10hipError_tPvRmT2_T3_mT4_T5_T6_T7_T8_P12ihipStream_tbENKUlT_T0_E_clISt17integral_constantIbLb0EESX_IbLb1EEEEDaST_SU_EUlST_E_NS1_11comp_targetILNS1_3genE8ELNS1_11target_archE1030ELNS1_3gpuE2ELNS1_3repE0EEENS1_30default_config_static_selectorELNS0_4arch9wavefront6targetE0EEEvT1_.numbered_sgpr, 0
	.set _ZN7rocprim17ROCPRIM_400000_NS6detail17trampoline_kernelINS0_14default_configENS1_33run_length_encode_config_selectorIljNS0_4plusIjEEEEZZNS1_33reduce_by_key_impl_wrapped_configILNS1_25lookback_scan_determinismE0ES3_S7_PKlNS0_17constant_iteratorIjlEEPlSE_SE_S6_NS0_8equal_toIlEEEE10hipError_tPvRmT2_T3_mT4_T5_T6_T7_T8_P12ihipStream_tbENKUlT_T0_E_clISt17integral_constantIbLb0EESX_IbLb1EEEEDaST_SU_EUlST_E_NS1_11comp_targetILNS1_3genE8ELNS1_11target_archE1030ELNS1_3gpuE2ELNS1_3repE0EEENS1_30default_config_static_selectorELNS0_4arch9wavefront6targetE0EEEvT1_.num_named_barrier, 0
	.set _ZN7rocprim17ROCPRIM_400000_NS6detail17trampoline_kernelINS0_14default_configENS1_33run_length_encode_config_selectorIljNS0_4plusIjEEEEZZNS1_33reduce_by_key_impl_wrapped_configILNS1_25lookback_scan_determinismE0ES3_S7_PKlNS0_17constant_iteratorIjlEEPlSE_SE_S6_NS0_8equal_toIlEEEE10hipError_tPvRmT2_T3_mT4_T5_T6_T7_T8_P12ihipStream_tbENKUlT_T0_E_clISt17integral_constantIbLb0EESX_IbLb1EEEEDaST_SU_EUlST_E_NS1_11comp_targetILNS1_3genE8ELNS1_11target_archE1030ELNS1_3gpuE2ELNS1_3repE0EEENS1_30default_config_static_selectorELNS0_4arch9wavefront6targetE0EEEvT1_.private_seg_size, 0
	.set _ZN7rocprim17ROCPRIM_400000_NS6detail17trampoline_kernelINS0_14default_configENS1_33run_length_encode_config_selectorIljNS0_4plusIjEEEEZZNS1_33reduce_by_key_impl_wrapped_configILNS1_25lookback_scan_determinismE0ES3_S7_PKlNS0_17constant_iteratorIjlEEPlSE_SE_S6_NS0_8equal_toIlEEEE10hipError_tPvRmT2_T3_mT4_T5_T6_T7_T8_P12ihipStream_tbENKUlT_T0_E_clISt17integral_constantIbLb0EESX_IbLb1EEEEDaST_SU_EUlST_E_NS1_11comp_targetILNS1_3genE8ELNS1_11target_archE1030ELNS1_3gpuE2ELNS1_3repE0EEENS1_30default_config_static_selectorELNS0_4arch9wavefront6targetE0EEEvT1_.uses_vcc, 0
	.set _ZN7rocprim17ROCPRIM_400000_NS6detail17trampoline_kernelINS0_14default_configENS1_33run_length_encode_config_selectorIljNS0_4plusIjEEEEZZNS1_33reduce_by_key_impl_wrapped_configILNS1_25lookback_scan_determinismE0ES3_S7_PKlNS0_17constant_iteratorIjlEEPlSE_SE_S6_NS0_8equal_toIlEEEE10hipError_tPvRmT2_T3_mT4_T5_T6_T7_T8_P12ihipStream_tbENKUlT_T0_E_clISt17integral_constantIbLb0EESX_IbLb1EEEEDaST_SU_EUlST_E_NS1_11comp_targetILNS1_3genE8ELNS1_11target_archE1030ELNS1_3gpuE2ELNS1_3repE0EEENS1_30default_config_static_selectorELNS0_4arch9wavefront6targetE0EEEvT1_.uses_flat_scratch, 0
	.set _ZN7rocprim17ROCPRIM_400000_NS6detail17trampoline_kernelINS0_14default_configENS1_33run_length_encode_config_selectorIljNS0_4plusIjEEEEZZNS1_33reduce_by_key_impl_wrapped_configILNS1_25lookback_scan_determinismE0ES3_S7_PKlNS0_17constant_iteratorIjlEEPlSE_SE_S6_NS0_8equal_toIlEEEE10hipError_tPvRmT2_T3_mT4_T5_T6_T7_T8_P12ihipStream_tbENKUlT_T0_E_clISt17integral_constantIbLb0EESX_IbLb1EEEEDaST_SU_EUlST_E_NS1_11comp_targetILNS1_3genE8ELNS1_11target_archE1030ELNS1_3gpuE2ELNS1_3repE0EEENS1_30default_config_static_selectorELNS0_4arch9wavefront6targetE0EEEvT1_.has_dyn_sized_stack, 0
	.set _ZN7rocprim17ROCPRIM_400000_NS6detail17trampoline_kernelINS0_14default_configENS1_33run_length_encode_config_selectorIljNS0_4plusIjEEEEZZNS1_33reduce_by_key_impl_wrapped_configILNS1_25lookback_scan_determinismE0ES3_S7_PKlNS0_17constant_iteratorIjlEEPlSE_SE_S6_NS0_8equal_toIlEEEE10hipError_tPvRmT2_T3_mT4_T5_T6_T7_T8_P12ihipStream_tbENKUlT_T0_E_clISt17integral_constantIbLb0EESX_IbLb1EEEEDaST_SU_EUlST_E_NS1_11comp_targetILNS1_3genE8ELNS1_11target_archE1030ELNS1_3gpuE2ELNS1_3repE0EEENS1_30default_config_static_selectorELNS0_4arch9wavefront6targetE0EEEvT1_.has_recursion, 0
	.set _ZN7rocprim17ROCPRIM_400000_NS6detail17trampoline_kernelINS0_14default_configENS1_33run_length_encode_config_selectorIljNS0_4plusIjEEEEZZNS1_33reduce_by_key_impl_wrapped_configILNS1_25lookback_scan_determinismE0ES3_S7_PKlNS0_17constant_iteratorIjlEEPlSE_SE_S6_NS0_8equal_toIlEEEE10hipError_tPvRmT2_T3_mT4_T5_T6_T7_T8_P12ihipStream_tbENKUlT_T0_E_clISt17integral_constantIbLb0EESX_IbLb1EEEEDaST_SU_EUlST_E_NS1_11comp_targetILNS1_3genE8ELNS1_11target_archE1030ELNS1_3gpuE2ELNS1_3repE0EEENS1_30default_config_static_selectorELNS0_4arch9wavefront6targetE0EEEvT1_.has_indirect_call, 0
	.section	.AMDGPU.csdata,"",@progbits
; Kernel info:
; codeLenInByte = 0
; TotalNumSgprs: 0
; NumVgprs: 0
; ScratchSize: 0
; MemoryBound: 0
; FloatMode: 240
; IeeeMode: 1
; LDSByteSize: 0 bytes/workgroup (compile time only)
; SGPRBlocks: 0
; VGPRBlocks: 0
; NumSGPRsForWavesPerEU: 1
; NumVGPRsForWavesPerEU: 1
; NamedBarCnt: 0
; Occupancy: 16
; WaveLimiterHint : 0
; COMPUTE_PGM_RSRC2:SCRATCH_EN: 0
; COMPUTE_PGM_RSRC2:USER_SGPR: 2
; COMPUTE_PGM_RSRC2:TRAP_HANDLER: 0
; COMPUTE_PGM_RSRC2:TGID_X_EN: 1
; COMPUTE_PGM_RSRC2:TGID_Y_EN: 0
; COMPUTE_PGM_RSRC2:TGID_Z_EN: 0
; COMPUTE_PGM_RSRC2:TIDIG_COMP_CNT: 0
	.section	.text._ZN2at6native8internal12_GLOBAL__N_126adjacent_difference_kernelIPKsEEvlT_Pi,"axG",@progbits,_ZN2at6native8internal12_GLOBAL__N_126adjacent_difference_kernelIPKsEEvlT_Pi,comdat
	.globl	_ZN2at6native8internal12_GLOBAL__N_126adjacent_difference_kernelIPKsEEvlT_Pi ; -- Begin function _ZN2at6native8internal12_GLOBAL__N_126adjacent_difference_kernelIPKsEEvlT_Pi
	.p2align	8
	.type	_ZN2at6native8internal12_GLOBAL__N_126adjacent_difference_kernelIPKsEEvlT_Pi,@function
_ZN2at6native8internal12_GLOBAL__N_126adjacent_difference_kernelIPKsEEvlT_Pi: ; @_ZN2at6native8internal12_GLOBAL__N_126adjacent_difference_kernelIPKsEEvlT_Pi
; %bb.0:
	s_clause 0x1
	s_load_b32 s2, s[0:1], 0x24
	s_load_b128 s[4:7], s[0:1], 0x0
	s_bfe_u32 s9, ttmp6, 0x4000c
	s_and_b32 s8, ttmp6, 15
	s_add_co_i32 s9, s9, 1
	s_getreg_b32 s10, hwreg(HW_REG_IB_STS2, 6, 4)
	s_mul_i32 s9, ttmp9, s9
	s_mov_b32 s3, 0
	s_add_co_i32 s8, s8, s9
	s_cmp_eq_u32 s10, 0
	v_mov_b32_e32 v1, 0
	s_mov_b32 s15, s3
	s_cselect_b32 s14, ttmp9, s8
	s_mov_b32 s13, s3
	s_wait_kmcnt 0x0
	s_and_b32 s12, s2, 0xffff
	s_mov_b32 s2, exec_lo
	s_mul_u64 s[8:9], s[12:13], s[14:15]
	s_delay_alu instid0(SALU_CYCLE_1) | instskip(NEXT) | instid1(VALU_DEP_1)
	v_add_nc_u64_e32 v[4:5], s[8:9], v[0:1]
	v_cmpx_gt_i64_e64 s[4:5], v[4:5]
	s_cbranch_execz .LBB547_5
; %bb.1:
	s_add_nc_u64 s[16:17], s[0:1], 24
	v_dual_mov_b32 v2, v1 :: v_dual_mov_b32 v3, v4
	s_load_b32 s2, s[16:17], 0x0
	s_load_b64 s[10:11], s[0:1], 0x10
	s_mul_i32 s13, s14, s12
	s_wait_xcnt 0x0
	s_mov_b32 s0, s3
	s_wait_kmcnt 0x0
	s_mul_i32 s2, s2, s12
	s_mov_b32 s12, s3
	s_mov_b32 s1, s2
	s_branch .LBB547_3
.LBB547_2:                              ;   in Loop: Header=BB547_3 Depth=1
	s_wait_xcnt 0x0
	s_or_b32 exec_lo, exec_lo, s14
	v_add_nc_u64_e32 v[0:1], s[2:3], v[0:1]
	v_ashrrev_i64 v[8:9], 30, v[2:3]
	v_add_nc_u64_e32 v[2:3], s[0:1], v[2:3]
	s_delay_alu instid0(VALU_DEP_3) | instskip(NEXT) | instid1(VALU_DEP_1)
	v_add_nc_u64_e32 v[6:7], s[8:9], v[0:1]
	v_cmp_le_i64_e32 vcc_lo, s[4:5], v[6:7]
	s_delay_alu instid0(VALU_DEP_4)
	v_add_nc_u64_e32 v[6:7], s[10:11], v[8:9]
	s_or_b32 s12, vcc_lo, s12
	global_store_b32 v[6:7], v4, off
	s_wait_xcnt 0x0
	s_and_not1_b32 exec_lo, exec_lo, s12
	s_cbranch_execz .LBB547_5
.LBB547_3:                              ; =>This Inner Loop Header: Depth=1
	v_dual_mov_b32 v4, 0 :: v_dual_add_nc_u32 v5, s13, v0
	s_mov_b32 s14, exec_lo
	s_delay_alu instid0(VALU_DEP_1)
	v_cmpx_lt_i32_e32 0, v5
	s_cbranch_execz .LBB547_2
; %bb.4:                                ;   in Loop: Header=BB547_3 Depth=1
	v_add_nc_u32_e32 v4, s8, v0
	s_delay_alu instid0(VALU_DEP_1)
	v_add_nc_u32_e32 v5, -1, v4
	s_clause 0x1
	global_load_u16 v6, v4, s[6:7] scale_offset
	global_load_u16 v7, v5, s[6:7] scale_offset
	s_wait_loadcnt 0x0
	v_cmp_ne_u16_e32 vcc_lo, v6, v7
	s_wait_xcnt 0x1
	v_cndmask_b32_e64 v4, 0, 1, vcc_lo
	s_branch .LBB547_2
.LBB547_5:
	s_endpgm
	.section	.rodata,"a",@progbits
	.p2align	6, 0x0
	.amdhsa_kernel _ZN2at6native8internal12_GLOBAL__N_126adjacent_difference_kernelIPKsEEvlT_Pi
		.amdhsa_group_segment_fixed_size 0
		.amdhsa_private_segment_fixed_size 0
		.amdhsa_kernarg_size 280
		.amdhsa_user_sgpr_count 2
		.amdhsa_user_sgpr_dispatch_ptr 0
		.amdhsa_user_sgpr_queue_ptr 0
		.amdhsa_user_sgpr_kernarg_segment_ptr 1
		.amdhsa_user_sgpr_dispatch_id 0
		.amdhsa_user_sgpr_kernarg_preload_length 0
		.amdhsa_user_sgpr_kernarg_preload_offset 0
		.amdhsa_user_sgpr_private_segment_size 0
		.amdhsa_wavefront_size32 1
		.amdhsa_uses_dynamic_stack 0
		.amdhsa_enable_private_segment 0
		.amdhsa_system_sgpr_workgroup_id_x 1
		.amdhsa_system_sgpr_workgroup_id_y 0
		.amdhsa_system_sgpr_workgroup_id_z 0
		.amdhsa_system_sgpr_workgroup_info 0
		.amdhsa_system_vgpr_workitem_id 0
		.amdhsa_next_free_vgpr 10
		.amdhsa_next_free_sgpr 18
		.amdhsa_named_barrier_count 0
		.amdhsa_reserve_vcc 1
		.amdhsa_float_round_mode_32 0
		.amdhsa_float_round_mode_16_64 0
		.amdhsa_float_denorm_mode_32 3
		.amdhsa_float_denorm_mode_16_64 3
		.amdhsa_fp16_overflow 0
		.amdhsa_memory_ordered 1
		.amdhsa_forward_progress 1
		.amdhsa_inst_pref_size 3
		.amdhsa_round_robin_scheduling 0
		.amdhsa_exception_fp_ieee_invalid_op 0
		.amdhsa_exception_fp_denorm_src 0
		.amdhsa_exception_fp_ieee_div_zero 0
		.amdhsa_exception_fp_ieee_overflow 0
		.amdhsa_exception_fp_ieee_underflow 0
		.amdhsa_exception_fp_ieee_inexact 0
		.amdhsa_exception_int_div_zero 0
	.end_amdhsa_kernel
	.section	.text._ZN2at6native8internal12_GLOBAL__N_126adjacent_difference_kernelIPKsEEvlT_Pi,"axG",@progbits,_ZN2at6native8internal12_GLOBAL__N_126adjacent_difference_kernelIPKsEEvlT_Pi,comdat
.Lfunc_end547:
	.size	_ZN2at6native8internal12_GLOBAL__N_126adjacent_difference_kernelIPKsEEvlT_Pi, .Lfunc_end547-_ZN2at6native8internal12_GLOBAL__N_126adjacent_difference_kernelIPKsEEvlT_Pi
                                        ; -- End function
	.set _ZN2at6native8internal12_GLOBAL__N_126adjacent_difference_kernelIPKsEEvlT_Pi.num_vgpr, 10
	.set _ZN2at6native8internal12_GLOBAL__N_126adjacent_difference_kernelIPKsEEvlT_Pi.num_agpr, 0
	.set _ZN2at6native8internal12_GLOBAL__N_126adjacent_difference_kernelIPKsEEvlT_Pi.numbered_sgpr, 18
	.set _ZN2at6native8internal12_GLOBAL__N_126adjacent_difference_kernelIPKsEEvlT_Pi.num_named_barrier, 0
	.set _ZN2at6native8internal12_GLOBAL__N_126adjacent_difference_kernelIPKsEEvlT_Pi.private_seg_size, 0
	.set _ZN2at6native8internal12_GLOBAL__N_126adjacent_difference_kernelIPKsEEvlT_Pi.uses_vcc, 1
	.set _ZN2at6native8internal12_GLOBAL__N_126adjacent_difference_kernelIPKsEEvlT_Pi.uses_flat_scratch, 0
	.set _ZN2at6native8internal12_GLOBAL__N_126adjacent_difference_kernelIPKsEEvlT_Pi.has_dyn_sized_stack, 0
	.set _ZN2at6native8internal12_GLOBAL__N_126adjacent_difference_kernelIPKsEEvlT_Pi.has_recursion, 0
	.set _ZN2at6native8internal12_GLOBAL__N_126adjacent_difference_kernelIPKsEEvlT_Pi.has_indirect_call, 0
	.section	.AMDGPU.csdata,"",@progbits
; Kernel info:
; codeLenInByte = 336
; TotalNumSgprs: 20
; NumVgprs: 10
; ScratchSize: 0
; MemoryBound: 0
; FloatMode: 240
; IeeeMode: 1
; LDSByteSize: 0 bytes/workgroup (compile time only)
; SGPRBlocks: 0
; VGPRBlocks: 0
; NumSGPRsForWavesPerEU: 20
; NumVGPRsForWavesPerEU: 10
; NamedBarCnt: 0
; Occupancy: 16
; WaveLimiterHint : 0
; COMPUTE_PGM_RSRC2:SCRATCH_EN: 0
; COMPUTE_PGM_RSRC2:USER_SGPR: 2
; COMPUTE_PGM_RSRC2:TRAP_HANDLER: 0
; COMPUTE_PGM_RSRC2:TGID_X_EN: 1
; COMPUTE_PGM_RSRC2:TGID_Y_EN: 0
; COMPUTE_PGM_RSRC2:TGID_Z_EN: 0
; COMPUTE_PGM_RSRC2:TIDIG_COMP_CNT: 0
	.section	.text._ZN7rocprim17ROCPRIM_400000_NS6detail17trampoline_kernelINS0_14default_configENS1_25partition_config_selectorILNS1_17partition_subalgoE8EsNS0_10empty_typeEbEEZZNS1_14partition_implILS5_8ELb0ES3_jPKsPS6_PKS6_NS0_5tupleIJPsS6_EEENSE_IJSB_SB_EEENS0_18inequality_wrapperIN6hipcub16HIPCUB_304000_NS8EqualityEEEPlJS6_EEE10hipError_tPvRmT3_T4_T5_T6_T7_T9_mT8_P12ihipStream_tbDpT10_ENKUlT_T0_E_clISt17integral_constantIbLb0EES17_EEDaS12_S13_EUlS12_E_NS1_11comp_targetILNS1_3genE0ELNS1_11target_archE4294967295ELNS1_3gpuE0ELNS1_3repE0EEENS1_30default_config_static_selectorELNS0_4arch9wavefront6targetE0EEEvT1_,"axG",@progbits,_ZN7rocprim17ROCPRIM_400000_NS6detail17trampoline_kernelINS0_14default_configENS1_25partition_config_selectorILNS1_17partition_subalgoE8EsNS0_10empty_typeEbEEZZNS1_14partition_implILS5_8ELb0ES3_jPKsPS6_PKS6_NS0_5tupleIJPsS6_EEENSE_IJSB_SB_EEENS0_18inequality_wrapperIN6hipcub16HIPCUB_304000_NS8EqualityEEEPlJS6_EEE10hipError_tPvRmT3_T4_T5_T6_T7_T9_mT8_P12ihipStream_tbDpT10_ENKUlT_T0_E_clISt17integral_constantIbLb0EES17_EEDaS12_S13_EUlS12_E_NS1_11comp_targetILNS1_3genE0ELNS1_11target_archE4294967295ELNS1_3gpuE0ELNS1_3repE0EEENS1_30default_config_static_selectorELNS0_4arch9wavefront6targetE0EEEvT1_,comdat
	.protected	_ZN7rocprim17ROCPRIM_400000_NS6detail17trampoline_kernelINS0_14default_configENS1_25partition_config_selectorILNS1_17partition_subalgoE8EsNS0_10empty_typeEbEEZZNS1_14partition_implILS5_8ELb0ES3_jPKsPS6_PKS6_NS0_5tupleIJPsS6_EEENSE_IJSB_SB_EEENS0_18inequality_wrapperIN6hipcub16HIPCUB_304000_NS8EqualityEEEPlJS6_EEE10hipError_tPvRmT3_T4_T5_T6_T7_T9_mT8_P12ihipStream_tbDpT10_ENKUlT_T0_E_clISt17integral_constantIbLb0EES17_EEDaS12_S13_EUlS12_E_NS1_11comp_targetILNS1_3genE0ELNS1_11target_archE4294967295ELNS1_3gpuE0ELNS1_3repE0EEENS1_30default_config_static_selectorELNS0_4arch9wavefront6targetE0EEEvT1_ ; -- Begin function _ZN7rocprim17ROCPRIM_400000_NS6detail17trampoline_kernelINS0_14default_configENS1_25partition_config_selectorILNS1_17partition_subalgoE8EsNS0_10empty_typeEbEEZZNS1_14partition_implILS5_8ELb0ES3_jPKsPS6_PKS6_NS0_5tupleIJPsS6_EEENSE_IJSB_SB_EEENS0_18inequality_wrapperIN6hipcub16HIPCUB_304000_NS8EqualityEEEPlJS6_EEE10hipError_tPvRmT3_T4_T5_T6_T7_T9_mT8_P12ihipStream_tbDpT10_ENKUlT_T0_E_clISt17integral_constantIbLb0EES17_EEDaS12_S13_EUlS12_E_NS1_11comp_targetILNS1_3genE0ELNS1_11target_archE4294967295ELNS1_3gpuE0ELNS1_3repE0EEENS1_30default_config_static_selectorELNS0_4arch9wavefront6targetE0EEEvT1_
	.globl	_ZN7rocprim17ROCPRIM_400000_NS6detail17trampoline_kernelINS0_14default_configENS1_25partition_config_selectorILNS1_17partition_subalgoE8EsNS0_10empty_typeEbEEZZNS1_14partition_implILS5_8ELb0ES3_jPKsPS6_PKS6_NS0_5tupleIJPsS6_EEENSE_IJSB_SB_EEENS0_18inequality_wrapperIN6hipcub16HIPCUB_304000_NS8EqualityEEEPlJS6_EEE10hipError_tPvRmT3_T4_T5_T6_T7_T9_mT8_P12ihipStream_tbDpT10_ENKUlT_T0_E_clISt17integral_constantIbLb0EES17_EEDaS12_S13_EUlS12_E_NS1_11comp_targetILNS1_3genE0ELNS1_11target_archE4294967295ELNS1_3gpuE0ELNS1_3repE0EEENS1_30default_config_static_selectorELNS0_4arch9wavefront6targetE0EEEvT1_
	.p2align	8
	.type	_ZN7rocprim17ROCPRIM_400000_NS6detail17trampoline_kernelINS0_14default_configENS1_25partition_config_selectorILNS1_17partition_subalgoE8EsNS0_10empty_typeEbEEZZNS1_14partition_implILS5_8ELb0ES3_jPKsPS6_PKS6_NS0_5tupleIJPsS6_EEENSE_IJSB_SB_EEENS0_18inequality_wrapperIN6hipcub16HIPCUB_304000_NS8EqualityEEEPlJS6_EEE10hipError_tPvRmT3_T4_T5_T6_T7_T9_mT8_P12ihipStream_tbDpT10_ENKUlT_T0_E_clISt17integral_constantIbLb0EES17_EEDaS12_S13_EUlS12_E_NS1_11comp_targetILNS1_3genE0ELNS1_11target_archE4294967295ELNS1_3gpuE0ELNS1_3repE0EEENS1_30default_config_static_selectorELNS0_4arch9wavefront6targetE0EEEvT1_,@function
_ZN7rocprim17ROCPRIM_400000_NS6detail17trampoline_kernelINS0_14default_configENS1_25partition_config_selectorILNS1_17partition_subalgoE8EsNS0_10empty_typeEbEEZZNS1_14partition_implILS5_8ELb0ES3_jPKsPS6_PKS6_NS0_5tupleIJPsS6_EEENSE_IJSB_SB_EEENS0_18inequality_wrapperIN6hipcub16HIPCUB_304000_NS8EqualityEEEPlJS6_EEE10hipError_tPvRmT3_T4_T5_T6_T7_T9_mT8_P12ihipStream_tbDpT10_ENKUlT_T0_E_clISt17integral_constantIbLb0EES17_EEDaS12_S13_EUlS12_E_NS1_11comp_targetILNS1_3genE0ELNS1_11target_archE4294967295ELNS1_3gpuE0ELNS1_3repE0EEENS1_30default_config_static_selectorELNS0_4arch9wavefront6targetE0EEEvT1_: ; @_ZN7rocprim17ROCPRIM_400000_NS6detail17trampoline_kernelINS0_14default_configENS1_25partition_config_selectorILNS1_17partition_subalgoE8EsNS0_10empty_typeEbEEZZNS1_14partition_implILS5_8ELb0ES3_jPKsPS6_PKS6_NS0_5tupleIJPsS6_EEENSE_IJSB_SB_EEENS0_18inequality_wrapperIN6hipcub16HIPCUB_304000_NS8EqualityEEEPlJS6_EEE10hipError_tPvRmT3_T4_T5_T6_T7_T9_mT8_P12ihipStream_tbDpT10_ENKUlT_T0_E_clISt17integral_constantIbLb0EES17_EEDaS12_S13_EUlS12_E_NS1_11comp_targetILNS1_3genE0ELNS1_11target_archE4294967295ELNS1_3gpuE0ELNS1_3repE0EEENS1_30default_config_static_selectorELNS0_4arch9wavefront6targetE0EEEvT1_
; %bb.0:
	s_clause 0x3
	s_load_b128 s[4:7], s[0:1], 0x8
	s_load_b128 s[36:39], s[0:1], 0x40
	s_load_b32 s12, s[0:1], 0x68
	s_load_b64 s[2:3], s[0:1], 0x50
	s_bfe_u32 s10, ttmp6, 0x4000c
	s_and_b32 s8, ttmp6, 15
	s_add_co_i32 s10, s10, 1
	s_mov_b32 s9, 0
	s_mul_i32 s10, ttmp9, s10
	s_getreg_b32 s13, hwreg(HW_REG_IB_STS2, 6, 4)
	s_add_co_i32 s14, s8, s10
	v_mov_b32_e32 v24, v0
	s_wait_kmcnt 0x0
	s_lshl_b64 s[10:11], s[6:7], 1
	s_load_b64 s[34:35], s[38:39], 0x0
	s_mul_i32 s8, s12, 0x1e00
	s_cmp_eq_u32 s13, 0
	s_add_nc_u64 s[10:11], s[4:5], s[10:11]
	s_add_nc_u64 s[4:5], s[6:7], s[8:9]
	s_wait_xcnt 0x0
	s_cselect_b32 s38, ttmp9, s14
	s_add_co_i32 s8, s8, s6
	v_cmp_le_u64_e64 s3, s[2:3], s[4:5]
	s_add_co_i32 s12, s12, -1
	s_sub_co_i32 s39, s2, s8
	s_cmp_eq_u32 s38, s12
	s_mul_i32 s8, s38, 0x1e00
	s_cselect_b32 s31, -1, 0
	s_mov_b32 s4, -1
	s_and_b32 s40, s31, s3
	s_lshl_b64 s[2:3], s[8:9], 1
	s_xor_b32 s33, s40, -1
	s_add_nc_u64 s[2:3], s[10:11], s[2:3]
	s_and_b32 vcc_lo, exec_lo, s33
	s_cbranch_vccz .LBB548_2
; %bb.1:
	s_clause 0x1d
	global_load_u16 v1, v0, s[2:3] scale_offset
	global_load_u16 v2, v0, s[2:3] offset:512 scale_offset
	global_load_u16 v3, v0, s[2:3] offset:1024 scale_offset
	;; [unrolled: 1-line block ×29, first 2 shown]
	v_lshlrev_b32_e32 v32, 1, v0
	s_mov_b32 s4, 0
	s_wait_loadcnt 0x1d
	ds_store_b16 v32, v1
	s_wait_loadcnt 0x1c
	ds_store_b16 v32, v2 offset:512
	s_wait_loadcnt 0x1b
	ds_store_b16 v32, v3 offset:1024
	;; [unrolled: 2-line block ×29, first 2 shown]
	s_wait_dscnt 0x0
	s_barrier_signal -1
	s_barrier_wait -1
.LBB548_2:
	s_and_not1_b32 vcc_lo, exec_lo, s4
	s_addk_co_i32 s39, 0x1e00
	s_cbranch_vccnz .LBB548_64
; %bb.3:
	v_mov_b32_e32 v2, 0
	s_mov_b32 s4, exec_lo
	s_delay_alu instid0(VALU_DEP_1)
	v_dual_mov_b32 v3, v2 :: v_dual_mov_b32 v4, v2
	v_dual_mov_b32 v5, v2 :: v_dual_mov_b32 v6, v2
	;; [unrolled: 1-line block ×7, first 2 shown]
	v_cmpx_gt_u32_e64 s39, v0
	s_cbranch_execz .LBB548_5
; %bb.4:
	global_load_u16 v1, v0, s[2:3] scale_offset
	v_dual_mov_b32 v5, v2 :: v_dual_mov_b32 v6, v2
	v_dual_mov_b32 v17, v2 :: v_dual_mov_b32 v18, v2
	;; [unrolled: 1-line block ×7, first 2 shown]
	s_wait_loadcnt 0x0
	v_and_b32_e32 v4, 0xffff, v1
	s_delay_alu instid0(VALU_DEP_1)
	v_mov_b64_e32 v[2:3], v[4:5]
	v_mov_b64_e32 v[4:5], v[6:7]
	;; [unrolled: 1-line block ×8, first 2 shown]
.LBB548_5:
	s_or_b32 exec_lo, exec_lo, s4
	v_or_b32_e32 v1, 0x100, v0
	s_mov_b32 s4, exec_lo
	s_delay_alu instid0(VALU_DEP_1)
	v_cmpx_gt_u32_e64 s39, v1
	s_cbranch_execz .LBB548_7
; %bb.6:
	global_load_u16 v1, v0, s[2:3] offset:512 scale_offset
	s_wait_loadcnt 0x0
	v_perm_b32 v2, v1, v2, 0x5040100
.LBB548_7:
	s_or_b32 exec_lo, exec_lo, s4
	v_or_b32_e32 v1, 0x200, v0
	s_mov_b32 s4, exec_lo
	s_delay_alu instid0(VALU_DEP_1)
	v_cmpx_gt_u32_e64 s39, v1
	s_cbranch_execz .LBB548_9
; %bb.8:
	global_load_u16 v1, v0, s[2:3] offset:1024 scale_offset
	s_wait_loadcnt 0x0
	v_bfi_b32 v3, 0xffff, v1, v3
.LBB548_9:
	s_or_b32 exec_lo, exec_lo, s4
	v_or_b32_e32 v1, 0x300, v0
	s_mov_b32 s4, exec_lo
	s_delay_alu instid0(VALU_DEP_1)
	v_cmpx_gt_u32_e64 s39, v1
	s_cbranch_execz .LBB548_11
; %bb.10:
	global_load_u16 v1, v0, s[2:3] offset:1536 scale_offset
	s_wait_loadcnt 0x0
	v_perm_b32 v3, v1, v3, 0x5040100
.LBB548_11:
	s_or_b32 exec_lo, exec_lo, s4
	v_or_b32_e32 v1, 0x400, v0
	s_mov_b32 s4, exec_lo
	s_delay_alu instid0(VALU_DEP_1)
	v_cmpx_gt_u32_e64 s39, v1
	s_cbranch_execz .LBB548_13
; %bb.12:
	global_load_u16 v1, v0, s[2:3] offset:2048 scale_offset
	s_wait_loadcnt 0x0
	v_bfi_b32 v4, 0xffff, v1, v4
.LBB548_13:
	;; [unrolled: 22-line block ×14, first 2 shown]
	s_or_b32 exec_lo, exec_lo, s4
	v_or_b32_e32 v1, 0x1d00, v0
	s_mov_b32 s4, exec_lo
	s_delay_alu instid0(VALU_DEP_1)
	v_cmpx_gt_u32_e64 s39, v1
	s_cbranch_execz .LBB548_63
; %bb.62:
	global_load_u16 v1, v0, s[2:3] offset:14848 scale_offset
	s_wait_loadcnt 0x0
	v_perm_b32 v16, v1, v16, 0x5040100
.LBB548_63:
	s_or_b32 exec_lo, exec_lo, s4
	v_lshlrev_b32_e32 v1, 1, v0
	ds_store_b16 v1, v2
	ds_store_b16_d16_hi v1, v2 offset:512
	ds_store_b16 v1, v3 offset:1024
	ds_store_b16_d16_hi v1, v3 offset:1536
	ds_store_b16 v1, v4 offset:2048
	ds_store_b16_d16_hi v1, v4 offset:2560
	ds_store_b16 v1, v5 offset:3072
	ds_store_b16_d16_hi v1, v5 offset:3584
	ds_store_b16 v1, v6 offset:4096
	ds_store_b16_d16_hi v1, v6 offset:4608
	ds_store_b16 v1, v7 offset:5120
	ds_store_b16_d16_hi v1, v7 offset:5632
	ds_store_b16 v1, v8 offset:6144
	ds_store_b16_d16_hi v1, v8 offset:6656
	ds_store_b16 v1, v9 offset:7168
	ds_store_b16_d16_hi v1, v9 offset:7680
	ds_store_b16 v1, v10 offset:8192
	ds_store_b16_d16_hi v1, v10 offset:8704
	ds_store_b16 v1, v11 offset:9216
	ds_store_b16_d16_hi v1, v11 offset:9728
	ds_store_b16 v1, v12 offset:10240
	ds_store_b16_d16_hi v1, v12 offset:10752
	ds_store_b16 v1, v13 offset:11264
	ds_store_b16_d16_hi v1, v13 offset:11776
	ds_store_b16 v1, v14 offset:12288
	ds_store_b16_d16_hi v1, v14 offset:12800
	ds_store_b16 v1, v15 offset:13312
	ds_store_b16_d16_hi v1, v15 offset:13824
	ds_store_b16 v1, v16 offset:14336
	ds_store_b16_d16_hi v1, v16 offset:14848
	s_wait_dscnt 0x0
	s_barrier_signal -1
	s_barrier_wait -1
.LBB548_64:
	v_mul_u32_u24_e32 v16, 30, v0
	s_cmp_lg_u32 s38, 0
	s_mov_b32 s42, 0
	s_cselect_b32 s41, -1, 0
	s_delay_alu instid0(VALU_DEP_1)
	v_lshlrev_b32_e32 v17, 1, v16
	s_cmp_lg_u64 s[6:7], 0
	ds_load_2addr_b32 v[14:15], v17 offset1:1
	ds_load_2addr_b32 v[12:13], v17 offset0:2 offset1:3
	ds_load_2addr_b32 v[10:11], v17 offset0:4 offset1:5
	;; [unrolled: 1-line block ×6, first 2 shown]
	s_cselect_b32 s4, -1, 0
	s_delay_alu instid0(SALU_CYCLE_1) | instskip(NEXT) | instid1(SALU_CYCLE_1)
	s_or_b32 s4, s41, s4
	s_and_b32 vcc_lo, exec_lo, s4
	s_wait_dscnt 0x6
	v_lshrrev_b32_e32 v39, 16, v14
	ds_load_b32 v1, v17 offset:56
	s_wait_dscnt 0x6
	v_dual_lshrrev_b32 v38, 16, v15 :: v_dual_lshrrev_b32 v37, 16, v12
	s_wait_dscnt 0x5
	v_dual_lshrrev_b32 v36, 16, v13 :: v_dual_lshrrev_b32 v35, 16, v10
	;; [unrolled: 2-line block ×6, first 2 shown]
	v_lshrrev_b32_e32 v26, 16, v3
	s_wait_dscnt 0x0
	s_barrier_signal -1
	s_barrier_wait -1
	v_lshrrev_b32_e32 v25, 16, v1
	s_cbranch_vccz .LBB548_69
; %bb.65:
	v_dual_mov_b32 v18, 0 :: v_dual_lshlrev_b32 v19, 1, v0
	s_and_b32 vcc_lo, exec_lo, s33
	global_load_u16 v18, v18, s[2:3] offset:-2
	ds_store_b16 v19, v25
	s_cbranch_vccz .LBB548_70
; %bb.66:
	s_wait_loadcnt 0x0
	v_mov_b32_e32 v20, v18
	s_mov_b32 s2, 0
	s_mov_b32 s3, exec_lo
	s_wait_dscnt 0x0
	s_barrier_signal -1
	s_barrier_wait -1
	v_cmpx_ne_u32_e32 0, v0
; %bb.67:
	v_add_nc_u32_e32 v20, -2, v19
	ds_load_u16 v20, v20
; %bb.68:
	s_or_b32 exec_lo, exec_lo, s3
	v_cmp_ne_u16_e32 vcc_lo, v1, v25
	s_wait_dscnt 0x0
	v_cmp_ne_u16_e64 s43, v20, v14
	v_cndmask_b32_e64 v40, 0, 1, vcc_lo
	v_cmp_ne_u16_e32 vcc_lo, v26, v1
	v_cndmask_b32_e64 v41, 0, 1, vcc_lo
	v_cmp_ne_u16_e32 vcc_lo, v3, v26
	;; [unrolled: 2-line block ×28, first 2 shown]
	v_cndmask_b32_e64 v68, 0, 1, vcc_lo
	s_and_b32 vcc_lo, exec_lo, s2
	s_cbranch_vccnz .LBB548_71
	s_branch .LBB548_74
.LBB548_69:
                                        ; implicit-def: $sgpr43
                                        ; implicit-def: $vgpr40
                                        ; implicit-def: $vgpr41
                                        ; implicit-def: $vgpr42
                                        ; implicit-def: $vgpr43
                                        ; implicit-def: $vgpr44
                                        ; implicit-def: $vgpr45
                                        ; implicit-def: $vgpr46
                                        ; implicit-def: $vgpr47
                                        ; implicit-def: $vgpr68
                                        ; implicit-def: $vgpr67
                                        ; implicit-def: $vgpr66
                                        ; implicit-def: $vgpr65
                                        ; implicit-def: $vgpr64
                                        ; implicit-def: $vgpr63
                                        ; implicit-def: $vgpr62
                                        ; implicit-def: $vgpr61
                                        ; implicit-def: $vgpr60
                                        ; implicit-def: $vgpr59
                                        ; implicit-def: $vgpr58
                                        ; implicit-def: $vgpr57
                                        ; implicit-def: $vgpr56
                                        ; implicit-def: $vgpr55
                                        ; implicit-def: $vgpr54
                                        ; implicit-def: $vgpr53
                                        ; implicit-def: $vgpr52
                                        ; implicit-def: $vgpr51
                                        ; implicit-def: $vgpr50
                                        ; implicit-def: $vgpr49
                                        ; implicit-def: $vgpr48
	s_branch .LBB548_75
.LBB548_70:
	s_wait_xcnt 0x0
                                        ; implicit-def: $sgpr43
                                        ; implicit-def: $vgpr40
                                        ; implicit-def: $vgpr41
                                        ; implicit-def: $vgpr42
                                        ; implicit-def: $vgpr43
                                        ; implicit-def: $vgpr44
                                        ; implicit-def: $vgpr45
                                        ; implicit-def: $vgpr46
                                        ; implicit-def: $vgpr47
                                        ; implicit-def: $vgpr68
                                        ; implicit-def: $vgpr67
                                        ; implicit-def: $vgpr66
                                        ; implicit-def: $vgpr65
                                        ; implicit-def: $vgpr64
                                        ; implicit-def: $vgpr63
                                        ; implicit-def: $vgpr62
                                        ; implicit-def: $vgpr61
                                        ; implicit-def: $vgpr60
                                        ; implicit-def: $vgpr59
                                        ; implicit-def: $vgpr58
                                        ; implicit-def: $vgpr57
                                        ; implicit-def: $vgpr56
                                        ; implicit-def: $vgpr55
                                        ; implicit-def: $vgpr54
                                        ; implicit-def: $vgpr53
                                        ; implicit-def: $vgpr52
                                        ; implicit-def: $vgpr51
                                        ; implicit-def: $vgpr50
                                        ; implicit-def: $vgpr49
                                        ; implicit-def: $vgpr48
	s_cbranch_execz .LBB548_74
.LBB548_71:
	s_mov_b32 s2, exec_lo
	s_wait_loadcnt_dscnt 0x0
	s_barrier_signal -1
	s_barrier_wait -1
	v_cmpx_ne_u32_e32 0, v0
; %bb.72:
	v_add_nc_u32_e32 v18, -2, v19
	ds_load_u16 v18, v18
; %bb.73:
	s_or_b32 exec_lo, exec_lo, s2
	v_dual_add_nc_u32 v19, 29, v16 :: v_dual_add_nc_u32 v20, 28, v16
	v_cmp_ne_u16_e32 vcc_lo, v1, v25
	v_add_nc_u32_e32 v21, 27, v16
	v_cmp_ne_u16_e64 s3, v26, v1
	s_delay_alu instid0(VALU_DEP_4)
	v_cmp_gt_u32_e64 s2, s39, v19
	v_cmp_gt_u32_e64 s4, s39, v20
	v_add_nc_u32_e32 v19, 26, v16
	v_cmp_gt_u32_e64 s5, s39, v21
	v_add_nc_u32_e32 v20, 25, v16
	s_and_b32 s2, s2, vcc_lo
	v_cmp_ne_u16_e32 vcc_lo, v3, v26
	v_cndmask_b32_e64 v40, 0, 1, s2
	s_and_b32 s2, s4, s3
	v_cmp_ne_u16_e64 s3, v27, v3
	v_cndmask_b32_e64 v41, 0, 1, s2
	v_cmp_gt_u32_e64 s2, s39, v19
	s_and_b32 s4, s5, vcc_lo
	v_add_nc_u32_e32 v19, 24, v16
	v_cndmask_b32_e64 v42, 0, 1, s4
	v_cmp_gt_u32_e32 vcc_lo, s39, v20
	v_cmp_ne_u16_e64 s4, v2, v27
	v_add_nc_u32_e32 v20, 23, v16
	s_and_b32 s2, s2, s3
	v_cmp_ne_u16_e64 s3, v28, v2
	v_cndmask_b32_e64 v43, 0, 1, s2
	v_cmp_gt_u32_e64 s2, s39, v19
	s_and_b32 s4, vcc_lo, s4
	v_add_nc_u32_e32 v19, 22, v16
	v_cndmask_b32_e64 v44, 0, 1, s4
	v_cmp_gt_u32_e32 vcc_lo, s39, v20
	v_cmp_ne_u16_e64 s4, v5, v28
	v_add_nc_u32_e32 v20, 21, v16
	s_and_b32 s2, s2, s3
	v_cmp_ne_u16_e64 s3, v29, v5
	v_cndmask_b32_e64 v45, 0, 1, s2
	v_cmp_gt_u32_e64 s2, s39, v19
	s_and_b32 s4, vcc_lo, s4
	;; [unrolled: 10-line block ×11, first 2 shown]
	v_add_nc_u32_e32 v19, 2, v16
	v_cndmask_b32_e64 v64, 0, 1, s4
	v_cmp_gt_u32_e32 vcc_lo, s39, v20
	v_cmp_ne_u16_e64 s4, v15, v38
	v_or_b32_e32 v20, 1, v16
	s_and_b32 s2, s2, s3
	v_cmp_ne_u16_e64 s3, v39, v15
	v_cndmask_b32_e64 v65, 0, 1, s2
	v_cmp_gt_u32_e64 s2, s39, v19
	s_and_b32 s4, vcc_lo, s4
	v_cmp_gt_u32_e32 vcc_lo, s39, v20
	v_cndmask_b32_e64 v66, 0, 1, s4
	v_cmp_ne_u16_e64 s4, v14, v39
	s_and_b32 s2, s2, s3
	s_wait_dscnt 0x0
	v_cmp_ne_u16_e64 s3, v18, v14
	v_cndmask_b32_e64 v67, 0, 1, s2
	v_cmp_gt_u32_e64 s2, s39, v16
	s_and_b32 s4, vcc_lo, s4
	s_delay_alu instid0(SALU_CYCLE_1)
	v_cndmask_b32_e64 v68, 0, 1, s4
	s_and_b32 s43, s2, s3
.LBB548_74:
	s_mov_b32 s42, -1
	s_cbranch_execnz .LBB548_83
.LBB548_75:
	v_mad_i32_i24 v17, 0xffffffc6, v0, v17
	s_delay_alu instid0(VALU_DEP_2)
	v_cmp_ne_u16_e64 s2, v1, v25
	v_cmp_ne_u16_e64 s3, v26, v1
	;; [unrolled: 1-line block ×29, first 2 shown]
	s_and_b32 vcc_lo, exec_lo, s33
	ds_store_b16 v17, v25
	s_cbranch_vccz .LBB548_79
; %bb.76:
	s_mov_b32 s44, 0
	s_mov_b32 s45, exec_lo
	s_wait_loadcnt_dscnt 0x0
	s_barrier_signal -1
	s_barrier_wait -1
                                        ; implicit-def: $sgpr43
	v_cmpx_ne_u32_e32 0, v0
	s_xor_b32 s45, exec_lo, s45
	s_cbranch_execz .LBB548_78
; %bb.77:
	v_add_nc_u32_e32 v18, -2, v17
	s_or_b32 s42, s42, exec_lo
	ds_load_u16 v18, v18
	s_wait_dscnt 0x0
	v_cmp_ne_u16_e64 s43, v18, v14
.LBB548_78:
	s_or_b32 exec_lo, exec_lo, s45
	v_cndmask_b32_e64 v40, 0, 1, s2
	v_cndmask_b32_e64 v41, 0, 1, s3
	;; [unrolled: 1-line block ×29, first 2 shown]
	s_and_b32 vcc_lo, exec_lo, s44
	s_cbranch_vccnz .LBB548_80
	s_branch .LBB548_83
.LBB548_79:
                                        ; implicit-def: $sgpr43
                                        ; implicit-def: $vgpr40
                                        ; implicit-def: $vgpr41
                                        ; implicit-def: $vgpr42
                                        ; implicit-def: $vgpr43
                                        ; implicit-def: $vgpr44
                                        ; implicit-def: $vgpr45
                                        ; implicit-def: $vgpr46
                                        ; implicit-def: $vgpr47
                                        ; implicit-def: $vgpr68
                                        ; implicit-def: $vgpr67
                                        ; implicit-def: $vgpr66
                                        ; implicit-def: $vgpr65
                                        ; implicit-def: $vgpr64
                                        ; implicit-def: $vgpr63
                                        ; implicit-def: $vgpr62
                                        ; implicit-def: $vgpr61
                                        ; implicit-def: $vgpr60
                                        ; implicit-def: $vgpr59
                                        ; implicit-def: $vgpr58
                                        ; implicit-def: $vgpr57
                                        ; implicit-def: $vgpr56
                                        ; implicit-def: $vgpr55
                                        ; implicit-def: $vgpr54
                                        ; implicit-def: $vgpr53
                                        ; implicit-def: $vgpr52
                                        ; implicit-def: $vgpr51
                                        ; implicit-def: $vgpr50
                                        ; implicit-def: $vgpr49
                                        ; implicit-def: $vgpr48
	s_cbranch_execz .LBB548_83
.LBB548_80:
	s_wait_loadcnt 0x0
	v_dual_add_nc_u32 v18, 29, v16 :: v_dual_add_nc_u32 v19, 28, v16
	v_cmp_ne_u16_e32 vcc_lo, v1, v25
	v_add_nc_u32_e32 v20, 27, v16
	v_cmp_ne_u16_e64 s2, v26, v1
	s_delay_alu instid0(VALU_DEP_4)
	v_cmp_gt_u32_e64 s3, s39, v18
	v_cmp_gt_u32_e64 s4, s39, v19
	v_dual_add_nc_u32 v18, 26, v16 :: v_dual_add_nc_u32 v19, 25, v16
	v_cmp_ne_u16_e64 s5, v3, v26
	v_cmp_gt_u32_e64 s6, s39, v20
	s_and_b32 s11, s3, vcc_lo
	s_and_b32 s12, s4, s2
	v_add_nc_u32_e32 v20, 24, v16
	v_cmp_gt_u32_e32 vcc_lo, s39, v18
	v_cmp_ne_u16_e64 s2, v27, v3
	v_cmp_gt_u32_e64 s3, s39, v19
	v_cmp_ne_u16_e64 s4, v2, v27
	v_dual_add_nc_u32 v18, 23, v16 :: v_dual_add_nc_u32 v19, 22, v16
	s_and_b32 s13, s6, s5
	v_cmp_gt_u32_e64 s5, s39, v20
	v_cmp_ne_u16_e64 s6, v28, v2
	s_and_b32 s14, vcc_lo, s2
	s_and_b32 s15, s3, s4
	v_add_nc_u32_e32 v20, 21, v16
	v_cmp_gt_u32_e32 vcc_lo, s39, v18
	v_cmp_ne_u16_e64 s2, v5, v28
	v_cmp_gt_u32_e64 s3, s39, v19
	v_cmp_ne_u16_e64 s4, v29, v5
	v_dual_add_nc_u32 v18, 20, v16 :: v_dual_add_nc_u32 v19, 19, v16
	s_and_b32 s16, s5, s6
	v_cmp_gt_u32_e64 s5, s39, v20
	v_cmp_ne_u16_e64 s6, v4, v29
	s_and_b32 s17, vcc_lo, s2
	;; [unrolled: 11-line block ×7, first 2 shown]
	s_and_b32 s46, s3, s4
	v_cmp_gt_u32_e32 vcc_lo, s39, v18
	v_add_nc_u32_e32 v18, 3, v16
	v_cmp_gt_u32_e64 s3, s39, v19
	v_dual_add_nc_u32 v19, 2, v16 :: v_dual_bitop2_b32 v20, 1, v16 bitop3:0x54
	s_and_b32 s47, s5, s6
	v_cmp_ne_u16_e64 s2, v12, v37
	v_cmp_ne_u16_e64 s4, v38, v12
	v_cmp_gt_u32_e64 s5, s39, v18
	v_cmp_ne_u16_e64 s6, v15, v38
	v_cmp_gt_u32_e64 s7, s39, v19
	;; [unrolled: 2-line block ×3, first 2 shown]
	v_cmp_ne_u16_e64 s10, v14, v39
	s_and_b32 s48, vcc_lo, s2
	s_and_b32 s3, s3, s4
	s_and_b32 s4, s5, s6
	;; [unrolled: 1-line block ×4, first 2 shown]
	s_mov_b32 s7, exec_lo
	s_wait_dscnt 0x0
	s_barrier_signal -1
	s_barrier_wait -1
                                        ; implicit-def: $sgpr43
	v_cmpx_ne_u32_e32 0, v0
	s_cbranch_execz .LBB548_82
; %bb.81:
	v_add_nc_u32_e32 v17, -2, v17
	v_cmp_gt_u32_e32 vcc_lo, s39, v16
	s_or_b32 s42, s42, exec_lo
	ds_load_u16 v17, v17
	s_wait_dscnt 0x0
	v_cmp_ne_u16_e64 s2, v17, v14
	s_and_b32 s43, vcc_lo, s2
.LBB548_82:
	s_or_b32 exec_lo, exec_lo, s7
	v_cndmask_b32_e64 v40, 0, 1, s11
	v_cndmask_b32_e64 v41, 0, 1, s12
	;; [unrolled: 1-line block ×29, first 2 shown]
.LBB548_83:
	v_mov_b32_e32 v69, 1
	s_and_saveexec_b32 s2, s42
; %bb.84:
	v_cndmask_b32_e64 v69, 0, 1, s43
; %bb.85:
	s_or_b32 exec_lo, exec_lo, s2
	s_load_b64 s[10:11], s[0:1], 0x60
	s_and_not1_b32 vcc_lo, exec_lo, s40
	s_cbranch_vccnz .LBB548_87
; %bb.86:
	v_cmp_gt_u32_e32 vcc_lo, s39, v16
	s_wait_loadcnt 0x0
	v_dual_add_nc_u32 v18, 2, v16 :: v_dual_bitop2_b32 v17, 1, v16 bitop3:0x54
	v_dual_add_nc_u32 v19, 4, v16 :: v_dual_cndmask_b32 v69, 0, v69, vcc_lo
	s_delay_alu instid0(VALU_DEP_2) | instskip(SKIP_4) | instid1(VALU_DEP_4)
	v_cmp_gt_u32_e32 vcc_lo, s39, v17
	v_add_nc_u32_e32 v17, 3, v16
	v_cndmask_b32_e32 v68, 0, v68, vcc_lo
	v_cmp_gt_u32_e32 vcc_lo, s39, v18
	v_dual_cndmask_b32 v67, 0, v67 :: v_dual_add_nc_u32 v18, 5, v16
	v_cmp_gt_u32_e32 vcc_lo, s39, v17
	v_dual_cndmask_b32 v66, 0, v66 :: v_dual_add_nc_u32 v17, 6, v16
	v_cmp_gt_u32_e32 vcc_lo, s39, v19
	v_dual_add_nc_u32 v19, 8, v16 :: v_dual_cndmask_b32 v65, 0, v65, vcc_lo
	v_cmp_gt_u32_e32 vcc_lo, s39, v18
	v_add_nc_u32_e32 v18, 7, v16
	v_cndmask_b32_e32 v64, 0, v64, vcc_lo
	v_cmp_gt_u32_e32 vcc_lo, s39, v17
	v_dual_add_nc_u32 v17, 9, v16 :: v_dual_cndmask_b32 v63, 0, v63, vcc_lo
	s_delay_alu instid0(VALU_DEP_4)
	v_cmp_gt_u32_e32 vcc_lo, s39, v18
	v_dual_add_nc_u32 v18, 10, v16 :: v_dual_cndmask_b32 v62, 0, v62, vcc_lo
	v_cmp_gt_u32_e32 vcc_lo, s39, v19
	v_dual_add_nc_u32 v19, 12, v16 :: v_dual_cndmask_b32 v61, 0, v61, vcc_lo
	v_cmp_gt_u32_e32 vcc_lo, s39, v17
	v_add_nc_u32_e32 v17, 11, v16
	v_cndmask_b32_e32 v60, 0, v60, vcc_lo
	v_cmp_gt_u32_e32 vcc_lo, s39, v18
	v_dual_cndmask_b32 v59, 0, v59 :: v_dual_add_nc_u32 v18, 13, v16
	s_delay_alu instid0(VALU_DEP_4)
	v_cmp_gt_u32_e32 vcc_lo, s39, v17
	v_dual_cndmask_b32 v58, 0, v58 :: v_dual_add_nc_u32 v17, 14, v16
	v_cmp_gt_u32_e32 vcc_lo, s39, v19
	v_dual_add_nc_u32 v19, 16, v16 :: v_dual_cndmask_b32 v57, 0, v57, vcc_lo
	v_cmp_gt_u32_e32 vcc_lo, s39, v18
	v_add_nc_u32_e32 v18, 15, v16
	v_cndmask_b32_e32 v56, 0, v56, vcc_lo
	v_cmp_gt_u32_e32 vcc_lo, s39, v17
	v_dual_add_nc_u32 v17, 17, v16 :: v_dual_cndmask_b32 v55, 0, v55, vcc_lo
	s_delay_alu instid0(VALU_DEP_4)
	v_cmp_gt_u32_e32 vcc_lo, s39, v18
	v_dual_add_nc_u32 v18, 18, v16 :: v_dual_cndmask_b32 v54, 0, v54, vcc_lo
	v_cmp_gt_u32_e32 vcc_lo, s39, v19
	v_dual_add_nc_u32 v19, 20, v16 :: v_dual_cndmask_b32 v53, 0, v53, vcc_lo
	v_cmp_gt_u32_e32 vcc_lo, s39, v17
	v_add_nc_u32_e32 v17, 19, v16
	v_cndmask_b32_e32 v52, 0, v52, vcc_lo
	v_cmp_gt_u32_e32 vcc_lo, s39, v18
	v_dual_cndmask_b32 v51, 0, v51 :: v_dual_add_nc_u32 v18, 21, v16
	s_delay_alu instid0(VALU_DEP_4)
	v_cmp_gt_u32_e32 vcc_lo, s39, v17
	v_dual_cndmask_b32 v50, 0, v50 :: v_dual_add_nc_u32 v17, 22, v16
	v_cmp_gt_u32_e32 vcc_lo, s39, v19
	v_dual_add_nc_u32 v19, 24, v16 :: v_dual_cndmask_b32 v49, 0, v49, vcc_lo
	v_cmp_gt_u32_e32 vcc_lo, s39, v18
	v_add_nc_u32_e32 v18, 23, v16
	v_cndmask_b32_e32 v48, 0, v48, vcc_lo
	v_cmp_gt_u32_e32 vcc_lo, s39, v17
	v_dual_add_nc_u32 v17, 25, v16 :: v_dual_cndmask_b32 v47, 0, v47, vcc_lo
	s_delay_alu instid0(VALU_DEP_4)
	v_cmp_gt_u32_e32 vcc_lo, s39, v18
	v_dual_add_nc_u32 v18, 26, v16 :: v_dual_cndmask_b32 v46, 0, v46, vcc_lo
	v_cmp_gt_u32_e32 vcc_lo, s39, v19
	v_dual_add_nc_u32 v19, 28, v16 :: v_dual_cndmask_b32 v45, 0, v45, vcc_lo
	v_cmp_gt_u32_e32 vcc_lo, s39, v17
	v_dual_add_nc_u32 v17, 27, v16 :: v_dual_add_nc_u32 v16, 29, v16
	v_cndmask_b32_e32 v44, 0, v44, vcc_lo
	v_cmp_gt_u32_e32 vcc_lo, s39, v18
	v_cndmask_b32_e32 v43, 0, v43, vcc_lo
	s_delay_alu instid0(VALU_DEP_4)
	v_cmp_gt_u32_e32 vcc_lo, s39, v17
	v_cndmask_b32_e32 v42, 0, v42, vcc_lo
	v_cmp_gt_u32_e32 vcc_lo, s39, v19
	v_cndmask_b32_e32 v41, 0, v41, vcc_lo
	;; [unrolled: 2-line block ×3, first 2 shown]
.LBB548_87:
	v_and_b32_e32 v70, 0xff, v49
	v_and_b32_e32 v71, 0xff, v48
	;; [unrolled: 1-line block ×6, first 2 shown]
	s_wait_loadcnt 0x0
	v_dual_add_nc_u32 v16, v70, v71 :: v_dual_bitop2_b32 v18, 31, v0 bitop3:0x54
	v_and_b32_e32 v76, 0xff, v55
	v_and_b32_e32 v77, 0xff, v54
	;; [unrolled: 1-line block ×3, first 2 shown]
	s_delay_alu instid0(VALU_DEP_4)
	v_add3_u32 v16, v16, v73, v72
	v_and_b32_e32 v79, 0xff, v56
	v_and_b32_e32 v80, 0xff, v59
	v_and_b32_e32 v81, 0xff, v58
	v_and_b32_e32 v82, 0xff, v61
	v_add3_u32 v16, v16, v75, v74
	v_and_b32_e32 v83, 0xff, v60
	v_and_b32_e32 v84, 0xff, v63
	v_and_b32_e32 v85, 0xff, v62
	v_and_b32_e32 v86, 0xff, v65
	;; [unrolled: 5-line block ×4, first 2 shown]
	v_add3_u32 v16, v16, v81, v80
	v_and_b32_e32 v91, 0xff, v44
	v_and_b32_e32 v92, 0xff, v43
	;; [unrolled: 1-line block ×3, first 2 shown]
	v_mbcnt_lo_u32_b32 v100, -1, 0
	v_add3_u32 v16, v16, v83, v82
	v_and_b32_e32 v95, 0xff, v41
	v_and_b32_e32 v17, 0xff, v40
	v_lshrrev_b32_e32 v101, 5, v0
	v_and_b32_e32 v19, 15, v100
	v_add3_u32 v16, v16, v85, v84
	v_and_b32_e32 v20, 16, v100
	v_cmp_eq_u32_e64 s2, v0, v18
	s_and_b32 vcc_lo, exec_lo, s41
	v_cmp_eq_u32_e64 s7, 0, v19
	v_add3_u32 v16, v16, v87, v86
	v_cmp_lt_u32_e64 s6, 1, v19
	v_cmp_lt_u32_e64 s5, 3, v19
	v_cmp_lt_u32_e64 s4, 7, v19
	v_cmp_eq_u32_e64 s3, 0, v20
	v_add3_u32 v16, v16, v96, v94
	s_mov_b32 s8, -1
	s_wait_dscnt 0x0
	s_barrier_signal -1
	s_barrier_wait -1
	v_add3_u32 v16, v16, v98, v97
	s_delay_alu instid0(VALU_DEP_1) | instskip(NEXT) | instid1(VALU_DEP_1)
	v_add3_u32 v16, v16, v88, v89
	v_add3_u32 v16, v16, v90, v91
	s_delay_alu instid0(VALU_DEP_1) | instskip(NEXT) | instid1(VALU_DEP_1)
	v_add3_u32 v16, v16, v92, v93
	v_add3_u32 v102, v16, v95, v17
	s_cbranch_vccz .LBB548_109
; %bb.88:
	s_delay_alu instid0(VALU_DEP_1) | instskip(NEXT) | instid1(VALU_DEP_1)
	v_mov_b32_dpp v16, v102 row_shr:1 row_mask:0xf bank_mask:0xf
	v_cndmask_b32_e64 v16, v16, 0, s7
	s_delay_alu instid0(VALU_DEP_1) | instskip(NEXT) | instid1(VALU_DEP_1)
	v_add_nc_u32_e32 v16, v16, v102
	v_mov_b32_dpp v17, v16 row_shr:2 row_mask:0xf bank_mask:0xf
	s_delay_alu instid0(VALU_DEP_1) | instskip(NEXT) | instid1(VALU_DEP_1)
	v_cndmask_b32_e64 v17, 0, v17, s6
	v_add_nc_u32_e32 v16, v16, v17
	s_delay_alu instid0(VALU_DEP_1) | instskip(NEXT) | instid1(VALU_DEP_1)
	v_mov_b32_dpp v17, v16 row_shr:4 row_mask:0xf bank_mask:0xf
	v_cndmask_b32_e64 v17, 0, v17, s5
	s_delay_alu instid0(VALU_DEP_1) | instskip(NEXT) | instid1(VALU_DEP_1)
	v_add_nc_u32_e32 v16, v16, v17
	v_mov_b32_dpp v17, v16 row_shr:8 row_mask:0xf bank_mask:0xf
	s_delay_alu instid0(VALU_DEP_1) | instskip(NEXT) | instid1(VALU_DEP_1)
	v_cndmask_b32_e64 v17, 0, v17, s4
	v_add_nc_u32_e32 v16, v16, v17
	ds_swizzle_b32 v17, v16 offset:swizzle(BROADCAST,32,15)
	s_wait_dscnt 0x0
	v_cndmask_b32_e64 v17, v17, 0, s3
	s_delay_alu instid0(VALU_DEP_1)
	v_add_nc_u32_e32 v16, v16, v17
	s_and_saveexec_b32 s8, s2
; %bb.89:
	v_lshlrev_b32_e32 v17, 2, v101
	ds_store_b32 v17, v16
; %bb.90:
	s_or_b32 exec_lo, exec_lo, s8
	s_delay_alu instid0(SALU_CYCLE_1)
	s_mov_b32 s8, exec_lo
	s_wait_dscnt 0x0
	s_barrier_signal -1
	s_barrier_wait -1
	v_cmpx_gt_u32_e32 8, v0
	s_cbranch_execz .LBB548_92
; %bb.91:
	v_lshlrev_b32_e32 v17, 2, v0
	v_and_b32_e32 v19, 7, v100
	ds_load_b32 v18, v17
	v_cmp_ne_u32_e32 vcc_lo, 0, v19
	s_wait_dscnt 0x0
	v_mov_b32_dpp v20, v18 row_shr:1 row_mask:0xf bank_mask:0xf
	s_delay_alu instid0(VALU_DEP_1) | instskip(SKIP_1) | instid1(VALU_DEP_2)
	v_cndmask_b32_e32 v20, 0, v20, vcc_lo
	v_cmp_lt_u32_e32 vcc_lo, 1, v19
	v_add_nc_u32_e32 v18, v20, v18
	s_delay_alu instid0(VALU_DEP_1) | instskip(NEXT) | instid1(VALU_DEP_1)
	v_mov_b32_dpp v20, v18 row_shr:2 row_mask:0xf bank_mask:0xf
	v_cndmask_b32_e32 v20, 0, v20, vcc_lo
	v_cmp_lt_u32_e32 vcc_lo, 3, v19
	s_delay_alu instid0(VALU_DEP_2) | instskip(NEXT) | instid1(VALU_DEP_1)
	v_add_nc_u32_e32 v18, v18, v20
	v_mov_b32_dpp v20, v18 row_shr:4 row_mask:0xf bank_mask:0xf
	s_delay_alu instid0(VALU_DEP_1) | instskip(NEXT) | instid1(VALU_DEP_1)
	v_cndmask_b32_e32 v19, 0, v20, vcc_lo
	v_add_nc_u32_e32 v18, v18, v19
	ds_store_b32 v17, v18
.LBB548_92:
	s_or_b32 exec_lo, exec_lo, s8
	s_delay_alu instid0(SALU_CYCLE_1)
	s_mov_b32 s9, exec_lo
	v_cmp_gt_u32_e32 vcc_lo, 32, v0
	s_wait_dscnt 0x0
	s_barrier_signal -1
	s_barrier_wait -1
                                        ; implicit-def: $vgpr99
	v_cmpx_lt_u32_e32 31, v0
	s_cbranch_execz .LBB548_94
; %bb.93:
	v_lshl_add_u32 v17, v101, 2, -4
	ds_load_b32 v99, v17
	s_wait_dscnt 0x0
	v_add_nc_u32_e32 v16, v99, v16
.LBB548_94:
	s_or_b32 exec_lo, exec_lo, s9
	v_sub_co_u32 v17, s8, v100, 1
	s_delay_alu instid0(VALU_DEP_1) | instskip(NEXT) | instid1(VALU_DEP_1)
	v_cmp_gt_i32_e64 s9, 0, v17
	v_cndmask_b32_e64 v17, v17, v100, s9
	s_delay_alu instid0(VALU_DEP_1)
	v_lshlrev_b32_e32 v17, 2, v17
	ds_bpermute_b32 v103, v17, v16
	s_and_saveexec_b32 s9, vcc_lo
	s_cbranch_execz .LBB548_114
; %bb.95:
	v_mov_b32_e32 v23, 0
	ds_load_b32 v16, v23 offset:28
	s_and_saveexec_b32 s12, s8
	s_cbranch_execz .LBB548_97
; %bb.96:
	s_add_co_i32 s13, s38, 32
	s_delay_alu instid0(SALU_CYCLE_1)
	v_dual_mov_b32 v17, 1 :: v_dual_mov_b32 v18, s13
	s_wait_xcnt 0x0
	s_wait_dscnt 0x0
	s_wait_kmcnt 0x0
	global_store_b64 v18, v[16:17], s[10:11] scale_offset scope:SCOPE_DEV
.LBB548_97:
	s_wait_xcnt 0x0
	s_or_b32 exec_lo, exec_lo, s12
	v_xad_u32 v18, v100, -1, s38
	s_mov_b32 s13, 0
	s_mov_b32 s12, exec_lo
	s_delay_alu instid0(VALU_DEP_1)
	v_add_nc_u32_e32 v22, 32, v18
	s_wait_kmcnt 0x0
	global_load_b64 v[20:21], v22, s[10:11] scale_offset scope:SCOPE_DEV
	s_wait_loadcnt 0x0
	v_and_b32_e32 v17, 0xff, v21
	s_wait_xcnt 0x0
	s_delay_alu instid0(VALU_DEP_1)
	v_cmpx_eq_u16_e32 0, v17
	s_cbranch_execz .LBB548_101
; %bb.98:
	v_lshl_add_u64 v[22:23], v[22:23], 3, s[10:11]
.LBB548_99:                             ; =>This Inner Loop Header: Depth=1
	global_load_b64 v[20:21], v[22:23], off scope:SCOPE_DEV
	s_wait_loadcnt 0x0
	v_and_b32_e32 v17, 0xff, v21
	s_delay_alu instid0(VALU_DEP_1)
	v_cmp_ne_u16_e32 vcc_lo, 0, v17
	s_or_b32 s13, vcc_lo, s13
	s_wait_xcnt 0x0
	s_and_not1_b32 exec_lo, exec_lo, s13
	s_cbranch_execnz .LBB548_99
; %bb.100:
	s_or_b32 exec_lo, exec_lo, s13
.LBB548_101:
	s_delay_alu instid0(SALU_CYCLE_1)
	s_or_b32 exec_lo, exec_lo, s12
	v_cmp_ne_u32_e32 vcc_lo, 31, v100
	v_lshlrev_b32_e64 v105, v100, -1
	v_dual_add_nc_u32 v107, 2, v100 :: v_dual_add_nc_u32 v109, 4, v100
	v_dual_add_nc_u32 v111, 8, v100 :: v_dual_add_nc_u32 v113, 16, v100
	v_add_co_ci_u32_e64 v17, null, 0, v100, vcc_lo
	v_lshl_or_b32 v112, v100, 2, 64
	s_delay_alu instid0(VALU_DEP_2)
	v_lshlrev_b32_e32 v104, 2, v17
	v_and_b32_e32 v17, 0xff, v21
	ds_bpermute_b32 v19, v104, v20
	v_cmp_eq_u16_e32 vcc_lo, 2, v17
	v_and_or_b32 v17, vcc_lo, v105, 0x80000000
	v_cmp_gt_u32_e32 vcc_lo, 30, v100
	s_delay_alu instid0(VALU_DEP_2) | instskip(SKIP_1) | instid1(VALU_DEP_2)
	v_ctz_i32_b32_e32 v17, v17
	v_cndmask_b32_e64 v22, 0, 2, vcc_lo
	v_cmp_lt_u32_e32 vcc_lo, v100, v17
	s_delay_alu instid0(VALU_DEP_2)
	v_add_lshl_u32 v106, v22, v100, 2
	s_wait_dscnt 0x0
	v_cndmask_b32_e32 v19, 0, v19, vcc_lo
	v_cmp_gt_u32_e32 vcc_lo, 28, v100
	v_cndmask_b32_e64 v22, 0, 4, vcc_lo
	v_cmp_le_u32_e32 vcc_lo, v107, v17
	s_delay_alu instid0(VALU_DEP_4) | instskip(NEXT) | instid1(VALU_DEP_3)
	v_add_nc_u32_e32 v19, v19, v20
	v_add_lshl_u32 v108, v22, v100, 2
	ds_bpermute_b32 v20, v106, v19
	s_wait_dscnt 0x0
	v_cndmask_b32_e32 v20, 0, v20, vcc_lo
	v_cmp_gt_u32_e32 vcc_lo, 24, v100
	v_cndmask_b32_e64 v22, 0, 8, vcc_lo
	v_cmp_le_u32_e32 vcc_lo, v109, v17
	s_delay_alu instid0(VALU_DEP_4) | instskip(NEXT) | instid1(VALU_DEP_3)
	v_add_nc_u32_e32 v19, v19, v20
	v_add_lshl_u32 v110, v22, v100, 2
	ds_bpermute_b32 v20, v108, v19
	s_wait_dscnt 0x0
	v_cndmask_b32_e32 v20, 0, v20, vcc_lo
	v_cmp_le_u32_e32 vcc_lo, v111, v17
	s_delay_alu instid0(VALU_DEP_2) | instskip(SKIP_4) | instid1(VALU_DEP_2)
	v_add_nc_u32_e32 v19, v19, v20
	ds_bpermute_b32 v20, v110, v19
	s_wait_dscnt 0x0
	v_cndmask_b32_e32 v20, 0, v20, vcc_lo
	v_cmp_le_u32_e32 vcc_lo, v113, v17
	v_add_nc_u32_e32 v19, v19, v20
	ds_bpermute_b32 v20, v112, v19
	s_wait_dscnt 0x0
	v_cndmask_b32_e32 v17, 0, v20, vcc_lo
	s_delay_alu instid0(VALU_DEP_1)
	v_dual_mov_b32 v19, 0 :: v_dual_add_nc_u32 v20, v19, v17
	s_branch .LBB548_104
.LBB548_102:                            ;   in Loop: Header=BB548_104 Depth=1
	s_or_b32 exec_lo, exec_lo, s12
	v_and_b32_e32 v22, 0xff, v21
	ds_bpermute_b32 v23, v104, v20
	v_subrev_nc_u32_e32 v18, 32, v18
	s_mov_b32 s12, 0
	v_cmp_eq_u16_e32 vcc_lo, 2, v22
	v_and_or_b32 v22, vcc_lo, v105, 0x80000000
	s_delay_alu instid0(VALU_DEP_1) | instskip(NEXT) | instid1(VALU_DEP_1)
	v_ctz_i32_b32_e32 v22, v22
	v_cmp_lt_u32_e32 vcc_lo, v100, v22
	s_wait_dscnt 0x0
	v_cndmask_b32_e32 v23, 0, v23, vcc_lo
	v_cmp_le_u32_e32 vcc_lo, v107, v22
	s_delay_alu instid0(VALU_DEP_2) | instskip(SKIP_4) | instid1(VALU_DEP_2)
	v_add_nc_u32_e32 v20, v23, v20
	ds_bpermute_b32 v23, v106, v20
	s_wait_dscnt 0x0
	v_cndmask_b32_e32 v23, 0, v23, vcc_lo
	v_cmp_le_u32_e32 vcc_lo, v109, v22
	v_add_nc_u32_e32 v20, v20, v23
	ds_bpermute_b32 v23, v108, v20
	s_wait_dscnt 0x0
	v_cndmask_b32_e32 v23, 0, v23, vcc_lo
	v_cmp_le_u32_e32 vcc_lo, v111, v22
	s_delay_alu instid0(VALU_DEP_2) | instskip(SKIP_4) | instid1(VALU_DEP_2)
	v_add_nc_u32_e32 v20, v20, v23
	ds_bpermute_b32 v23, v110, v20
	s_wait_dscnt 0x0
	v_cndmask_b32_e32 v23, 0, v23, vcc_lo
	v_cmp_le_u32_e32 vcc_lo, v113, v22
	v_add_nc_u32_e32 v20, v20, v23
	ds_bpermute_b32 v23, v112, v20
	s_wait_dscnt 0x0
	v_cndmask_b32_e32 v22, 0, v23, vcc_lo
	s_delay_alu instid0(VALU_DEP_1)
	v_add3_u32 v20, v22, v17, v20
.LBB548_103:                            ;   in Loop: Header=BB548_104 Depth=1
	s_and_b32 vcc_lo, exec_lo, s12
	s_cbranch_vccnz .LBB548_110
.LBB548_104:                            ; =>This Loop Header: Depth=1
                                        ;     Child Loop BB548_107 Depth 2
	v_and_b32_e32 v17, 0xff, v21
	s_mov_b32 s12, -1
                                        ; implicit-def: $vgpr21
	s_delay_alu instid0(VALU_DEP_1)
	v_cmp_ne_u16_e32 vcc_lo, 2, v17
	v_mov_b32_e32 v17, v20
                                        ; implicit-def: $vgpr20
	s_cmp_lg_u32 vcc_lo, exec_lo
	s_cbranch_scc1 .LBB548_103
; %bb.105:                              ;   in Loop: Header=BB548_104 Depth=1
	global_load_b64 v[20:21], v18, s[10:11] scale_offset scope:SCOPE_DEV
	s_mov_b32 s12, exec_lo
	s_wait_loadcnt 0x0
	v_and_b32_e32 v22, 0xff, v21
	s_wait_xcnt 0x0
	s_delay_alu instid0(VALU_DEP_1)
	v_cmpx_eq_u16_e32 0, v22
	s_cbranch_execz .LBB548_102
; %bb.106:                              ;   in Loop: Header=BB548_104 Depth=1
	v_lshl_add_u64 v[22:23], v[18:19], 3, s[10:11]
	s_mov_b32 s13, 0
.LBB548_107:                            ;   Parent Loop BB548_104 Depth=1
                                        ; =>  This Inner Loop Header: Depth=2
	global_load_b64 v[20:21], v[22:23], off scope:SCOPE_DEV
	s_wait_loadcnt 0x0
	v_and_b32_e32 v114, 0xff, v21
	s_delay_alu instid0(VALU_DEP_1)
	v_cmp_ne_u16_e32 vcc_lo, 0, v114
	s_or_b32 s13, vcc_lo, s13
	s_wait_xcnt 0x0
	s_and_not1_b32 exec_lo, exec_lo, s13
	s_cbranch_execnz .LBB548_107
; %bb.108:                              ;   in Loop: Header=BB548_104 Depth=1
	s_or_b32 exec_lo, exec_lo, s13
	s_branch .LBB548_102
.LBB548_109:
                                        ; implicit-def: $vgpr18
                                        ; implicit-def: $vgpr16
                                        ; implicit-def: $vgpr99
	s_and_b32 vcc_lo, exec_lo, s8
	s_cbranch_vccnz .LBB548_115
	s_branch .LBB548_124
.LBB548_110:
	s_and_saveexec_b32 s12, s8
	s_cbranch_execz .LBB548_112
; %bb.111:
	s_add_co_i32 s13, s38, 32
	v_dual_mov_b32 v19, 2 :: v_dual_add_nc_u32 v18, v17, v16
	v_dual_mov_b32 v20, s13 :: v_dual_mov_b32 v21, 0
	global_store_b64 v20, v[18:19], s[10:11] scale_offset scope:SCOPE_DEV
	ds_store_b64 v21, v[16:17] offset:15360
.LBB548_112:
	s_wait_xcnt 0x0
	s_or_b32 exec_lo, exec_lo, s12
	v_cmp_eq_u32_e32 vcc_lo, 0, v0
	s_and_b32 exec_lo, exec_lo, vcc_lo
; %bb.113:
	v_mov_b32_e32 v16, 0
	ds_store_b32 v16, v17 offset:28
.LBB548_114:
	s_or_b32 exec_lo, exec_lo, s9
	s_wait_dscnt 0x0
	v_dual_mov_b32 v16, 0 :: v_dual_cndmask_b32 v19, v103, v99, s8
	s_wait_storecnt 0x0
	s_barrier_signal -1
	s_barrier_wait -1
	ds_load_b32 v18, v16 offset:28
	s_wait_dscnt 0x0
	s_barrier_signal -1
	s_barrier_wait -1
	ds_load_b64 v[16:17], v16 offset:15360
	v_cmp_ne_u32_e32 vcc_lo, 0, v0
	v_cndmask_b32_e32 v19, 0, v19, vcc_lo
	s_wait_dscnt 0x0
	s_delay_alu instid0(VALU_DEP_1)
	v_dual_mov_b32 v18, v17 :: v_dual_add_nc_u32 v99, v18, v19
	s_branch .LBB548_124
.LBB548_115:
	v_mov_b32_dpp v16, v102 row_shr:1 row_mask:0xf bank_mask:0xf
	s_delay_alu instid0(VALU_DEP_1) | instskip(NEXT) | instid1(VALU_DEP_1)
	v_cndmask_b32_e64 v16, v16, 0, s7
	v_add_nc_u32_e32 v16, v16, v102
	s_delay_alu instid0(VALU_DEP_1) | instskip(NEXT) | instid1(VALU_DEP_1)
	v_mov_b32_dpp v17, v16 row_shr:2 row_mask:0xf bank_mask:0xf
	v_cndmask_b32_e64 v17, 0, v17, s6
	s_delay_alu instid0(VALU_DEP_1) | instskip(NEXT) | instid1(VALU_DEP_1)
	v_add_nc_u32_e32 v16, v16, v17
	v_mov_b32_dpp v17, v16 row_shr:4 row_mask:0xf bank_mask:0xf
	s_delay_alu instid0(VALU_DEP_1) | instskip(NEXT) | instid1(VALU_DEP_1)
	v_cndmask_b32_e64 v17, 0, v17, s5
	v_add_nc_u32_e32 v16, v16, v17
	s_delay_alu instid0(VALU_DEP_1) | instskip(NEXT) | instid1(VALU_DEP_1)
	v_mov_b32_dpp v17, v16 row_shr:8 row_mask:0xf bank_mask:0xf
	v_cndmask_b32_e64 v17, 0, v17, s4
	s_delay_alu instid0(VALU_DEP_1) | instskip(SKIP_3) | instid1(VALU_DEP_1)
	v_add_nc_u32_e32 v16, v16, v17
	ds_swizzle_b32 v17, v16 offset:swizzle(BROADCAST,32,15)
	s_wait_dscnt 0x0
	v_cndmask_b32_e64 v17, v17, 0, s3
	v_add_nc_u32_e32 v16, v16, v17
	s_and_saveexec_b32 s3, s2
; %bb.116:
	v_lshlrev_b32_e32 v17, 2, v101
	ds_store_b32 v17, v16
; %bb.117:
	s_or_b32 exec_lo, exec_lo, s3
	s_delay_alu instid0(SALU_CYCLE_1)
	s_mov_b32 s2, exec_lo
	s_wait_dscnt 0x0
	s_barrier_signal -1
	s_barrier_wait -1
	v_cmpx_gt_u32_e32 8, v0
	s_cbranch_execz .LBB548_119
; %bb.118:
	v_lshlrev_b32_e32 v17, 2, v0
	v_and_b32_e32 v19, 7, v100
	ds_load_b32 v18, v17
	v_cmp_ne_u32_e32 vcc_lo, 0, v19
	s_wait_dscnt 0x0
	v_mov_b32_dpp v20, v18 row_shr:1 row_mask:0xf bank_mask:0xf
	s_delay_alu instid0(VALU_DEP_1) | instskip(SKIP_1) | instid1(VALU_DEP_2)
	v_cndmask_b32_e32 v20, 0, v20, vcc_lo
	v_cmp_lt_u32_e32 vcc_lo, 1, v19
	v_add_nc_u32_e32 v18, v20, v18
	s_delay_alu instid0(VALU_DEP_1) | instskip(NEXT) | instid1(VALU_DEP_1)
	v_mov_b32_dpp v20, v18 row_shr:2 row_mask:0xf bank_mask:0xf
	v_cndmask_b32_e32 v20, 0, v20, vcc_lo
	v_cmp_lt_u32_e32 vcc_lo, 3, v19
	s_delay_alu instid0(VALU_DEP_2) | instskip(NEXT) | instid1(VALU_DEP_1)
	v_add_nc_u32_e32 v18, v18, v20
	v_mov_b32_dpp v20, v18 row_shr:4 row_mask:0xf bank_mask:0xf
	s_delay_alu instid0(VALU_DEP_1) | instskip(NEXT) | instid1(VALU_DEP_1)
	v_cndmask_b32_e32 v19, 0, v20, vcc_lo
	v_add_nc_u32_e32 v18, v18, v19
	ds_store_b32 v17, v18
.LBB548_119:
	s_or_b32 exec_lo, exec_lo, s2
	v_dual_mov_b32 v17, 0 :: v_dual_mov_b32 v18, 0
	s_mov_b32 s2, exec_lo
	s_wait_dscnt 0x0
	s_barrier_signal -1
	s_barrier_wait -1
	v_cmpx_lt_u32_e32 31, v0
; %bb.120:
	v_lshl_add_u32 v18, v101, 2, -4
	ds_load_b32 v18, v18
; %bb.121:
	s_or_b32 exec_lo, exec_lo, s2
	v_sub_co_u32 v19, vcc_lo, v100, 1
	s_delay_alu instid0(VALU_DEP_1) | instskip(NEXT) | instid1(VALU_DEP_1)
	v_cmp_gt_i32_e64 s2, 0, v19
	v_cndmask_b32_e64 v19, v19, v100, s2
	s_wait_dscnt 0x0
	v_add_nc_u32_e32 v16, v18, v16
	v_cmp_eq_u32_e64 s2, 0, v0
	s_delay_alu instid0(VALU_DEP_3)
	v_lshlrev_b32_e32 v19, 2, v19
	ds_bpermute_b32 v19, v19, v16
	ds_load_b32 v16, v17 offset:28
	s_and_saveexec_b32 s3, s2
	s_cbranch_execz .LBB548_123
; %bb.122:
	v_dual_mov_b32 v20, 0 :: v_dual_mov_b32 v17, 2
	s_wait_xcnt 0x0
	s_wait_dscnt 0x0
	s_wait_kmcnt 0x0
	global_store_b64 v20, v[16:17], s[10:11] offset:256 scope:SCOPE_DEV
.LBB548_123:
	s_wait_xcnt 0x0
	s_or_b32 exec_lo, exec_lo, s3
	s_wait_dscnt 0x1
	v_dual_cndmask_b32 v17, v19, v18 :: v_dual_mov_b32 v18, 0
	s_wait_storecnt_dscnt 0x0
	s_barrier_signal -1
	s_barrier_wait -1
	s_delay_alu instid0(VALU_DEP_1)
	v_cndmask_b32_e64 v99, v17, 0, s2
.LBB548_124:
	s_delay_alu instid0(VALU_DEP_1)
	v_add_nc_u32_e32 v100, v99, v97
	s_load_b64 s[2:3], s[0:1], 0x28
	v_cmp_gt_u32_e32 vcc_lo, 0x101, v16
	s_wait_xcnt 0x0
	s_mov_b32 s0, -1
	v_dual_add_nc_u32 v98, v100, v98 :: v_dual_bitop2_b32 v69, 1, v69 bitop3:0x40
	s_and_b32 vcc_lo, exec_lo, vcc_lo
	s_delay_alu instid0(VALU_DEP_1) | instskip(NEXT) | instid1(VALU_DEP_1)
	v_add_nc_u32_e32 v97, v98, v94
	v_add_nc_u32_e32 v96, v97, v96
	s_delay_alu instid0(VALU_DEP_1) | instskip(NEXT) | instid1(VALU_DEP_1)
	v_add_nc_u32_e32 v94, v96, v86
	v_add_nc_u32_e32 v87, v94, v87
	;; [unrolled: 3-line block ×13, first 2 shown]
	s_delay_alu instid0(VALU_DEP_1)
	v_add_nc_u32_e32 v17, v19, v95
	s_cbranch_vccnz .LBB548_128
; %bb.125:
	s_and_b32 vcc_lo, exec_lo, s0
	s_cbranch_vccnz .LBB548_189
.LBB548_126:
	v_cmp_eq_u32_e32 vcc_lo, 0, v0
	s_and_b32 s0, vcc_lo, s31
	s_delay_alu instid0(SALU_CYCLE_1)
	s_and_saveexec_b32 s1, s0
	s_cbranch_execnz .LBB548_264
.LBB548_127:
	s_sendmsg sendmsg(MSG_DEALLOC_VGPRS)
	s_endpgm
.LBB548_128:
	v_add_nc_u32_e32 v88, v18, v16
	v_cmp_eq_u32_e64 s0, 1, v69
	s_wait_kmcnt 0x0
	s_lshl_b64 s[4:5], s[34:35], 1
	s_delay_alu instid0(SALU_CYCLE_1) | instskip(SKIP_2) | instid1(SALU_CYCLE_1)
	s_add_nc_u64 s[4:5], s[2:3], s[4:5]
	v_cmp_lt_u32_e32 vcc_lo, v99, v88
	s_or_b32 s1, s33, vcc_lo
	s_and_b32 s1, s1, s0
	s_delay_alu instid0(SALU_CYCLE_1)
	s_and_saveexec_b32 s0, s1
	s_cbranch_execz .LBB548_130
; %bb.129:
	global_store_b16 v99, v14, s[4:5] scale_offset
.LBB548_130:
	s_wait_xcnt 0x0
	s_or_b32 exec_lo, exec_lo, s0
	v_and_b32_e32 v89, 1, v68
	v_cmp_lt_u32_e32 vcc_lo, v100, v88
	s_delay_alu instid0(VALU_DEP_2) | instskip(SKIP_1) | instid1(SALU_CYCLE_1)
	v_cmp_eq_u32_e64 s0, 1, v89
	s_or_b32 s1, s33, vcc_lo
	s_and_b32 s1, s1, s0
	s_delay_alu instid0(SALU_CYCLE_1)
	s_and_saveexec_b32 s0, s1
	s_cbranch_execz .LBB548_132
; %bb.131:
	global_store_b16 v100, v39, s[4:5] scale_offset
.LBB548_132:
	s_wait_xcnt 0x0
	s_or_b32 exec_lo, exec_lo, s0
	v_and_b32_e32 v89, 1, v67
	v_cmp_lt_u32_e32 vcc_lo, v98, v88
	s_delay_alu instid0(VALU_DEP_2) | instskip(SKIP_1) | instid1(SALU_CYCLE_1)
	v_cmp_eq_u32_e64 s0, 1, v89
	;; [unrolled: 14-line block ×29, first 2 shown]
	s_or_b32 s1, s33, vcc_lo
	s_and_b32 s1, s1, s0
	s_delay_alu instid0(SALU_CYCLE_1)
	s_and_saveexec_b32 s0, s1
	s_cbranch_execz .LBB548_188
; %bb.187:
	global_store_b16 v17, v25, s[4:5] scale_offset
.LBB548_188:
	s_wait_xcnt 0x0
	s_or_b32 exec_lo, exec_lo, s0
	s_branch .LBB548_126
.LBB548_189:
	s_mov_b32 s0, exec_lo
	v_cmpx_eq_u32_e32 1, v69
; %bb.190:
	v_sub_nc_u32_e32 v69, v99, v18
	s_delay_alu instid0(VALU_DEP_1)
	v_lshlrev_b32_e32 v69, 1, v69
	ds_store_b16 v69, v14
; %bb.191:
	s_or_b32 exec_lo, exec_lo, s0
	v_and_b32_e32 v14, 1, v68
	s_mov_b32 s0, exec_lo
	s_delay_alu instid0(VALU_DEP_1)
	v_cmpx_eq_u32_e32 1, v14
; %bb.192:
	v_sub_nc_u32_e32 v14, v100, v18
	s_delay_alu instid0(VALU_DEP_1)
	v_lshlrev_b32_e32 v14, 1, v14
	ds_store_b16 v14, v39
; %bb.193:
	s_or_b32 exec_lo, exec_lo, s0
	v_and_b32_e32 v14, 1, v67
	s_mov_b32 s0, exec_lo
	s_delay_alu instid0(VALU_DEP_1)
	v_cmpx_eq_u32_e32 1, v14
; %bb.194:
	v_sub_nc_u32_e32 v14, v98, v18
	s_delay_alu instid0(VALU_DEP_1)
	v_lshlrev_b32_e32 v14, 1, v14
	ds_store_b16 v14, v15
; %bb.195:
	s_or_b32 exec_lo, exec_lo, s0
	v_and_b32_e32 v14, 1, v66
	s_mov_b32 s0, exec_lo
	s_delay_alu instid0(VALU_DEP_1)
	v_cmpx_eq_u32_e32 1, v14
; %bb.196:
	v_sub_nc_u32_e32 v14, v97, v18
	s_delay_alu instid0(VALU_DEP_1)
	v_lshlrev_b32_e32 v14, 1, v14
	ds_store_b16 v14, v38
; %bb.197:
	s_or_b32 exec_lo, exec_lo, s0
	v_and_b32_e32 v14, 1, v65
	s_mov_b32 s0, exec_lo
	s_delay_alu instid0(VALU_DEP_1)
	v_cmpx_eq_u32_e32 1, v14
; %bb.198:
	v_sub_nc_u32_e32 v14, v96, v18
	s_delay_alu instid0(VALU_DEP_1)
	v_lshlrev_b32_e32 v14, 1, v14
	ds_store_b16 v14, v12
; %bb.199:
	s_or_b32 exec_lo, exec_lo, s0
	v_and_b32_e32 v12, 1, v64
	s_mov_b32 s0, exec_lo
	s_delay_alu instid0(VALU_DEP_1)
	v_cmpx_eq_u32_e32 1, v12
; %bb.200:
	v_sub_nc_u32_e32 v12, v94, v18
	s_delay_alu instid0(VALU_DEP_1)
	v_lshlrev_b32_e32 v12, 1, v12
	ds_store_b16 v12, v37
; %bb.201:
	s_or_b32 exec_lo, exec_lo, s0
	v_and_b32_e32 v12, 1, v63
	s_mov_b32 s0, exec_lo
	s_delay_alu instid0(VALU_DEP_1)
	v_cmpx_eq_u32_e32 1, v12
; %bb.202:
	v_sub_nc_u32_e32 v12, v87, v18
	s_delay_alu instid0(VALU_DEP_1)
	v_lshlrev_b32_e32 v12, 1, v12
	ds_store_b16 v12, v13
; %bb.203:
	s_or_b32 exec_lo, exec_lo, s0
	v_and_b32_e32 v12, 1, v62
	s_mov_b32 s0, exec_lo
	s_delay_alu instid0(VALU_DEP_1)
	v_cmpx_eq_u32_e32 1, v12
; %bb.204:
	v_sub_nc_u32_e32 v12, v86, v18
	s_delay_alu instid0(VALU_DEP_1)
	v_lshlrev_b32_e32 v12, 1, v12
	ds_store_b16 v12, v36
; %bb.205:
	s_or_b32 exec_lo, exec_lo, s0
	v_and_b32_e32 v12, 1, v61
	s_mov_b32 s0, exec_lo
	s_delay_alu instid0(VALU_DEP_1)
	v_cmpx_eq_u32_e32 1, v12
; %bb.206:
	v_sub_nc_u32_e32 v12, v85, v18
	s_delay_alu instid0(VALU_DEP_1)
	v_lshlrev_b32_e32 v12, 1, v12
	ds_store_b16 v12, v10
; %bb.207:
	s_or_b32 exec_lo, exec_lo, s0
	v_and_b32_e32 v10, 1, v60
	s_mov_b32 s0, exec_lo
	s_delay_alu instid0(VALU_DEP_1)
	v_cmpx_eq_u32_e32 1, v10
; %bb.208:
	v_sub_nc_u32_e32 v10, v84, v18
	s_delay_alu instid0(VALU_DEP_1)
	v_lshlrev_b32_e32 v10, 1, v10
	ds_store_b16 v10, v35
; %bb.209:
	s_or_b32 exec_lo, exec_lo, s0
	v_and_b32_e32 v10, 1, v59
	s_mov_b32 s0, exec_lo
	s_delay_alu instid0(VALU_DEP_1)
	v_cmpx_eq_u32_e32 1, v10
; %bb.210:
	v_sub_nc_u32_e32 v10, v83, v18
	s_delay_alu instid0(VALU_DEP_1)
	v_lshlrev_b32_e32 v10, 1, v10
	ds_store_b16 v10, v11
; %bb.211:
	s_or_b32 exec_lo, exec_lo, s0
	v_and_b32_e32 v10, 1, v58
	s_mov_b32 s0, exec_lo
	s_delay_alu instid0(VALU_DEP_1)
	v_cmpx_eq_u32_e32 1, v10
; %bb.212:
	v_sub_nc_u32_e32 v10, v82, v18
	s_delay_alu instid0(VALU_DEP_1)
	v_lshlrev_b32_e32 v10, 1, v10
	ds_store_b16 v10, v34
; %bb.213:
	s_or_b32 exec_lo, exec_lo, s0
	v_and_b32_e32 v10, 1, v57
	s_mov_b32 s0, exec_lo
	s_delay_alu instid0(VALU_DEP_1)
	v_cmpx_eq_u32_e32 1, v10
; %bb.214:
	v_sub_nc_u32_e32 v10, v81, v18
	s_delay_alu instid0(VALU_DEP_1)
	v_lshlrev_b32_e32 v10, 1, v10
	ds_store_b16 v10, v8
; %bb.215:
	s_or_b32 exec_lo, exec_lo, s0
	v_and_b32_e32 v8, 1, v56
	s_mov_b32 s0, exec_lo
	s_delay_alu instid0(VALU_DEP_1)
	v_cmpx_eq_u32_e32 1, v8
; %bb.216:
	v_sub_nc_u32_e32 v8, v80, v18
	s_delay_alu instid0(VALU_DEP_1)
	v_lshlrev_b32_e32 v8, 1, v8
	ds_store_b16 v8, v33
; %bb.217:
	s_or_b32 exec_lo, exec_lo, s0
	v_and_b32_e32 v8, 1, v55
	s_mov_b32 s0, exec_lo
	s_delay_alu instid0(VALU_DEP_1)
	v_cmpx_eq_u32_e32 1, v8
; %bb.218:
	v_sub_nc_u32_e32 v8, v79, v18
	s_delay_alu instid0(VALU_DEP_1)
	v_lshlrev_b32_e32 v8, 1, v8
	ds_store_b16 v8, v9
; %bb.219:
	s_or_b32 exec_lo, exec_lo, s0
	v_and_b32_e32 v8, 1, v54
	s_mov_b32 s0, exec_lo
	s_delay_alu instid0(VALU_DEP_1)
	v_cmpx_eq_u32_e32 1, v8
; %bb.220:
	v_sub_nc_u32_e32 v8, v78, v18
	s_delay_alu instid0(VALU_DEP_1)
	v_lshlrev_b32_e32 v8, 1, v8
	ds_store_b16 v8, v32
; %bb.221:
	s_or_b32 exec_lo, exec_lo, s0
	v_and_b32_e32 v8, 1, v53
	s_mov_b32 s0, exec_lo
	s_delay_alu instid0(VALU_DEP_1)
	v_cmpx_eq_u32_e32 1, v8
; %bb.222:
	v_sub_nc_u32_e32 v8, v77, v18
	s_delay_alu instid0(VALU_DEP_1)
	v_lshlrev_b32_e32 v8, 1, v8
	ds_store_b16 v8, v6
; %bb.223:
	s_or_b32 exec_lo, exec_lo, s0
	v_and_b32_e32 v6, 1, v52
	s_mov_b32 s0, exec_lo
	s_delay_alu instid0(VALU_DEP_1)
	v_cmpx_eq_u32_e32 1, v6
; %bb.224:
	v_sub_nc_u32_e32 v6, v76, v18
	s_delay_alu instid0(VALU_DEP_1)
	v_lshlrev_b32_e32 v6, 1, v6
	ds_store_b16 v6, v31
; %bb.225:
	s_or_b32 exec_lo, exec_lo, s0
	v_and_b32_e32 v6, 1, v51
	s_mov_b32 s0, exec_lo
	s_delay_alu instid0(VALU_DEP_1)
	v_cmpx_eq_u32_e32 1, v6
; %bb.226:
	v_sub_nc_u32_e32 v6, v75, v18
	s_delay_alu instid0(VALU_DEP_1)
	v_lshlrev_b32_e32 v6, 1, v6
	ds_store_b16 v6, v7
; %bb.227:
	s_or_b32 exec_lo, exec_lo, s0
	v_and_b32_e32 v6, 1, v50
	s_mov_b32 s0, exec_lo
	s_delay_alu instid0(VALU_DEP_1)
	v_cmpx_eq_u32_e32 1, v6
; %bb.228:
	v_sub_nc_u32_e32 v6, v74, v18
	s_delay_alu instid0(VALU_DEP_1)
	v_lshlrev_b32_e32 v6, 1, v6
	ds_store_b16 v6, v30
; %bb.229:
	s_or_b32 exec_lo, exec_lo, s0
	v_and_b32_e32 v6, 1, v49
	s_mov_b32 s0, exec_lo
	s_delay_alu instid0(VALU_DEP_1)
	v_cmpx_eq_u32_e32 1, v6
; %bb.230:
	v_sub_nc_u32_e32 v6, v73, v18
	s_delay_alu instid0(VALU_DEP_1)
	v_lshlrev_b32_e32 v6, 1, v6
	ds_store_b16 v6, v4
; %bb.231:
	s_or_b32 exec_lo, exec_lo, s0
	v_and_b32_e32 v4, 1, v48
	s_mov_b32 s0, exec_lo
	s_delay_alu instid0(VALU_DEP_1)
	v_cmpx_eq_u32_e32 1, v4
; %bb.232:
	v_sub_nc_u32_e32 v4, v72, v18
	s_delay_alu instid0(VALU_DEP_1)
	v_lshlrev_b32_e32 v4, 1, v4
	ds_store_b16 v4, v29
; %bb.233:
	s_or_b32 exec_lo, exec_lo, s0
	v_and_b32_e32 v4, 1, v47
	s_mov_b32 s0, exec_lo
	s_delay_alu instid0(VALU_DEP_1)
	v_cmpx_eq_u32_e32 1, v4
; %bb.234:
	v_sub_nc_u32_e32 v4, v71, v18
	s_delay_alu instid0(VALU_DEP_1)
	v_lshlrev_b32_e32 v4, 1, v4
	ds_store_b16 v4, v5
; %bb.235:
	s_or_b32 exec_lo, exec_lo, s0
	v_and_b32_e32 v4, 1, v46
	s_mov_b32 s0, exec_lo
	s_delay_alu instid0(VALU_DEP_1)
	v_cmpx_eq_u32_e32 1, v4
; %bb.236:
	v_sub_nc_u32_e32 v4, v70, v18
	s_delay_alu instid0(VALU_DEP_1)
	v_lshlrev_b32_e32 v4, 1, v4
	ds_store_b16 v4, v28
; %bb.237:
	s_or_b32 exec_lo, exec_lo, s0
	v_and_b32_e32 v4, 1, v45
	s_mov_b32 s0, exec_lo
	s_delay_alu instid0(VALU_DEP_1)
	v_cmpx_eq_u32_e32 1, v4
; %bb.238:
	v_sub_nc_u32_e32 v4, v23, v18
	s_delay_alu instid0(VALU_DEP_1)
	v_lshlrev_b32_e32 v4, 1, v4
	ds_store_b16 v4, v2
; %bb.239:
	s_or_b32 exec_lo, exec_lo, s0
	v_and_b32_e32 v2, 1, v44
	s_mov_b32 s0, exec_lo
	s_delay_alu instid0(VALU_DEP_1)
	v_cmpx_eq_u32_e32 1, v2
; %bb.240:
	v_sub_nc_u32_e32 v2, v22, v18
	s_delay_alu instid0(VALU_DEP_1)
	v_lshlrev_b32_e32 v2, 1, v2
	ds_store_b16 v2, v27
; %bb.241:
	s_or_b32 exec_lo, exec_lo, s0
	v_and_b32_e32 v2, 1, v43
	s_mov_b32 s0, exec_lo
	s_delay_alu instid0(VALU_DEP_1)
	v_cmpx_eq_u32_e32 1, v2
; %bb.242:
	v_sub_nc_u32_e32 v2, v21, v18
	s_delay_alu instid0(VALU_DEP_1)
	v_lshlrev_b32_e32 v2, 1, v2
	ds_store_b16 v2, v3
; %bb.243:
	s_or_b32 exec_lo, exec_lo, s0
	v_and_b32_e32 v2, 1, v42
	s_mov_b32 s0, exec_lo
	s_delay_alu instid0(VALU_DEP_1)
	v_cmpx_eq_u32_e32 1, v2
; %bb.244:
	v_sub_nc_u32_e32 v2, v20, v18
	s_delay_alu instid0(VALU_DEP_1)
	v_lshlrev_b32_e32 v2, 1, v2
	ds_store_b16 v2, v26
; %bb.245:
	s_or_b32 exec_lo, exec_lo, s0
	v_and_b32_e32 v2, 1, v41
	s_mov_b32 s0, exec_lo
	s_delay_alu instid0(VALU_DEP_1)
	v_cmpx_eq_u32_e32 1, v2
; %bb.246:
	v_sub_nc_u32_e32 v2, v19, v18
	s_delay_alu instid0(VALU_DEP_1)
	v_lshlrev_b32_e32 v2, 1, v2
	ds_store_b16 v2, v1
; %bb.247:
	s_or_b32 exec_lo, exec_lo, s0
	v_and_b32_e32 v1, 1, v40
	s_mov_b32 s0, exec_lo
	s_delay_alu instid0(VALU_DEP_1)
	v_cmpx_eq_u32_e32 1, v1
; %bb.248:
	v_sub_nc_u32_e32 v1, v17, v18
	s_delay_alu instid0(VALU_DEP_1)
	v_lshlrev_b32_e32 v1, 1, v1
	ds_store_b16 v1, v25
; %bb.249:
	s_or_b32 exec_lo, exec_lo, s0
	v_or_b32_e32 v1, 0x100, v0
	v_mov_b32_e32 v19, 0
	s_wait_kmcnt 0x0
	s_lshl_b64 s[0:1], s[34:35], 1
	s_wait_storecnt_dscnt 0x0
	s_add_nc_u64 s[0:1], s[2:3], s[0:1]
	v_max_u32_e32 v3, v16, v1
	v_lshlrev_b64_e32 v[4:5], 1, v[18:19]
	s_mov_b32 s3, -1
	s_barrier_signal -1
	s_barrier_wait -1
	v_xad_u32 v2, v0, -1, v3
	s_delay_alu instid0(VALU_DEP_2) | instskip(SKIP_1) | instid1(VALU_DEP_2)
	v_add_nc_u64_e32 v[8:9], s[0:1], v[4:5]
	s_mov_b32 s1, exec_lo
	v_cmp_gt_u32_e64 s0, 0x1b00, v2
	v_cmpx_lt_u32_e32 0x1aff, v2
	s_cbranch_execz .LBB548_260
; %bb.250:
	v_sub_nc_u32_e32 v3, v0, v3
	s_mov_b32 s2, exec_lo
	s_delay_alu instid0(VALU_DEP_1) | instskip(NEXT) | instid1(VALU_DEP_1)
	v_or_b32_e32 v3, 0xff, v3
	v_cmpx_ge_u32_e64 v3, v0
	s_cbranch_execz .LBB548_259
; %bb.251:
	v_lshrrev_b32_e32 v12, 8, v2
	v_or_b32_e32 v3, 0x300, v0
	v_or_b32_e32 v2, 0x200, v0
	s_delay_alu instid0(VALU_DEP_3) | instskip(NEXT) | instid1(VALU_DEP_1)
	v_dual_mov_b32 v19, 0 :: v_dual_add_nc_u32 v4, -3, v12
	v_lshrrev_b32_e32 v5, 2, v4
	v_lshlrev_b32_e32 v13, 1, v0
	v_cmp_lt_u32_e32 vcc_lo, 11, v4
	s_delay_alu instid0(VALU_DEP_3)
	v_add_nc_u32_e32 v14, 1, v5
	v_mov_b64_e32 v[6:7], v[2:3]
	v_mov_b64_e32 v[4:5], v[0:1]
	s_and_saveexec_b32 s3, vcc_lo
	s_cbranch_execz .LBB548_255
; %bb.252:
	v_mov_b64_e32 v[6:7], v[2:3]
	v_mov_b64_e32 v[4:5], v[0:1]
	v_and_b32_e32 v15, 0x7ffffffc, v14
	v_dual_mov_b32 v11, 0 :: v_dual_mov_b32 v17, v13
	s_mov_b32 s4, 0
	s_mov_b32 s5, 0
.LBB548_253:                            ; =>This Inner Loop Header: Depth=1
	s_delay_alu instid0(VALU_DEP_1)
	v_dual_mov_b32 v10, v4 :: v_dual_mov_b32 v23, v11
	ds_load_u16 v1, v17
	ds_load_u16 v44, v17 offset:512
	ds_load_u16 v45, v17 offset:1024
	;; [unrolled: 1-line block ×15, first 2 shown]
	v_add_nc_u32_e32 v17, 0x2000, v17
	v_lshl_add_u64 v[36:37], v[10:11], 1, v[8:9]
	v_dual_mov_b32 v10, v5 :: v_dual_add_nc_u32 v15, -4, v15
	v_dual_mov_b32 v29, v11 :: v_dual_add_nc_u32 v22, 0x400, v5
	v_dual_mov_b32 v35, v11 :: v_dual_add_nc_u32 v28, 0x800, v5
	s_delay_alu instid0(VALU_DEP_3) | instskip(SKIP_2) | instid1(SALU_CYCLE_1)
	v_lshl_add_u64 v[38:39], v[10:11], 1, v[8:9]
	v_mov_b32_e32 v10, v6
	s_add_co_i32 s5, s5, 16
	v_dual_mov_b32 v19, s5 :: v_dual_add_nc_u32 v34, 0xc00, v5
	v_add_nc_u32_e32 v5, 0x1000, v5
	s_delay_alu instid0(VALU_DEP_3)
	v_lshl_add_u64 v[40:41], v[10:11], 1, v[8:9]
	v_mov_b32_e32 v10, v7
	s_wait_dscnt 0xf
	global_store_b16 v[36:37], v1, off
	s_wait_dscnt 0xe
	global_store_b16 v[38:39], v44, off
	;; [unrolled: 2-line block ×3, first 2 shown]
	v_dual_mov_b32 v21, v11 :: v_dual_add_nc_u32 v2, 0x400, v7
	v_lshl_add_u64 v[42:43], v[10:11], 1, v[8:9]
	v_add_nc_u32_e32 v10, 0x400, v4
	v_dual_mov_b32 v3, v11 :: v_dual_add_nc_u32 v20, 0x400, v6
	v_dual_mov_b32 v27, v11 :: v_dual_add_nc_u32 v24, 0x800, v7
	s_wait_xcnt 0x2
	s_delay_alu instid0(VALU_DEP_3)
	v_lshl_add_u64 v[36:37], v[10:11], 1, v[8:9]
	v_add_nc_u32_e32 v10, 0x800, v4
	v_dual_mov_b32 v25, v11 :: v_dual_add_nc_u32 v26, 0x800, v6
	v_cmp_eq_u32_e32 vcc_lo, 0, v15
	v_lshl_add_u64 v[22:23], v[22:23], 1, v[8:9]
	s_wait_dscnt 0xc
	global_store_b16 v[42:43], v46, off
	s_wait_dscnt 0xb
	global_store_b16 v[36:37], v47, off
	s_wait_xcnt 0x0
	v_lshl_add_u64 v[36:37], v[10:11], 1, v[8:9]
	v_add_nc_u32_e32 v10, 0xc00, v4
	v_dual_mov_b32 v33, v11 :: v_dual_add_nc_u32 v30, 0xc00, v7
	v_dual_mov_b32 v31, v11 :: v_dual_add_nc_u32 v32, 0xc00, v6
	v_lshl_add_u64 v[20:21], v[20:21], 1, v[8:9]
	v_add_nc_u32_e32 v6, 0x1000, v6
	v_add_nc_u32_e32 v7, 0x1000, v7
	;; [unrolled: 1-line block ×3, first 2 shown]
	v_lshl_add_u64 v[2:3], v[2:3], 1, v[8:9]
	v_lshl_add_u64 v[28:29], v[28:29], 1, v[8:9]
	;; [unrolled: 1-line block ×4, first 2 shown]
	s_or_b32 s4, vcc_lo, s4
	s_wait_dscnt 0xa
	global_store_b16 v[22:23], v48, off
	s_wait_dscnt 0x9
	global_store_b16 v[20:21], v49, off
	;; [unrolled: 2-line block ×3, first 2 shown]
	s_wait_xcnt 0x0
	v_lshl_add_u64 v[2:3], v[10:11], 1, v[8:9]
	v_lshl_add_u64 v[34:35], v[34:35], 1, v[8:9]
	;; [unrolled: 1-line block ×4, first 2 shown]
	s_wait_dscnt 0x7
	global_store_b16 v[36:37], v51, off
	s_wait_dscnt 0x6
	global_store_b16 v[28:29], v52, off
	;; [unrolled: 2-line block ×8, first 2 shown]
	s_wait_xcnt 0x0
	s_and_not1_b32 exec_lo, exec_lo, s4
	s_cbranch_execnz .LBB548_253
; %bb.254:
	s_or_b32 exec_lo, exec_lo, s4
.LBB548_255:
	s_delay_alu instid0(SALU_CYCLE_1) | instskip(SKIP_3) | instid1(VALU_DEP_1)
	s_or_b32 exec_lo, exec_lo, s3
	v_and_b32_e32 v1, 3, v14
	s_mov_b32 s4, 0
	s_mov_b32 s3, exec_lo
	v_cmpx_ne_u32_e32 0, v1
	s_cbranch_execz .LBB548_258
; %bb.256:
	v_lshl_or_b32 v10, v19, 9, v13
	v_mov_b32_e32 v3, 0
.LBB548_257:                            ; =>This Inner Loop Header: Depth=1
	v_dual_mov_b32 v2, v4 :: v_dual_add_nc_u32 v1, -1, v1
	ds_load_u16 v11, v10
	ds_load_u16 v13, v10 offset:512
	ds_load_u16 v17, v10 offset:1024
	;; [unrolled: 1-line block ×3, first 2 shown]
	v_add_nc_u32_e32 v4, 0x400, v4
	v_add_nc_u32_e32 v10, 0x800, v10
	v_lshl_add_u64 v[14:15], v[2:3], 1, v[8:9]
	v_dual_mov_b32 v2, v5 :: v_dual_add_nc_u32 v5, 0x400, v5
	v_cmp_eq_u32_e32 vcc_lo, 0, v1
	s_delay_alu instid0(VALU_DEP_2) | instskip(SKIP_3) | instid1(VALU_DEP_2)
	v_lshl_add_u64 v[20:21], v[2:3], 1, v[8:9]
	v_mov_b32_e32 v2, v6
	v_add_nc_u32_e32 v6, 0x400, v6
	s_or_b32 s4, vcc_lo, s4
	v_lshl_add_u64 v[22:23], v[2:3], 1, v[8:9]
	v_dual_mov_b32 v2, v7 :: v_dual_add_nc_u32 v7, 0x400, v7
	s_delay_alu instid0(VALU_DEP_1)
	v_lshl_add_u64 v[24:25], v[2:3], 1, v[8:9]
	s_wait_dscnt 0x3
	global_store_b16 v[14:15], v11, off
	s_wait_dscnt 0x2
	global_store_b16 v[20:21], v13, off
	;; [unrolled: 2-line block ×4, first 2 shown]
	s_wait_xcnt 0x0
	s_and_not1_b32 exec_lo, exec_lo, s4
	s_cbranch_execnz .LBB548_257
.LBB548_258:
	s_or_b32 exec_lo, exec_lo, s3
	v_add_nc_u32_e32 v1, 1, v12
	s_delay_alu instid0(VALU_DEP_1) | instskip(NEXT) | instid1(VALU_DEP_1)
	v_and_b32_e32 v2, 0x1fffffc, v1
	v_cmp_ne_u32_e32 vcc_lo, v1, v2
	v_lshl_or_b32 v24, v2, 8, v0
	s_or_not1_b32 s3, vcc_lo, exec_lo
.LBB548_259:
	s_or_b32 exec_lo, exec_lo, s2
	s_delay_alu instid0(SALU_CYCLE_1) | instskip(SKIP_1) | instid1(SALU_CYCLE_1)
	s_and_not1_b32 s0, s0, exec_lo
	s_and_b32 s2, s3, exec_lo
	s_or_b32 s0, s0, s2
.LBB548_260:
	s_or_b32 exec_lo, exec_lo, s1
	s_and_saveexec_b32 s1, s0
	s_cbranch_execz .LBB548_263
; %bb.261:
	v_lshlrev_b32_e32 v1, 1, v24
	s_mov_b32 s0, 0
.LBB548_262:                            ; =>This Inner Loop Header: Depth=1
	ds_load_u16 v2, v1
	v_readfirstlane_b32 s2, v8
	v_readfirstlane_b32 s3, v9
	v_add_nc_u32_e32 v1, 0x200, v1
	s_wait_dscnt 0x0
	global_store_b16 v24, v2, s[2:3] scale_offset
	s_wait_xcnt 0x0
	v_add_nc_u32_e32 v24, 0x100, v24
	s_delay_alu instid0(VALU_DEP_1) | instskip(SKIP_1) | instid1(SALU_CYCLE_1)
	v_cmp_ge_u32_e32 vcc_lo, v24, v16
	s_or_b32 s0, vcc_lo, s0
	s_and_not1_b32 exec_lo, exec_lo, s0
	s_cbranch_execnz .LBB548_262
.LBB548_263:
	s_or_b32 exec_lo, exec_lo, s1
	v_cmp_eq_u32_e32 vcc_lo, 0, v0
	s_and_b32 s0, vcc_lo, s31
	s_delay_alu instid0(SALU_CYCLE_1)
	s_and_saveexec_b32 s1, s0
	s_cbranch_execz .LBB548_127
.LBB548_264:
	v_mov_b32_e32 v17, 0
	s_wait_kmcnt 0x0
	s_delay_alu instid0(VALU_DEP_1) | instskip(SKIP_1) | instid1(VALU_DEP_1)
	v_add_nc_u64_e32 v[0:1], s[34:35], v[16:17]
	v_mov_b32_e32 v19, v17
	v_add_nc_u64_e32 v[0:1], v[0:1], v[18:19]
	global_store_b64 v17, v[0:1], s[36:37]
	s_sendmsg sendmsg(MSG_DEALLOC_VGPRS)
	s_endpgm
	.section	.rodata,"a",@progbits
	.p2align	6, 0x0
	.amdhsa_kernel _ZN7rocprim17ROCPRIM_400000_NS6detail17trampoline_kernelINS0_14default_configENS1_25partition_config_selectorILNS1_17partition_subalgoE8EsNS0_10empty_typeEbEEZZNS1_14partition_implILS5_8ELb0ES3_jPKsPS6_PKS6_NS0_5tupleIJPsS6_EEENSE_IJSB_SB_EEENS0_18inequality_wrapperIN6hipcub16HIPCUB_304000_NS8EqualityEEEPlJS6_EEE10hipError_tPvRmT3_T4_T5_T6_T7_T9_mT8_P12ihipStream_tbDpT10_ENKUlT_T0_E_clISt17integral_constantIbLb0EES17_EEDaS12_S13_EUlS12_E_NS1_11comp_targetILNS1_3genE0ELNS1_11target_archE4294967295ELNS1_3gpuE0ELNS1_3repE0EEENS1_30default_config_static_selectorELNS0_4arch9wavefront6targetE0EEEvT1_
		.amdhsa_group_segment_fixed_size 15368
		.amdhsa_private_segment_fixed_size 0
		.amdhsa_kernarg_size 112
		.amdhsa_user_sgpr_count 2
		.amdhsa_user_sgpr_dispatch_ptr 0
		.amdhsa_user_sgpr_queue_ptr 0
		.amdhsa_user_sgpr_kernarg_segment_ptr 1
		.amdhsa_user_sgpr_dispatch_id 0
		.amdhsa_user_sgpr_kernarg_preload_length 0
		.amdhsa_user_sgpr_kernarg_preload_offset 0
		.amdhsa_user_sgpr_private_segment_size 0
		.amdhsa_wavefront_size32 1
		.amdhsa_uses_dynamic_stack 0
		.amdhsa_enable_private_segment 0
		.amdhsa_system_sgpr_workgroup_id_x 1
		.amdhsa_system_sgpr_workgroup_id_y 0
		.amdhsa_system_sgpr_workgroup_id_z 0
		.amdhsa_system_sgpr_workgroup_info 0
		.amdhsa_system_vgpr_workitem_id 0
		.amdhsa_next_free_vgpr 115
		.amdhsa_next_free_sgpr 49
		.amdhsa_named_barrier_count 0
		.amdhsa_reserve_vcc 1
		.amdhsa_float_round_mode_32 0
		.amdhsa_float_round_mode_16_64 0
		.amdhsa_float_denorm_mode_32 3
		.amdhsa_float_denorm_mode_16_64 3
		.amdhsa_fp16_overflow 0
		.amdhsa_memory_ordered 1
		.amdhsa_forward_progress 1
		.amdhsa_inst_pref_size 109
		.amdhsa_round_robin_scheduling 0
		.amdhsa_exception_fp_ieee_invalid_op 0
		.amdhsa_exception_fp_denorm_src 0
		.amdhsa_exception_fp_ieee_div_zero 0
		.amdhsa_exception_fp_ieee_overflow 0
		.amdhsa_exception_fp_ieee_underflow 0
		.amdhsa_exception_fp_ieee_inexact 0
		.amdhsa_exception_int_div_zero 0
	.end_amdhsa_kernel
	.section	.text._ZN7rocprim17ROCPRIM_400000_NS6detail17trampoline_kernelINS0_14default_configENS1_25partition_config_selectorILNS1_17partition_subalgoE8EsNS0_10empty_typeEbEEZZNS1_14partition_implILS5_8ELb0ES3_jPKsPS6_PKS6_NS0_5tupleIJPsS6_EEENSE_IJSB_SB_EEENS0_18inequality_wrapperIN6hipcub16HIPCUB_304000_NS8EqualityEEEPlJS6_EEE10hipError_tPvRmT3_T4_T5_T6_T7_T9_mT8_P12ihipStream_tbDpT10_ENKUlT_T0_E_clISt17integral_constantIbLb0EES17_EEDaS12_S13_EUlS12_E_NS1_11comp_targetILNS1_3genE0ELNS1_11target_archE4294967295ELNS1_3gpuE0ELNS1_3repE0EEENS1_30default_config_static_selectorELNS0_4arch9wavefront6targetE0EEEvT1_,"axG",@progbits,_ZN7rocprim17ROCPRIM_400000_NS6detail17trampoline_kernelINS0_14default_configENS1_25partition_config_selectorILNS1_17partition_subalgoE8EsNS0_10empty_typeEbEEZZNS1_14partition_implILS5_8ELb0ES3_jPKsPS6_PKS6_NS0_5tupleIJPsS6_EEENSE_IJSB_SB_EEENS0_18inequality_wrapperIN6hipcub16HIPCUB_304000_NS8EqualityEEEPlJS6_EEE10hipError_tPvRmT3_T4_T5_T6_T7_T9_mT8_P12ihipStream_tbDpT10_ENKUlT_T0_E_clISt17integral_constantIbLb0EES17_EEDaS12_S13_EUlS12_E_NS1_11comp_targetILNS1_3genE0ELNS1_11target_archE4294967295ELNS1_3gpuE0ELNS1_3repE0EEENS1_30default_config_static_selectorELNS0_4arch9wavefront6targetE0EEEvT1_,comdat
.Lfunc_end548:
	.size	_ZN7rocprim17ROCPRIM_400000_NS6detail17trampoline_kernelINS0_14default_configENS1_25partition_config_selectorILNS1_17partition_subalgoE8EsNS0_10empty_typeEbEEZZNS1_14partition_implILS5_8ELb0ES3_jPKsPS6_PKS6_NS0_5tupleIJPsS6_EEENSE_IJSB_SB_EEENS0_18inequality_wrapperIN6hipcub16HIPCUB_304000_NS8EqualityEEEPlJS6_EEE10hipError_tPvRmT3_T4_T5_T6_T7_T9_mT8_P12ihipStream_tbDpT10_ENKUlT_T0_E_clISt17integral_constantIbLb0EES17_EEDaS12_S13_EUlS12_E_NS1_11comp_targetILNS1_3genE0ELNS1_11target_archE4294967295ELNS1_3gpuE0ELNS1_3repE0EEENS1_30default_config_static_selectorELNS0_4arch9wavefront6targetE0EEEvT1_, .Lfunc_end548-_ZN7rocprim17ROCPRIM_400000_NS6detail17trampoline_kernelINS0_14default_configENS1_25partition_config_selectorILNS1_17partition_subalgoE8EsNS0_10empty_typeEbEEZZNS1_14partition_implILS5_8ELb0ES3_jPKsPS6_PKS6_NS0_5tupleIJPsS6_EEENSE_IJSB_SB_EEENS0_18inequality_wrapperIN6hipcub16HIPCUB_304000_NS8EqualityEEEPlJS6_EEE10hipError_tPvRmT3_T4_T5_T6_T7_T9_mT8_P12ihipStream_tbDpT10_ENKUlT_T0_E_clISt17integral_constantIbLb0EES17_EEDaS12_S13_EUlS12_E_NS1_11comp_targetILNS1_3genE0ELNS1_11target_archE4294967295ELNS1_3gpuE0ELNS1_3repE0EEENS1_30default_config_static_selectorELNS0_4arch9wavefront6targetE0EEEvT1_
                                        ; -- End function
	.set _ZN7rocprim17ROCPRIM_400000_NS6detail17trampoline_kernelINS0_14default_configENS1_25partition_config_selectorILNS1_17partition_subalgoE8EsNS0_10empty_typeEbEEZZNS1_14partition_implILS5_8ELb0ES3_jPKsPS6_PKS6_NS0_5tupleIJPsS6_EEENSE_IJSB_SB_EEENS0_18inequality_wrapperIN6hipcub16HIPCUB_304000_NS8EqualityEEEPlJS6_EEE10hipError_tPvRmT3_T4_T5_T6_T7_T9_mT8_P12ihipStream_tbDpT10_ENKUlT_T0_E_clISt17integral_constantIbLb0EES17_EEDaS12_S13_EUlS12_E_NS1_11comp_targetILNS1_3genE0ELNS1_11target_archE4294967295ELNS1_3gpuE0ELNS1_3repE0EEENS1_30default_config_static_selectorELNS0_4arch9wavefront6targetE0EEEvT1_.num_vgpr, 115
	.set _ZN7rocprim17ROCPRIM_400000_NS6detail17trampoline_kernelINS0_14default_configENS1_25partition_config_selectorILNS1_17partition_subalgoE8EsNS0_10empty_typeEbEEZZNS1_14partition_implILS5_8ELb0ES3_jPKsPS6_PKS6_NS0_5tupleIJPsS6_EEENSE_IJSB_SB_EEENS0_18inequality_wrapperIN6hipcub16HIPCUB_304000_NS8EqualityEEEPlJS6_EEE10hipError_tPvRmT3_T4_T5_T6_T7_T9_mT8_P12ihipStream_tbDpT10_ENKUlT_T0_E_clISt17integral_constantIbLb0EES17_EEDaS12_S13_EUlS12_E_NS1_11comp_targetILNS1_3genE0ELNS1_11target_archE4294967295ELNS1_3gpuE0ELNS1_3repE0EEENS1_30default_config_static_selectorELNS0_4arch9wavefront6targetE0EEEvT1_.num_agpr, 0
	.set _ZN7rocprim17ROCPRIM_400000_NS6detail17trampoline_kernelINS0_14default_configENS1_25partition_config_selectorILNS1_17partition_subalgoE8EsNS0_10empty_typeEbEEZZNS1_14partition_implILS5_8ELb0ES3_jPKsPS6_PKS6_NS0_5tupleIJPsS6_EEENSE_IJSB_SB_EEENS0_18inequality_wrapperIN6hipcub16HIPCUB_304000_NS8EqualityEEEPlJS6_EEE10hipError_tPvRmT3_T4_T5_T6_T7_T9_mT8_P12ihipStream_tbDpT10_ENKUlT_T0_E_clISt17integral_constantIbLb0EES17_EEDaS12_S13_EUlS12_E_NS1_11comp_targetILNS1_3genE0ELNS1_11target_archE4294967295ELNS1_3gpuE0ELNS1_3repE0EEENS1_30default_config_static_selectorELNS0_4arch9wavefront6targetE0EEEvT1_.numbered_sgpr, 49
	.set _ZN7rocprim17ROCPRIM_400000_NS6detail17trampoline_kernelINS0_14default_configENS1_25partition_config_selectorILNS1_17partition_subalgoE8EsNS0_10empty_typeEbEEZZNS1_14partition_implILS5_8ELb0ES3_jPKsPS6_PKS6_NS0_5tupleIJPsS6_EEENSE_IJSB_SB_EEENS0_18inequality_wrapperIN6hipcub16HIPCUB_304000_NS8EqualityEEEPlJS6_EEE10hipError_tPvRmT3_T4_T5_T6_T7_T9_mT8_P12ihipStream_tbDpT10_ENKUlT_T0_E_clISt17integral_constantIbLb0EES17_EEDaS12_S13_EUlS12_E_NS1_11comp_targetILNS1_3genE0ELNS1_11target_archE4294967295ELNS1_3gpuE0ELNS1_3repE0EEENS1_30default_config_static_selectorELNS0_4arch9wavefront6targetE0EEEvT1_.num_named_barrier, 0
	.set _ZN7rocprim17ROCPRIM_400000_NS6detail17trampoline_kernelINS0_14default_configENS1_25partition_config_selectorILNS1_17partition_subalgoE8EsNS0_10empty_typeEbEEZZNS1_14partition_implILS5_8ELb0ES3_jPKsPS6_PKS6_NS0_5tupleIJPsS6_EEENSE_IJSB_SB_EEENS0_18inequality_wrapperIN6hipcub16HIPCUB_304000_NS8EqualityEEEPlJS6_EEE10hipError_tPvRmT3_T4_T5_T6_T7_T9_mT8_P12ihipStream_tbDpT10_ENKUlT_T0_E_clISt17integral_constantIbLb0EES17_EEDaS12_S13_EUlS12_E_NS1_11comp_targetILNS1_3genE0ELNS1_11target_archE4294967295ELNS1_3gpuE0ELNS1_3repE0EEENS1_30default_config_static_selectorELNS0_4arch9wavefront6targetE0EEEvT1_.private_seg_size, 0
	.set _ZN7rocprim17ROCPRIM_400000_NS6detail17trampoline_kernelINS0_14default_configENS1_25partition_config_selectorILNS1_17partition_subalgoE8EsNS0_10empty_typeEbEEZZNS1_14partition_implILS5_8ELb0ES3_jPKsPS6_PKS6_NS0_5tupleIJPsS6_EEENSE_IJSB_SB_EEENS0_18inequality_wrapperIN6hipcub16HIPCUB_304000_NS8EqualityEEEPlJS6_EEE10hipError_tPvRmT3_T4_T5_T6_T7_T9_mT8_P12ihipStream_tbDpT10_ENKUlT_T0_E_clISt17integral_constantIbLb0EES17_EEDaS12_S13_EUlS12_E_NS1_11comp_targetILNS1_3genE0ELNS1_11target_archE4294967295ELNS1_3gpuE0ELNS1_3repE0EEENS1_30default_config_static_selectorELNS0_4arch9wavefront6targetE0EEEvT1_.uses_vcc, 1
	.set _ZN7rocprim17ROCPRIM_400000_NS6detail17trampoline_kernelINS0_14default_configENS1_25partition_config_selectorILNS1_17partition_subalgoE8EsNS0_10empty_typeEbEEZZNS1_14partition_implILS5_8ELb0ES3_jPKsPS6_PKS6_NS0_5tupleIJPsS6_EEENSE_IJSB_SB_EEENS0_18inequality_wrapperIN6hipcub16HIPCUB_304000_NS8EqualityEEEPlJS6_EEE10hipError_tPvRmT3_T4_T5_T6_T7_T9_mT8_P12ihipStream_tbDpT10_ENKUlT_T0_E_clISt17integral_constantIbLb0EES17_EEDaS12_S13_EUlS12_E_NS1_11comp_targetILNS1_3genE0ELNS1_11target_archE4294967295ELNS1_3gpuE0ELNS1_3repE0EEENS1_30default_config_static_selectorELNS0_4arch9wavefront6targetE0EEEvT1_.uses_flat_scratch, 0
	.set _ZN7rocprim17ROCPRIM_400000_NS6detail17trampoline_kernelINS0_14default_configENS1_25partition_config_selectorILNS1_17partition_subalgoE8EsNS0_10empty_typeEbEEZZNS1_14partition_implILS5_8ELb0ES3_jPKsPS6_PKS6_NS0_5tupleIJPsS6_EEENSE_IJSB_SB_EEENS0_18inequality_wrapperIN6hipcub16HIPCUB_304000_NS8EqualityEEEPlJS6_EEE10hipError_tPvRmT3_T4_T5_T6_T7_T9_mT8_P12ihipStream_tbDpT10_ENKUlT_T0_E_clISt17integral_constantIbLb0EES17_EEDaS12_S13_EUlS12_E_NS1_11comp_targetILNS1_3genE0ELNS1_11target_archE4294967295ELNS1_3gpuE0ELNS1_3repE0EEENS1_30default_config_static_selectorELNS0_4arch9wavefront6targetE0EEEvT1_.has_dyn_sized_stack, 0
	.set _ZN7rocprim17ROCPRIM_400000_NS6detail17trampoline_kernelINS0_14default_configENS1_25partition_config_selectorILNS1_17partition_subalgoE8EsNS0_10empty_typeEbEEZZNS1_14partition_implILS5_8ELb0ES3_jPKsPS6_PKS6_NS0_5tupleIJPsS6_EEENSE_IJSB_SB_EEENS0_18inequality_wrapperIN6hipcub16HIPCUB_304000_NS8EqualityEEEPlJS6_EEE10hipError_tPvRmT3_T4_T5_T6_T7_T9_mT8_P12ihipStream_tbDpT10_ENKUlT_T0_E_clISt17integral_constantIbLb0EES17_EEDaS12_S13_EUlS12_E_NS1_11comp_targetILNS1_3genE0ELNS1_11target_archE4294967295ELNS1_3gpuE0ELNS1_3repE0EEENS1_30default_config_static_selectorELNS0_4arch9wavefront6targetE0EEEvT1_.has_recursion, 0
	.set _ZN7rocprim17ROCPRIM_400000_NS6detail17trampoline_kernelINS0_14default_configENS1_25partition_config_selectorILNS1_17partition_subalgoE8EsNS0_10empty_typeEbEEZZNS1_14partition_implILS5_8ELb0ES3_jPKsPS6_PKS6_NS0_5tupleIJPsS6_EEENSE_IJSB_SB_EEENS0_18inequality_wrapperIN6hipcub16HIPCUB_304000_NS8EqualityEEEPlJS6_EEE10hipError_tPvRmT3_T4_T5_T6_T7_T9_mT8_P12ihipStream_tbDpT10_ENKUlT_T0_E_clISt17integral_constantIbLb0EES17_EEDaS12_S13_EUlS12_E_NS1_11comp_targetILNS1_3genE0ELNS1_11target_archE4294967295ELNS1_3gpuE0ELNS1_3repE0EEENS1_30default_config_static_selectorELNS0_4arch9wavefront6targetE0EEEvT1_.has_indirect_call, 0
	.section	.AMDGPU.csdata,"",@progbits
; Kernel info:
; codeLenInByte = 13940
; TotalNumSgprs: 51
; NumVgprs: 115
; ScratchSize: 0
; MemoryBound: 0
; FloatMode: 240
; IeeeMode: 1
; LDSByteSize: 15368 bytes/workgroup (compile time only)
; SGPRBlocks: 0
; VGPRBlocks: 7
; NumSGPRsForWavesPerEU: 51
; NumVGPRsForWavesPerEU: 115
; NamedBarCnt: 0
; Occupancy: 8
; WaveLimiterHint : 1
; COMPUTE_PGM_RSRC2:SCRATCH_EN: 0
; COMPUTE_PGM_RSRC2:USER_SGPR: 2
; COMPUTE_PGM_RSRC2:TRAP_HANDLER: 0
; COMPUTE_PGM_RSRC2:TGID_X_EN: 1
; COMPUTE_PGM_RSRC2:TGID_Y_EN: 0
; COMPUTE_PGM_RSRC2:TGID_Z_EN: 0
; COMPUTE_PGM_RSRC2:TIDIG_COMP_CNT: 0
	.section	.text._ZN7rocprim17ROCPRIM_400000_NS6detail17trampoline_kernelINS0_14default_configENS1_25partition_config_selectorILNS1_17partition_subalgoE8EsNS0_10empty_typeEbEEZZNS1_14partition_implILS5_8ELb0ES3_jPKsPS6_PKS6_NS0_5tupleIJPsS6_EEENSE_IJSB_SB_EEENS0_18inequality_wrapperIN6hipcub16HIPCUB_304000_NS8EqualityEEEPlJS6_EEE10hipError_tPvRmT3_T4_T5_T6_T7_T9_mT8_P12ihipStream_tbDpT10_ENKUlT_T0_E_clISt17integral_constantIbLb0EES17_EEDaS12_S13_EUlS12_E_NS1_11comp_targetILNS1_3genE5ELNS1_11target_archE942ELNS1_3gpuE9ELNS1_3repE0EEENS1_30default_config_static_selectorELNS0_4arch9wavefront6targetE0EEEvT1_,"axG",@progbits,_ZN7rocprim17ROCPRIM_400000_NS6detail17trampoline_kernelINS0_14default_configENS1_25partition_config_selectorILNS1_17partition_subalgoE8EsNS0_10empty_typeEbEEZZNS1_14partition_implILS5_8ELb0ES3_jPKsPS6_PKS6_NS0_5tupleIJPsS6_EEENSE_IJSB_SB_EEENS0_18inequality_wrapperIN6hipcub16HIPCUB_304000_NS8EqualityEEEPlJS6_EEE10hipError_tPvRmT3_T4_T5_T6_T7_T9_mT8_P12ihipStream_tbDpT10_ENKUlT_T0_E_clISt17integral_constantIbLb0EES17_EEDaS12_S13_EUlS12_E_NS1_11comp_targetILNS1_3genE5ELNS1_11target_archE942ELNS1_3gpuE9ELNS1_3repE0EEENS1_30default_config_static_selectorELNS0_4arch9wavefront6targetE0EEEvT1_,comdat
	.protected	_ZN7rocprim17ROCPRIM_400000_NS6detail17trampoline_kernelINS0_14default_configENS1_25partition_config_selectorILNS1_17partition_subalgoE8EsNS0_10empty_typeEbEEZZNS1_14partition_implILS5_8ELb0ES3_jPKsPS6_PKS6_NS0_5tupleIJPsS6_EEENSE_IJSB_SB_EEENS0_18inequality_wrapperIN6hipcub16HIPCUB_304000_NS8EqualityEEEPlJS6_EEE10hipError_tPvRmT3_T4_T5_T6_T7_T9_mT8_P12ihipStream_tbDpT10_ENKUlT_T0_E_clISt17integral_constantIbLb0EES17_EEDaS12_S13_EUlS12_E_NS1_11comp_targetILNS1_3genE5ELNS1_11target_archE942ELNS1_3gpuE9ELNS1_3repE0EEENS1_30default_config_static_selectorELNS0_4arch9wavefront6targetE0EEEvT1_ ; -- Begin function _ZN7rocprim17ROCPRIM_400000_NS6detail17trampoline_kernelINS0_14default_configENS1_25partition_config_selectorILNS1_17partition_subalgoE8EsNS0_10empty_typeEbEEZZNS1_14partition_implILS5_8ELb0ES3_jPKsPS6_PKS6_NS0_5tupleIJPsS6_EEENSE_IJSB_SB_EEENS0_18inequality_wrapperIN6hipcub16HIPCUB_304000_NS8EqualityEEEPlJS6_EEE10hipError_tPvRmT3_T4_T5_T6_T7_T9_mT8_P12ihipStream_tbDpT10_ENKUlT_T0_E_clISt17integral_constantIbLb0EES17_EEDaS12_S13_EUlS12_E_NS1_11comp_targetILNS1_3genE5ELNS1_11target_archE942ELNS1_3gpuE9ELNS1_3repE0EEENS1_30default_config_static_selectorELNS0_4arch9wavefront6targetE0EEEvT1_
	.globl	_ZN7rocprim17ROCPRIM_400000_NS6detail17trampoline_kernelINS0_14default_configENS1_25partition_config_selectorILNS1_17partition_subalgoE8EsNS0_10empty_typeEbEEZZNS1_14partition_implILS5_8ELb0ES3_jPKsPS6_PKS6_NS0_5tupleIJPsS6_EEENSE_IJSB_SB_EEENS0_18inequality_wrapperIN6hipcub16HIPCUB_304000_NS8EqualityEEEPlJS6_EEE10hipError_tPvRmT3_T4_T5_T6_T7_T9_mT8_P12ihipStream_tbDpT10_ENKUlT_T0_E_clISt17integral_constantIbLb0EES17_EEDaS12_S13_EUlS12_E_NS1_11comp_targetILNS1_3genE5ELNS1_11target_archE942ELNS1_3gpuE9ELNS1_3repE0EEENS1_30default_config_static_selectorELNS0_4arch9wavefront6targetE0EEEvT1_
	.p2align	8
	.type	_ZN7rocprim17ROCPRIM_400000_NS6detail17trampoline_kernelINS0_14default_configENS1_25partition_config_selectorILNS1_17partition_subalgoE8EsNS0_10empty_typeEbEEZZNS1_14partition_implILS5_8ELb0ES3_jPKsPS6_PKS6_NS0_5tupleIJPsS6_EEENSE_IJSB_SB_EEENS0_18inequality_wrapperIN6hipcub16HIPCUB_304000_NS8EqualityEEEPlJS6_EEE10hipError_tPvRmT3_T4_T5_T6_T7_T9_mT8_P12ihipStream_tbDpT10_ENKUlT_T0_E_clISt17integral_constantIbLb0EES17_EEDaS12_S13_EUlS12_E_NS1_11comp_targetILNS1_3genE5ELNS1_11target_archE942ELNS1_3gpuE9ELNS1_3repE0EEENS1_30default_config_static_selectorELNS0_4arch9wavefront6targetE0EEEvT1_,@function
_ZN7rocprim17ROCPRIM_400000_NS6detail17trampoline_kernelINS0_14default_configENS1_25partition_config_selectorILNS1_17partition_subalgoE8EsNS0_10empty_typeEbEEZZNS1_14partition_implILS5_8ELb0ES3_jPKsPS6_PKS6_NS0_5tupleIJPsS6_EEENSE_IJSB_SB_EEENS0_18inequality_wrapperIN6hipcub16HIPCUB_304000_NS8EqualityEEEPlJS6_EEE10hipError_tPvRmT3_T4_T5_T6_T7_T9_mT8_P12ihipStream_tbDpT10_ENKUlT_T0_E_clISt17integral_constantIbLb0EES17_EEDaS12_S13_EUlS12_E_NS1_11comp_targetILNS1_3genE5ELNS1_11target_archE942ELNS1_3gpuE9ELNS1_3repE0EEENS1_30default_config_static_selectorELNS0_4arch9wavefront6targetE0EEEvT1_: ; @_ZN7rocprim17ROCPRIM_400000_NS6detail17trampoline_kernelINS0_14default_configENS1_25partition_config_selectorILNS1_17partition_subalgoE8EsNS0_10empty_typeEbEEZZNS1_14partition_implILS5_8ELb0ES3_jPKsPS6_PKS6_NS0_5tupleIJPsS6_EEENSE_IJSB_SB_EEENS0_18inequality_wrapperIN6hipcub16HIPCUB_304000_NS8EqualityEEEPlJS6_EEE10hipError_tPvRmT3_T4_T5_T6_T7_T9_mT8_P12ihipStream_tbDpT10_ENKUlT_T0_E_clISt17integral_constantIbLb0EES17_EEDaS12_S13_EUlS12_E_NS1_11comp_targetILNS1_3genE5ELNS1_11target_archE942ELNS1_3gpuE9ELNS1_3repE0EEENS1_30default_config_static_selectorELNS0_4arch9wavefront6targetE0EEEvT1_
; %bb.0:
	.section	.rodata,"a",@progbits
	.p2align	6, 0x0
	.amdhsa_kernel _ZN7rocprim17ROCPRIM_400000_NS6detail17trampoline_kernelINS0_14default_configENS1_25partition_config_selectorILNS1_17partition_subalgoE8EsNS0_10empty_typeEbEEZZNS1_14partition_implILS5_8ELb0ES3_jPKsPS6_PKS6_NS0_5tupleIJPsS6_EEENSE_IJSB_SB_EEENS0_18inequality_wrapperIN6hipcub16HIPCUB_304000_NS8EqualityEEEPlJS6_EEE10hipError_tPvRmT3_T4_T5_T6_T7_T9_mT8_P12ihipStream_tbDpT10_ENKUlT_T0_E_clISt17integral_constantIbLb0EES17_EEDaS12_S13_EUlS12_E_NS1_11comp_targetILNS1_3genE5ELNS1_11target_archE942ELNS1_3gpuE9ELNS1_3repE0EEENS1_30default_config_static_selectorELNS0_4arch9wavefront6targetE0EEEvT1_
		.amdhsa_group_segment_fixed_size 0
		.amdhsa_private_segment_fixed_size 0
		.amdhsa_kernarg_size 112
		.amdhsa_user_sgpr_count 2
		.amdhsa_user_sgpr_dispatch_ptr 0
		.amdhsa_user_sgpr_queue_ptr 0
		.amdhsa_user_sgpr_kernarg_segment_ptr 1
		.amdhsa_user_sgpr_dispatch_id 0
		.amdhsa_user_sgpr_kernarg_preload_length 0
		.amdhsa_user_sgpr_kernarg_preload_offset 0
		.amdhsa_user_sgpr_private_segment_size 0
		.amdhsa_wavefront_size32 1
		.amdhsa_uses_dynamic_stack 0
		.amdhsa_enable_private_segment 0
		.amdhsa_system_sgpr_workgroup_id_x 1
		.amdhsa_system_sgpr_workgroup_id_y 0
		.amdhsa_system_sgpr_workgroup_id_z 0
		.amdhsa_system_sgpr_workgroup_info 0
		.amdhsa_system_vgpr_workitem_id 0
		.amdhsa_next_free_vgpr 1
		.amdhsa_next_free_sgpr 1
		.amdhsa_named_barrier_count 0
		.amdhsa_reserve_vcc 0
		.amdhsa_float_round_mode_32 0
		.amdhsa_float_round_mode_16_64 0
		.amdhsa_float_denorm_mode_32 3
		.amdhsa_float_denorm_mode_16_64 3
		.amdhsa_fp16_overflow 0
		.amdhsa_memory_ordered 1
		.amdhsa_forward_progress 1
		.amdhsa_inst_pref_size 0
		.amdhsa_round_robin_scheduling 0
		.amdhsa_exception_fp_ieee_invalid_op 0
		.amdhsa_exception_fp_denorm_src 0
		.amdhsa_exception_fp_ieee_div_zero 0
		.amdhsa_exception_fp_ieee_overflow 0
		.amdhsa_exception_fp_ieee_underflow 0
		.amdhsa_exception_fp_ieee_inexact 0
		.amdhsa_exception_int_div_zero 0
	.end_amdhsa_kernel
	.section	.text._ZN7rocprim17ROCPRIM_400000_NS6detail17trampoline_kernelINS0_14default_configENS1_25partition_config_selectorILNS1_17partition_subalgoE8EsNS0_10empty_typeEbEEZZNS1_14partition_implILS5_8ELb0ES3_jPKsPS6_PKS6_NS0_5tupleIJPsS6_EEENSE_IJSB_SB_EEENS0_18inequality_wrapperIN6hipcub16HIPCUB_304000_NS8EqualityEEEPlJS6_EEE10hipError_tPvRmT3_T4_T5_T6_T7_T9_mT8_P12ihipStream_tbDpT10_ENKUlT_T0_E_clISt17integral_constantIbLb0EES17_EEDaS12_S13_EUlS12_E_NS1_11comp_targetILNS1_3genE5ELNS1_11target_archE942ELNS1_3gpuE9ELNS1_3repE0EEENS1_30default_config_static_selectorELNS0_4arch9wavefront6targetE0EEEvT1_,"axG",@progbits,_ZN7rocprim17ROCPRIM_400000_NS6detail17trampoline_kernelINS0_14default_configENS1_25partition_config_selectorILNS1_17partition_subalgoE8EsNS0_10empty_typeEbEEZZNS1_14partition_implILS5_8ELb0ES3_jPKsPS6_PKS6_NS0_5tupleIJPsS6_EEENSE_IJSB_SB_EEENS0_18inequality_wrapperIN6hipcub16HIPCUB_304000_NS8EqualityEEEPlJS6_EEE10hipError_tPvRmT3_T4_T5_T6_T7_T9_mT8_P12ihipStream_tbDpT10_ENKUlT_T0_E_clISt17integral_constantIbLb0EES17_EEDaS12_S13_EUlS12_E_NS1_11comp_targetILNS1_3genE5ELNS1_11target_archE942ELNS1_3gpuE9ELNS1_3repE0EEENS1_30default_config_static_selectorELNS0_4arch9wavefront6targetE0EEEvT1_,comdat
.Lfunc_end549:
	.size	_ZN7rocprim17ROCPRIM_400000_NS6detail17trampoline_kernelINS0_14default_configENS1_25partition_config_selectorILNS1_17partition_subalgoE8EsNS0_10empty_typeEbEEZZNS1_14partition_implILS5_8ELb0ES3_jPKsPS6_PKS6_NS0_5tupleIJPsS6_EEENSE_IJSB_SB_EEENS0_18inequality_wrapperIN6hipcub16HIPCUB_304000_NS8EqualityEEEPlJS6_EEE10hipError_tPvRmT3_T4_T5_T6_T7_T9_mT8_P12ihipStream_tbDpT10_ENKUlT_T0_E_clISt17integral_constantIbLb0EES17_EEDaS12_S13_EUlS12_E_NS1_11comp_targetILNS1_3genE5ELNS1_11target_archE942ELNS1_3gpuE9ELNS1_3repE0EEENS1_30default_config_static_selectorELNS0_4arch9wavefront6targetE0EEEvT1_, .Lfunc_end549-_ZN7rocprim17ROCPRIM_400000_NS6detail17trampoline_kernelINS0_14default_configENS1_25partition_config_selectorILNS1_17partition_subalgoE8EsNS0_10empty_typeEbEEZZNS1_14partition_implILS5_8ELb0ES3_jPKsPS6_PKS6_NS0_5tupleIJPsS6_EEENSE_IJSB_SB_EEENS0_18inequality_wrapperIN6hipcub16HIPCUB_304000_NS8EqualityEEEPlJS6_EEE10hipError_tPvRmT3_T4_T5_T6_T7_T9_mT8_P12ihipStream_tbDpT10_ENKUlT_T0_E_clISt17integral_constantIbLb0EES17_EEDaS12_S13_EUlS12_E_NS1_11comp_targetILNS1_3genE5ELNS1_11target_archE942ELNS1_3gpuE9ELNS1_3repE0EEENS1_30default_config_static_selectorELNS0_4arch9wavefront6targetE0EEEvT1_
                                        ; -- End function
	.set _ZN7rocprim17ROCPRIM_400000_NS6detail17trampoline_kernelINS0_14default_configENS1_25partition_config_selectorILNS1_17partition_subalgoE8EsNS0_10empty_typeEbEEZZNS1_14partition_implILS5_8ELb0ES3_jPKsPS6_PKS6_NS0_5tupleIJPsS6_EEENSE_IJSB_SB_EEENS0_18inequality_wrapperIN6hipcub16HIPCUB_304000_NS8EqualityEEEPlJS6_EEE10hipError_tPvRmT3_T4_T5_T6_T7_T9_mT8_P12ihipStream_tbDpT10_ENKUlT_T0_E_clISt17integral_constantIbLb0EES17_EEDaS12_S13_EUlS12_E_NS1_11comp_targetILNS1_3genE5ELNS1_11target_archE942ELNS1_3gpuE9ELNS1_3repE0EEENS1_30default_config_static_selectorELNS0_4arch9wavefront6targetE0EEEvT1_.num_vgpr, 0
	.set _ZN7rocprim17ROCPRIM_400000_NS6detail17trampoline_kernelINS0_14default_configENS1_25partition_config_selectorILNS1_17partition_subalgoE8EsNS0_10empty_typeEbEEZZNS1_14partition_implILS5_8ELb0ES3_jPKsPS6_PKS6_NS0_5tupleIJPsS6_EEENSE_IJSB_SB_EEENS0_18inequality_wrapperIN6hipcub16HIPCUB_304000_NS8EqualityEEEPlJS6_EEE10hipError_tPvRmT3_T4_T5_T6_T7_T9_mT8_P12ihipStream_tbDpT10_ENKUlT_T0_E_clISt17integral_constantIbLb0EES17_EEDaS12_S13_EUlS12_E_NS1_11comp_targetILNS1_3genE5ELNS1_11target_archE942ELNS1_3gpuE9ELNS1_3repE0EEENS1_30default_config_static_selectorELNS0_4arch9wavefront6targetE0EEEvT1_.num_agpr, 0
	.set _ZN7rocprim17ROCPRIM_400000_NS6detail17trampoline_kernelINS0_14default_configENS1_25partition_config_selectorILNS1_17partition_subalgoE8EsNS0_10empty_typeEbEEZZNS1_14partition_implILS5_8ELb0ES3_jPKsPS6_PKS6_NS0_5tupleIJPsS6_EEENSE_IJSB_SB_EEENS0_18inequality_wrapperIN6hipcub16HIPCUB_304000_NS8EqualityEEEPlJS6_EEE10hipError_tPvRmT3_T4_T5_T6_T7_T9_mT8_P12ihipStream_tbDpT10_ENKUlT_T0_E_clISt17integral_constantIbLb0EES17_EEDaS12_S13_EUlS12_E_NS1_11comp_targetILNS1_3genE5ELNS1_11target_archE942ELNS1_3gpuE9ELNS1_3repE0EEENS1_30default_config_static_selectorELNS0_4arch9wavefront6targetE0EEEvT1_.numbered_sgpr, 0
	.set _ZN7rocprim17ROCPRIM_400000_NS6detail17trampoline_kernelINS0_14default_configENS1_25partition_config_selectorILNS1_17partition_subalgoE8EsNS0_10empty_typeEbEEZZNS1_14partition_implILS5_8ELb0ES3_jPKsPS6_PKS6_NS0_5tupleIJPsS6_EEENSE_IJSB_SB_EEENS0_18inequality_wrapperIN6hipcub16HIPCUB_304000_NS8EqualityEEEPlJS6_EEE10hipError_tPvRmT3_T4_T5_T6_T7_T9_mT8_P12ihipStream_tbDpT10_ENKUlT_T0_E_clISt17integral_constantIbLb0EES17_EEDaS12_S13_EUlS12_E_NS1_11comp_targetILNS1_3genE5ELNS1_11target_archE942ELNS1_3gpuE9ELNS1_3repE0EEENS1_30default_config_static_selectorELNS0_4arch9wavefront6targetE0EEEvT1_.num_named_barrier, 0
	.set _ZN7rocprim17ROCPRIM_400000_NS6detail17trampoline_kernelINS0_14default_configENS1_25partition_config_selectorILNS1_17partition_subalgoE8EsNS0_10empty_typeEbEEZZNS1_14partition_implILS5_8ELb0ES3_jPKsPS6_PKS6_NS0_5tupleIJPsS6_EEENSE_IJSB_SB_EEENS0_18inequality_wrapperIN6hipcub16HIPCUB_304000_NS8EqualityEEEPlJS6_EEE10hipError_tPvRmT3_T4_T5_T6_T7_T9_mT8_P12ihipStream_tbDpT10_ENKUlT_T0_E_clISt17integral_constantIbLb0EES17_EEDaS12_S13_EUlS12_E_NS1_11comp_targetILNS1_3genE5ELNS1_11target_archE942ELNS1_3gpuE9ELNS1_3repE0EEENS1_30default_config_static_selectorELNS0_4arch9wavefront6targetE0EEEvT1_.private_seg_size, 0
	.set _ZN7rocprim17ROCPRIM_400000_NS6detail17trampoline_kernelINS0_14default_configENS1_25partition_config_selectorILNS1_17partition_subalgoE8EsNS0_10empty_typeEbEEZZNS1_14partition_implILS5_8ELb0ES3_jPKsPS6_PKS6_NS0_5tupleIJPsS6_EEENSE_IJSB_SB_EEENS0_18inequality_wrapperIN6hipcub16HIPCUB_304000_NS8EqualityEEEPlJS6_EEE10hipError_tPvRmT3_T4_T5_T6_T7_T9_mT8_P12ihipStream_tbDpT10_ENKUlT_T0_E_clISt17integral_constantIbLb0EES17_EEDaS12_S13_EUlS12_E_NS1_11comp_targetILNS1_3genE5ELNS1_11target_archE942ELNS1_3gpuE9ELNS1_3repE0EEENS1_30default_config_static_selectorELNS0_4arch9wavefront6targetE0EEEvT1_.uses_vcc, 0
	.set _ZN7rocprim17ROCPRIM_400000_NS6detail17trampoline_kernelINS0_14default_configENS1_25partition_config_selectorILNS1_17partition_subalgoE8EsNS0_10empty_typeEbEEZZNS1_14partition_implILS5_8ELb0ES3_jPKsPS6_PKS6_NS0_5tupleIJPsS6_EEENSE_IJSB_SB_EEENS0_18inequality_wrapperIN6hipcub16HIPCUB_304000_NS8EqualityEEEPlJS6_EEE10hipError_tPvRmT3_T4_T5_T6_T7_T9_mT8_P12ihipStream_tbDpT10_ENKUlT_T0_E_clISt17integral_constantIbLb0EES17_EEDaS12_S13_EUlS12_E_NS1_11comp_targetILNS1_3genE5ELNS1_11target_archE942ELNS1_3gpuE9ELNS1_3repE0EEENS1_30default_config_static_selectorELNS0_4arch9wavefront6targetE0EEEvT1_.uses_flat_scratch, 0
	.set _ZN7rocprim17ROCPRIM_400000_NS6detail17trampoline_kernelINS0_14default_configENS1_25partition_config_selectorILNS1_17partition_subalgoE8EsNS0_10empty_typeEbEEZZNS1_14partition_implILS5_8ELb0ES3_jPKsPS6_PKS6_NS0_5tupleIJPsS6_EEENSE_IJSB_SB_EEENS0_18inequality_wrapperIN6hipcub16HIPCUB_304000_NS8EqualityEEEPlJS6_EEE10hipError_tPvRmT3_T4_T5_T6_T7_T9_mT8_P12ihipStream_tbDpT10_ENKUlT_T0_E_clISt17integral_constantIbLb0EES17_EEDaS12_S13_EUlS12_E_NS1_11comp_targetILNS1_3genE5ELNS1_11target_archE942ELNS1_3gpuE9ELNS1_3repE0EEENS1_30default_config_static_selectorELNS0_4arch9wavefront6targetE0EEEvT1_.has_dyn_sized_stack, 0
	.set _ZN7rocprim17ROCPRIM_400000_NS6detail17trampoline_kernelINS0_14default_configENS1_25partition_config_selectorILNS1_17partition_subalgoE8EsNS0_10empty_typeEbEEZZNS1_14partition_implILS5_8ELb0ES3_jPKsPS6_PKS6_NS0_5tupleIJPsS6_EEENSE_IJSB_SB_EEENS0_18inequality_wrapperIN6hipcub16HIPCUB_304000_NS8EqualityEEEPlJS6_EEE10hipError_tPvRmT3_T4_T5_T6_T7_T9_mT8_P12ihipStream_tbDpT10_ENKUlT_T0_E_clISt17integral_constantIbLb0EES17_EEDaS12_S13_EUlS12_E_NS1_11comp_targetILNS1_3genE5ELNS1_11target_archE942ELNS1_3gpuE9ELNS1_3repE0EEENS1_30default_config_static_selectorELNS0_4arch9wavefront6targetE0EEEvT1_.has_recursion, 0
	.set _ZN7rocprim17ROCPRIM_400000_NS6detail17trampoline_kernelINS0_14default_configENS1_25partition_config_selectorILNS1_17partition_subalgoE8EsNS0_10empty_typeEbEEZZNS1_14partition_implILS5_8ELb0ES3_jPKsPS6_PKS6_NS0_5tupleIJPsS6_EEENSE_IJSB_SB_EEENS0_18inequality_wrapperIN6hipcub16HIPCUB_304000_NS8EqualityEEEPlJS6_EEE10hipError_tPvRmT3_T4_T5_T6_T7_T9_mT8_P12ihipStream_tbDpT10_ENKUlT_T0_E_clISt17integral_constantIbLb0EES17_EEDaS12_S13_EUlS12_E_NS1_11comp_targetILNS1_3genE5ELNS1_11target_archE942ELNS1_3gpuE9ELNS1_3repE0EEENS1_30default_config_static_selectorELNS0_4arch9wavefront6targetE0EEEvT1_.has_indirect_call, 0
	.section	.AMDGPU.csdata,"",@progbits
; Kernel info:
; codeLenInByte = 0
; TotalNumSgprs: 0
; NumVgprs: 0
; ScratchSize: 0
; MemoryBound: 0
; FloatMode: 240
; IeeeMode: 1
; LDSByteSize: 0 bytes/workgroup (compile time only)
; SGPRBlocks: 0
; VGPRBlocks: 0
; NumSGPRsForWavesPerEU: 1
; NumVGPRsForWavesPerEU: 1
; NamedBarCnt: 0
; Occupancy: 16
; WaveLimiterHint : 0
; COMPUTE_PGM_RSRC2:SCRATCH_EN: 0
; COMPUTE_PGM_RSRC2:USER_SGPR: 2
; COMPUTE_PGM_RSRC2:TRAP_HANDLER: 0
; COMPUTE_PGM_RSRC2:TGID_X_EN: 1
; COMPUTE_PGM_RSRC2:TGID_Y_EN: 0
; COMPUTE_PGM_RSRC2:TGID_Z_EN: 0
; COMPUTE_PGM_RSRC2:TIDIG_COMP_CNT: 0
	.section	.text._ZN7rocprim17ROCPRIM_400000_NS6detail17trampoline_kernelINS0_14default_configENS1_25partition_config_selectorILNS1_17partition_subalgoE8EsNS0_10empty_typeEbEEZZNS1_14partition_implILS5_8ELb0ES3_jPKsPS6_PKS6_NS0_5tupleIJPsS6_EEENSE_IJSB_SB_EEENS0_18inequality_wrapperIN6hipcub16HIPCUB_304000_NS8EqualityEEEPlJS6_EEE10hipError_tPvRmT3_T4_T5_T6_T7_T9_mT8_P12ihipStream_tbDpT10_ENKUlT_T0_E_clISt17integral_constantIbLb0EES17_EEDaS12_S13_EUlS12_E_NS1_11comp_targetILNS1_3genE4ELNS1_11target_archE910ELNS1_3gpuE8ELNS1_3repE0EEENS1_30default_config_static_selectorELNS0_4arch9wavefront6targetE0EEEvT1_,"axG",@progbits,_ZN7rocprim17ROCPRIM_400000_NS6detail17trampoline_kernelINS0_14default_configENS1_25partition_config_selectorILNS1_17partition_subalgoE8EsNS0_10empty_typeEbEEZZNS1_14partition_implILS5_8ELb0ES3_jPKsPS6_PKS6_NS0_5tupleIJPsS6_EEENSE_IJSB_SB_EEENS0_18inequality_wrapperIN6hipcub16HIPCUB_304000_NS8EqualityEEEPlJS6_EEE10hipError_tPvRmT3_T4_T5_T6_T7_T9_mT8_P12ihipStream_tbDpT10_ENKUlT_T0_E_clISt17integral_constantIbLb0EES17_EEDaS12_S13_EUlS12_E_NS1_11comp_targetILNS1_3genE4ELNS1_11target_archE910ELNS1_3gpuE8ELNS1_3repE0EEENS1_30default_config_static_selectorELNS0_4arch9wavefront6targetE0EEEvT1_,comdat
	.protected	_ZN7rocprim17ROCPRIM_400000_NS6detail17trampoline_kernelINS0_14default_configENS1_25partition_config_selectorILNS1_17partition_subalgoE8EsNS0_10empty_typeEbEEZZNS1_14partition_implILS5_8ELb0ES3_jPKsPS6_PKS6_NS0_5tupleIJPsS6_EEENSE_IJSB_SB_EEENS0_18inequality_wrapperIN6hipcub16HIPCUB_304000_NS8EqualityEEEPlJS6_EEE10hipError_tPvRmT3_T4_T5_T6_T7_T9_mT8_P12ihipStream_tbDpT10_ENKUlT_T0_E_clISt17integral_constantIbLb0EES17_EEDaS12_S13_EUlS12_E_NS1_11comp_targetILNS1_3genE4ELNS1_11target_archE910ELNS1_3gpuE8ELNS1_3repE0EEENS1_30default_config_static_selectorELNS0_4arch9wavefront6targetE0EEEvT1_ ; -- Begin function _ZN7rocprim17ROCPRIM_400000_NS6detail17trampoline_kernelINS0_14default_configENS1_25partition_config_selectorILNS1_17partition_subalgoE8EsNS0_10empty_typeEbEEZZNS1_14partition_implILS5_8ELb0ES3_jPKsPS6_PKS6_NS0_5tupleIJPsS6_EEENSE_IJSB_SB_EEENS0_18inequality_wrapperIN6hipcub16HIPCUB_304000_NS8EqualityEEEPlJS6_EEE10hipError_tPvRmT3_T4_T5_T6_T7_T9_mT8_P12ihipStream_tbDpT10_ENKUlT_T0_E_clISt17integral_constantIbLb0EES17_EEDaS12_S13_EUlS12_E_NS1_11comp_targetILNS1_3genE4ELNS1_11target_archE910ELNS1_3gpuE8ELNS1_3repE0EEENS1_30default_config_static_selectorELNS0_4arch9wavefront6targetE0EEEvT1_
	.globl	_ZN7rocprim17ROCPRIM_400000_NS6detail17trampoline_kernelINS0_14default_configENS1_25partition_config_selectorILNS1_17partition_subalgoE8EsNS0_10empty_typeEbEEZZNS1_14partition_implILS5_8ELb0ES3_jPKsPS6_PKS6_NS0_5tupleIJPsS6_EEENSE_IJSB_SB_EEENS0_18inequality_wrapperIN6hipcub16HIPCUB_304000_NS8EqualityEEEPlJS6_EEE10hipError_tPvRmT3_T4_T5_T6_T7_T9_mT8_P12ihipStream_tbDpT10_ENKUlT_T0_E_clISt17integral_constantIbLb0EES17_EEDaS12_S13_EUlS12_E_NS1_11comp_targetILNS1_3genE4ELNS1_11target_archE910ELNS1_3gpuE8ELNS1_3repE0EEENS1_30default_config_static_selectorELNS0_4arch9wavefront6targetE0EEEvT1_
	.p2align	8
	.type	_ZN7rocprim17ROCPRIM_400000_NS6detail17trampoline_kernelINS0_14default_configENS1_25partition_config_selectorILNS1_17partition_subalgoE8EsNS0_10empty_typeEbEEZZNS1_14partition_implILS5_8ELb0ES3_jPKsPS6_PKS6_NS0_5tupleIJPsS6_EEENSE_IJSB_SB_EEENS0_18inequality_wrapperIN6hipcub16HIPCUB_304000_NS8EqualityEEEPlJS6_EEE10hipError_tPvRmT3_T4_T5_T6_T7_T9_mT8_P12ihipStream_tbDpT10_ENKUlT_T0_E_clISt17integral_constantIbLb0EES17_EEDaS12_S13_EUlS12_E_NS1_11comp_targetILNS1_3genE4ELNS1_11target_archE910ELNS1_3gpuE8ELNS1_3repE0EEENS1_30default_config_static_selectorELNS0_4arch9wavefront6targetE0EEEvT1_,@function
_ZN7rocprim17ROCPRIM_400000_NS6detail17trampoline_kernelINS0_14default_configENS1_25partition_config_selectorILNS1_17partition_subalgoE8EsNS0_10empty_typeEbEEZZNS1_14partition_implILS5_8ELb0ES3_jPKsPS6_PKS6_NS0_5tupleIJPsS6_EEENSE_IJSB_SB_EEENS0_18inequality_wrapperIN6hipcub16HIPCUB_304000_NS8EqualityEEEPlJS6_EEE10hipError_tPvRmT3_T4_T5_T6_T7_T9_mT8_P12ihipStream_tbDpT10_ENKUlT_T0_E_clISt17integral_constantIbLb0EES17_EEDaS12_S13_EUlS12_E_NS1_11comp_targetILNS1_3genE4ELNS1_11target_archE910ELNS1_3gpuE8ELNS1_3repE0EEENS1_30default_config_static_selectorELNS0_4arch9wavefront6targetE0EEEvT1_: ; @_ZN7rocprim17ROCPRIM_400000_NS6detail17trampoline_kernelINS0_14default_configENS1_25partition_config_selectorILNS1_17partition_subalgoE8EsNS0_10empty_typeEbEEZZNS1_14partition_implILS5_8ELb0ES3_jPKsPS6_PKS6_NS0_5tupleIJPsS6_EEENSE_IJSB_SB_EEENS0_18inequality_wrapperIN6hipcub16HIPCUB_304000_NS8EqualityEEEPlJS6_EEE10hipError_tPvRmT3_T4_T5_T6_T7_T9_mT8_P12ihipStream_tbDpT10_ENKUlT_T0_E_clISt17integral_constantIbLb0EES17_EEDaS12_S13_EUlS12_E_NS1_11comp_targetILNS1_3genE4ELNS1_11target_archE910ELNS1_3gpuE8ELNS1_3repE0EEENS1_30default_config_static_selectorELNS0_4arch9wavefront6targetE0EEEvT1_
; %bb.0:
	.section	.rodata,"a",@progbits
	.p2align	6, 0x0
	.amdhsa_kernel _ZN7rocprim17ROCPRIM_400000_NS6detail17trampoline_kernelINS0_14default_configENS1_25partition_config_selectorILNS1_17partition_subalgoE8EsNS0_10empty_typeEbEEZZNS1_14partition_implILS5_8ELb0ES3_jPKsPS6_PKS6_NS0_5tupleIJPsS6_EEENSE_IJSB_SB_EEENS0_18inequality_wrapperIN6hipcub16HIPCUB_304000_NS8EqualityEEEPlJS6_EEE10hipError_tPvRmT3_T4_T5_T6_T7_T9_mT8_P12ihipStream_tbDpT10_ENKUlT_T0_E_clISt17integral_constantIbLb0EES17_EEDaS12_S13_EUlS12_E_NS1_11comp_targetILNS1_3genE4ELNS1_11target_archE910ELNS1_3gpuE8ELNS1_3repE0EEENS1_30default_config_static_selectorELNS0_4arch9wavefront6targetE0EEEvT1_
		.amdhsa_group_segment_fixed_size 0
		.amdhsa_private_segment_fixed_size 0
		.amdhsa_kernarg_size 112
		.amdhsa_user_sgpr_count 2
		.amdhsa_user_sgpr_dispatch_ptr 0
		.amdhsa_user_sgpr_queue_ptr 0
		.amdhsa_user_sgpr_kernarg_segment_ptr 1
		.amdhsa_user_sgpr_dispatch_id 0
		.amdhsa_user_sgpr_kernarg_preload_length 0
		.amdhsa_user_sgpr_kernarg_preload_offset 0
		.amdhsa_user_sgpr_private_segment_size 0
		.amdhsa_wavefront_size32 1
		.amdhsa_uses_dynamic_stack 0
		.amdhsa_enable_private_segment 0
		.amdhsa_system_sgpr_workgroup_id_x 1
		.amdhsa_system_sgpr_workgroup_id_y 0
		.amdhsa_system_sgpr_workgroup_id_z 0
		.amdhsa_system_sgpr_workgroup_info 0
		.amdhsa_system_vgpr_workitem_id 0
		.amdhsa_next_free_vgpr 1
		.amdhsa_next_free_sgpr 1
		.amdhsa_named_barrier_count 0
		.amdhsa_reserve_vcc 0
		.amdhsa_float_round_mode_32 0
		.amdhsa_float_round_mode_16_64 0
		.amdhsa_float_denorm_mode_32 3
		.amdhsa_float_denorm_mode_16_64 3
		.amdhsa_fp16_overflow 0
		.amdhsa_memory_ordered 1
		.amdhsa_forward_progress 1
		.amdhsa_inst_pref_size 0
		.amdhsa_round_robin_scheduling 0
		.amdhsa_exception_fp_ieee_invalid_op 0
		.amdhsa_exception_fp_denorm_src 0
		.amdhsa_exception_fp_ieee_div_zero 0
		.amdhsa_exception_fp_ieee_overflow 0
		.amdhsa_exception_fp_ieee_underflow 0
		.amdhsa_exception_fp_ieee_inexact 0
		.amdhsa_exception_int_div_zero 0
	.end_amdhsa_kernel
	.section	.text._ZN7rocprim17ROCPRIM_400000_NS6detail17trampoline_kernelINS0_14default_configENS1_25partition_config_selectorILNS1_17partition_subalgoE8EsNS0_10empty_typeEbEEZZNS1_14partition_implILS5_8ELb0ES3_jPKsPS6_PKS6_NS0_5tupleIJPsS6_EEENSE_IJSB_SB_EEENS0_18inequality_wrapperIN6hipcub16HIPCUB_304000_NS8EqualityEEEPlJS6_EEE10hipError_tPvRmT3_T4_T5_T6_T7_T9_mT8_P12ihipStream_tbDpT10_ENKUlT_T0_E_clISt17integral_constantIbLb0EES17_EEDaS12_S13_EUlS12_E_NS1_11comp_targetILNS1_3genE4ELNS1_11target_archE910ELNS1_3gpuE8ELNS1_3repE0EEENS1_30default_config_static_selectorELNS0_4arch9wavefront6targetE0EEEvT1_,"axG",@progbits,_ZN7rocprim17ROCPRIM_400000_NS6detail17trampoline_kernelINS0_14default_configENS1_25partition_config_selectorILNS1_17partition_subalgoE8EsNS0_10empty_typeEbEEZZNS1_14partition_implILS5_8ELb0ES3_jPKsPS6_PKS6_NS0_5tupleIJPsS6_EEENSE_IJSB_SB_EEENS0_18inequality_wrapperIN6hipcub16HIPCUB_304000_NS8EqualityEEEPlJS6_EEE10hipError_tPvRmT3_T4_T5_T6_T7_T9_mT8_P12ihipStream_tbDpT10_ENKUlT_T0_E_clISt17integral_constantIbLb0EES17_EEDaS12_S13_EUlS12_E_NS1_11comp_targetILNS1_3genE4ELNS1_11target_archE910ELNS1_3gpuE8ELNS1_3repE0EEENS1_30default_config_static_selectorELNS0_4arch9wavefront6targetE0EEEvT1_,comdat
.Lfunc_end550:
	.size	_ZN7rocprim17ROCPRIM_400000_NS6detail17trampoline_kernelINS0_14default_configENS1_25partition_config_selectorILNS1_17partition_subalgoE8EsNS0_10empty_typeEbEEZZNS1_14partition_implILS5_8ELb0ES3_jPKsPS6_PKS6_NS0_5tupleIJPsS6_EEENSE_IJSB_SB_EEENS0_18inequality_wrapperIN6hipcub16HIPCUB_304000_NS8EqualityEEEPlJS6_EEE10hipError_tPvRmT3_T4_T5_T6_T7_T9_mT8_P12ihipStream_tbDpT10_ENKUlT_T0_E_clISt17integral_constantIbLb0EES17_EEDaS12_S13_EUlS12_E_NS1_11comp_targetILNS1_3genE4ELNS1_11target_archE910ELNS1_3gpuE8ELNS1_3repE0EEENS1_30default_config_static_selectorELNS0_4arch9wavefront6targetE0EEEvT1_, .Lfunc_end550-_ZN7rocprim17ROCPRIM_400000_NS6detail17trampoline_kernelINS0_14default_configENS1_25partition_config_selectorILNS1_17partition_subalgoE8EsNS0_10empty_typeEbEEZZNS1_14partition_implILS5_8ELb0ES3_jPKsPS6_PKS6_NS0_5tupleIJPsS6_EEENSE_IJSB_SB_EEENS0_18inequality_wrapperIN6hipcub16HIPCUB_304000_NS8EqualityEEEPlJS6_EEE10hipError_tPvRmT3_T4_T5_T6_T7_T9_mT8_P12ihipStream_tbDpT10_ENKUlT_T0_E_clISt17integral_constantIbLb0EES17_EEDaS12_S13_EUlS12_E_NS1_11comp_targetILNS1_3genE4ELNS1_11target_archE910ELNS1_3gpuE8ELNS1_3repE0EEENS1_30default_config_static_selectorELNS0_4arch9wavefront6targetE0EEEvT1_
                                        ; -- End function
	.set _ZN7rocprim17ROCPRIM_400000_NS6detail17trampoline_kernelINS0_14default_configENS1_25partition_config_selectorILNS1_17partition_subalgoE8EsNS0_10empty_typeEbEEZZNS1_14partition_implILS5_8ELb0ES3_jPKsPS6_PKS6_NS0_5tupleIJPsS6_EEENSE_IJSB_SB_EEENS0_18inequality_wrapperIN6hipcub16HIPCUB_304000_NS8EqualityEEEPlJS6_EEE10hipError_tPvRmT3_T4_T5_T6_T7_T9_mT8_P12ihipStream_tbDpT10_ENKUlT_T0_E_clISt17integral_constantIbLb0EES17_EEDaS12_S13_EUlS12_E_NS1_11comp_targetILNS1_3genE4ELNS1_11target_archE910ELNS1_3gpuE8ELNS1_3repE0EEENS1_30default_config_static_selectorELNS0_4arch9wavefront6targetE0EEEvT1_.num_vgpr, 0
	.set _ZN7rocprim17ROCPRIM_400000_NS6detail17trampoline_kernelINS0_14default_configENS1_25partition_config_selectorILNS1_17partition_subalgoE8EsNS0_10empty_typeEbEEZZNS1_14partition_implILS5_8ELb0ES3_jPKsPS6_PKS6_NS0_5tupleIJPsS6_EEENSE_IJSB_SB_EEENS0_18inequality_wrapperIN6hipcub16HIPCUB_304000_NS8EqualityEEEPlJS6_EEE10hipError_tPvRmT3_T4_T5_T6_T7_T9_mT8_P12ihipStream_tbDpT10_ENKUlT_T0_E_clISt17integral_constantIbLb0EES17_EEDaS12_S13_EUlS12_E_NS1_11comp_targetILNS1_3genE4ELNS1_11target_archE910ELNS1_3gpuE8ELNS1_3repE0EEENS1_30default_config_static_selectorELNS0_4arch9wavefront6targetE0EEEvT1_.num_agpr, 0
	.set _ZN7rocprim17ROCPRIM_400000_NS6detail17trampoline_kernelINS0_14default_configENS1_25partition_config_selectorILNS1_17partition_subalgoE8EsNS0_10empty_typeEbEEZZNS1_14partition_implILS5_8ELb0ES3_jPKsPS6_PKS6_NS0_5tupleIJPsS6_EEENSE_IJSB_SB_EEENS0_18inequality_wrapperIN6hipcub16HIPCUB_304000_NS8EqualityEEEPlJS6_EEE10hipError_tPvRmT3_T4_T5_T6_T7_T9_mT8_P12ihipStream_tbDpT10_ENKUlT_T0_E_clISt17integral_constantIbLb0EES17_EEDaS12_S13_EUlS12_E_NS1_11comp_targetILNS1_3genE4ELNS1_11target_archE910ELNS1_3gpuE8ELNS1_3repE0EEENS1_30default_config_static_selectorELNS0_4arch9wavefront6targetE0EEEvT1_.numbered_sgpr, 0
	.set _ZN7rocprim17ROCPRIM_400000_NS6detail17trampoline_kernelINS0_14default_configENS1_25partition_config_selectorILNS1_17partition_subalgoE8EsNS0_10empty_typeEbEEZZNS1_14partition_implILS5_8ELb0ES3_jPKsPS6_PKS6_NS0_5tupleIJPsS6_EEENSE_IJSB_SB_EEENS0_18inequality_wrapperIN6hipcub16HIPCUB_304000_NS8EqualityEEEPlJS6_EEE10hipError_tPvRmT3_T4_T5_T6_T7_T9_mT8_P12ihipStream_tbDpT10_ENKUlT_T0_E_clISt17integral_constantIbLb0EES17_EEDaS12_S13_EUlS12_E_NS1_11comp_targetILNS1_3genE4ELNS1_11target_archE910ELNS1_3gpuE8ELNS1_3repE0EEENS1_30default_config_static_selectorELNS0_4arch9wavefront6targetE0EEEvT1_.num_named_barrier, 0
	.set _ZN7rocprim17ROCPRIM_400000_NS6detail17trampoline_kernelINS0_14default_configENS1_25partition_config_selectorILNS1_17partition_subalgoE8EsNS0_10empty_typeEbEEZZNS1_14partition_implILS5_8ELb0ES3_jPKsPS6_PKS6_NS0_5tupleIJPsS6_EEENSE_IJSB_SB_EEENS0_18inequality_wrapperIN6hipcub16HIPCUB_304000_NS8EqualityEEEPlJS6_EEE10hipError_tPvRmT3_T4_T5_T6_T7_T9_mT8_P12ihipStream_tbDpT10_ENKUlT_T0_E_clISt17integral_constantIbLb0EES17_EEDaS12_S13_EUlS12_E_NS1_11comp_targetILNS1_3genE4ELNS1_11target_archE910ELNS1_3gpuE8ELNS1_3repE0EEENS1_30default_config_static_selectorELNS0_4arch9wavefront6targetE0EEEvT1_.private_seg_size, 0
	.set _ZN7rocprim17ROCPRIM_400000_NS6detail17trampoline_kernelINS0_14default_configENS1_25partition_config_selectorILNS1_17partition_subalgoE8EsNS0_10empty_typeEbEEZZNS1_14partition_implILS5_8ELb0ES3_jPKsPS6_PKS6_NS0_5tupleIJPsS6_EEENSE_IJSB_SB_EEENS0_18inequality_wrapperIN6hipcub16HIPCUB_304000_NS8EqualityEEEPlJS6_EEE10hipError_tPvRmT3_T4_T5_T6_T7_T9_mT8_P12ihipStream_tbDpT10_ENKUlT_T0_E_clISt17integral_constantIbLb0EES17_EEDaS12_S13_EUlS12_E_NS1_11comp_targetILNS1_3genE4ELNS1_11target_archE910ELNS1_3gpuE8ELNS1_3repE0EEENS1_30default_config_static_selectorELNS0_4arch9wavefront6targetE0EEEvT1_.uses_vcc, 0
	.set _ZN7rocprim17ROCPRIM_400000_NS6detail17trampoline_kernelINS0_14default_configENS1_25partition_config_selectorILNS1_17partition_subalgoE8EsNS0_10empty_typeEbEEZZNS1_14partition_implILS5_8ELb0ES3_jPKsPS6_PKS6_NS0_5tupleIJPsS6_EEENSE_IJSB_SB_EEENS0_18inequality_wrapperIN6hipcub16HIPCUB_304000_NS8EqualityEEEPlJS6_EEE10hipError_tPvRmT3_T4_T5_T6_T7_T9_mT8_P12ihipStream_tbDpT10_ENKUlT_T0_E_clISt17integral_constantIbLb0EES17_EEDaS12_S13_EUlS12_E_NS1_11comp_targetILNS1_3genE4ELNS1_11target_archE910ELNS1_3gpuE8ELNS1_3repE0EEENS1_30default_config_static_selectorELNS0_4arch9wavefront6targetE0EEEvT1_.uses_flat_scratch, 0
	.set _ZN7rocprim17ROCPRIM_400000_NS6detail17trampoline_kernelINS0_14default_configENS1_25partition_config_selectorILNS1_17partition_subalgoE8EsNS0_10empty_typeEbEEZZNS1_14partition_implILS5_8ELb0ES3_jPKsPS6_PKS6_NS0_5tupleIJPsS6_EEENSE_IJSB_SB_EEENS0_18inequality_wrapperIN6hipcub16HIPCUB_304000_NS8EqualityEEEPlJS6_EEE10hipError_tPvRmT3_T4_T5_T6_T7_T9_mT8_P12ihipStream_tbDpT10_ENKUlT_T0_E_clISt17integral_constantIbLb0EES17_EEDaS12_S13_EUlS12_E_NS1_11comp_targetILNS1_3genE4ELNS1_11target_archE910ELNS1_3gpuE8ELNS1_3repE0EEENS1_30default_config_static_selectorELNS0_4arch9wavefront6targetE0EEEvT1_.has_dyn_sized_stack, 0
	.set _ZN7rocprim17ROCPRIM_400000_NS6detail17trampoline_kernelINS0_14default_configENS1_25partition_config_selectorILNS1_17partition_subalgoE8EsNS0_10empty_typeEbEEZZNS1_14partition_implILS5_8ELb0ES3_jPKsPS6_PKS6_NS0_5tupleIJPsS6_EEENSE_IJSB_SB_EEENS0_18inequality_wrapperIN6hipcub16HIPCUB_304000_NS8EqualityEEEPlJS6_EEE10hipError_tPvRmT3_T4_T5_T6_T7_T9_mT8_P12ihipStream_tbDpT10_ENKUlT_T0_E_clISt17integral_constantIbLb0EES17_EEDaS12_S13_EUlS12_E_NS1_11comp_targetILNS1_3genE4ELNS1_11target_archE910ELNS1_3gpuE8ELNS1_3repE0EEENS1_30default_config_static_selectorELNS0_4arch9wavefront6targetE0EEEvT1_.has_recursion, 0
	.set _ZN7rocprim17ROCPRIM_400000_NS6detail17trampoline_kernelINS0_14default_configENS1_25partition_config_selectorILNS1_17partition_subalgoE8EsNS0_10empty_typeEbEEZZNS1_14partition_implILS5_8ELb0ES3_jPKsPS6_PKS6_NS0_5tupleIJPsS6_EEENSE_IJSB_SB_EEENS0_18inequality_wrapperIN6hipcub16HIPCUB_304000_NS8EqualityEEEPlJS6_EEE10hipError_tPvRmT3_T4_T5_T6_T7_T9_mT8_P12ihipStream_tbDpT10_ENKUlT_T0_E_clISt17integral_constantIbLb0EES17_EEDaS12_S13_EUlS12_E_NS1_11comp_targetILNS1_3genE4ELNS1_11target_archE910ELNS1_3gpuE8ELNS1_3repE0EEENS1_30default_config_static_selectorELNS0_4arch9wavefront6targetE0EEEvT1_.has_indirect_call, 0
	.section	.AMDGPU.csdata,"",@progbits
; Kernel info:
; codeLenInByte = 0
; TotalNumSgprs: 0
; NumVgprs: 0
; ScratchSize: 0
; MemoryBound: 0
; FloatMode: 240
; IeeeMode: 1
; LDSByteSize: 0 bytes/workgroup (compile time only)
; SGPRBlocks: 0
; VGPRBlocks: 0
; NumSGPRsForWavesPerEU: 1
; NumVGPRsForWavesPerEU: 1
; NamedBarCnt: 0
; Occupancy: 16
; WaveLimiterHint : 0
; COMPUTE_PGM_RSRC2:SCRATCH_EN: 0
; COMPUTE_PGM_RSRC2:USER_SGPR: 2
; COMPUTE_PGM_RSRC2:TRAP_HANDLER: 0
; COMPUTE_PGM_RSRC2:TGID_X_EN: 1
; COMPUTE_PGM_RSRC2:TGID_Y_EN: 0
; COMPUTE_PGM_RSRC2:TGID_Z_EN: 0
; COMPUTE_PGM_RSRC2:TIDIG_COMP_CNT: 0
	.section	.text._ZN7rocprim17ROCPRIM_400000_NS6detail17trampoline_kernelINS0_14default_configENS1_25partition_config_selectorILNS1_17partition_subalgoE8EsNS0_10empty_typeEbEEZZNS1_14partition_implILS5_8ELb0ES3_jPKsPS6_PKS6_NS0_5tupleIJPsS6_EEENSE_IJSB_SB_EEENS0_18inequality_wrapperIN6hipcub16HIPCUB_304000_NS8EqualityEEEPlJS6_EEE10hipError_tPvRmT3_T4_T5_T6_T7_T9_mT8_P12ihipStream_tbDpT10_ENKUlT_T0_E_clISt17integral_constantIbLb0EES17_EEDaS12_S13_EUlS12_E_NS1_11comp_targetILNS1_3genE3ELNS1_11target_archE908ELNS1_3gpuE7ELNS1_3repE0EEENS1_30default_config_static_selectorELNS0_4arch9wavefront6targetE0EEEvT1_,"axG",@progbits,_ZN7rocprim17ROCPRIM_400000_NS6detail17trampoline_kernelINS0_14default_configENS1_25partition_config_selectorILNS1_17partition_subalgoE8EsNS0_10empty_typeEbEEZZNS1_14partition_implILS5_8ELb0ES3_jPKsPS6_PKS6_NS0_5tupleIJPsS6_EEENSE_IJSB_SB_EEENS0_18inequality_wrapperIN6hipcub16HIPCUB_304000_NS8EqualityEEEPlJS6_EEE10hipError_tPvRmT3_T4_T5_T6_T7_T9_mT8_P12ihipStream_tbDpT10_ENKUlT_T0_E_clISt17integral_constantIbLb0EES17_EEDaS12_S13_EUlS12_E_NS1_11comp_targetILNS1_3genE3ELNS1_11target_archE908ELNS1_3gpuE7ELNS1_3repE0EEENS1_30default_config_static_selectorELNS0_4arch9wavefront6targetE0EEEvT1_,comdat
	.protected	_ZN7rocprim17ROCPRIM_400000_NS6detail17trampoline_kernelINS0_14default_configENS1_25partition_config_selectorILNS1_17partition_subalgoE8EsNS0_10empty_typeEbEEZZNS1_14partition_implILS5_8ELb0ES3_jPKsPS6_PKS6_NS0_5tupleIJPsS6_EEENSE_IJSB_SB_EEENS0_18inequality_wrapperIN6hipcub16HIPCUB_304000_NS8EqualityEEEPlJS6_EEE10hipError_tPvRmT3_T4_T5_T6_T7_T9_mT8_P12ihipStream_tbDpT10_ENKUlT_T0_E_clISt17integral_constantIbLb0EES17_EEDaS12_S13_EUlS12_E_NS1_11comp_targetILNS1_3genE3ELNS1_11target_archE908ELNS1_3gpuE7ELNS1_3repE0EEENS1_30default_config_static_selectorELNS0_4arch9wavefront6targetE0EEEvT1_ ; -- Begin function _ZN7rocprim17ROCPRIM_400000_NS6detail17trampoline_kernelINS0_14default_configENS1_25partition_config_selectorILNS1_17partition_subalgoE8EsNS0_10empty_typeEbEEZZNS1_14partition_implILS5_8ELb0ES3_jPKsPS6_PKS6_NS0_5tupleIJPsS6_EEENSE_IJSB_SB_EEENS0_18inequality_wrapperIN6hipcub16HIPCUB_304000_NS8EqualityEEEPlJS6_EEE10hipError_tPvRmT3_T4_T5_T6_T7_T9_mT8_P12ihipStream_tbDpT10_ENKUlT_T0_E_clISt17integral_constantIbLb0EES17_EEDaS12_S13_EUlS12_E_NS1_11comp_targetILNS1_3genE3ELNS1_11target_archE908ELNS1_3gpuE7ELNS1_3repE0EEENS1_30default_config_static_selectorELNS0_4arch9wavefront6targetE0EEEvT1_
	.globl	_ZN7rocprim17ROCPRIM_400000_NS6detail17trampoline_kernelINS0_14default_configENS1_25partition_config_selectorILNS1_17partition_subalgoE8EsNS0_10empty_typeEbEEZZNS1_14partition_implILS5_8ELb0ES3_jPKsPS6_PKS6_NS0_5tupleIJPsS6_EEENSE_IJSB_SB_EEENS0_18inequality_wrapperIN6hipcub16HIPCUB_304000_NS8EqualityEEEPlJS6_EEE10hipError_tPvRmT3_T4_T5_T6_T7_T9_mT8_P12ihipStream_tbDpT10_ENKUlT_T0_E_clISt17integral_constantIbLb0EES17_EEDaS12_S13_EUlS12_E_NS1_11comp_targetILNS1_3genE3ELNS1_11target_archE908ELNS1_3gpuE7ELNS1_3repE0EEENS1_30default_config_static_selectorELNS0_4arch9wavefront6targetE0EEEvT1_
	.p2align	8
	.type	_ZN7rocprim17ROCPRIM_400000_NS6detail17trampoline_kernelINS0_14default_configENS1_25partition_config_selectorILNS1_17partition_subalgoE8EsNS0_10empty_typeEbEEZZNS1_14partition_implILS5_8ELb0ES3_jPKsPS6_PKS6_NS0_5tupleIJPsS6_EEENSE_IJSB_SB_EEENS0_18inequality_wrapperIN6hipcub16HIPCUB_304000_NS8EqualityEEEPlJS6_EEE10hipError_tPvRmT3_T4_T5_T6_T7_T9_mT8_P12ihipStream_tbDpT10_ENKUlT_T0_E_clISt17integral_constantIbLb0EES17_EEDaS12_S13_EUlS12_E_NS1_11comp_targetILNS1_3genE3ELNS1_11target_archE908ELNS1_3gpuE7ELNS1_3repE0EEENS1_30default_config_static_selectorELNS0_4arch9wavefront6targetE0EEEvT1_,@function
_ZN7rocprim17ROCPRIM_400000_NS6detail17trampoline_kernelINS0_14default_configENS1_25partition_config_selectorILNS1_17partition_subalgoE8EsNS0_10empty_typeEbEEZZNS1_14partition_implILS5_8ELb0ES3_jPKsPS6_PKS6_NS0_5tupleIJPsS6_EEENSE_IJSB_SB_EEENS0_18inequality_wrapperIN6hipcub16HIPCUB_304000_NS8EqualityEEEPlJS6_EEE10hipError_tPvRmT3_T4_T5_T6_T7_T9_mT8_P12ihipStream_tbDpT10_ENKUlT_T0_E_clISt17integral_constantIbLb0EES17_EEDaS12_S13_EUlS12_E_NS1_11comp_targetILNS1_3genE3ELNS1_11target_archE908ELNS1_3gpuE7ELNS1_3repE0EEENS1_30default_config_static_selectorELNS0_4arch9wavefront6targetE0EEEvT1_: ; @_ZN7rocprim17ROCPRIM_400000_NS6detail17trampoline_kernelINS0_14default_configENS1_25partition_config_selectorILNS1_17partition_subalgoE8EsNS0_10empty_typeEbEEZZNS1_14partition_implILS5_8ELb0ES3_jPKsPS6_PKS6_NS0_5tupleIJPsS6_EEENSE_IJSB_SB_EEENS0_18inequality_wrapperIN6hipcub16HIPCUB_304000_NS8EqualityEEEPlJS6_EEE10hipError_tPvRmT3_T4_T5_T6_T7_T9_mT8_P12ihipStream_tbDpT10_ENKUlT_T0_E_clISt17integral_constantIbLb0EES17_EEDaS12_S13_EUlS12_E_NS1_11comp_targetILNS1_3genE3ELNS1_11target_archE908ELNS1_3gpuE7ELNS1_3repE0EEENS1_30default_config_static_selectorELNS0_4arch9wavefront6targetE0EEEvT1_
; %bb.0:
	.section	.rodata,"a",@progbits
	.p2align	6, 0x0
	.amdhsa_kernel _ZN7rocprim17ROCPRIM_400000_NS6detail17trampoline_kernelINS0_14default_configENS1_25partition_config_selectorILNS1_17partition_subalgoE8EsNS0_10empty_typeEbEEZZNS1_14partition_implILS5_8ELb0ES3_jPKsPS6_PKS6_NS0_5tupleIJPsS6_EEENSE_IJSB_SB_EEENS0_18inequality_wrapperIN6hipcub16HIPCUB_304000_NS8EqualityEEEPlJS6_EEE10hipError_tPvRmT3_T4_T5_T6_T7_T9_mT8_P12ihipStream_tbDpT10_ENKUlT_T0_E_clISt17integral_constantIbLb0EES17_EEDaS12_S13_EUlS12_E_NS1_11comp_targetILNS1_3genE3ELNS1_11target_archE908ELNS1_3gpuE7ELNS1_3repE0EEENS1_30default_config_static_selectorELNS0_4arch9wavefront6targetE0EEEvT1_
		.amdhsa_group_segment_fixed_size 0
		.amdhsa_private_segment_fixed_size 0
		.amdhsa_kernarg_size 112
		.amdhsa_user_sgpr_count 2
		.amdhsa_user_sgpr_dispatch_ptr 0
		.amdhsa_user_sgpr_queue_ptr 0
		.amdhsa_user_sgpr_kernarg_segment_ptr 1
		.amdhsa_user_sgpr_dispatch_id 0
		.amdhsa_user_sgpr_kernarg_preload_length 0
		.amdhsa_user_sgpr_kernarg_preload_offset 0
		.amdhsa_user_sgpr_private_segment_size 0
		.amdhsa_wavefront_size32 1
		.amdhsa_uses_dynamic_stack 0
		.amdhsa_enable_private_segment 0
		.amdhsa_system_sgpr_workgroup_id_x 1
		.amdhsa_system_sgpr_workgroup_id_y 0
		.amdhsa_system_sgpr_workgroup_id_z 0
		.amdhsa_system_sgpr_workgroup_info 0
		.amdhsa_system_vgpr_workitem_id 0
		.amdhsa_next_free_vgpr 1
		.amdhsa_next_free_sgpr 1
		.amdhsa_named_barrier_count 0
		.amdhsa_reserve_vcc 0
		.amdhsa_float_round_mode_32 0
		.amdhsa_float_round_mode_16_64 0
		.amdhsa_float_denorm_mode_32 3
		.amdhsa_float_denorm_mode_16_64 3
		.amdhsa_fp16_overflow 0
		.amdhsa_memory_ordered 1
		.amdhsa_forward_progress 1
		.amdhsa_inst_pref_size 0
		.amdhsa_round_robin_scheduling 0
		.amdhsa_exception_fp_ieee_invalid_op 0
		.amdhsa_exception_fp_denorm_src 0
		.amdhsa_exception_fp_ieee_div_zero 0
		.amdhsa_exception_fp_ieee_overflow 0
		.amdhsa_exception_fp_ieee_underflow 0
		.amdhsa_exception_fp_ieee_inexact 0
		.amdhsa_exception_int_div_zero 0
	.end_amdhsa_kernel
	.section	.text._ZN7rocprim17ROCPRIM_400000_NS6detail17trampoline_kernelINS0_14default_configENS1_25partition_config_selectorILNS1_17partition_subalgoE8EsNS0_10empty_typeEbEEZZNS1_14partition_implILS5_8ELb0ES3_jPKsPS6_PKS6_NS0_5tupleIJPsS6_EEENSE_IJSB_SB_EEENS0_18inequality_wrapperIN6hipcub16HIPCUB_304000_NS8EqualityEEEPlJS6_EEE10hipError_tPvRmT3_T4_T5_T6_T7_T9_mT8_P12ihipStream_tbDpT10_ENKUlT_T0_E_clISt17integral_constantIbLb0EES17_EEDaS12_S13_EUlS12_E_NS1_11comp_targetILNS1_3genE3ELNS1_11target_archE908ELNS1_3gpuE7ELNS1_3repE0EEENS1_30default_config_static_selectorELNS0_4arch9wavefront6targetE0EEEvT1_,"axG",@progbits,_ZN7rocprim17ROCPRIM_400000_NS6detail17trampoline_kernelINS0_14default_configENS1_25partition_config_selectorILNS1_17partition_subalgoE8EsNS0_10empty_typeEbEEZZNS1_14partition_implILS5_8ELb0ES3_jPKsPS6_PKS6_NS0_5tupleIJPsS6_EEENSE_IJSB_SB_EEENS0_18inequality_wrapperIN6hipcub16HIPCUB_304000_NS8EqualityEEEPlJS6_EEE10hipError_tPvRmT3_T4_T5_T6_T7_T9_mT8_P12ihipStream_tbDpT10_ENKUlT_T0_E_clISt17integral_constantIbLb0EES17_EEDaS12_S13_EUlS12_E_NS1_11comp_targetILNS1_3genE3ELNS1_11target_archE908ELNS1_3gpuE7ELNS1_3repE0EEENS1_30default_config_static_selectorELNS0_4arch9wavefront6targetE0EEEvT1_,comdat
.Lfunc_end551:
	.size	_ZN7rocprim17ROCPRIM_400000_NS6detail17trampoline_kernelINS0_14default_configENS1_25partition_config_selectorILNS1_17partition_subalgoE8EsNS0_10empty_typeEbEEZZNS1_14partition_implILS5_8ELb0ES3_jPKsPS6_PKS6_NS0_5tupleIJPsS6_EEENSE_IJSB_SB_EEENS0_18inequality_wrapperIN6hipcub16HIPCUB_304000_NS8EqualityEEEPlJS6_EEE10hipError_tPvRmT3_T4_T5_T6_T7_T9_mT8_P12ihipStream_tbDpT10_ENKUlT_T0_E_clISt17integral_constantIbLb0EES17_EEDaS12_S13_EUlS12_E_NS1_11comp_targetILNS1_3genE3ELNS1_11target_archE908ELNS1_3gpuE7ELNS1_3repE0EEENS1_30default_config_static_selectorELNS0_4arch9wavefront6targetE0EEEvT1_, .Lfunc_end551-_ZN7rocprim17ROCPRIM_400000_NS6detail17trampoline_kernelINS0_14default_configENS1_25partition_config_selectorILNS1_17partition_subalgoE8EsNS0_10empty_typeEbEEZZNS1_14partition_implILS5_8ELb0ES3_jPKsPS6_PKS6_NS0_5tupleIJPsS6_EEENSE_IJSB_SB_EEENS0_18inequality_wrapperIN6hipcub16HIPCUB_304000_NS8EqualityEEEPlJS6_EEE10hipError_tPvRmT3_T4_T5_T6_T7_T9_mT8_P12ihipStream_tbDpT10_ENKUlT_T0_E_clISt17integral_constantIbLb0EES17_EEDaS12_S13_EUlS12_E_NS1_11comp_targetILNS1_3genE3ELNS1_11target_archE908ELNS1_3gpuE7ELNS1_3repE0EEENS1_30default_config_static_selectorELNS0_4arch9wavefront6targetE0EEEvT1_
                                        ; -- End function
	.set _ZN7rocprim17ROCPRIM_400000_NS6detail17trampoline_kernelINS0_14default_configENS1_25partition_config_selectorILNS1_17partition_subalgoE8EsNS0_10empty_typeEbEEZZNS1_14partition_implILS5_8ELb0ES3_jPKsPS6_PKS6_NS0_5tupleIJPsS6_EEENSE_IJSB_SB_EEENS0_18inequality_wrapperIN6hipcub16HIPCUB_304000_NS8EqualityEEEPlJS6_EEE10hipError_tPvRmT3_T4_T5_T6_T7_T9_mT8_P12ihipStream_tbDpT10_ENKUlT_T0_E_clISt17integral_constantIbLb0EES17_EEDaS12_S13_EUlS12_E_NS1_11comp_targetILNS1_3genE3ELNS1_11target_archE908ELNS1_3gpuE7ELNS1_3repE0EEENS1_30default_config_static_selectorELNS0_4arch9wavefront6targetE0EEEvT1_.num_vgpr, 0
	.set _ZN7rocprim17ROCPRIM_400000_NS6detail17trampoline_kernelINS0_14default_configENS1_25partition_config_selectorILNS1_17partition_subalgoE8EsNS0_10empty_typeEbEEZZNS1_14partition_implILS5_8ELb0ES3_jPKsPS6_PKS6_NS0_5tupleIJPsS6_EEENSE_IJSB_SB_EEENS0_18inequality_wrapperIN6hipcub16HIPCUB_304000_NS8EqualityEEEPlJS6_EEE10hipError_tPvRmT3_T4_T5_T6_T7_T9_mT8_P12ihipStream_tbDpT10_ENKUlT_T0_E_clISt17integral_constantIbLb0EES17_EEDaS12_S13_EUlS12_E_NS1_11comp_targetILNS1_3genE3ELNS1_11target_archE908ELNS1_3gpuE7ELNS1_3repE0EEENS1_30default_config_static_selectorELNS0_4arch9wavefront6targetE0EEEvT1_.num_agpr, 0
	.set _ZN7rocprim17ROCPRIM_400000_NS6detail17trampoline_kernelINS0_14default_configENS1_25partition_config_selectorILNS1_17partition_subalgoE8EsNS0_10empty_typeEbEEZZNS1_14partition_implILS5_8ELb0ES3_jPKsPS6_PKS6_NS0_5tupleIJPsS6_EEENSE_IJSB_SB_EEENS0_18inequality_wrapperIN6hipcub16HIPCUB_304000_NS8EqualityEEEPlJS6_EEE10hipError_tPvRmT3_T4_T5_T6_T7_T9_mT8_P12ihipStream_tbDpT10_ENKUlT_T0_E_clISt17integral_constantIbLb0EES17_EEDaS12_S13_EUlS12_E_NS1_11comp_targetILNS1_3genE3ELNS1_11target_archE908ELNS1_3gpuE7ELNS1_3repE0EEENS1_30default_config_static_selectorELNS0_4arch9wavefront6targetE0EEEvT1_.numbered_sgpr, 0
	.set _ZN7rocprim17ROCPRIM_400000_NS6detail17trampoline_kernelINS0_14default_configENS1_25partition_config_selectorILNS1_17partition_subalgoE8EsNS0_10empty_typeEbEEZZNS1_14partition_implILS5_8ELb0ES3_jPKsPS6_PKS6_NS0_5tupleIJPsS6_EEENSE_IJSB_SB_EEENS0_18inequality_wrapperIN6hipcub16HIPCUB_304000_NS8EqualityEEEPlJS6_EEE10hipError_tPvRmT3_T4_T5_T6_T7_T9_mT8_P12ihipStream_tbDpT10_ENKUlT_T0_E_clISt17integral_constantIbLb0EES17_EEDaS12_S13_EUlS12_E_NS1_11comp_targetILNS1_3genE3ELNS1_11target_archE908ELNS1_3gpuE7ELNS1_3repE0EEENS1_30default_config_static_selectorELNS0_4arch9wavefront6targetE0EEEvT1_.num_named_barrier, 0
	.set _ZN7rocprim17ROCPRIM_400000_NS6detail17trampoline_kernelINS0_14default_configENS1_25partition_config_selectorILNS1_17partition_subalgoE8EsNS0_10empty_typeEbEEZZNS1_14partition_implILS5_8ELb0ES3_jPKsPS6_PKS6_NS0_5tupleIJPsS6_EEENSE_IJSB_SB_EEENS0_18inequality_wrapperIN6hipcub16HIPCUB_304000_NS8EqualityEEEPlJS6_EEE10hipError_tPvRmT3_T4_T5_T6_T7_T9_mT8_P12ihipStream_tbDpT10_ENKUlT_T0_E_clISt17integral_constantIbLb0EES17_EEDaS12_S13_EUlS12_E_NS1_11comp_targetILNS1_3genE3ELNS1_11target_archE908ELNS1_3gpuE7ELNS1_3repE0EEENS1_30default_config_static_selectorELNS0_4arch9wavefront6targetE0EEEvT1_.private_seg_size, 0
	.set _ZN7rocprim17ROCPRIM_400000_NS6detail17trampoline_kernelINS0_14default_configENS1_25partition_config_selectorILNS1_17partition_subalgoE8EsNS0_10empty_typeEbEEZZNS1_14partition_implILS5_8ELb0ES3_jPKsPS6_PKS6_NS0_5tupleIJPsS6_EEENSE_IJSB_SB_EEENS0_18inequality_wrapperIN6hipcub16HIPCUB_304000_NS8EqualityEEEPlJS6_EEE10hipError_tPvRmT3_T4_T5_T6_T7_T9_mT8_P12ihipStream_tbDpT10_ENKUlT_T0_E_clISt17integral_constantIbLb0EES17_EEDaS12_S13_EUlS12_E_NS1_11comp_targetILNS1_3genE3ELNS1_11target_archE908ELNS1_3gpuE7ELNS1_3repE0EEENS1_30default_config_static_selectorELNS0_4arch9wavefront6targetE0EEEvT1_.uses_vcc, 0
	.set _ZN7rocprim17ROCPRIM_400000_NS6detail17trampoline_kernelINS0_14default_configENS1_25partition_config_selectorILNS1_17partition_subalgoE8EsNS0_10empty_typeEbEEZZNS1_14partition_implILS5_8ELb0ES3_jPKsPS6_PKS6_NS0_5tupleIJPsS6_EEENSE_IJSB_SB_EEENS0_18inequality_wrapperIN6hipcub16HIPCUB_304000_NS8EqualityEEEPlJS6_EEE10hipError_tPvRmT3_T4_T5_T6_T7_T9_mT8_P12ihipStream_tbDpT10_ENKUlT_T0_E_clISt17integral_constantIbLb0EES17_EEDaS12_S13_EUlS12_E_NS1_11comp_targetILNS1_3genE3ELNS1_11target_archE908ELNS1_3gpuE7ELNS1_3repE0EEENS1_30default_config_static_selectorELNS0_4arch9wavefront6targetE0EEEvT1_.uses_flat_scratch, 0
	.set _ZN7rocprim17ROCPRIM_400000_NS6detail17trampoline_kernelINS0_14default_configENS1_25partition_config_selectorILNS1_17partition_subalgoE8EsNS0_10empty_typeEbEEZZNS1_14partition_implILS5_8ELb0ES3_jPKsPS6_PKS6_NS0_5tupleIJPsS6_EEENSE_IJSB_SB_EEENS0_18inequality_wrapperIN6hipcub16HIPCUB_304000_NS8EqualityEEEPlJS6_EEE10hipError_tPvRmT3_T4_T5_T6_T7_T9_mT8_P12ihipStream_tbDpT10_ENKUlT_T0_E_clISt17integral_constantIbLb0EES17_EEDaS12_S13_EUlS12_E_NS1_11comp_targetILNS1_3genE3ELNS1_11target_archE908ELNS1_3gpuE7ELNS1_3repE0EEENS1_30default_config_static_selectorELNS0_4arch9wavefront6targetE0EEEvT1_.has_dyn_sized_stack, 0
	.set _ZN7rocprim17ROCPRIM_400000_NS6detail17trampoline_kernelINS0_14default_configENS1_25partition_config_selectorILNS1_17partition_subalgoE8EsNS0_10empty_typeEbEEZZNS1_14partition_implILS5_8ELb0ES3_jPKsPS6_PKS6_NS0_5tupleIJPsS6_EEENSE_IJSB_SB_EEENS0_18inequality_wrapperIN6hipcub16HIPCUB_304000_NS8EqualityEEEPlJS6_EEE10hipError_tPvRmT3_T4_T5_T6_T7_T9_mT8_P12ihipStream_tbDpT10_ENKUlT_T0_E_clISt17integral_constantIbLb0EES17_EEDaS12_S13_EUlS12_E_NS1_11comp_targetILNS1_3genE3ELNS1_11target_archE908ELNS1_3gpuE7ELNS1_3repE0EEENS1_30default_config_static_selectorELNS0_4arch9wavefront6targetE0EEEvT1_.has_recursion, 0
	.set _ZN7rocprim17ROCPRIM_400000_NS6detail17trampoline_kernelINS0_14default_configENS1_25partition_config_selectorILNS1_17partition_subalgoE8EsNS0_10empty_typeEbEEZZNS1_14partition_implILS5_8ELb0ES3_jPKsPS6_PKS6_NS0_5tupleIJPsS6_EEENSE_IJSB_SB_EEENS0_18inequality_wrapperIN6hipcub16HIPCUB_304000_NS8EqualityEEEPlJS6_EEE10hipError_tPvRmT3_T4_T5_T6_T7_T9_mT8_P12ihipStream_tbDpT10_ENKUlT_T0_E_clISt17integral_constantIbLb0EES17_EEDaS12_S13_EUlS12_E_NS1_11comp_targetILNS1_3genE3ELNS1_11target_archE908ELNS1_3gpuE7ELNS1_3repE0EEENS1_30default_config_static_selectorELNS0_4arch9wavefront6targetE0EEEvT1_.has_indirect_call, 0
	.section	.AMDGPU.csdata,"",@progbits
; Kernel info:
; codeLenInByte = 0
; TotalNumSgprs: 0
; NumVgprs: 0
; ScratchSize: 0
; MemoryBound: 0
; FloatMode: 240
; IeeeMode: 1
; LDSByteSize: 0 bytes/workgroup (compile time only)
; SGPRBlocks: 0
; VGPRBlocks: 0
; NumSGPRsForWavesPerEU: 1
; NumVGPRsForWavesPerEU: 1
; NamedBarCnt: 0
; Occupancy: 16
; WaveLimiterHint : 0
; COMPUTE_PGM_RSRC2:SCRATCH_EN: 0
; COMPUTE_PGM_RSRC2:USER_SGPR: 2
; COMPUTE_PGM_RSRC2:TRAP_HANDLER: 0
; COMPUTE_PGM_RSRC2:TGID_X_EN: 1
; COMPUTE_PGM_RSRC2:TGID_Y_EN: 0
; COMPUTE_PGM_RSRC2:TGID_Z_EN: 0
; COMPUTE_PGM_RSRC2:TIDIG_COMP_CNT: 0
	.section	.text._ZN7rocprim17ROCPRIM_400000_NS6detail17trampoline_kernelINS0_14default_configENS1_25partition_config_selectorILNS1_17partition_subalgoE8EsNS0_10empty_typeEbEEZZNS1_14partition_implILS5_8ELb0ES3_jPKsPS6_PKS6_NS0_5tupleIJPsS6_EEENSE_IJSB_SB_EEENS0_18inequality_wrapperIN6hipcub16HIPCUB_304000_NS8EqualityEEEPlJS6_EEE10hipError_tPvRmT3_T4_T5_T6_T7_T9_mT8_P12ihipStream_tbDpT10_ENKUlT_T0_E_clISt17integral_constantIbLb0EES17_EEDaS12_S13_EUlS12_E_NS1_11comp_targetILNS1_3genE2ELNS1_11target_archE906ELNS1_3gpuE6ELNS1_3repE0EEENS1_30default_config_static_selectorELNS0_4arch9wavefront6targetE0EEEvT1_,"axG",@progbits,_ZN7rocprim17ROCPRIM_400000_NS6detail17trampoline_kernelINS0_14default_configENS1_25partition_config_selectorILNS1_17partition_subalgoE8EsNS0_10empty_typeEbEEZZNS1_14partition_implILS5_8ELb0ES3_jPKsPS6_PKS6_NS0_5tupleIJPsS6_EEENSE_IJSB_SB_EEENS0_18inequality_wrapperIN6hipcub16HIPCUB_304000_NS8EqualityEEEPlJS6_EEE10hipError_tPvRmT3_T4_T5_T6_T7_T9_mT8_P12ihipStream_tbDpT10_ENKUlT_T0_E_clISt17integral_constantIbLb0EES17_EEDaS12_S13_EUlS12_E_NS1_11comp_targetILNS1_3genE2ELNS1_11target_archE906ELNS1_3gpuE6ELNS1_3repE0EEENS1_30default_config_static_selectorELNS0_4arch9wavefront6targetE0EEEvT1_,comdat
	.protected	_ZN7rocprim17ROCPRIM_400000_NS6detail17trampoline_kernelINS0_14default_configENS1_25partition_config_selectorILNS1_17partition_subalgoE8EsNS0_10empty_typeEbEEZZNS1_14partition_implILS5_8ELb0ES3_jPKsPS6_PKS6_NS0_5tupleIJPsS6_EEENSE_IJSB_SB_EEENS0_18inequality_wrapperIN6hipcub16HIPCUB_304000_NS8EqualityEEEPlJS6_EEE10hipError_tPvRmT3_T4_T5_T6_T7_T9_mT8_P12ihipStream_tbDpT10_ENKUlT_T0_E_clISt17integral_constantIbLb0EES17_EEDaS12_S13_EUlS12_E_NS1_11comp_targetILNS1_3genE2ELNS1_11target_archE906ELNS1_3gpuE6ELNS1_3repE0EEENS1_30default_config_static_selectorELNS0_4arch9wavefront6targetE0EEEvT1_ ; -- Begin function _ZN7rocprim17ROCPRIM_400000_NS6detail17trampoline_kernelINS0_14default_configENS1_25partition_config_selectorILNS1_17partition_subalgoE8EsNS0_10empty_typeEbEEZZNS1_14partition_implILS5_8ELb0ES3_jPKsPS6_PKS6_NS0_5tupleIJPsS6_EEENSE_IJSB_SB_EEENS0_18inequality_wrapperIN6hipcub16HIPCUB_304000_NS8EqualityEEEPlJS6_EEE10hipError_tPvRmT3_T4_T5_T6_T7_T9_mT8_P12ihipStream_tbDpT10_ENKUlT_T0_E_clISt17integral_constantIbLb0EES17_EEDaS12_S13_EUlS12_E_NS1_11comp_targetILNS1_3genE2ELNS1_11target_archE906ELNS1_3gpuE6ELNS1_3repE0EEENS1_30default_config_static_selectorELNS0_4arch9wavefront6targetE0EEEvT1_
	.globl	_ZN7rocprim17ROCPRIM_400000_NS6detail17trampoline_kernelINS0_14default_configENS1_25partition_config_selectorILNS1_17partition_subalgoE8EsNS0_10empty_typeEbEEZZNS1_14partition_implILS5_8ELb0ES3_jPKsPS6_PKS6_NS0_5tupleIJPsS6_EEENSE_IJSB_SB_EEENS0_18inequality_wrapperIN6hipcub16HIPCUB_304000_NS8EqualityEEEPlJS6_EEE10hipError_tPvRmT3_T4_T5_T6_T7_T9_mT8_P12ihipStream_tbDpT10_ENKUlT_T0_E_clISt17integral_constantIbLb0EES17_EEDaS12_S13_EUlS12_E_NS1_11comp_targetILNS1_3genE2ELNS1_11target_archE906ELNS1_3gpuE6ELNS1_3repE0EEENS1_30default_config_static_selectorELNS0_4arch9wavefront6targetE0EEEvT1_
	.p2align	8
	.type	_ZN7rocprim17ROCPRIM_400000_NS6detail17trampoline_kernelINS0_14default_configENS1_25partition_config_selectorILNS1_17partition_subalgoE8EsNS0_10empty_typeEbEEZZNS1_14partition_implILS5_8ELb0ES3_jPKsPS6_PKS6_NS0_5tupleIJPsS6_EEENSE_IJSB_SB_EEENS0_18inequality_wrapperIN6hipcub16HIPCUB_304000_NS8EqualityEEEPlJS6_EEE10hipError_tPvRmT3_T4_T5_T6_T7_T9_mT8_P12ihipStream_tbDpT10_ENKUlT_T0_E_clISt17integral_constantIbLb0EES17_EEDaS12_S13_EUlS12_E_NS1_11comp_targetILNS1_3genE2ELNS1_11target_archE906ELNS1_3gpuE6ELNS1_3repE0EEENS1_30default_config_static_selectorELNS0_4arch9wavefront6targetE0EEEvT1_,@function
_ZN7rocprim17ROCPRIM_400000_NS6detail17trampoline_kernelINS0_14default_configENS1_25partition_config_selectorILNS1_17partition_subalgoE8EsNS0_10empty_typeEbEEZZNS1_14partition_implILS5_8ELb0ES3_jPKsPS6_PKS6_NS0_5tupleIJPsS6_EEENSE_IJSB_SB_EEENS0_18inequality_wrapperIN6hipcub16HIPCUB_304000_NS8EqualityEEEPlJS6_EEE10hipError_tPvRmT3_T4_T5_T6_T7_T9_mT8_P12ihipStream_tbDpT10_ENKUlT_T0_E_clISt17integral_constantIbLb0EES17_EEDaS12_S13_EUlS12_E_NS1_11comp_targetILNS1_3genE2ELNS1_11target_archE906ELNS1_3gpuE6ELNS1_3repE0EEENS1_30default_config_static_selectorELNS0_4arch9wavefront6targetE0EEEvT1_: ; @_ZN7rocprim17ROCPRIM_400000_NS6detail17trampoline_kernelINS0_14default_configENS1_25partition_config_selectorILNS1_17partition_subalgoE8EsNS0_10empty_typeEbEEZZNS1_14partition_implILS5_8ELb0ES3_jPKsPS6_PKS6_NS0_5tupleIJPsS6_EEENSE_IJSB_SB_EEENS0_18inequality_wrapperIN6hipcub16HIPCUB_304000_NS8EqualityEEEPlJS6_EEE10hipError_tPvRmT3_T4_T5_T6_T7_T9_mT8_P12ihipStream_tbDpT10_ENKUlT_T0_E_clISt17integral_constantIbLb0EES17_EEDaS12_S13_EUlS12_E_NS1_11comp_targetILNS1_3genE2ELNS1_11target_archE906ELNS1_3gpuE6ELNS1_3repE0EEENS1_30default_config_static_selectorELNS0_4arch9wavefront6targetE0EEEvT1_
; %bb.0:
	.section	.rodata,"a",@progbits
	.p2align	6, 0x0
	.amdhsa_kernel _ZN7rocprim17ROCPRIM_400000_NS6detail17trampoline_kernelINS0_14default_configENS1_25partition_config_selectorILNS1_17partition_subalgoE8EsNS0_10empty_typeEbEEZZNS1_14partition_implILS5_8ELb0ES3_jPKsPS6_PKS6_NS0_5tupleIJPsS6_EEENSE_IJSB_SB_EEENS0_18inequality_wrapperIN6hipcub16HIPCUB_304000_NS8EqualityEEEPlJS6_EEE10hipError_tPvRmT3_T4_T5_T6_T7_T9_mT8_P12ihipStream_tbDpT10_ENKUlT_T0_E_clISt17integral_constantIbLb0EES17_EEDaS12_S13_EUlS12_E_NS1_11comp_targetILNS1_3genE2ELNS1_11target_archE906ELNS1_3gpuE6ELNS1_3repE0EEENS1_30default_config_static_selectorELNS0_4arch9wavefront6targetE0EEEvT1_
		.amdhsa_group_segment_fixed_size 0
		.amdhsa_private_segment_fixed_size 0
		.amdhsa_kernarg_size 112
		.amdhsa_user_sgpr_count 2
		.amdhsa_user_sgpr_dispatch_ptr 0
		.amdhsa_user_sgpr_queue_ptr 0
		.amdhsa_user_sgpr_kernarg_segment_ptr 1
		.amdhsa_user_sgpr_dispatch_id 0
		.amdhsa_user_sgpr_kernarg_preload_length 0
		.amdhsa_user_sgpr_kernarg_preload_offset 0
		.amdhsa_user_sgpr_private_segment_size 0
		.amdhsa_wavefront_size32 1
		.amdhsa_uses_dynamic_stack 0
		.amdhsa_enable_private_segment 0
		.amdhsa_system_sgpr_workgroup_id_x 1
		.amdhsa_system_sgpr_workgroup_id_y 0
		.amdhsa_system_sgpr_workgroup_id_z 0
		.amdhsa_system_sgpr_workgroup_info 0
		.amdhsa_system_vgpr_workitem_id 0
		.amdhsa_next_free_vgpr 1
		.amdhsa_next_free_sgpr 1
		.amdhsa_named_barrier_count 0
		.amdhsa_reserve_vcc 0
		.amdhsa_float_round_mode_32 0
		.amdhsa_float_round_mode_16_64 0
		.amdhsa_float_denorm_mode_32 3
		.amdhsa_float_denorm_mode_16_64 3
		.amdhsa_fp16_overflow 0
		.amdhsa_memory_ordered 1
		.amdhsa_forward_progress 1
		.amdhsa_inst_pref_size 0
		.amdhsa_round_robin_scheduling 0
		.amdhsa_exception_fp_ieee_invalid_op 0
		.amdhsa_exception_fp_denorm_src 0
		.amdhsa_exception_fp_ieee_div_zero 0
		.amdhsa_exception_fp_ieee_overflow 0
		.amdhsa_exception_fp_ieee_underflow 0
		.amdhsa_exception_fp_ieee_inexact 0
		.amdhsa_exception_int_div_zero 0
	.end_amdhsa_kernel
	.section	.text._ZN7rocprim17ROCPRIM_400000_NS6detail17trampoline_kernelINS0_14default_configENS1_25partition_config_selectorILNS1_17partition_subalgoE8EsNS0_10empty_typeEbEEZZNS1_14partition_implILS5_8ELb0ES3_jPKsPS6_PKS6_NS0_5tupleIJPsS6_EEENSE_IJSB_SB_EEENS0_18inequality_wrapperIN6hipcub16HIPCUB_304000_NS8EqualityEEEPlJS6_EEE10hipError_tPvRmT3_T4_T5_T6_T7_T9_mT8_P12ihipStream_tbDpT10_ENKUlT_T0_E_clISt17integral_constantIbLb0EES17_EEDaS12_S13_EUlS12_E_NS1_11comp_targetILNS1_3genE2ELNS1_11target_archE906ELNS1_3gpuE6ELNS1_3repE0EEENS1_30default_config_static_selectorELNS0_4arch9wavefront6targetE0EEEvT1_,"axG",@progbits,_ZN7rocprim17ROCPRIM_400000_NS6detail17trampoline_kernelINS0_14default_configENS1_25partition_config_selectorILNS1_17partition_subalgoE8EsNS0_10empty_typeEbEEZZNS1_14partition_implILS5_8ELb0ES3_jPKsPS6_PKS6_NS0_5tupleIJPsS6_EEENSE_IJSB_SB_EEENS0_18inequality_wrapperIN6hipcub16HIPCUB_304000_NS8EqualityEEEPlJS6_EEE10hipError_tPvRmT3_T4_T5_T6_T7_T9_mT8_P12ihipStream_tbDpT10_ENKUlT_T0_E_clISt17integral_constantIbLb0EES17_EEDaS12_S13_EUlS12_E_NS1_11comp_targetILNS1_3genE2ELNS1_11target_archE906ELNS1_3gpuE6ELNS1_3repE0EEENS1_30default_config_static_selectorELNS0_4arch9wavefront6targetE0EEEvT1_,comdat
.Lfunc_end552:
	.size	_ZN7rocprim17ROCPRIM_400000_NS6detail17trampoline_kernelINS0_14default_configENS1_25partition_config_selectorILNS1_17partition_subalgoE8EsNS0_10empty_typeEbEEZZNS1_14partition_implILS5_8ELb0ES3_jPKsPS6_PKS6_NS0_5tupleIJPsS6_EEENSE_IJSB_SB_EEENS0_18inequality_wrapperIN6hipcub16HIPCUB_304000_NS8EqualityEEEPlJS6_EEE10hipError_tPvRmT3_T4_T5_T6_T7_T9_mT8_P12ihipStream_tbDpT10_ENKUlT_T0_E_clISt17integral_constantIbLb0EES17_EEDaS12_S13_EUlS12_E_NS1_11comp_targetILNS1_3genE2ELNS1_11target_archE906ELNS1_3gpuE6ELNS1_3repE0EEENS1_30default_config_static_selectorELNS0_4arch9wavefront6targetE0EEEvT1_, .Lfunc_end552-_ZN7rocprim17ROCPRIM_400000_NS6detail17trampoline_kernelINS0_14default_configENS1_25partition_config_selectorILNS1_17partition_subalgoE8EsNS0_10empty_typeEbEEZZNS1_14partition_implILS5_8ELb0ES3_jPKsPS6_PKS6_NS0_5tupleIJPsS6_EEENSE_IJSB_SB_EEENS0_18inequality_wrapperIN6hipcub16HIPCUB_304000_NS8EqualityEEEPlJS6_EEE10hipError_tPvRmT3_T4_T5_T6_T7_T9_mT8_P12ihipStream_tbDpT10_ENKUlT_T0_E_clISt17integral_constantIbLb0EES17_EEDaS12_S13_EUlS12_E_NS1_11comp_targetILNS1_3genE2ELNS1_11target_archE906ELNS1_3gpuE6ELNS1_3repE0EEENS1_30default_config_static_selectorELNS0_4arch9wavefront6targetE0EEEvT1_
                                        ; -- End function
	.set _ZN7rocprim17ROCPRIM_400000_NS6detail17trampoline_kernelINS0_14default_configENS1_25partition_config_selectorILNS1_17partition_subalgoE8EsNS0_10empty_typeEbEEZZNS1_14partition_implILS5_8ELb0ES3_jPKsPS6_PKS6_NS0_5tupleIJPsS6_EEENSE_IJSB_SB_EEENS0_18inequality_wrapperIN6hipcub16HIPCUB_304000_NS8EqualityEEEPlJS6_EEE10hipError_tPvRmT3_T4_T5_T6_T7_T9_mT8_P12ihipStream_tbDpT10_ENKUlT_T0_E_clISt17integral_constantIbLb0EES17_EEDaS12_S13_EUlS12_E_NS1_11comp_targetILNS1_3genE2ELNS1_11target_archE906ELNS1_3gpuE6ELNS1_3repE0EEENS1_30default_config_static_selectorELNS0_4arch9wavefront6targetE0EEEvT1_.num_vgpr, 0
	.set _ZN7rocprim17ROCPRIM_400000_NS6detail17trampoline_kernelINS0_14default_configENS1_25partition_config_selectorILNS1_17partition_subalgoE8EsNS0_10empty_typeEbEEZZNS1_14partition_implILS5_8ELb0ES3_jPKsPS6_PKS6_NS0_5tupleIJPsS6_EEENSE_IJSB_SB_EEENS0_18inequality_wrapperIN6hipcub16HIPCUB_304000_NS8EqualityEEEPlJS6_EEE10hipError_tPvRmT3_T4_T5_T6_T7_T9_mT8_P12ihipStream_tbDpT10_ENKUlT_T0_E_clISt17integral_constantIbLb0EES17_EEDaS12_S13_EUlS12_E_NS1_11comp_targetILNS1_3genE2ELNS1_11target_archE906ELNS1_3gpuE6ELNS1_3repE0EEENS1_30default_config_static_selectorELNS0_4arch9wavefront6targetE0EEEvT1_.num_agpr, 0
	.set _ZN7rocprim17ROCPRIM_400000_NS6detail17trampoline_kernelINS0_14default_configENS1_25partition_config_selectorILNS1_17partition_subalgoE8EsNS0_10empty_typeEbEEZZNS1_14partition_implILS5_8ELb0ES3_jPKsPS6_PKS6_NS0_5tupleIJPsS6_EEENSE_IJSB_SB_EEENS0_18inequality_wrapperIN6hipcub16HIPCUB_304000_NS8EqualityEEEPlJS6_EEE10hipError_tPvRmT3_T4_T5_T6_T7_T9_mT8_P12ihipStream_tbDpT10_ENKUlT_T0_E_clISt17integral_constantIbLb0EES17_EEDaS12_S13_EUlS12_E_NS1_11comp_targetILNS1_3genE2ELNS1_11target_archE906ELNS1_3gpuE6ELNS1_3repE0EEENS1_30default_config_static_selectorELNS0_4arch9wavefront6targetE0EEEvT1_.numbered_sgpr, 0
	.set _ZN7rocprim17ROCPRIM_400000_NS6detail17trampoline_kernelINS0_14default_configENS1_25partition_config_selectorILNS1_17partition_subalgoE8EsNS0_10empty_typeEbEEZZNS1_14partition_implILS5_8ELb0ES3_jPKsPS6_PKS6_NS0_5tupleIJPsS6_EEENSE_IJSB_SB_EEENS0_18inequality_wrapperIN6hipcub16HIPCUB_304000_NS8EqualityEEEPlJS6_EEE10hipError_tPvRmT3_T4_T5_T6_T7_T9_mT8_P12ihipStream_tbDpT10_ENKUlT_T0_E_clISt17integral_constantIbLb0EES17_EEDaS12_S13_EUlS12_E_NS1_11comp_targetILNS1_3genE2ELNS1_11target_archE906ELNS1_3gpuE6ELNS1_3repE0EEENS1_30default_config_static_selectorELNS0_4arch9wavefront6targetE0EEEvT1_.num_named_barrier, 0
	.set _ZN7rocprim17ROCPRIM_400000_NS6detail17trampoline_kernelINS0_14default_configENS1_25partition_config_selectorILNS1_17partition_subalgoE8EsNS0_10empty_typeEbEEZZNS1_14partition_implILS5_8ELb0ES3_jPKsPS6_PKS6_NS0_5tupleIJPsS6_EEENSE_IJSB_SB_EEENS0_18inequality_wrapperIN6hipcub16HIPCUB_304000_NS8EqualityEEEPlJS6_EEE10hipError_tPvRmT3_T4_T5_T6_T7_T9_mT8_P12ihipStream_tbDpT10_ENKUlT_T0_E_clISt17integral_constantIbLb0EES17_EEDaS12_S13_EUlS12_E_NS1_11comp_targetILNS1_3genE2ELNS1_11target_archE906ELNS1_3gpuE6ELNS1_3repE0EEENS1_30default_config_static_selectorELNS0_4arch9wavefront6targetE0EEEvT1_.private_seg_size, 0
	.set _ZN7rocprim17ROCPRIM_400000_NS6detail17trampoline_kernelINS0_14default_configENS1_25partition_config_selectorILNS1_17partition_subalgoE8EsNS0_10empty_typeEbEEZZNS1_14partition_implILS5_8ELb0ES3_jPKsPS6_PKS6_NS0_5tupleIJPsS6_EEENSE_IJSB_SB_EEENS0_18inequality_wrapperIN6hipcub16HIPCUB_304000_NS8EqualityEEEPlJS6_EEE10hipError_tPvRmT3_T4_T5_T6_T7_T9_mT8_P12ihipStream_tbDpT10_ENKUlT_T0_E_clISt17integral_constantIbLb0EES17_EEDaS12_S13_EUlS12_E_NS1_11comp_targetILNS1_3genE2ELNS1_11target_archE906ELNS1_3gpuE6ELNS1_3repE0EEENS1_30default_config_static_selectorELNS0_4arch9wavefront6targetE0EEEvT1_.uses_vcc, 0
	.set _ZN7rocprim17ROCPRIM_400000_NS6detail17trampoline_kernelINS0_14default_configENS1_25partition_config_selectorILNS1_17partition_subalgoE8EsNS0_10empty_typeEbEEZZNS1_14partition_implILS5_8ELb0ES3_jPKsPS6_PKS6_NS0_5tupleIJPsS6_EEENSE_IJSB_SB_EEENS0_18inequality_wrapperIN6hipcub16HIPCUB_304000_NS8EqualityEEEPlJS6_EEE10hipError_tPvRmT3_T4_T5_T6_T7_T9_mT8_P12ihipStream_tbDpT10_ENKUlT_T0_E_clISt17integral_constantIbLb0EES17_EEDaS12_S13_EUlS12_E_NS1_11comp_targetILNS1_3genE2ELNS1_11target_archE906ELNS1_3gpuE6ELNS1_3repE0EEENS1_30default_config_static_selectorELNS0_4arch9wavefront6targetE0EEEvT1_.uses_flat_scratch, 0
	.set _ZN7rocprim17ROCPRIM_400000_NS6detail17trampoline_kernelINS0_14default_configENS1_25partition_config_selectorILNS1_17partition_subalgoE8EsNS0_10empty_typeEbEEZZNS1_14partition_implILS5_8ELb0ES3_jPKsPS6_PKS6_NS0_5tupleIJPsS6_EEENSE_IJSB_SB_EEENS0_18inequality_wrapperIN6hipcub16HIPCUB_304000_NS8EqualityEEEPlJS6_EEE10hipError_tPvRmT3_T4_T5_T6_T7_T9_mT8_P12ihipStream_tbDpT10_ENKUlT_T0_E_clISt17integral_constantIbLb0EES17_EEDaS12_S13_EUlS12_E_NS1_11comp_targetILNS1_3genE2ELNS1_11target_archE906ELNS1_3gpuE6ELNS1_3repE0EEENS1_30default_config_static_selectorELNS0_4arch9wavefront6targetE0EEEvT1_.has_dyn_sized_stack, 0
	.set _ZN7rocprim17ROCPRIM_400000_NS6detail17trampoline_kernelINS0_14default_configENS1_25partition_config_selectorILNS1_17partition_subalgoE8EsNS0_10empty_typeEbEEZZNS1_14partition_implILS5_8ELb0ES3_jPKsPS6_PKS6_NS0_5tupleIJPsS6_EEENSE_IJSB_SB_EEENS0_18inequality_wrapperIN6hipcub16HIPCUB_304000_NS8EqualityEEEPlJS6_EEE10hipError_tPvRmT3_T4_T5_T6_T7_T9_mT8_P12ihipStream_tbDpT10_ENKUlT_T0_E_clISt17integral_constantIbLb0EES17_EEDaS12_S13_EUlS12_E_NS1_11comp_targetILNS1_3genE2ELNS1_11target_archE906ELNS1_3gpuE6ELNS1_3repE0EEENS1_30default_config_static_selectorELNS0_4arch9wavefront6targetE0EEEvT1_.has_recursion, 0
	.set _ZN7rocprim17ROCPRIM_400000_NS6detail17trampoline_kernelINS0_14default_configENS1_25partition_config_selectorILNS1_17partition_subalgoE8EsNS0_10empty_typeEbEEZZNS1_14partition_implILS5_8ELb0ES3_jPKsPS6_PKS6_NS0_5tupleIJPsS6_EEENSE_IJSB_SB_EEENS0_18inequality_wrapperIN6hipcub16HIPCUB_304000_NS8EqualityEEEPlJS6_EEE10hipError_tPvRmT3_T4_T5_T6_T7_T9_mT8_P12ihipStream_tbDpT10_ENKUlT_T0_E_clISt17integral_constantIbLb0EES17_EEDaS12_S13_EUlS12_E_NS1_11comp_targetILNS1_3genE2ELNS1_11target_archE906ELNS1_3gpuE6ELNS1_3repE0EEENS1_30default_config_static_selectorELNS0_4arch9wavefront6targetE0EEEvT1_.has_indirect_call, 0
	.section	.AMDGPU.csdata,"",@progbits
; Kernel info:
; codeLenInByte = 0
; TotalNumSgprs: 0
; NumVgprs: 0
; ScratchSize: 0
; MemoryBound: 0
; FloatMode: 240
; IeeeMode: 1
; LDSByteSize: 0 bytes/workgroup (compile time only)
; SGPRBlocks: 0
; VGPRBlocks: 0
; NumSGPRsForWavesPerEU: 1
; NumVGPRsForWavesPerEU: 1
; NamedBarCnt: 0
; Occupancy: 16
; WaveLimiterHint : 0
; COMPUTE_PGM_RSRC2:SCRATCH_EN: 0
; COMPUTE_PGM_RSRC2:USER_SGPR: 2
; COMPUTE_PGM_RSRC2:TRAP_HANDLER: 0
; COMPUTE_PGM_RSRC2:TGID_X_EN: 1
; COMPUTE_PGM_RSRC2:TGID_Y_EN: 0
; COMPUTE_PGM_RSRC2:TGID_Z_EN: 0
; COMPUTE_PGM_RSRC2:TIDIG_COMP_CNT: 0
	.section	.text._ZN7rocprim17ROCPRIM_400000_NS6detail17trampoline_kernelINS0_14default_configENS1_25partition_config_selectorILNS1_17partition_subalgoE8EsNS0_10empty_typeEbEEZZNS1_14partition_implILS5_8ELb0ES3_jPKsPS6_PKS6_NS0_5tupleIJPsS6_EEENSE_IJSB_SB_EEENS0_18inequality_wrapperIN6hipcub16HIPCUB_304000_NS8EqualityEEEPlJS6_EEE10hipError_tPvRmT3_T4_T5_T6_T7_T9_mT8_P12ihipStream_tbDpT10_ENKUlT_T0_E_clISt17integral_constantIbLb0EES17_EEDaS12_S13_EUlS12_E_NS1_11comp_targetILNS1_3genE10ELNS1_11target_archE1200ELNS1_3gpuE4ELNS1_3repE0EEENS1_30default_config_static_selectorELNS0_4arch9wavefront6targetE0EEEvT1_,"axG",@progbits,_ZN7rocprim17ROCPRIM_400000_NS6detail17trampoline_kernelINS0_14default_configENS1_25partition_config_selectorILNS1_17partition_subalgoE8EsNS0_10empty_typeEbEEZZNS1_14partition_implILS5_8ELb0ES3_jPKsPS6_PKS6_NS0_5tupleIJPsS6_EEENSE_IJSB_SB_EEENS0_18inequality_wrapperIN6hipcub16HIPCUB_304000_NS8EqualityEEEPlJS6_EEE10hipError_tPvRmT3_T4_T5_T6_T7_T9_mT8_P12ihipStream_tbDpT10_ENKUlT_T0_E_clISt17integral_constantIbLb0EES17_EEDaS12_S13_EUlS12_E_NS1_11comp_targetILNS1_3genE10ELNS1_11target_archE1200ELNS1_3gpuE4ELNS1_3repE0EEENS1_30default_config_static_selectorELNS0_4arch9wavefront6targetE0EEEvT1_,comdat
	.protected	_ZN7rocprim17ROCPRIM_400000_NS6detail17trampoline_kernelINS0_14default_configENS1_25partition_config_selectorILNS1_17partition_subalgoE8EsNS0_10empty_typeEbEEZZNS1_14partition_implILS5_8ELb0ES3_jPKsPS6_PKS6_NS0_5tupleIJPsS6_EEENSE_IJSB_SB_EEENS0_18inequality_wrapperIN6hipcub16HIPCUB_304000_NS8EqualityEEEPlJS6_EEE10hipError_tPvRmT3_T4_T5_T6_T7_T9_mT8_P12ihipStream_tbDpT10_ENKUlT_T0_E_clISt17integral_constantIbLb0EES17_EEDaS12_S13_EUlS12_E_NS1_11comp_targetILNS1_3genE10ELNS1_11target_archE1200ELNS1_3gpuE4ELNS1_3repE0EEENS1_30default_config_static_selectorELNS0_4arch9wavefront6targetE0EEEvT1_ ; -- Begin function _ZN7rocprim17ROCPRIM_400000_NS6detail17trampoline_kernelINS0_14default_configENS1_25partition_config_selectorILNS1_17partition_subalgoE8EsNS0_10empty_typeEbEEZZNS1_14partition_implILS5_8ELb0ES3_jPKsPS6_PKS6_NS0_5tupleIJPsS6_EEENSE_IJSB_SB_EEENS0_18inequality_wrapperIN6hipcub16HIPCUB_304000_NS8EqualityEEEPlJS6_EEE10hipError_tPvRmT3_T4_T5_T6_T7_T9_mT8_P12ihipStream_tbDpT10_ENKUlT_T0_E_clISt17integral_constantIbLb0EES17_EEDaS12_S13_EUlS12_E_NS1_11comp_targetILNS1_3genE10ELNS1_11target_archE1200ELNS1_3gpuE4ELNS1_3repE0EEENS1_30default_config_static_selectorELNS0_4arch9wavefront6targetE0EEEvT1_
	.globl	_ZN7rocprim17ROCPRIM_400000_NS6detail17trampoline_kernelINS0_14default_configENS1_25partition_config_selectorILNS1_17partition_subalgoE8EsNS0_10empty_typeEbEEZZNS1_14partition_implILS5_8ELb0ES3_jPKsPS6_PKS6_NS0_5tupleIJPsS6_EEENSE_IJSB_SB_EEENS0_18inequality_wrapperIN6hipcub16HIPCUB_304000_NS8EqualityEEEPlJS6_EEE10hipError_tPvRmT3_T4_T5_T6_T7_T9_mT8_P12ihipStream_tbDpT10_ENKUlT_T0_E_clISt17integral_constantIbLb0EES17_EEDaS12_S13_EUlS12_E_NS1_11comp_targetILNS1_3genE10ELNS1_11target_archE1200ELNS1_3gpuE4ELNS1_3repE0EEENS1_30default_config_static_selectorELNS0_4arch9wavefront6targetE0EEEvT1_
	.p2align	8
	.type	_ZN7rocprim17ROCPRIM_400000_NS6detail17trampoline_kernelINS0_14default_configENS1_25partition_config_selectorILNS1_17partition_subalgoE8EsNS0_10empty_typeEbEEZZNS1_14partition_implILS5_8ELb0ES3_jPKsPS6_PKS6_NS0_5tupleIJPsS6_EEENSE_IJSB_SB_EEENS0_18inequality_wrapperIN6hipcub16HIPCUB_304000_NS8EqualityEEEPlJS6_EEE10hipError_tPvRmT3_T4_T5_T6_T7_T9_mT8_P12ihipStream_tbDpT10_ENKUlT_T0_E_clISt17integral_constantIbLb0EES17_EEDaS12_S13_EUlS12_E_NS1_11comp_targetILNS1_3genE10ELNS1_11target_archE1200ELNS1_3gpuE4ELNS1_3repE0EEENS1_30default_config_static_selectorELNS0_4arch9wavefront6targetE0EEEvT1_,@function
_ZN7rocprim17ROCPRIM_400000_NS6detail17trampoline_kernelINS0_14default_configENS1_25partition_config_selectorILNS1_17partition_subalgoE8EsNS0_10empty_typeEbEEZZNS1_14partition_implILS5_8ELb0ES3_jPKsPS6_PKS6_NS0_5tupleIJPsS6_EEENSE_IJSB_SB_EEENS0_18inequality_wrapperIN6hipcub16HIPCUB_304000_NS8EqualityEEEPlJS6_EEE10hipError_tPvRmT3_T4_T5_T6_T7_T9_mT8_P12ihipStream_tbDpT10_ENKUlT_T0_E_clISt17integral_constantIbLb0EES17_EEDaS12_S13_EUlS12_E_NS1_11comp_targetILNS1_3genE10ELNS1_11target_archE1200ELNS1_3gpuE4ELNS1_3repE0EEENS1_30default_config_static_selectorELNS0_4arch9wavefront6targetE0EEEvT1_: ; @_ZN7rocprim17ROCPRIM_400000_NS6detail17trampoline_kernelINS0_14default_configENS1_25partition_config_selectorILNS1_17partition_subalgoE8EsNS0_10empty_typeEbEEZZNS1_14partition_implILS5_8ELb0ES3_jPKsPS6_PKS6_NS0_5tupleIJPsS6_EEENSE_IJSB_SB_EEENS0_18inequality_wrapperIN6hipcub16HIPCUB_304000_NS8EqualityEEEPlJS6_EEE10hipError_tPvRmT3_T4_T5_T6_T7_T9_mT8_P12ihipStream_tbDpT10_ENKUlT_T0_E_clISt17integral_constantIbLb0EES17_EEDaS12_S13_EUlS12_E_NS1_11comp_targetILNS1_3genE10ELNS1_11target_archE1200ELNS1_3gpuE4ELNS1_3repE0EEENS1_30default_config_static_selectorELNS0_4arch9wavefront6targetE0EEEvT1_
; %bb.0:
	.section	.rodata,"a",@progbits
	.p2align	6, 0x0
	.amdhsa_kernel _ZN7rocprim17ROCPRIM_400000_NS6detail17trampoline_kernelINS0_14default_configENS1_25partition_config_selectorILNS1_17partition_subalgoE8EsNS0_10empty_typeEbEEZZNS1_14partition_implILS5_8ELb0ES3_jPKsPS6_PKS6_NS0_5tupleIJPsS6_EEENSE_IJSB_SB_EEENS0_18inequality_wrapperIN6hipcub16HIPCUB_304000_NS8EqualityEEEPlJS6_EEE10hipError_tPvRmT3_T4_T5_T6_T7_T9_mT8_P12ihipStream_tbDpT10_ENKUlT_T0_E_clISt17integral_constantIbLb0EES17_EEDaS12_S13_EUlS12_E_NS1_11comp_targetILNS1_3genE10ELNS1_11target_archE1200ELNS1_3gpuE4ELNS1_3repE0EEENS1_30default_config_static_selectorELNS0_4arch9wavefront6targetE0EEEvT1_
		.amdhsa_group_segment_fixed_size 0
		.amdhsa_private_segment_fixed_size 0
		.amdhsa_kernarg_size 112
		.amdhsa_user_sgpr_count 2
		.amdhsa_user_sgpr_dispatch_ptr 0
		.amdhsa_user_sgpr_queue_ptr 0
		.amdhsa_user_sgpr_kernarg_segment_ptr 1
		.amdhsa_user_sgpr_dispatch_id 0
		.amdhsa_user_sgpr_kernarg_preload_length 0
		.amdhsa_user_sgpr_kernarg_preload_offset 0
		.amdhsa_user_sgpr_private_segment_size 0
		.amdhsa_wavefront_size32 1
		.amdhsa_uses_dynamic_stack 0
		.amdhsa_enable_private_segment 0
		.amdhsa_system_sgpr_workgroup_id_x 1
		.amdhsa_system_sgpr_workgroup_id_y 0
		.amdhsa_system_sgpr_workgroup_id_z 0
		.amdhsa_system_sgpr_workgroup_info 0
		.amdhsa_system_vgpr_workitem_id 0
		.amdhsa_next_free_vgpr 1
		.amdhsa_next_free_sgpr 1
		.amdhsa_named_barrier_count 0
		.amdhsa_reserve_vcc 0
		.amdhsa_float_round_mode_32 0
		.amdhsa_float_round_mode_16_64 0
		.amdhsa_float_denorm_mode_32 3
		.amdhsa_float_denorm_mode_16_64 3
		.amdhsa_fp16_overflow 0
		.amdhsa_memory_ordered 1
		.amdhsa_forward_progress 1
		.amdhsa_inst_pref_size 0
		.amdhsa_round_robin_scheduling 0
		.amdhsa_exception_fp_ieee_invalid_op 0
		.amdhsa_exception_fp_denorm_src 0
		.amdhsa_exception_fp_ieee_div_zero 0
		.amdhsa_exception_fp_ieee_overflow 0
		.amdhsa_exception_fp_ieee_underflow 0
		.amdhsa_exception_fp_ieee_inexact 0
		.amdhsa_exception_int_div_zero 0
	.end_amdhsa_kernel
	.section	.text._ZN7rocprim17ROCPRIM_400000_NS6detail17trampoline_kernelINS0_14default_configENS1_25partition_config_selectorILNS1_17partition_subalgoE8EsNS0_10empty_typeEbEEZZNS1_14partition_implILS5_8ELb0ES3_jPKsPS6_PKS6_NS0_5tupleIJPsS6_EEENSE_IJSB_SB_EEENS0_18inequality_wrapperIN6hipcub16HIPCUB_304000_NS8EqualityEEEPlJS6_EEE10hipError_tPvRmT3_T4_T5_T6_T7_T9_mT8_P12ihipStream_tbDpT10_ENKUlT_T0_E_clISt17integral_constantIbLb0EES17_EEDaS12_S13_EUlS12_E_NS1_11comp_targetILNS1_3genE10ELNS1_11target_archE1200ELNS1_3gpuE4ELNS1_3repE0EEENS1_30default_config_static_selectorELNS0_4arch9wavefront6targetE0EEEvT1_,"axG",@progbits,_ZN7rocprim17ROCPRIM_400000_NS6detail17trampoline_kernelINS0_14default_configENS1_25partition_config_selectorILNS1_17partition_subalgoE8EsNS0_10empty_typeEbEEZZNS1_14partition_implILS5_8ELb0ES3_jPKsPS6_PKS6_NS0_5tupleIJPsS6_EEENSE_IJSB_SB_EEENS0_18inequality_wrapperIN6hipcub16HIPCUB_304000_NS8EqualityEEEPlJS6_EEE10hipError_tPvRmT3_T4_T5_T6_T7_T9_mT8_P12ihipStream_tbDpT10_ENKUlT_T0_E_clISt17integral_constantIbLb0EES17_EEDaS12_S13_EUlS12_E_NS1_11comp_targetILNS1_3genE10ELNS1_11target_archE1200ELNS1_3gpuE4ELNS1_3repE0EEENS1_30default_config_static_selectorELNS0_4arch9wavefront6targetE0EEEvT1_,comdat
.Lfunc_end553:
	.size	_ZN7rocprim17ROCPRIM_400000_NS6detail17trampoline_kernelINS0_14default_configENS1_25partition_config_selectorILNS1_17partition_subalgoE8EsNS0_10empty_typeEbEEZZNS1_14partition_implILS5_8ELb0ES3_jPKsPS6_PKS6_NS0_5tupleIJPsS6_EEENSE_IJSB_SB_EEENS0_18inequality_wrapperIN6hipcub16HIPCUB_304000_NS8EqualityEEEPlJS6_EEE10hipError_tPvRmT3_T4_T5_T6_T7_T9_mT8_P12ihipStream_tbDpT10_ENKUlT_T0_E_clISt17integral_constantIbLb0EES17_EEDaS12_S13_EUlS12_E_NS1_11comp_targetILNS1_3genE10ELNS1_11target_archE1200ELNS1_3gpuE4ELNS1_3repE0EEENS1_30default_config_static_selectorELNS0_4arch9wavefront6targetE0EEEvT1_, .Lfunc_end553-_ZN7rocprim17ROCPRIM_400000_NS6detail17trampoline_kernelINS0_14default_configENS1_25partition_config_selectorILNS1_17partition_subalgoE8EsNS0_10empty_typeEbEEZZNS1_14partition_implILS5_8ELb0ES3_jPKsPS6_PKS6_NS0_5tupleIJPsS6_EEENSE_IJSB_SB_EEENS0_18inequality_wrapperIN6hipcub16HIPCUB_304000_NS8EqualityEEEPlJS6_EEE10hipError_tPvRmT3_T4_T5_T6_T7_T9_mT8_P12ihipStream_tbDpT10_ENKUlT_T0_E_clISt17integral_constantIbLb0EES17_EEDaS12_S13_EUlS12_E_NS1_11comp_targetILNS1_3genE10ELNS1_11target_archE1200ELNS1_3gpuE4ELNS1_3repE0EEENS1_30default_config_static_selectorELNS0_4arch9wavefront6targetE0EEEvT1_
                                        ; -- End function
	.set _ZN7rocprim17ROCPRIM_400000_NS6detail17trampoline_kernelINS0_14default_configENS1_25partition_config_selectorILNS1_17partition_subalgoE8EsNS0_10empty_typeEbEEZZNS1_14partition_implILS5_8ELb0ES3_jPKsPS6_PKS6_NS0_5tupleIJPsS6_EEENSE_IJSB_SB_EEENS0_18inequality_wrapperIN6hipcub16HIPCUB_304000_NS8EqualityEEEPlJS6_EEE10hipError_tPvRmT3_T4_T5_T6_T7_T9_mT8_P12ihipStream_tbDpT10_ENKUlT_T0_E_clISt17integral_constantIbLb0EES17_EEDaS12_S13_EUlS12_E_NS1_11comp_targetILNS1_3genE10ELNS1_11target_archE1200ELNS1_3gpuE4ELNS1_3repE0EEENS1_30default_config_static_selectorELNS0_4arch9wavefront6targetE0EEEvT1_.num_vgpr, 0
	.set _ZN7rocprim17ROCPRIM_400000_NS6detail17trampoline_kernelINS0_14default_configENS1_25partition_config_selectorILNS1_17partition_subalgoE8EsNS0_10empty_typeEbEEZZNS1_14partition_implILS5_8ELb0ES3_jPKsPS6_PKS6_NS0_5tupleIJPsS6_EEENSE_IJSB_SB_EEENS0_18inequality_wrapperIN6hipcub16HIPCUB_304000_NS8EqualityEEEPlJS6_EEE10hipError_tPvRmT3_T4_T5_T6_T7_T9_mT8_P12ihipStream_tbDpT10_ENKUlT_T0_E_clISt17integral_constantIbLb0EES17_EEDaS12_S13_EUlS12_E_NS1_11comp_targetILNS1_3genE10ELNS1_11target_archE1200ELNS1_3gpuE4ELNS1_3repE0EEENS1_30default_config_static_selectorELNS0_4arch9wavefront6targetE0EEEvT1_.num_agpr, 0
	.set _ZN7rocprim17ROCPRIM_400000_NS6detail17trampoline_kernelINS0_14default_configENS1_25partition_config_selectorILNS1_17partition_subalgoE8EsNS0_10empty_typeEbEEZZNS1_14partition_implILS5_8ELb0ES3_jPKsPS6_PKS6_NS0_5tupleIJPsS6_EEENSE_IJSB_SB_EEENS0_18inequality_wrapperIN6hipcub16HIPCUB_304000_NS8EqualityEEEPlJS6_EEE10hipError_tPvRmT3_T4_T5_T6_T7_T9_mT8_P12ihipStream_tbDpT10_ENKUlT_T0_E_clISt17integral_constantIbLb0EES17_EEDaS12_S13_EUlS12_E_NS1_11comp_targetILNS1_3genE10ELNS1_11target_archE1200ELNS1_3gpuE4ELNS1_3repE0EEENS1_30default_config_static_selectorELNS0_4arch9wavefront6targetE0EEEvT1_.numbered_sgpr, 0
	.set _ZN7rocprim17ROCPRIM_400000_NS6detail17trampoline_kernelINS0_14default_configENS1_25partition_config_selectorILNS1_17partition_subalgoE8EsNS0_10empty_typeEbEEZZNS1_14partition_implILS5_8ELb0ES3_jPKsPS6_PKS6_NS0_5tupleIJPsS6_EEENSE_IJSB_SB_EEENS0_18inequality_wrapperIN6hipcub16HIPCUB_304000_NS8EqualityEEEPlJS6_EEE10hipError_tPvRmT3_T4_T5_T6_T7_T9_mT8_P12ihipStream_tbDpT10_ENKUlT_T0_E_clISt17integral_constantIbLb0EES17_EEDaS12_S13_EUlS12_E_NS1_11comp_targetILNS1_3genE10ELNS1_11target_archE1200ELNS1_3gpuE4ELNS1_3repE0EEENS1_30default_config_static_selectorELNS0_4arch9wavefront6targetE0EEEvT1_.num_named_barrier, 0
	.set _ZN7rocprim17ROCPRIM_400000_NS6detail17trampoline_kernelINS0_14default_configENS1_25partition_config_selectorILNS1_17partition_subalgoE8EsNS0_10empty_typeEbEEZZNS1_14partition_implILS5_8ELb0ES3_jPKsPS6_PKS6_NS0_5tupleIJPsS6_EEENSE_IJSB_SB_EEENS0_18inequality_wrapperIN6hipcub16HIPCUB_304000_NS8EqualityEEEPlJS6_EEE10hipError_tPvRmT3_T4_T5_T6_T7_T9_mT8_P12ihipStream_tbDpT10_ENKUlT_T0_E_clISt17integral_constantIbLb0EES17_EEDaS12_S13_EUlS12_E_NS1_11comp_targetILNS1_3genE10ELNS1_11target_archE1200ELNS1_3gpuE4ELNS1_3repE0EEENS1_30default_config_static_selectorELNS0_4arch9wavefront6targetE0EEEvT1_.private_seg_size, 0
	.set _ZN7rocprim17ROCPRIM_400000_NS6detail17trampoline_kernelINS0_14default_configENS1_25partition_config_selectorILNS1_17partition_subalgoE8EsNS0_10empty_typeEbEEZZNS1_14partition_implILS5_8ELb0ES3_jPKsPS6_PKS6_NS0_5tupleIJPsS6_EEENSE_IJSB_SB_EEENS0_18inequality_wrapperIN6hipcub16HIPCUB_304000_NS8EqualityEEEPlJS6_EEE10hipError_tPvRmT3_T4_T5_T6_T7_T9_mT8_P12ihipStream_tbDpT10_ENKUlT_T0_E_clISt17integral_constantIbLb0EES17_EEDaS12_S13_EUlS12_E_NS1_11comp_targetILNS1_3genE10ELNS1_11target_archE1200ELNS1_3gpuE4ELNS1_3repE0EEENS1_30default_config_static_selectorELNS0_4arch9wavefront6targetE0EEEvT1_.uses_vcc, 0
	.set _ZN7rocprim17ROCPRIM_400000_NS6detail17trampoline_kernelINS0_14default_configENS1_25partition_config_selectorILNS1_17partition_subalgoE8EsNS0_10empty_typeEbEEZZNS1_14partition_implILS5_8ELb0ES3_jPKsPS6_PKS6_NS0_5tupleIJPsS6_EEENSE_IJSB_SB_EEENS0_18inequality_wrapperIN6hipcub16HIPCUB_304000_NS8EqualityEEEPlJS6_EEE10hipError_tPvRmT3_T4_T5_T6_T7_T9_mT8_P12ihipStream_tbDpT10_ENKUlT_T0_E_clISt17integral_constantIbLb0EES17_EEDaS12_S13_EUlS12_E_NS1_11comp_targetILNS1_3genE10ELNS1_11target_archE1200ELNS1_3gpuE4ELNS1_3repE0EEENS1_30default_config_static_selectorELNS0_4arch9wavefront6targetE0EEEvT1_.uses_flat_scratch, 0
	.set _ZN7rocprim17ROCPRIM_400000_NS6detail17trampoline_kernelINS0_14default_configENS1_25partition_config_selectorILNS1_17partition_subalgoE8EsNS0_10empty_typeEbEEZZNS1_14partition_implILS5_8ELb0ES3_jPKsPS6_PKS6_NS0_5tupleIJPsS6_EEENSE_IJSB_SB_EEENS0_18inequality_wrapperIN6hipcub16HIPCUB_304000_NS8EqualityEEEPlJS6_EEE10hipError_tPvRmT3_T4_T5_T6_T7_T9_mT8_P12ihipStream_tbDpT10_ENKUlT_T0_E_clISt17integral_constantIbLb0EES17_EEDaS12_S13_EUlS12_E_NS1_11comp_targetILNS1_3genE10ELNS1_11target_archE1200ELNS1_3gpuE4ELNS1_3repE0EEENS1_30default_config_static_selectorELNS0_4arch9wavefront6targetE0EEEvT1_.has_dyn_sized_stack, 0
	.set _ZN7rocprim17ROCPRIM_400000_NS6detail17trampoline_kernelINS0_14default_configENS1_25partition_config_selectorILNS1_17partition_subalgoE8EsNS0_10empty_typeEbEEZZNS1_14partition_implILS5_8ELb0ES3_jPKsPS6_PKS6_NS0_5tupleIJPsS6_EEENSE_IJSB_SB_EEENS0_18inequality_wrapperIN6hipcub16HIPCUB_304000_NS8EqualityEEEPlJS6_EEE10hipError_tPvRmT3_T4_T5_T6_T7_T9_mT8_P12ihipStream_tbDpT10_ENKUlT_T0_E_clISt17integral_constantIbLb0EES17_EEDaS12_S13_EUlS12_E_NS1_11comp_targetILNS1_3genE10ELNS1_11target_archE1200ELNS1_3gpuE4ELNS1_3repE0EEENS1_30default_config_static_selectorELNS0_4arch9wavefront6targetE0EEEvT1_.has_recursion, 0
	.set _ZN7rocprim17ROCPRIM_400000_NS6detail17trampoline_kernelINS0_14default_configENS1_25partition_config_selectorILNS1_17partition_subalgoE8EsNS0_10empty_typeEbEEZZNS1_14partition_implILS5_8ELb0ES3_jPKsPS6_PKS6_NS0_5tupleIJPsS6_EEENSE_IJSB_SB_EEENS0_18inequality_wrapperIN6hipcub16HIPCUB_304000_NS8EqualityEEEPlJS6_EEE10hipError_tPvRmT3_T4_T5_T6_T7_T9_mT8_P12ihipStream_tbDpT10_ENKUlT_T0_E_clISt17integral_constantIbLb0EES17_EEDaS12_S13_EUlS12_E_NS1_11comp_targetILNS1_3genE10ELNS1_11target_archE1200ELNS1_3gpuE4ELNS1_3repE0EEENS1_30default_config_static_selectorELNS0_4arch9wavefront6targetE0EEEvT1_.has_indirect_call, 0
	.section	.AMDGPU.csdata,"",@progbits
; Kernel info:
; codeLenInByte = 0
; TotalNumSgprs: 0
; NumVgprs: 0
; ScratchSize: 0
; MemoryBound: 0
; FloatMode: 240
; IeeeMode: 1
; LDSByteSize: 0 bytes/workgroup (compile time only)
; SGPRBlocks: 0
; VGPRBlocks: 0
; NumSGPRsForWavesPerEU: 1
; NumVGPRsForWavesPerEU: 1
; NamedBarCnt: 0
; Occupancy: 16
; WaveLimiterHint : 0
; COMPUTE_PGM_RSRC2:SCRATCH_EN: 0
; COMPUTE_PGM_RSRC2:USER_SGPR: 2
; COMPUTE_PGM_RSRC2:TRAP_HANDLER: 0
; COMPUTE_PGM_RSRC2:TGID_X_EN: 1
; COMPUTE_PGM_RSRC2:TGID_Y_EN: 0
; COMPUTE_PGM_RSRC2:TGID_Z_EN: 0
; COMPUTE_PGM_RSRC2:TIDIG_COMP_CNT: 0
	.section	.text._ZN7rocprim17ROCPRIM_400000_NS6detail17trampoline_kernelINS0_14default_configENS1_25partition_config_selectorILNS1_17partition_subalgoE8EsNS0_10empty_typeEbEEZZNS1_14partition_implILS5_8ELb0ES3_jPKsPS6_PKS6_NS0_5tupleIJPsS6_EEENSE_IJSB_SB_EEENS0_18inequality_wrapperIN6hipcub16HIPCUB_304000_NS8EqualityEEEPlJS6_EEE10hipError_tPvRmT3_T4_T5_T6_T7_T9_mT8_P12ihipStream_tbDpT10_ENKUlT_T0_E_clISt17integral_constantIbLb0EES17_EEDaS12_S13_EUlS12_E_NS1_11comp_targetILNS1_3genE9ELNS1_11target_archE1100ELNS1_3gpuE3ELNS1_3repE0EEENS1_30default_config_static_selectorELNS0_4arch9wavefront6targetE0EEEvT1_,"axG",@progbits,_ZN7rocprim17ROCPRIM_400000_NS6detail17trampoline_kernelINS0_14default_configENS1_25partition_config_selectorILNS1_17partition_subalgoE8EsNS0_10empty_typeEbEEZZNS1_14partition_implILS5_8ELb0ES3_jPKsPS6_PKS6_NS0_5tupleIJPsS6_EEENSE_IJSB_SB_EEENS0_18inequality_wrapperIN6hipcub16HIPCUB_304000_NS8EqualityEEEPlJS6_EEE10hipError_tPvRmT3_T4_T5_T6_T7_T9_mT8_P12ihipStream_tbDpT10_ENKUlT_T0_E_clISt17integral_constantIbLb0EES17_EEDaS12_S13_EUlS12_E_NS1_11comp_targetILNS1_3genE9ELNS1_11target_archE1100ELNS1_3gpuE3ELNS1_3repE0EEENS1_30default_config_static_selectorELNS0_4arch9wavefront6targetE0EEEvT1_,comdat
	.protected	_ZN7rocprim17ROCPRIM_400000_NS6detail17trampoline_kernelINS0_14default_configENS1_25partition_config_selectorILNS1_17partition_subalgoE8EsNS0_10empty_typeEbEEZZNS1_14partition_implILS5_8ELb0ES3_jPKsPS6_PKS6_NS0_5tupleIJPsS6_EEENSE_IJSB_SB_EEENS0_18inequality_wrapperIN6hipcub16HIPCUB_304000_NS8EqualityEEEPlJS6_EEE10hipError_tPvRmT3_T4_T5_T6_T7_T9_mT8_P12ihipStream_tbDpT10_ENKUlT_T0_E_clISt17integral_constantIbLb0EES17_EEDaS12_S13_EUlS12_E_NS1_11comp_targetILNS1_3genE9ELNS1_11target_archE1100ELNS1_3gpuE3ELNS1_3repE0EEENS1_30default_config_static_selectorELNS0_4arch9wavefront6targetE0EEEvT1_ ; -- Begin function _ZN7rocprim17ROCPRIM_400000_NS6detail17trampoline_kernelINS0_14default_configENS1_25partition_config_selectorILNS1_17partition_subalgoE8EsNS0_10empty_typeEbEEZZNS1_14partition_implILS5_8ELb0ES3_jPKsPS6_PKS6_NS0_5tupleIJPsS6_EEENSE_IJSB_SB_EEENS0_18inequality_wrapperIN6hipcub16HIPCUB_304000_NS8EqualityEEEPlJS6_EEE10hipError_tPvRmT3_T4_T5_T6_T7_T9_mT8_P12ihipStream_tbDpT10_ENKUlT_T0_E_clISt17integral_constantIbLb0EES17_EEDaS12_S13_EUlS12_E_NS1_11comp_targetILNS1_3genE9ELNS1_11target_archE1100ELNS1_3gpuE3ELNS1_3repE0EEENS1_30default_config_static_selectorELNS0_4arch9wavefront6targetE0EEEvT1_
	.globl	_ZN7rocprim17ROCPRIM_400000_NS6detail17trampoline_kernelINS0_14default_configENS1_25partition_config_selectorILNS1_17partition_subalgoE8EsNS0_10empty_typeEbEEZZNS1_14partition_implILS5_8ELb0ES3_jPKsPS6_PKS6_NS0_5tupleIJPsS6_EEENSE_IJSB_SB_EEENS0_18inequality_wrapperIN6hipcub16HIPCUB_304000_NS8EqualityEEEPlJS6_EEE10hipError_tPvRmT3_T4_T5_T6_T7_T9_mT8_P12ihipStream_tbDpT10_ENKUlT_T0_E_clISt17integral_constantIbLb0EES17_EEDaS12_S13_EUlS12_E_NS1_11comp_targetILNS1_3genE9ELNS1_11target_archE1100ELNS1_3gpuE3ELNS1_3repE0EEENS1_30default_config_static_selectorELNS0_4arch9wavefront6targetE0EEEvT1_
	.p2align	8
	.type	_ZN7rocprim17ROCPRIM_400000_NS6detail17trampoline_kernelINS0_14default_configENS1_25partition_config_selectorILNS1_17partition_subalgoE8EsNS0_10empty_typeEbEEZZNS1_14partition_implILS5_8ELb0ES3_jPKsPS6_PKS6_NS0_5tupleIJPsS6_EEENSE_IJSB_SB_EEENS0_18inequality_wrapperIN6hipcub16HIPCUB_304000_NS8EqualityEEEPlJS6_EEE10hipError_tPvRmT3_T4_T5_T6_T7_T9_mT8_P12ihipStream_tbDpT10_ENKUlT_T0_E_clISt17integral_constantIbLb0EES17_EEDaS12_S13_EUlS12_E_NS1_11comp_targetILNS1_3genE9ELNS1_11target_archE1100ELNS1_3gpuE3ELNS1_3repE0EEENS1_30default_config_static_selectorELNS0_4arch9wavefront6targetE0EEEvT1_,@function
_ZN7rocprim17ROCPRIM_400000_NS6detail17trampoline_kernelINS0_14default_configENS1_25partition_config_selectorILNS1_17partition_subalgoE8EsNS0_10empty_typeEbEEZZNS1_14partition_implILS5_8ELb0ES3_jPKsPS6_PKS6_NS0_5tupleIJPsS6_EEENSE_IJSB_SB_EEENS0_18inequality_wrapperIN6hipcub16HIPCUB_304000_NS8EqualityEEEPlJS6_EEE10hipError_tPvRmT3_T4_T5_T6_T7_T9_mT8_P12ihipStream_tbDpT10_ENKUlT_T0_E_clISt17integral_constantIbLb0EES17_EEDaS12_S13_EUlS12_E_NS1_11comp_targetILNS1_3genE9ELNS1_11target_archE1100ELNS1_3gpuE3ELNS1_3repE0EEENS1_30default_config_static_selectorELNS0_4arch9wavefront6targetE0EEEvT1_: ; @_ZN7rocprim17ROCPRIM_400000_NS6detail17trampoline_kernelINS0_14default_configENS1_25partition_config_selectorILNS1_17partition_subalgoE8EsNS0_10empty_typeEbEEZZNS1_14partition_implILS5_8ELb0ES3_jPKsPS6_PKS6_NS0_5tupleIJPsS6_EEENSE_IJSB_SB_EEENS0_18inequality_wrapperIN6hipcub16HIPCUB_304000_NS8EqualityEEEPlJS6_EEE10hipError_tPvRmT3_T4_T5_T6_T7_T9_mT8_P12ihipStream_tbDpT10_ENKUlT_T0_E_clISt17integral_constantIbLb0EES17_EEDaS12_S13_EUlS12_E_NS1_11comp_targetILNS1_3genE9ELNS1_11target_archE1100ELNS1_3gpuE3ELNS1_3repE0EEENS1_30default_config_static_selectorELNS0_4arch9wavefront6targetE0EEEvT1_
; %bb.0:
	.section	.rodata,"a",@progbits
	.p2align	6, 0x0
	.amdhsa_kernel _ZN7rocprim17ROCPRIM_400000_NS6detail17trampoline_kernelINS0_14default_configENS1_25partition_config_selectorILNS1_17partition_subalgoE8EsNS0_10empty_typeEbEEZZNS1_14partition_implILS5_8ELb0ES3_jPKsPS6_PKS6_NS0_5tupleIJPsS6_EEENSE_IJSB_SB_EEENS0_18inequality_wrapperIN6hipcub16HIPCUB_304000_NS8EqualityEEEPlJS6_EEE10hipError_tPvRmT3_T4_T5_T6_T7_T9_mT8_P12ihipStream_tbDpT10_ENKUlT_T0_E_clISt17integral_constantIbLb0EES17_EEDaS12_S13_EUlS12_E_NS1_11comp_targetILNS1_3genE9ELNS1_11target_archE1100ELNS1_3gpuE3ELNS1_3repE0EEENS1_30default_config_static_selectorELNS0_4arch9wavefront6targetE0EEEvT1_
		.amdhsa_group_segment_fixed_size 0
		.amdhsa_private_segment_fixed_size 0
		.amdhsa_kernarg_size 112
		.amdhsa_user_sgpr_count 2
		.amdhsa_user_sgpr_dispatch_ptr 0
		.amdhsa_user_sgpr_queue_ptr 0
		.amdhsa_user_sgpr_kernarg_segment_ptr 1
		.amdhsa_user_sgpr_dispatch_id 0
		.amdhsa_user_sgpr_kernarg_preload_length 0
		.amdhsa_user_sgpr_kernarg_preload_offset 0
		.amdhsa_user_sgpr_private_segment_size 0
		.amdhsa_wavefront_size32 1
		.amdhsa_uses_dynamic_stack 0
		.amdhsa_enable_private_segment 0
		.amdhsa_system_sgpr_workgroup_id_x 1
		.amdhsa_system_sgpr_workgroup_id_y 0
		.amdhsa_system_sgpr_workgroup_id_z 0
		.amdhsa_system_sgpr_workgroup_info 0
		.amdhsa_system_vgpr_workitem_id 0
		.amdhsa_next_free_vgpr 1
		.amdhsa_next_free_sgpr 1
		.amdhsa_named_barrier_count 0
		.amdhsa_reserve_vcc 0
		.amdhsa_float_round_mode_32 0
		.amdhsa_float_round_mode_16_64 0
		.amdhsa_float_denorm_mode_32 3
		.amdhsa_float_denorm_mode_16_64 3
		.amdhsa_fp16_overflow 0
		.amdhsa_memory_ordered 1
		.amdhsa_forward_progress 1
		.amdhsa_inst_pref_size 0
		.amdhsa_round_robin_scheduling 0
		.amdhsa_exception_fp_ieee_invalid_op 0
		.amdhsa_exception_fp_denorm_src 0
		.amdhsa_exception_fp_ieee_div_zero 0
		.amdhsa_exception_fp_ieee_overflow 0
		.amdhsa_exception_fp_ieee_underflow 0
		.amdhsa_exception_fp_ieee_inexact 0
		.amdhsa_exception_int_div_zero 0
	.end_amdhsa_kernel
	.section	.text._ZN7rocprim17ROCPRIM_400000_NS6detail17trampoline_kernelINS0_14default_configENS1_25partition_config_selectorILNS1_17partition_subalgoE8EsNS0_10empty_typeEbEEZZNS1_14partition_implILS5_8ELb0ES3_jPKsPS6_PKS6_NS0_5tupleIJPsS6_EEENSE_IJSB_SB_EEENS0_18inequality_wrapperIN6hipcub16HIPCUB_304000_NS8EqualityEEEPlJS6_EEE10hipError_tPvRmT3_T4_T5_T6_T7_T9_mT8_P12ihipStream_tbDpT10_ENKUlT_T0_E_clISt17integral_constantIbLb0EES17_EEDaS12_S13_EUlS12_E_NS1_11comp_targetILNS1_3genE9ELNS1_11target_archE1100ELNS1_3gpuE3ELNS1_3repE0EEENS1_30default_config_static_selectorELNS0_4arch9wavefront6targetE0EEEvT1_,"axG",@progbits,_ZN7rocprim17ROCPRIM_400000_NS6detail17trampoline_kernelINS0_14default_configENS1_25partition_config_selectorILNS1_17partition_subalgoE8EsNS0_10empty_typeEbEEZZNS1_14partition_implILS5_8ELb0ES3_jPKsPS6_PKS6_NS0_5tupleIJPsS6_EEENSE_IJSB_SB_EEENS0_18inequality_wrapperIN6hipcub16HIPCUB_304000_NS8EqualityEEEPlJS6_EEE10hipError_tPvRmT3_T4_T5_T6_T7_T9_mT8_P12ihipStream_tbDpT10_ENKUlT_T0_E_clISt17integral_constantIbLb0EES17_EEDaS12_S13_EUlS12_E_NS1_11comp_targetILNS1_3genE9ELNS1_11target_archE1100ELNS1_3gpuE3ELNS1_3repE0EEENS1_30default_config_static_selectorELNS0_4arch9wavefront6targetE0EEEvT1_,comdat
.Lfunc_end554:
	.size	_ZN7rocprim17ROCPRIM_400000_NS6detail17trampoline_kernelINS0_14default_configENS1_25partition_config_selectorILNS1_17partition_subalgoE8EsNS0_10empty_typeEbEEZZNS1_14partition_implILS5_8ELb0ES3_jPKsPS6_PKS6_NS0_5tupleIJPsS6_EEENSE_IJSB_SB_EEENS0_18inequality_wrapperIN6hipcub16HIPCUB_304000_NS8EqualityEEEPlJS6_EEE10hipError_tPvRmT3_T4_T5_T6_T7_T9_mT8_P12ihipStream_tbDpT10_ENKUlT_T0_E_clISt17integral_constantIbLb0EES17_EEDaS12_S13_EUlS12_E_NS1_11comp_targetILNS1_3genE9ELNS1_11target_archE1100ELNS1_3gpuE3ELNS1_3repE0EEENS1_30default_config_static_selectorELNS0_4arch9wavefront6targetE0EEEvT1_, .Lfunc_end554-_ZN7rocprim17ROCPRIM_400000_NS6detail17trampoline_kernelINS0_14default_configENS1_25partition_config_selectorILNS1_17partition_subalgoE8EsNS0_10empty_typeEbEEZZNS1_14partition_implILS5_8ELb0ES3_jPKsPS6_PKS6_NS0_5tupleIJPsS6_EEENSE_IJSB_SB_EEENS0_18inequality_wrapperIN6hipcub16HIPCUB_304000_NS8EqualityEEEPlJS6_EEE10hipError_tPvRmT3_T4_T5_T6_T7_T9_mT8_P12ihipStream_tbDpT10_ENKUlT_T0_E_clISt17integral_constantIbLb0EES17_EEDaS12_S13_EUlS12_E_NS1_11comp_targetILNS1_3genE9ELNS1_11target_archE1100ELNS1_3gpuE3ELNS1_3repE0EEENS1_30default_config_static_selectorELNS0_4arch9wavefront6targetE0EEEvT1_
                                        ; -- End function
	.set _ZN7rocprim17ROCPRIM_400000_NS6detail17trampoline_kernelINS0_14default_configENS1_25partition_config_selectorILNS1_17partition_subalgoE8EsNS0_10empty_typeEbEEZZNS1_14partition_implILS5_8ELb0ES3_jPKsPS6_PKS6_NS0_5tupleIJPsS6_EEENSE_IJSB_SB_EEENS0_18inequality_wrapperIN6hipcub16HIPCUB_304000_NS8EqualityEEEPlJS6_EEE10hipError_tPvRmT3_T4_T5_T6_T7_T9_mT8_P12ihipStream_tbDpT10_ENKUlT_T0_E_clISt17integral_constantIbLb0EES17_EEDaS12_S13_EUlS12_E_NS1_11comp_targetILNS1_3genE9ELNS1_11target_archE1100ELNS1_3gpuE3ELNS1_3repE0EEENS1_30default_config_static_selectorELNS0_4arch9wavefront6targetE0EEEvT1_.num_vgpr, 0
	.set _ZN7rocprim17ROCPRIM_400000_NS6detail17trampoline_kernelINS0_14default_configENS1_25partition_config_selectorILNS1_17partition_subalgoE8EsNS0_10empty_typeEbEEZZNS1_14partition_implILS5_8ELb0ES3_jPKsPS6_PKS6_NS0_5tupleIJPsS6_EEENSE_IJSB_SB_EEENS0_18inequality_wrapperIN6hipcub16HIPCUB_304000_NS8EqualityEEEPlJS6_EEE10hipError_tPvRmT3_T4_T5_T6_T7_T9_mT8_P12ihipStream_tbDpT10_ENKUlT_T0_E_clISt17integral_constantIbLb0EES17_EEDaS12_S13_EUlS12_E_NS1_11comp_targetILNS1_3genE9ELNS1_11target_archE1100ELNS1_3gpuE3ELNS1_3repE0EEENS1_30default_config_static_selectorELNS0_4arch9wavefront6targetE0EEEvT1_.num_agpr, 0
	.set _ZN7rocprim17ROCPRIM_400000_NS6detail17trampoline_kernelINS0_14default_configENS1_25partition_config_selectorILNS1_17partition_subalgoE8EsNS0_10empty_typeEbEEZZNS1_14partition_implILS5_8ELb0ES3_jPKsPS6_PKS6_NS0_5tupleIJPsS6_EEENSE_IJSB_SB_EEENS0_18inequality_wrapperIN6hipcub16HIPCUB_304000_NS8EqualityEEEPlJS6_EEE10hipError_tPvRmT3_T4_T5_T6_T7_T9_mT8_P12ihipStream_tbDpT10_ENKUlT_T0_E_clISt17integral_constantIbLb0EES17_EEDaS12_S13_EUlS12_E_NS1_11comp_targetILNS1_3genE9ELNS1_11target_archE1100ELNS1_3gpuE3ELNS1_3repE0EEENS1_30default_config_static_selectorELNS0_4arch9wavefront6targetE0EEEvT1_.numbered_sgpr, 0
	.set _ZN7rocprim17ROCPRIM_400000_NS6detail17trampoline_kernelINS0_14default_configENS1_25partition_config_selectorILNS1_17partition_subalgoE8EsNS0_10empty_typeEbEEZZNS1_14partition_implILS5_8ELb0ES3_jPKsPS6_PKS6_NS0_5tupleIJPsS6_EEENSE_IJSB_SB_EEENS0_18inequality_wrapperIN6hipcub16HIPCUB_304000_NS8EqualityEEEPlJS6_EEE10hipError_tPvRmT3_T4_T5_T6_T7_T9_mT8_P12ihipStream_tbDpT10_ENKUlT_T0_E_clISt17integral_constantIbLb0EES17_EEDaS12_S13_EUlS12_E_NS1_11comp_targetILNS1_3genE9ELNS1_11target_archE1100ELNS1_3gpuE3ELNS1_3repE0EEENS1_30default_config_static_selectorELNS0_4arch9wavefront6targetE0EEEvT1_.num_named_barrier, 0
	.set _ZN7rocprim17ROCPRIM_400000_NS6detail17trampoline_kernelINS0_14default_configENS1_25partition_config_selectorILNS1_17partition_subalgoE8EsNS0_10empty_typeEbEEZZNS1_14partition_implILS5_8ELb0ES3_jPKsPS6_PKS6_NS0_5tupleIJPsS6_EEENSE_IJSB_SB_EEENS0_18inequality_wrapperIN6hipcub16HIPCUB_304000_NS8EqualityEEEPlJS6_EEE10hipError_tPvRmT3_T4_T5_T6_T7_T9_mT8_P12ihipStream_tbDpT10_ENKUlT_T0_E_clISt17integral_constantIbLb0EES17_EEDaS12_S13_EUlS12_E_NS1_11comp_targetILNS1_3genE9ELNS1_11target_archE1100ELNS1_3gpuE3ELNS1_3repE0EEENS1_30default_config_static_selectorELNS0_4arch9wavefront6targetE0EEEvT1_.private_seg_size, 0
	.set _ZN7rocprim17ROCPRIM_400000_NS6detail17trampoline_kernelINS0_14default_configENS1_25partition_config_selectorILNS1_17partition_subalgoE8EsNS0_10empty_typeEbEEZZNS1_14partition_implILS5_8ELb0ES3_jPKsPS6_PKS6_NS0_5tupleIJPsS6_EEENSE_IJSB_SB_EEENS0_18inequality_wrapperIN6hipcub16HIPCUB_304000_NS8EqualityEEEPlJS6_EEE10hipError_tPvRmT3_T4_T5_T6_T7_T9_mT8_P12ihipStream_tbDpT10_ENKUlT_T0_E_clISt17integral_constantIbLb0EES17_EEDaS12_S13_EUlS12_E_NS1_11comp_targetILNS1_3genE9ELNS1_11target_archE1100ELNS1_3gpuE3ELNS1_3repE0EEENS1_30default_config_static_selectorELNS0_4arch9wavefront6targetE0EEEvT1_.uses_vcc, 0
	.set _ZN7rocprim17ROCPRIM_400000_NS6detail17trampoline_kernelINS0_14default_configENS1_25partition_config_selectorILNS1_17partition_subalgoE8EsNS0_10empty_typeEbEEZZNS1_14partition_implILS5_8ELb0ES3_jPKsPS6_PKS6_NS0_5tupleIJPsS6_EEENSE_IJSB_SB_EEENS0_18inequality_wrapperIN6hipcub16HIPCUB_304000_NS8EqualityEEEPlJS6_EEE10hipError_tPvRmT3_T4_T5_T6_T7_T9_mT8_P12ihipStream_tbDpT10_ENKUlT_T0_E_clISt17integral_constantIbLb0EES17_EEDaS12_S13_EUlS12_E_NS1_11comp_targetILNS1_3genE9ELNS1_11target_archE1100ELNS1_3gpuE3ELNS1_3repE0EEENS1_30default_config_static_selectorELNS0_4arch9wavefront6targetE0EEEvT1_.uses_flat_scratch, 0
	.set _ZN7rocprim17ROCPRIM_400000_NS6detail17trampoline_kernelINS0_14default_configENS1_25partition_config_selectorILNS1_17partition_subalgoE8EsNS0_10empty_typeEbEEZZNS1_14partition_implILS5_8ELb0ES3_jPKsPS6_PKS6_NS0_5tupleIJPsS6_EEENSE_IJSB_SB_EEENS0_18inequality_wrapperIN6hipcub16HIPCUB_304000_NS8EqualityEEEPlJS6_EEE10hipError_tPvRmT3_T4_T5_T6_T7_T9_mT8_P12ihipStream_tbDpT10_ENKUlT_T0_E_clISt17integral_constantIbLb0EES17_EEDaS12_S13_EUlS12_E_NS1_11comp_targetILNS1_3genE9ELNS1_11target_archE1100ELNS1_3gpuE3ELNS1_3repE0EEENS1_30default_config_static_selectorELNS0_4arch9wavefront6targetE0EEEvT1_.has_dyn_sized_stack, 0
	.set _ZN7rocprim17ROCPRIM_400000_NS6detail17trampoline_kernelINS0_14default_configENS1_25partition_config_selectorILNS1_17partition_subalgoE8EsNS0_10empty_typeEbEEZZNS1_14partition_implILS5_8ELb0ES3_jPKsPS6_PKS6_NS0_5tupleIJPsS6_EEENSE_IJSB_SB_EEENS0_18inequality_wrapperIN6hipcub16HIPCUB_304000_NS8EqualityEEEPlJS6_EEE10hipError_tPvRmT3_T4_T5_T6_T7_T9_mT8_P12ihipStream_tbDpT10_ENKUlT_T0_E_clISt17integral_constantIbLb0EES17_EEDaS12_S13_EUlS12_E_NS1_11comp_targetILNS1_3genE9ELNS1_11target_archE1100ELNS1_3gpuE3ELNS1_3repE0EEENS1_30default_config_static_selectorELNS0_4arch9wavefront6targetE0EEEvT1_.has_recursion, 0
	.set _ZN7rocprim17ROCPRIM_400000_NS6detail17trampoline_kernelINS0_14default_configENS1_25partition_config_selectorILNS1_17partition_subalgoE8EsNS0_10empty_typeEbEEZZNS1_14partition_implILS5_8ELb0ES3_jPKsPS6_PKS6_NS0_5tupleIJPsS6_EEENSE_IJSB_SB_EEENS0_18inequality_wrapperIN6hipcub16HIPCUB_304000_NS8EqualityEEEPlJS6_EEE10hipError_tPvRmT3_T4_T5_T6_T7_T9_mT8_P12ihipStream_tbDpT10_ENKUlT_T0_E_clISt17integral_constantIbLb0EES17_EEDaS12_S13_EUlS12_E_NS1_11comp_targetILNS1_3genE9ELNS1_11target_archE1100ELNS1_3gpuE3ELNS1_3repE0EEENS1_30default_config_static_selectorELNS0_4arch9wavefront6targetE0EEEvT1_.has_indirect_call, 0
	.section	.AMDGPU.csdata,"",@progbits
; Kernel info:
; codeLenInByte = 0
; TotalNumSgprs: 0
; NumVgprs: 0
; ScratchSize: 0
; MemoryBound: 0
; FloatMode: 240
; IeeeMode: 1
; LDSByteSize: 0 bytes/workgroup (compile time only)
; SGPRBlocks: 0
; VGPRBlocks: 0
; NumSGPRsForWavesPerEU: 1
; NumVGPRsForWavesPerEU: 1
; NamedBarCnt: 0
; Occupancy: 16
; WaveLimiterHint : 0
; COMPUTE_PGM_RSRC2:SCRATCH_EN: 0
; COMPUTE_PGM_RSRC2:USER_SGPR: 2
; COMPUTE_PGM_RSRC2:TRAP_HANDLER: 0
; COMPUTE_PGM_RSRC2:TGID_X_EN: 1
; COMPUTE_PGM_RSRC2:TGID_Y_EN: 0
; COMPUTE_PGM_RSRC2:TGID_Z_EN: 0
; COMPUTE_PGM_RSRC2:TIDIG_COMP_CNT: 0
	.section	.text._ZN7rocprim17ROCPRIM_400000_NS6detail17trampoline_kernelINS0_14default_configENS1_25partition_config_selectorILNS1_17partition_subalgoE8EsNS0_10empty_typeEbEEZZNS1_14partition_implILS5_8ELb0ES3_jPKsPS6_PKS6_NS0_5tupleIJPsS6_EEENSE_IJSB_SB_EEENS0_18inequality_wrapperIN6hipcub16HIPCUB_304000_NS8EqualityEEEPlJS6_EEE10hipError_tPvRmT3_T4_T5_T6_T7_T9_mT8_P12ihipStream_tbDpT10_ENKUlT_T0_E_clISt17integral_constantIbLb0EES17_EEDaS12_S13_EUlS12_E_NS1_11comp_targetILNS1_3genE8ELNS1_11target_archE1030ELNS1_3gpuE2ELNS1_3repE0EEENS1_30default_config_static_selectorELNS0_4arch9wavefront6targetE0EEEvT1_,"axG",@progbits,_ZN7rocprim17ROCPRIM_400000_NS6detail17trampoline_kernelINS0_14default_configENS1_25partition_config_selectorILNS1_17partition_subalgoE8EsNS0_10empty_typeEbEEZZNS1_14partition_implILS5_8ELb0ES3_jPKsPS6_PKS6_NS0_5tupleIJPsS6_EEENSE_IJSB_SB_EEENS0_18inequality_wrapperIN6hipcub16HIPCUB_304000_NS8EqualityEEEPlJS6_EEE10hipError_tPvRmT3_T4_T5_T6_T7_T9_mT8_P12ihipStream_tbDpT10_ENKUlT_T0_E_clISt17integral_constantIbLb0EES17_EEDaS12_S13_EUlS12_E_NS1_11comp_targetILNS1_3genE8ELNS1_11target_archE1030ELNS1_3gpuE2ELNS1_3repE0EEENS1_30default_config_static_selectorELNS0_4arch9wavefront6targetE0EEEvT1_,comdat
	.protected	_ZN7rocprim17ROCPRIM_400000_NS6detail17trampoline_kernelINS0_14default_configENS1_25partition_config_selectorILNS1_17partition_subalgoE8EsNS0_10empty_typeEbEEZZNS1_14partition_implILS5_8ELb0ES3_jPKsPS6_PKS6_NS0_5tupleIJPsS6_EEENSE_IJSB_SB_EEENS0_18inequality_wrapperIN6hipcub16HIPCUB_304000_NS8EqualityEEEPlJS6_EEE10hipError_tPvRmT3_T4_T5_T6_T7_T9_mT8_P12ihipStream_tbDpT10_ENKUlT_T0_E_clISt17integral_constantIbLb0EES17_EEDaS12_S13_EUlS12_E_NS1_11comp_targetILNS1_3genE8ELNS1_11target_archE1030ELNS1_3gpuE2ELNS1_3repE0EEENS1_30default_config_static_selectorELNS0_4arch9wavefront6targetE0EEEvT1_ ; -- Begin function _ZN7rocprim17ROCPRIM_400000_NS6detail17trampoline_kernelINS0_14default_configENS1_25partition_config_selectorILNS1_17partition_subalgoE8EsNS0_10empty_typeEbEEZZNS1_14partition_implILS5_8ELb0ES3_jPKsPS6_PKS6_NS0_5tupleIJPsS6_EEENSE_IJSB_SB_EEENS0_18inequality_wrapperIN6hipcub16HIPCUB_304000_NS8EqualityEEEPlJS6_EEE10hipError_tPvRmT3_T4_T5_T6_T7_T9_mT8_P12ihipStream_tbDpT10_ENKUlT_T0_E_clISt17integral_constantIbLb0EES17_EEDaS12_S13_EUlS12_E_NS1_11comp_targetILNS1_3genE8ELNS1_11target_archE1030ELNS1_3gpuE2ELNS1_3repE0EEENS1_30default_config_static_selectorELNS0_4arch9wavefront6targetE0EEEvT1_
	.globl	_ZN7rocprim17ROCPRIM_400000_NS6detail17trampoline_kernelINS0_14default_configENS1_25partition_config_selectorILNS1_17partition_subalgoE8EsNS0_10empty_typeEbEEZZNS1_14partition_implILS5_8ELb0ES3_jPKsPS6_PKS6_NS0_5tupleIJPsS6_EEENSE_IJSB_SB_EEENS0_18inequality_wrapperIN6hipcub16HIPCUB_304000_NS8EqualityEEEPlJS6_EEE10hipError_tPvRmT3_T4_T5_T6_T7_T9_mT8_P12ihipStream_tbDpT10_ENKUlT_T0_E_clISt17integral_constantIbLb0EES17_EEDaS12_S13_EUlS12_E_NS1_11comp_targetILNS1_3genE8ELNS1_11target_archE1030ELNS1_3gpuE2ELNS1_3repE0EEENS1_30default_config_static_selectorELNS0_4arch9wavefront6targetE0EEEvT1_
	.p2align	8
	.type	_ZN7rocprim17ROCPRIM_400000_NS6detail17trampoline_kernelINS0_14default_configENS1_25partition_config_selectorILNS1_17partition_subalgoE8EsNS0_10empty_typeEbEEZZNS1_14partition_implILS5_8ELb0ES3_jPKsPS6_PKS6_NS0_5tupleIJPsS6_EEENSE_IJSB_SB_EEENS0_18inequality_wrapperIN6hipcub16HIPCUB_304000_NS8EqualityEEEPlJS6_EEE10hipError_tPvRmT3_T4_T5_T6_T7_T9_mT8_P12ihipStream_tbDpT10_ENKUlT_T0_E_clISt17integral_constantIbLb0EES17_EEDaS12_S13_EUlS12_E_NS1_11comp_targetILNS1_3genE8ELNS1_11target_archE1030ELNS1_3gpuE2ELNS1_3repE0EEENS1_30default_config_static_selectorELNS0_4arch9wavefront6targetE0EEEvT1_,@function
_ZN7rocprim17ROCPRIM_400000_NS6detail17trampoline_kernelINS0_14default_configENS1_25partition_config_selectorILNS1_17partition_subalgoE8EsNS0_10empty_typeEbEEZZNS1_14partition_implILS5_8ELb0ES3_jPKsPS6_PKS6_NS0_5tupleIJPsS6_EEENSE_IJSB_SB_EEENS0_18inequality_wrapperIN6hipcub16HIPCUB_304000_NS8EqualityEEEPlJS6_EEE10hipError_tPvRmT3_T4_T5_T6_T7_T9_mT8_P12ihipStream_tbDpT10_ENKUlT_T0_E_clISt17integral_constantIbLb0EES17_EEDaS12_S13_EUlS12_E_NS1_11comp_targetILNS1_3genE8ELNS1_11target_archE1030ELNS1_3gpuE2ELNS1_3repE0EEENS1_30default_config_static_selectorELNS0_4arch9wavefront6targetE0EEEvT1_: ; @_ZN7rocprim17ROCPRIM_400000_NS6detail17trampoline_kernelINS0_14default_configENS1_25partition_config_selectorILNS1_17partition_subalgoE8EsNS0_10empty_typeEbEEZZNS1_14partition_implILS5_8ELb0ES3_jPKsPS6_PKS6_NS0_5tupleIJPsS6_EEENSE_IJSB_SB_EEENS0_18inequality_wrapperIN6hipcub16HIPCUB_304000_NS8EqualityEEEPlJS6_EEE10hipError_tPvRmT3_T4_T5_T6_T7_T9_mT8_P12ihipStream_tbDpT10_ENKUlT_T0_E_clISt17integral_constantIbLb0EES17_EEDaS12_S13_EUlS12_E_NS1_11comp_targetILNS1_3genE8ELNS1_11target_archE1030ELNS1_3gpuE2ELNS1_3repE0EEENS1_30default_config_static_selectorELNS0_4arch9wavefront6targetE0EEEvT1_
; %bb.0:
	.section	.rodata,"a",@progbits
	.p2align	6, 0x0
	.amdhsa_kernel _ZN7rocprim17ROCPRIM_400000_NS6detail17trampoline_kernelINS0_14default_configENS1_25partition_config_selectorILNS1_17partition_subalgoE8EsNS0_10empty_typeEbEEZZNS1_14partition_implILS5_8ELb0ES3_jPKsPS6_PKS6_NS0_5tupleIJPsS6_EEENSE_IJSB_SB_EEENS0_18inequality_wrapperIN6hipcub16HIPCUB_304000_NS8EqualityEEEPlJS6_EEE10hipError_tPvRmT3_T4_T5_T6_T7_T9_mT8_P12ihipStream_tbDpT10_ENKUlT_T0_E_clISt17integral_constantIbLb0EES17_EEDaS12_S13_EUlS12_E_NS1_11comp_targetILNS1_3genE8ELNS1_11target_archE1030ELNS1_3gpuE2ELNS1_3repE0EEENS1_30default_config_static_selectorELNS0_4arch9wavefront6targetE0EEEvT1_
		.amdhsa_group_segment_fixed_size 0
		.amdhsa_private_segment_fixed_size 0
		.amdhsa_kernarg_size 112
		.amdhsa_user_sgpr_count 2
		.amdhsa_user_sgpr_dispatch_ptr 0
		.amdhsa_user_sgpr_queue_ptr 0
		.amdhsa_user_sgpr_kernarg_segment_ptr 1
		.amdhsa_user_sgpr_dispatch_id 0
		.amdhsa_user_sgpr_kernarg_preload_length 0
		.amdhsa_user_sgpr_kernarg_preload_offset 0
		.amdhsa_user_sgpr_private_segment_size 0
		.amdhsa_wavefront_size32 1
		.amdhsa_uses_dynamic_stack 0
		.amdhsa_enable_private_segment 0
		.amdhsa_system_sgpr_workgroup_id_x 1
		.amdhsa_system_sgpr_workgroup_id_y 0
		.amdhsa_system_sgpr_workgroup_id_z 0
		.amdhsa_system_sgpr_workgroup_info 0
		.amdhsa_system_vgpr_workitem_id 0
		.amdhsa_next_free_vgpr 1
		.amdhsa_next_free_sgpr 1
		.amdhsa_named_barrier_count 0
		.amdhsa_reserve_vcc 0
		.amdhsa_float_round_mode_32 0
		.amdhsa_float_round_mode_16_64 0
		.amdhsa_float_denorm_mode_32 3
		.amdhsa_float_denorm_mode_16_64 3
		.amdhsa_fp16_overflow 0
		.amdhsa_memory_ordered 1
		.amdhsa_forward_progress 1
		.amdhsa_inst_pref_size 0
		.amdhsa_round_robin_scheduling 0
		.amdhsa_exception_fp_ieee_invalid_op 0
		.amdhsa_exception_fp_denorm_src 0
		.amdhsa_exception_fp_ieee_div_zero 0
		.amdhsa_exception_fp_ieee_overflow 0
		.amdhsa_exception_fp_ieee_underflow 0
		.amdhsa_exception_fp_ieee_inexact 0
		.amdhsa_exception_int_div_zero 0
	.end_amdhsa_kernel
	.section	.text._ZN7rocprim17ROCPRIM_400000_NS6detail17trampoline_kernelINS0_14default_configENS1_25partition_config_selectorILNS1_17partition_subalgoE8EsNS0_10empty_typeEbEEZZNS1_14partition_implILS5_8ELb0ES3_jPKsPS6_PKS6_NS0_5tupleIJPsS6_EEENSE_IJSB_SB_EEENS0_18inequality_wrapperIN6hipcub16HIPCUB_304000_NS8EqualityEEEPlJS6_EEE10hipError_tPvRmT3_T4_T5_T6_T7_T9_mT8_P12ihipStream_tbDpT10_ENKUlT_T0_E_clISt17integral_constantIbLb0EES17_EEDaS12_S13_EUlS12_E_NS1_11comp_targetILNS1_3genE8ELNS1_11target_archE1030ELNS1_3gpuE2ELNS1_3repE0EEENS1_30default_config_static_selectorELNS0_4arch9wavefront6targetE0EEEvT1_,"axG",@progbits,_ZN7rocprim17ROCPRIM_400000_NS6detail17trampoline_kernelINS0_14default_configENS1_25partition_config_selectorILNS1_17partition_subalgoE8EsNS0_10empty_typeEbEEZZNS1_14partition_implILS5_8ELb0ES3_jPKsPS6_PKS6_NS0_5tupleIJPsS6_EEENSE_IJSB_SB_EEENS0_18inequality_wrapperIN6hipcub16HIPCUB_304000_NS8EqualityEEEPlJS6_EEE10hipError_tPvRmT3_T4_T5_T6_T7_T9_mT8_P12ihipStream_tbDpT10_ENKUlT_T0_E_clISt17integral_constantIbLb0EES17_EEDaS12_S13_EUlS12_E_NS1_11comp_targetILNS1_3genE8ELNS1_11target_archE1030ELNS1_3gpuE2ELNS1_3repE0EEENS1_30default_config_static_selectorELNS0_4arch9wavefront6targetE0EEEvT1_,comdat
.Lfunc_end555:
	.size	_ZN7rocprim17ROCPRIM_400000_NS6detail17trampoline_kernelINS0_14default_configENS1_25partition_config_selectorILNS1_17partition_subalgoE8EsNS0_10empty_typeEbEEZZNS1_14partition_implILS5_8ELb0ES3_jPKsPS6_PKS6_NS0_5tupleIJPsS6_EEENSE_IJSB_SB_EEENS0_18inequality_wrapperIN6hipcub16HIPCUB_304000_NS8EqualityEEEPlJS6_EEE10hipError_tPvRmT3_T4_T5_T6_T7_T9_mT8_P12ihipStream_tbDpT10_ENKUlT_T0_E_clISt17integral_constantIbLb0EES17_EEDaS12_S13_EUlS12_E_NS1_11comp_targetILNS1_3genE8ELNS1_11target_archE1030ELNS1_3gpuE2ELNS1_3repE0EEENS1_30default_config_static_selectorELNS0_4arch9wavefront6targetE0EEEvT1_, .Lfunc_end555-_ZN7rocprim17ROCPRIM_400000_NS6detail17trampoline_kernelINS0_14default_configENS1_25partition_config_selectorILNS1_17partition_subalgoE8EsNS0_10empty_typeEbEEZZNS1_14partition_implILS5_8ELb0ES3_jPKsPS6_PKS6_NS0_5tupleIJPsS6_EEENSE_IJSB_SB_EEENS0_18inequality_wrapperIN6hipcub16HIPCUB_304000_NS8EqualityEEEPlJS6_EEE10hipError_tPvRmT3_T4_T5_T6_T7_T9_mT8_P12ihipStream_tbDpT10_ENKUlT_T0_E_clISt17integral_constantIbLb0EES17_EEDaS12_S13_EUlS12_E_NS1_11comp_targetILNS1_3genE8ELNS1_11target_archE1030ELNS1_3gpuE2ELNS1_3repE0EEENS1_30default_config_static_selectorELNS0_4arch9wavefront6targetE0EEEvT1_
                                        ; -- End function
	.set _ZN7rocprim17ROCPRIM_400000_NS6detail17trampoline_kernelINS0_14default_configENS1_25partition_config_selectorILNS1_17partition_subalgoE8EsNS0_10empty_typeEbEEZZNS1_14partition_implILS5_8ELb0ES3_jPKsPS6_PKS6_NS0_5tupleIJPsS6_EEENSE_IJSB_SB_EEENS0_18inequality_wrapperIN6hipcub16HIPCUB_304000_NS8EqualityEEEPlJS6_EEE10hipError_tPvRmT3_T4_T5_T6_T7_T9_mT8_P12ihipStream_tbDpT10_ENKUlT_T0_E_clISt17integral_constantIbLb0EES17_EEDaS12_S13_EUlS12_E_NS1_11comp_targetILNS1_3genE8ELNS1_11target_archE1030ELNS1_3gpuE2ELNS1_3repE0EEENS1_30default_config_static_selectorELNS0_4arch9wavefront6targetE0EEEvT1_.num_vgpr, 0
	.set _ZN7rocprim17ROCPRIM_400000_NS6detail17trampoline_kernelINS0_14default_configENS1_25partition_config_selectorILNS1_17partition_subalgoE8EsNS0_10empty_typeEbEEZZNS1_14partition_implILS5_8ELb0ES3_jPKsPS6_PKS6_NS0_5tupleIJPsS6_EEENSE_IJSB_SB_EEENS0_18inequality_wrapperIN6hipcub16HIPCUB_304000_NS8EqualityEEEPlJS6_EEE10hipError_tPvRmT3_T4_T5_T6_T7_T9_mT8_P12ihipStream_tbDpT10_ENKUlT_T0_E_clISt17integral_constantIbLb0EES17_EEDaS12_S13_EUlS12_E_NS1_11comp_targetILNS1_3genE8ELNS1_11target_archE1030ELNS1_3gpuE2ELNS1_3repE0EEENS1_30default_config_static_selectorELNS0_4arch9wavefront6targetE0EEEvT1_.num_agpr, 0
	.set _ZN7rocprim17ROCPRIM_400000_NS6detail17trampoline_kernelINS0_14default_configENS1_25partition_config_selectorILNS1_17partition_subalgoE8EsNS0_10empty_typeEbEEZZNS1_14partition_implILS5_8ELb0ES3_jPKsPS6_PKS6_NS0_5tupleIJPsS6_EEENSE_IJSB_SB_EEENS0_18inequality_wrapperIN6hipcub16HIPCUB_304000_NS8EqualityEEEPlJS6_EEE10hipError_tPvRmT3_T4_T5_T6_T7_T9_mT8_P12ihipStream_tbDpT10_ENKUlT_T0_E_clISt17integral_constantIbLb0EES17_EEDaS12_S13_EUlS12_E_NS1_11comp_targetILNS1_3genE8ELNS1_11target_archE1030ELNS1_3gpuE2ELNS1_3repE0EEENS1_30default_config_static_selectorELNS0_4arch9wavefront6targetE0EEEvT1_.numbered_sgpr, 0
	.set _ZN7rocprim17ROCPRIM_400000_NS6detail17trampoline_kernelINS0_14default_configENS1_25partition_config_selectorILNS1_17partition_subalgoE8EsNS0_10empty_typeEbEEZZNS1_14partition_implILS5_8ELb0ES3_jPKsPS6_PKS6_NS0_5tupleIJPsS6_EEENSE_IJSB_SB_EEENS0_18inequality_wrapperIN6hipcub16HIPCUB_304000_NS8EqualityEEEPlJS6_EEE10hipError_tPvRmT3_T4_T5_T6_T7_T9_mT8_P12ihipStream_tbDpT10_ENKUlT_T0_E_clISt17integral_constantIbLb0EES17_EEDaS12_S13_EUlS12_E_NS1_11comp_targetILNS1_3genE8ELNS1_11target_archE1030ELNS1_3gpuE2ELNS1_3repE0EEENS1_30default_config_static_selectorELNS0_4arch9wavefront6targetE0EEEvT1_.num_named_barrier, 0
	.set _ZN7rocprim17ROCPRIM_400000_NS6detail17trampoline_kernelINS0_14default_configENS1_25partition_config_selectorILNS1_17partition_subalgoE8EsNS0_10empty_typeEbEEZZNS1_14partition_implILS5_8ELb0ES3_jPKsPS6_PKS6_NS0_5tupleIJPsS6_EEENSE_IJSB_SB_EEENS0_18inequality_wrapperIN6hipcub16HIPCUB_304000_NS8EqualityEEEPlJS6_EEE10hipError_tPvRmT3_T4_T5_T6_T7_T9_mT8_P12ihipStream_tbDpT10_ENKUlT_T0_E_clISt17integral_constantIbLb0EES17_EEDaS12_S13_EUlS12_E_NS1_11comp_targetILNS1_3genE8ELNS1_11target_archE1030ELNS1_3gpuE2ELNS1_3repE0EEENS1_30default_config_static_selectorELNS0_4arch9wavefront6targetE0EEEvT1_.private_seg_size, 0
	.set _ZN7rocprim17ROCPRIM_400000_NS6detail17trampoline_kernelINS0_14default_configENS1_25partition_config_selectorILNS1_17partition_subalgoE8EsNS0_10empty_typeEbEEZZNS1_14partition_implILS5_8ELb0ES3_jPKsPS6_PKS6_NS0_5tupleIJPsS6_EEENSE_IJSB_SB_EEENS0_18inequality_wrapperIN6hipcub16HIPCUB_304000_NS8EqualityEEEPlJS6_EEE10hipError_tPvRmT3_T4_T5_T6_T7_T9_mT8_P12ihipStream_tbDpT10_ENKUlT_T0_E_clISt17integral_constantIbLb0EES17_EEDaS12_S13_EUlS12_E_NS1_11comp_targetILNS1_3genE8ELNS1_11target_archE1030ELNS1_3gpuE2ELNS1_3repE0EEENS1_30default_config_static_selectorELNS0_4arch9wavefront6targetE0EEEvT1_.uses_vcc, 0
	.set _ZN7rocprim17ROCPRIM_400000_NS6detail17trampoline_kernelINS0_14default_configENS1_25partition_config_selectorILNS1_17partition_subalgoE8EsNS0_10empty_typeEbEEZZNS1_14partition_implILS5_8ELb0ES3_jPKsPS6_PKS6_NS0_5tupleIJPsS6_EEENSE_IJSB_SB_EEENS0_18inequality_wrapperIN6hipcub16HIPCUB_304000_NS8EqualityEEEPlJS6_EEE10hipError_tPvRmT3_T4_T5_T6_T7_T9_mT8_P12ihipStream_tbDpT10_ENKUlT_T0_E_clISt17integral_constantIbLb0EES17_EEDaS12_S13_EUlS12_E_NS1_11comp_targetILNS1_3genE8ELNS1_11target_archE1030ELNS1_3gpuE2ELNS1_3repE0EEENS1_30default_config_static_selectorELNS0_4arch9wavefront6targetE0EEEvT1_.uses_flat_scratch, 0
	.set _ZN7rocprim17ROCPRIM_400000_NS6detail17trampoline_kernelINS0_14default_configENS1_25partition_config_selectorILNS1_17partition_subalgoE8EsNS0_10empty_typeEbEEZZNS1_14partition_implILS5_8ELb0ES3_jPKsPS6_PKS6_NS0_5tupleIJPsS6_EEENSE_IJSB_SB_EEENS0_18inequality_wrapperIN6hipcub16HIPCUB_304000_NS8EqualityEEEPlJS6_EEE10hipError_tPvRmT3_T4_T5_T6_T7_T9_mT8_P12ihipStream_tbDpT10_ENKUlT_T0_E_clISt17integral_constantIbLb0EES17_EEDaS12_S13_EUlS12_E_NS1_11comp_targetILNS1_3genE8ELNS1_11target_archE1030ELNS1_3gpuE2ELNS1_3repE0EEENS1_30default_config_static_selectorELNS0_4arch9wavefront6targetE0EEEvT1_.has_dyn_sized_stack, 0
	.set _ZN7rocprim17ROCPRIM_400000_NS6detail17trampoline_kernelINS0_14default_configENS1_25partition_config_selectorILNS1_17partition_subalgoE8EsNS0_10empty_typeEbEEZZNS1_14partition_implILS5_8ELb0ES3_jPKsPS6_PKS6_NS0_5tupleIJPsS6_EEENSE_IJSB_SB_EEENS0_18inequality_wrapperIN6hipcub16HIPCUB_304000_NS8EqualityEEEPlJS6_EEE10hipError_tPvRmT3_T4_T5_T6_T7_T9_mT8_P12ihipStream_tbDpT10_ENKUlT_T0_E_clISt17integral_constantIbLb0EES17_EEDaS12_S13_EUlS12_E_NS1_11comp_targetILNS1_3genE8ELNS1_11target_archE1030ELNS1_3gpuE2ELNS1_3repE0EEENS1_30default_config_static_selectorELNS0_4arch9wavefront6targetE0EEEvT1_.has_recursion, 0
	.set _ZN7rocprim17ROCPRIM_400000_NS6detail17trampoline_kernelINS0_14default_configENS1_25partition_config_selectorILNS1_17partition_subalgoE8EsNS0_10empty_typeEbEEZZNS1_14partition_implILS5_8ELb0ES3_jPKsPS6_PKS6_NS0_5tupleIJPsS6_EEENSE_IJSB_SB_EEENS0_18inequality_wrapperIN6hipcub16HIPCUB_304000_NS8EqualityEEEPlJS6_EEE10hipError_tPvRmT3_T4_T5_T6_T7_T9_mT8_P12ihipStream_tbDpT10_ENKUlT_T0_E_clISt17integral_constantIbLb0EES17_EEDaS12_S13_EUlS12_E_NS1_11comp_targetILNS1_3genE8ELNS1_11target_archE1030ELNS1_3gpuE2ELNS1_3repE0EEENS1_30default_config_static_selectorELNS0_4arch9wavefront6targetE0EEEvT1_.has_indirect_call, 0
	.section	.AMDGPU.csdata,"",@progbits
; Kernel info:
; codeLenInByte = 0
; TotalNumSgprs: 0
; NumVgprs: 0
; ScratchSize: 0
; MemoryBound: 0
; FloatMode: 240
; IeeeMode: 1
; LDSByteSize: 0 bytes/workgroup (compile time only)
; SGPRBlocks: 0
; VGPRBlocks: 0
; NumSGPRsForWavesPerEU: 1
; NumVGPRsForWavesPerEU: 1
; NamedBarCnt: 0
; Occupancy: 16
; WaveLimiterHint : 0
; COMPUTE_PGM_RSRC2:SCRATCH_EN: 0
; COMPUTE_PGM_RSRC2:USER_SGPR: 2
; COMPUTE_PGM_RSRC2:TRAP_HANDLER: 0
; COMPUTE_PGM_RSRC2:TGID_X_EN: 1
; COMPUTE_PGM_RSRC2:TGID_Y_EN: 0
; COMPUTE_PGM_RSRC2:TGID_Z_EN: 0
; COMPUTE_PGM_RSRC2:TIDIG_COMP_CNT: 0
	.section	.text._ZN7rocprim17ROCPRIM_400000_NS6detail17trampoline_kernelINS0_14default_configENS1_25partition_config_selectorILNS1_17partition_subalgoE8EsNS0_10empty_typeEbEEZZNS1_14partition_implILS5_8ELb0ES3_jPKsPS6_PKS6_NS0_5tupleIJPsS6_EEENSE_IJSB_SB_EEENS0_18inequality_wrapperIN6hipcub16HIPCUB_304000_NS8EqualityEEEPlJS6_EEE10hipError_tPvRmT3_T4_T5_T6_T7_T9_mT8_P12ihipStream_tbDpT10_ENKUlT_T0_E_clISt17integral_constantIbLb1EES17_EEDaS12_S13_EUlS12_E_NS1_11comp_targetILNS1_3genE0ELNS1_11target_archE4294967295ELNS1_3gpuE0ELNS1_3repE0EEENS1_30default_config_static_selectorELNS0_4arch9wavefront6targetE0EEEvT1_,"axG",@progbits,_ZN7rocprim17ROCPRIM_400000_NS6detail17trampoline_kernelINS0_14default_configENS1_25partition_config_selectorILNS1_17partition_subalgoE8EsNS0_10empty_typeEbEEZZNS1_14partition_implILS5_8ELb0ES3_jPKsPS6_PKS6_NS0_5tupleIJPsS6_EEENSE_IJSB_SB_EEENS0_18inequality_wrapperIN6hipcub16HIPCUB_304000_NS8EqualityEEEPlJS6_EEE10hipError_tPvRmT3_T4_T5_T6_T7_T9_mT8_P12ihipStream_tbDpT10_ENKUlT_T0_E_clISt17integral_constantIbLb1EES17_EEDaS12_S13_EUlS12_E_NS1_11comp_targetILNS1_3genE0ELNS1_11target_archE4294967295ELNS1_3gpuE0ELNS1_3repE0EEENS1_30default_config_static_selectorELNS0_4arch9wavefront6targetE0EEEvT1_,comdat
	.protected	_ZN7rocprim17ROCPRIM_400000_NS6detail17trampoline_kernelINS0_14default_configENS1_25partition_config_selectorILNS1_17partition_subalgoE8EsNS0_10empty_typeEbEEZZNS1_14partition_implILS5_8ELb0ES3_jPKsPS6_PKS6_NS0_5tupleIJPsS6_EEENSE_IJSB_SB_EEENS0_18inequality_wrapperIN6hipcub16HIPCUB_304000_NS8EqualityEEEPlJS6_EEE10hipError_tPvRmT3_T4_T5_T6_T7_T9_mT8_P12ihipStream_tbDpT10_ENKUlT_T0_E_clISt17integral_constantIbLb1EES17_EEDaS12_S13_EUlS12_E_NS1_11comp_targetILNS1_3genE0ELNS1_11target_archE4294967295ELNS1_3gpuE0ELNS1_3repE0EEENS1_30default_config_static_selectorELNS0_4arch9wavefront6targetE0EEEvT1_ ; -- Begin function _ZN7rocprim17ROCPRIM_400000_NS6detail17trampoline_kernelINS0_14default_configENS1_25partition_config_selectorILNS1_17partition_subalgoE8EsNS0_10empty_typeEbEEZZNS1_14partition_implILS5_8ELb0ES3_jPKsPS6_PKS6_NS0_5tupleIJPsS6_EEENSE_IJSB_SB_EEENS0_18inequality_wrapperIN6hipcub16HIPCUB_304000_NS8EqualityEEEPlJS6_EEE10hipError_tPvRmT3_T4_T5_T6_T7_T9_mT8_P12ihipStream_tbDpT10_ENKUlT_T0_E_clISt17integral_constantIbLb1EES17_EEDaS12_S13_EUlS12_E_NS1_11comp_targetILNS1_3genE0ELNS1_11target_archE4294967295ELNS1_3gpuE0ELNS1_3repE0EEENS1_30default_config_static_selectorELNS0_4arch9wavefront6targetE0EEEvT1_
	.globl	_ZN7rocprim17ROCPRIM_400000_NS6detail17trampoline_kernelINS0_14default_configENS1_25partition_config_selectorILNS1_17partition_subalgoE8EsNS0_10empty_typeEbEEZZNS1_14partition_implILS5_8ELb0ES3_jPKsPS6_PKS6_NS0_5tupleIJPsS6_EEENSE_IJSB_SB_EEENS0_18inequality_wrapperIN6hipcub16HIPCUB_304000_NS8EqualityEEEPlJS6_EEE10hipError_tPvRmT3_T4_T5_T6_T7_T9_mT8_P12ihipStream_tbDpT10_ENKUlT_T0_E_clISt17integral_constantIbLb1EES17_EEDaS12_S13_EUlS12_E_NS1_11comp_targetILNS1_3genE0ELNS1_11target_archE4294967295ELNS1_3gpuE0ELNS1_3repE0EEENS1_30default_config_static_selectorELNS0_4arch9wavefront6targetE0EEEvT1_
	.p2align	8
	.type	_ZN7rocprim17ROCPRIM_400000_NS6detail17trampoline_kernelINS0_14default_configENS1_25partition_config_selectorILNS1_17partition_subalgoE8EsNS0_10empty_typeEbEEZZNS1_14partition_implILS5_8ELb0ES3_jPKsPS6_PKS6_NS0_5tupleIJPsS6_EEENSE_IJSB_SB_EEENS0_18inequality_wrapperIN6hipcub16HIPCUB_304000_NS8EqualityEEEPlJS6_EEE10hipError_tPvRmT3_T4_T5_T6_T7_T9_mT8_P12ihipStream_tbDpT10_ENKUlT_T0_E_clISt17integral_constantIbLb1EES17_EEDaS12_S13_EUlS12_E_NS1_11comp_targetILNS1_3genE0ELNS1_11target_archE4294967295ELNS1_3gpuE0ELNS1_3repE0EEENS1_30default_config_static_selectorELNS0_4arch9wavefront6targetE0EEEvT1_,@function
_ZN7rocprim17ROCPRIM_400000_NS6detail17trampoline_kernelINS0_14default_configENS1_25partition_config_selectorILNS1_17partition_subalgoE8EsNS0_10empty_typeEbEEZZNS1_14partition_implILS5_8ELb0ES3_jPKsPS6_PKS6_NS0_5tupleIJPsS6_EEENSE_IJSB_SB_EEENS0_18inequality_wrapperIN6hipcub16HIPCUB_304000_NS8EqualityEEEPlJS6_EEE10hipError_tPvRmT3_T4_T5_T6_T7_T9_mT8_P12ihipStream_tbDpT10_ENKUlT_T0_E_clISt17integral_constantIbLb1EES17_EEDaS12_S13_EUlS12_E_NS1_11comp_targetILNS1_3genE0ELNS1_11target_archE4294967295ELNS1_3gpuE0ELNS1_3repE0EEENS1_30default_config_static_selectorELNS0_4arch9wavefront6targetE0EEEvT1_: ; @_ZN7rocprim17ROCPRIM_400000_NS6detail17trampoline_kernelINS0_14default_configENS1_25partition_config_selectorILNS1_17partition_subalgoE8EsNS0_10empty_typeEbEEZZNS1_14partition_implILS5_8ELb0ES3_jPKsPS6_PKS6_NS0_5tupleIJPsS6_EEENSE_IJSB_SB_EEENS0_18inequality_wrapperIN6hipcub16HIPCUB_304000_NS8EqualityEEEPlJS6_EEE10hipError_tPvRmT3_T4_T5_T6_T7_T9_mT8_P12ihipStream_tbDpT10_ENKUlT_T0_E_clISt17integral_constantIbLb1EES17_EEDaS12_S13_EUlS12_E_NS1_11comp_targetILNS1_3genE0ELNS1_11target_archE4294967295ELNS1_3gpuE0ELNS1_3repE0EEENS1_30default_config_static_selectorELNS0_4arch9wavefront6targetE0EEEvT1_
; %bb.0:
	s_endpgm
	.section	.rodata,"a",@progbits
	.p2align	6, 0x0
	.amdhsa_kernel _ZN7rocprim17ROCPRIM_400000_NS6detail17trampoline_kernelINS0_14default_configENS1_25partition_config_selectorILNS1_17partition_subalgoE8EsNS0_10empty_typeEbEEZZNS1_14partition_implILS5_8ELb0ES3_jPKsPS6_PKS6_NS0_5tupleIJPsS6_EEENSE_IJSB_SB_EEENS0_18inequality_wrapperIN6hipcub16HIPCUB_304000_NS8EqualityEEEPlJS6_EEE10hipError_tPvRmT3_T4_T5_T6_T7_T9_mT8_P12ihipStream_tbDpT10_ENKUlT_T0_E_clISt17integral_constantIbLb1EES17_EEDaS12_S13_EUlS12_E_NS1_11comp_targetILNS1_3genE0ELNS1_11target_archE4294967295ELNS1_3gpuE0ELNS1_3repE0EEENS1_30default_config_static_selectorELNS0_4arch9wavefront6targetE0EEEvT1_
		.amdhsa_group_segment_fixed_size 0
		.amdhsa_private_segment_fixed_size 0
		.amdhsa_kernarg_size 128
		.amdhsa_user_sgpr_count 2
		.amdhsa_user_sgpr_dispatch_ptr 0
		.amdhsa_user_sgpr_queue_ptr 0
		.amdhsa_user_sgpr_kernarg_segment_ptr 1
		.amdhsa_user_sgpr_dispatch_id 0
		.amdhsa_user_sgpr_kernarg_preload_length 0
		.amdhsa_user_sgpr_kernarg_preload_offset 0
		.amdhsa_user_sgpr_private_segment_size 0
		.amdhsa_wavefront_size32 1
		.amdhsa_uses_dynamic_stack 0
		.amdhsa_enable_private_segment 0
		.amdhsa_system_sgpr_workgroup_id_x 1
		.amdhsa_system_sgpr_workgroup_id_y 0
		.amdhsa_system_sgpr_workgroup_id_z 0
		.amdhsa_system_sgpr_workgroup_info 0
		.amdhsa_system_vgpr_workitem_id 0
		.amdhsa_next_free_vgpr 1
		.amdhsa_next_free_sgpr 1
		.amdhsa_named_barrier_count 0
		.amdhsa_reserve_vcc 0
		.amdhsa_float_round_mode_32 0
		.amdhsa_float_round_mode_16_64 0
		.amdhsa_float_denorm_mode_32 3
		.amdhsa_float_denorm_mode_16_64 3
		.amdhsa_fp16_overflow 0
		.amdhsa_memory_ordered 1
		.amdhsa_forward_progress 1
		.amdhsa_inst_pref_size 1
		.amdhsa_round_robin_scheduling 0
		.amdhsa_exception_fp_ieee_invalid_op 0
		.amdhsa_exception_fp_denorm_src 0
		.amdhsa_exception_fp_ieee_div_zero 0
		.amdhsa_exception_fp_ieee_overflow 0
		.amdhsa_exception_fp_ieee_underflow 0
		.amdhsa_exception_fp_ieee_inexact 0
		.amdhsa_exception_int_div_zero 0
	.end_amdhsa_kernel
	.section	.text._ZN7rocprim17ROCPRIM_400000_NS6detail17trampoline_kernelINS0_14default_configENS1_25partition_config_selectorILNS1_17partition_subalgoE8EsNS0_10empty_typeEbEEZZNS1_14partition_implILS5_8ELb0ES3_jPKsPS6_PKS6_NS0_5tupleIJPsS6_EEENSE_IJSB_SB_EEENS0_18inequality_wrapperIN6hipcub16HIPCUB_304000_NS8EqualityEEEPlJS6_EEE10hipError_tPvRmT3_T4_T5_T6_T7_T9_mT8_P12ihipStream_tbDpT10_ENKUlT_T0_E_clISt17integral_constantIbLb1EES17_EEDaS12_S13_EUlS12_E_NS1_11comp_targetILNS1_3genE0ELNS1_11target_archE4294967295ELNS1_3gpuE0ELNS1_3repE0EEENS1_30default_config_static_selectorELNS0_4arch9wavefront6targetE0EEEvT1_,"axG",@progbits,_ZN7rocprim17ROCPRIM_400000_NS6detail17trampoline_kernelINS0_14default_configENS1_25partition_config_selectorILNS1_17partition_subalgoE8EsNS0_10empty_typeEbEEZZNS1_14partition_implILS5_8ELb0ES3_jPKsPS6_PKS6_NS0_5tupleIJPsS6_EEENSE_IJSB_SB_EEENS0_18inequality_wrapperIN6hipcub16HIPCUB_304000_NS8EqualityEEEPlJS6_EEE10hipError_tPvRmT3_T4_T5_T6_T7_T9_mT8_P12ihipStream_tbDpT10_ENKUlT_T0_E_clISt17integral_constantIbLb1EES17_EEDaS12_S13_EUlS12_E_NS1_11comp_targetILNS1_3genE0ELNS1_11target_archE4294967295ELNS1_3gpuE0ELNS1_3repE0EEENS1_30default_config_static_selectorELNS0_4arch9wavefront6targetE0EEEvT1_,comdat
.Lfunc_end556:
	.size	_ZN7rocprim17ROCPRIM_400000_NS6detail17trampoline_kernelINS0_14default_configENS1_25partition_config_selectorILNS1_17partition_subalgoE8EsNS0_10empty_typeEbEEZZNS1_14partition_implILS5_8ELb0ES3_jPKsPS6_PKS6_NS0_5tupleIJPsS6_EEENSE_IJSB_SB_EEENS0_18inequality_wrapperIN6hipcub16HIPCUB_304000_NS8EqualityEEEPlJS6_EEE10hipError_tPvRmT3_T4_T5_T6_T7_T9_mT8_P12ihipStream_tbDpT10_ENKUlT_T0_E_clISt17integral_constantIbLb1EES17_EEDaS12_S13_EUlS12_E_NS1_11comp_targetILNS1_3genE0ELNS1_11target_archE4294967295ELNS1_3gpuE0ELNS1_3repE0EEENS1_30default_config_static_selectorELNS0_4arch9wavefront6targetE0EEEvT1_, .Lfunc_end556-_ZN7rocprim17ROCPRIM_400000_NS6detail17trampoline_kernelINS0_14default_configENS1_25partition_config_selectorILNS1_17partition_subalgoE8EsNS0_10empty_typeEbEEZZNS1_14partition_implILS5_8ELb0ES3_jPKsPS6_PKS6_NS0_5tupleIJPsS6_EEENSE_IJSB_SB_EEENS0_18inequality_wrapperIN6hipcub16HIPCUB_304000_NS8EqualityEEEPlJS6_EEE10hipError_tPvRmT3_T4_T5_T6_T7_T9_mT8_P12ihipStream_tbDpT10_ENKUlT_T0_E_clISt17integral_constantIbLb1EES17_EEDaS12_S13_EUlS12_E_NS1_11comp_targetILNS1_3genE0ELNS1_11target_archE4294967295ELNS1_3gpuE0ELNS1_3repE0EEENS1_30default_config_static_selectorELNS0_4arch9wavefront6targetE0EEEvT1_
                                        ; -- End function
	.set _ZN7rocprim17ROCPRIM_400000_NS6detail17trampoline_kernelINS0_14default_configENS1_25partition_config_selectorILNS1_17partition_subalgoE8EsNS0_10empty_typeEbEEZZNS1_14partition_implILS5_8ELb0ES3_jPKsPS6_PKS6_NS0_5tupleIJPsS6_EEENSE_IJSB_SB_EEENS0_18inequality_wrapperIN6hipcub16HIPCUB_304000_NS8EqualityEEEPlJS6_EEE10hipError_tPvRmT3_T4_T5_T6_T7_T9_mT8_P12ihipStream_tbDpT10_ENKUlT_T0_E_clISt17integral_constantIbLb1EES17_EEDaS12_S13_EUlS12_E_NS1_11comp_targetILNS1_3genE0ELNS1_11target_archE4294967295ELNS1_3gpuE0ELNS1_3repE0EEENS1_30default_config_static_selectorELNS0_4arch9wavefront6targetE0EEEvT1_.num_vgpr, 0
	.set _ZN7rocprim17ROCPRIM_400000_NS6detail17trampoline_kernelINS0_14default_configENS1_25partition_config_selectorILNS1_17partition_subalgoE8EsNS0_10empty_typeEbEEZZNS1_14partition_implILS5_8ELb0ES3_jPKsPS6_PKS6_NS0_5tupleIJPsS6_EEENSE_IJSB_SB_EEENS0_18inequality_wrapperIN6hipcub16HIPCUB_304000_NS8EqualityEEEPlJS6_EEE10hipError_tPvRmT3_T4_T5_T6_T7_T9_mT8_P12ihipStream_tbDpT10_ENKUlT_T0_E_clISt17integral_constantIbLb1EES17_EEDaS12_S13_EUlS12_E_NS1_11comp_targetILNS1_3genE0ELNS1_11target_archE4294967295ELNS1_3gpuE0ELNS1_3repE0EEENS1_30default_config_static_selectorELNS0_4arch9wavefront6targetE0EEEvT1_.num_agpr, 0
	.set _ZN7rocprim17ROCPRIM_400000_NS6detail17trampoline_kernelINS0_14default_configENS1_25partition_config_selectorILNS1_17partition_subalgoE8EsNS0_10empty_typeEbEEZZNS1_14partition_implILS5_8ELb0ES3_jPKsPS6_PKS6_NS0_5tupleIJPsS6_EEENSE_IJSB_SB_EEENS0_18inequality_wrapperIN6hipcub16HIPCUB_304000_NS8EqualityEEEPlJS6_EEE10hipError_tPvRmT3_T4_T5_T6_T7_T9_mT8_P12ihipStream_tbDpT10_ENKUlT_T0_E_clISt17integral_constantIbLb1EES17_EEDaS12_S13_EUlS12_E_NS1_11comp_targetILNS1_3genE0ELNS1_11target_archE4294967295ELNS1_3gpuE0ELNS1_3repE0EEENS1_30default_config_static_selectorELNS0_4arch9wavefront6targetE0EEEvT1_.numbered_sgpr, 0
	.set _ZN7rocprim17ROCPRIM_400000_NS6detail17trampoline_kernelINS0_14default_configENS1_25partition_config_selectorILNS1_17partition_subalgoE8EsNS0_10empty_typeEbEEZZNS1_14partition_implILS5_8ELb0ES3_jPKsPS6_PKS6_NS0_5tupleIJPsS6_EEENSE_IJSB_SB_EEENS0_18inequality_wrapperIN6hipcub16HIPCUB_304000_NS8EqualityEEEPlJS6_EEE10hipError_tPvRmT3_T4_T5_T6_T7_T9_mT8_P12ihipStream_tbDpT10_ENKUlT_T0_E_clISt17integral_constantIbLb1EES17_EEDaS12_S13_EUlS12_E_NS1_11comp_targetILNS1_3genE0ELNS1_11target_archE4294967295ELNS1_3gpuE0ELNS1_3repE0EEENS1_30default_config_static_selectorELNS0_4arch9wavefront6targetE0EEEvT1_.num_named_barrier, 0
	.set _ZN7rocprim17ROCPRIM_400000_NS6detail17trampoline_kernelINS0_14default_configENS1_25partition_config_selectorILNS1_17partition_subalgoE8EsNS0_10empty_typeEbEEZZNS1_14partition_implILS5_8ELb0ES3_jPKsPS6_PKS6_NS0_5tupleIJPsS6_EEENSE_IJSB_SB_EEENS0_18inequality_wrapperIN6hipcub16HIPCUB_304000_NS8EqualityEEEPlJS6_EEE10hipError_tPvRmT3_T4_T5_T6_T7_T9_mT8_P12ihipStream_tbDpT10_ENKUlT_T0_E_clISt17integral_constantIbLb1EES17_EEDaS12_S13_EUlS12_E_NS1_11comp_targetILNS1_3genE0ELNS1_11target_archE4294967295ELNS1_3gpuE0ELNS1_3repE0EEENS1_30default_config_static_selectorELNS0_4arch9wavefront6targetE0EEEvT1_.private_seg_size, 0
	.set _ZN7rocprim17ROCPRIM_400000_NS6detail17trampoline_kernelINS0_14default_configENS1_25partition_config_selectorILNS1_17partition_subalgoE8EsNS0_10empty_typeEbEEZZNS1_14partition_implILS5_8ELb0ES3_jPKsPS6_PKS6_NS0_5tupleIJPsS6_EEENSE_IJSB_SB_EEENS0_18inequality_wrapperIN6hipcub16HIPCUB_304000_NS8EqualityEEEPlJS6_EEE10hipError_tPvRmT3_T4_T5_T6_T7_T9_mT8_P12ihipStream_tbDpT10_ENKUlT_T0_E_clISt17integral_constantIbLb1EES17_EEDaS12_S13_EUlS12_E_NS1_11comp_targetILNS1_3genE0ELNS1_11target_archE4294967295ELNS1_3gpuE0ELNS1_3repE0EEENS1_30default_config_static_selectorELNS0_4arch9wavefront6targetE0EEEvT1_.uses_vcc, 0
	.set _ZN7rocprim17ROCPRIM_400000_NS6detail17trampoline_kernelINS0_14default_configENS1_25partition_config_selectorILNS1_17partition_subalgoE8EsNS0_10empty_typeEbEEZZNS1_14partition_implILS5_8ELb0ES3_jPKsPS6_PKS6_NS0_5tupleIJPsS6_EEENSE_IJSB_SB_EEENS0_18inequality_wrapperIN6hipcub16HIPCUB_304000_NS8EqualityEEEPlJS6_EEE10hipError_tPvRmT3_T4_T5_T6_T7_T9_mT8_P12ihipStream_tbDpT10_ENKUlT_T0_E_clISt17integral_constantIbLb1EES17_EEDaS12_S13_EUlS12_E_NS1_11comp_targetILNS1_3genE0ELNS1_11target_archE4294967295ELNS1_3gpuE0ELNS1_3repE0EEENS1_30default_config_static_selectorELNS0_4arch9wavefront6targetE0EEEvT1_.uses_flat_scratch, 0
	.set _ZN7rocprim17ROCPRIM_400000_NS6detail17trampoline_kernelINS0_14default_configENS1_25partition_config_selectorILNS1_17partition_subalgoE8EsNS0_10empty_typeEbEEZZNS1_14partition_implILS5_8ELb0ES3_jPKsPS6_PKS6_NS0_5tupleIJPsS6_EEENSE_IJSB_SB_EEENS0_18inequality_wrapperIN6hipcub16HIPCUB_304000_NS8EqualityEEEPlJS6_EEE10hipError_tPvRmT3_T4_T5_T6_T7_T9_mT8_P12ihipStream_tbDpT10_ENKUlT_T0_E_clISt17integral_constantIbLb1EES17_EEDaS12_S13_EUlS12_E_NS1_11comp_targetILNS1_3genE0ELNS1_11target_archE4294967295ELNS1_3gpuE0ELNS1_3repE0EEENS1_30default_config_static_selectorELNS0_4arch9wavefront6targetE0EEEvT1_.has_dyn_sized_stack, 0
	.set _ZN7rocprim17ROCPRIM_400000_NS6detail17trampoline_kernelINS0_14default_configENS1_25partition_config_selectorILNS1_17partition_subalgoE8EsNS0_10empty_typeEbEEZZNS1_14partition_implILS5_8ELb0ES3_jPKsPS6_PKS6_NS0_5tupleIJPsS6_EEENSE_IJSB_SB_EEENS0_18inequality_wrapperIN6hipcub16HIPCUB_304000_NS8EqualityEEEPlJS6_EEE10hipError_tPvRmT3_T4_T5_T6_T7_T9_mT8_P12ihipStream_tbDpT10_ENKUlT_T0_E_clISt17integral_constantIbLb1EES17_EEDaS12_S13_EUlS12_E_NS1_11comp_targetILNS1_3genE0ELNS1_11target_archE4294967295ELNS1_3gpuE0ELNS1_3repE0EEENS1_30default_config_static_selectorELNS0_4arch9wavefront6targetE0EEEvT1_.has_recursion, 0
	.set _ZN7rocprim17ROCPRIM_400000_NS6detail17trampoline_kernelINS0_14default_configENS1_25partition_config_selectorILNS1_17partition_subalgoE8EsNS0_10empty_typeEbEEZZNS1_14partition_implILS5_8ELb0ES3_jPKsPS6_PKS6_NS0_5tupleIJPsS6_EEENSE_IJSB_SB_EEENS0_18inequality_wrapperIN6hipcub16HIPCUB_304000_NS8EqualityEEEPlJS6_EEE10hipError_tPvRmT3_T4_T5_T6_T7_T9_mT8_P12ihipStream_tbDpT10_ENKUlT_T0_E_clISt17integral_constantIbLb1EES17_EEDaS12_S13_EUlS12_E_NS1_11comp_targetILNS1_3genE0ELNS1_11target_archE4294967295ELNS1_3gpuE0ELNS1_3repE0EEENS1_30default_config_static_selectorELNS0_4arch9wavefront6targetE0EEEvT1_.has_indirect_call, 0
	.section	.AMDGPU.csdata,"",@progbits
; Kernel info:
; codeLenInByte = 4
; TotalNumSgprs: 0
; NumVgprs: 0
; ScratchSize: 0
; MemoryBound: 0
; FloatMode: 240
; IeeeMode: 1
; LDSByteSize: 0 bytes/workgroup (compile time only)
; SGPRBlocks: 0
; VGPRBlocks: 0
; NumSGPRsForWavesPerEU: 1
; NumVGPRsForWavesPerEU: 1
; NamedBarCnt: 0
; Occupancy: 16
; WaveLimiterHint : 0
; COMPUTE_PGM_RSRC2:SCRATCH_EN: 0
; COMPUTE_PGM_RSRC2:USER_SGPR: 2
; COMPUTE_PGM_RSRC2:TRAP_HANDLER: 0
; COMPUTE_PGM_RSRC2:TGID_X_EN: 1
; COMPUTE_PGM_RSRC2:TGID_Y_EN: 0
; COMPUTE_PGM_RSRC2:TGID_Z_EN: 0
; COMPUTE_PGM_RSRC2:TIDIG_COMP_CNT: 0
	.section	.text._ZN7rocprim17ROCPRIM_400000_NS6detail17trampoline_kernelINS0_14default_configENS1_25partition_config_selectorILNS1_17partition_subalgoE8EsNS0_10empty_typeEbEEZZNS1_14partition_implILS5_8ELb0ES3_jPKsPS6_PKS6_NS0_5tupleIJPsS6_EEENSE_IJSB_SB_EEENS0_18inequality_wrapperIN6hipcub16HIPCUB_304000_NS8EqualityEEEPlJS6_EEE10hipError_tPvRmT3_T4_T5_T6_T7_T9_mT8_P12ihipStream_tbDpT10_ENKUlT_T0_E_clISt17integral_constantIbLb1EES17_EEDaS12_S13_EUlS12_E_NS1_11comp_targetILNS1_3genE5ELNS1_11target_archE942ELNS1_3gpuE9ELNS1_3repE0EEENS1_30default_config_static_selectorELNS0_4arch9wavefront6targetE0EEEvT1_,"axG",@progbits,_ZN7rocprim17ROCPRIM_400000_NS6detail17trampoline_kernelINS0_14default_configENS1_25partition_config_selectorILNS1_17partition_subalgoE8EsNS0_10empty_typeEbEEZZNS1_14partition_implILS5_8ELb0ES3_jPKsPS6_PKS6_NS0_5tupleIJPsS6_EEENSE_IJSB_SB_EEENS0_18inequality_wrapperIN6hipcub16HIPCUB_304000_NS8EqualityEEEPlJS6_EEE10hipError_tPvRmT3_T4_T5_T6_T7_T9_mT8_P12ihipStream_tbDpT10_ENKUlT_T0_E_clISt17integral_constantIbLb1EES17_EEDaS12_S13_EUlS12_E_NS1_11comp_targetILNS1_3genE5ELNS1_11target_archE942ELNS1_3gpuE9ELNS1_3repE0EEENS1_30default_config_static_selectorELNS0_4arch9wavefront6targetE0EEEvT1_,comdat
	.protected	_ZN7rocprim17ROCPRIM_400000_NS6detail17trampoline_kernelINS0_14default_configENS1_25partition_config_selectorILNS1_17partition_subalgoE8EsNS0_10empty_typeEbEEZZNS1_14partition_implILS5_8ELb0ES3_jPKsPS6_PKS6_NS0_5tupleIJPsS6_EEENSE_IJSB_SB_EEENS0_18inequality_wrapperIN6hipcub16HIPCUB_304000_NS8EqualityEEEPlJS6_EEE10hipError_tPvRmT3_T4_T5_T6_T7_T9_mT8_P12ihipStream_tbDpT10_ENKUlT_T0_E_clISt17integral_constantIbLb1EES17_EEDaS12_S13_EUlS12_E_NS1_11comp_targetILNS1_3genE5ELNS1_11target_archE942ELNS1_3gpuE9ELNS1_3repE0EEENS1_30default_config_static_selectorELNS0_4arch9wavefront6targetE0EEEvT1_ ; -- Begin function _ZN7rocprim17ROCPRIM_400000_NS6detail17trampoline_kernelINS0_14default_configENS1_25partition_config_selectorILNS1_17partition_subalgoE8EsNS0_10empty_typeEbEEZZNS1_14partition_implILS5_8ELb0ES3_jPKsPS6_PKS6_NS0_5tupleIJPsS6_EEENSE_IJSB_SB_EEENS0_18inequality_wrapperIN6hipcub16HIPCUB_304000_NS8EqualityEEEPlJS6_EEE10hipError_tPvRmT3_T4_T5_T6_T7_T9_mT8_P12ihipStream_tbDpT10_ENKUlT_T0_E_clISt17integral_constantIbLb1EES17_EEDaS12_S13_EUlS12_E_NS1_11comp_targetILNS1_3genE5ELNS1_11target_archE942ELNS1_3gpuE9ELNS1_3repE0EEENS1_30default_config_static_selectorELNS0_4arch9wavefront6targetE0EEEvT1_
	.globl	_ZN7rocprim17ROCPRIM_400000_NS6detail17trampoline_kernelINS0_14default_configENS1_25partition_config_selectorILNS1_17partition_subalgoE8EsNS0_10empty_typeEbEEZZNS1_14partition_implILS5_8ELb0ES3_jPKsPS6_PKS6_NS0_5tupleIJPsS6_EEENSE_IJSB_SB_EEENS0_18inequality_wrapperIN6hipcub16HIPCUB_304000_NS8EqualityEEEPlJS6_EEE10hipError_tPvRmT3_T4_T5_T6_T7_T9_mT8_P12ihipStream_tbDpT10_ENKUlT_T0_E_clISt17integral_constantIbLb1EES17_EEDaS12_S13_EUlS12_E_NS1_11comp_targetILNS1_3genE5ELNS1_11target_archE942ELNS1_3gpuE9ELNS1_3repE0EEENS1_30default_config_static_selectorELNS0_4arch9wavefront6targetE0EEEvT1_
	.p2align	8
	.type	_ZN7rocprim17ROCPRIM_400000_NS6detail17trampoline_kernelINS0_14default_configENS1_25partition_config_selectorILNS1_17partition_subalgoE8EsNS0_10empty_typeEbEEZZNS1_14partition_implILS5_8ELb0ES3_jPKsPS6_PKS6_NS0_5tupleIJPsS6_EEENSE_IJSB_SB_EEENS0_18inequality_wrapperIN6hipcub16HIPCUB_304000_NS8EqualityEEEPlJS6_EEE10hipError_tPvRmT3_T4_T5_T6_T7_T9_mT8_P12ihipStream_tbDpT10_ENKUlT_T0_E_clISt17integral_constantIbLb1EES17_EEDaS12_S13_EUlS12_E_NS1_11comp_targetILNS1_3genE5ELNS1_11target_archE942ELNS1_3gpuE9ELNS1_3repE0EEENS1_30default_config_static_selectorELNS0_4arch9wavefront6targetE0EEEvT1_,@function
_ZN7rocprim17ROCPRIM_400000_NS6detail17trampoline_kernelINS0_14default_configENS1_25partition_config_selectorILNS1_17partition_subalgoE8EsNS0_10empty_typeEbEEZZNS1_14partition_implILS5_8ELb0ES3_jPKsPS6_PKS6_NS0_5tupleIJPsS6_EEENSE_IJSB_SB_EEENS0_18inequality_wrapperIN6hipcub16HIPCUB_304000_NS8EqualityEEEPlJS6_EEE10hipError_tPvRmT3_T4_T5_T6_T7_T9_mT8_P12ihipStream_tbDpT10_ENKUlT_T0_E_clISt17integral_constantIbLb1EES17_EEDaS12_S13_EUlS12_E_NS1_11comp_targetILNS1_3genE5ELNS1_11target_archE942ELNS1_3gpuE9ELNS1_3repE0EEENS1_30default_config_static_selectorELNS0_4arch9wavefront6targetE0EEEvT1_: ; @_ZN7rocprim17ROCPRIM_400000_NS6detail17trampoline_kernelINS0_14default_configENS1_25partition_config_selectorILNS1_17partition_subalgoE8EsNS0_10empty_typeEbEEZZNS1_14partition_implILS5_8ELb0ES3_jPKsPS6_PKS6_NS0_5tupleIJPsS6_EEENSE_IJSB_SB_EEENS0_18inequality_wrapperIN6hipcub16HIPCUB_304000_NS8EqualityEEEPlJS6_EEE10hipError_tPvRmT3_T4_T5_T6_T7_T9_mT8_P12ihipStream_tbDpT10_ENKUlT_T0_E_clISt17integral_constantIbLb1EES17_EEDaS12_S13_EUlS12_E_NS1_11comp_targetILNS1_3genE5ELNS1_11target_archE942ELNS1_3gpuE9ELNS1_3repE0EEENS1_30default_config_static_selectorELNS0_4arch9wavefront6targetE0EEEvT1_
; %bb.0:
	.section	.rodata,"a",@progbits
	.p2align	6, 0x0
	.amdhsa_kernel _ZN7rocprim17ROCPRIM_400000_NS6detail17trampoline_kernelINS0_14default_configENS1_25partition_config_selectorILNS1_17partition_subalgoE8EsNS0_10empty_typeEbEEZZNS1_14partition_implILS5_8ELb0ES3_jPKsPS6_PKS6_NS0_5tupleIJPsS6_EEENSE_IJSB_SB_EEENS0_18inequality_wrapperIN6hipcub16HIPCUB_304000_NS8EqualityEEEPlJS6_EEE10hipError_tPvRmT3_T4_T5_T6_T7_T9_mT8_P12ihipStream_tbDpT10_ENKUlT_T0_E_clISt17integral_constantIbLb1EES17_EEDaS12_S13_EUlS12_E_NS1_11comp_targetILNS1_3genE5ELNS1_11target_archE942ELNS1_3gpuE9ELNS1_3repE0EEENS1_30default_config_static_selectorELNS0_4arch9wavefront6targetE0EEEvT1_
		.amdhsa_group_segment_fixed_size 0
		.amdhsa_private_segment_fixed_size 0
		.amdhsa_kernarg_size 128
		.amdhsa_user_sgpr_count 2
		.amdhsa_user_sgpr_dispatch_ptr 0
		.amdhsa_user_sgpr_queue_ptr 0
		.amdhsa_user_sgpr_kernarg_segment_ptr 1
		.amdhsa_user_sgpr_dispatch_id 0
		.amdhsa_user_sgpr_kernarg_preload_length 0
		.amdhsa_user_sgpr_kernarg_preload_offset 0
		.amdhsa_user_sgpr_private_segment_size 0
		.amdhsa_wavefront_size32 1
		.amdhsa_uses_dynamic_stack 0
		.amdhsa_enable_private_segment 0
		.amdhsa_system_sgpr_workgroup_id_x 1
		.amdhsa_system_sgpr_workgroup_id_y 0
		.amdhsa_system_sgpr_workgroup_id_z 0
		.amdhsa_system_sgpr_workgroup_info 0
		.amdhsa_system_vgpr_workitem_id 0
		.amdhsa_next_free_vgpr 1
		.amdhsa_next_free_sgpr 1
		.amdhsa_named_barrier_count 0
		.amdhsa_reserve_vcc 0
		.amdhsa_float_round_mode_32 0
		.amdhsa_float_round_mode_16_64 0
		.amdhsa_float_denorm_mode_32 3
		.amdhsa_float_denorm_mode_16_64 3
		.amdhsa_fp16_overflow 0
		.amdhsa_memory_ordered 1
		.amdhsa_forward_progress 1
		.amdhsa_inst_pref_size 0
		.amdhsa_round_robin_scheduling 0
		.amdhsa_exception_fp_ieee_invalid_op 0
		.amdhsa_exception_fp_denorm_src 0
		.amdhsa_exception_fp_ieee_div_zero 0
		.amdhsa_exception_fp_ieee_overflow 0
		.amdhsa_exception_fp_ieee_underflow 0
		.amdhsa_exception_fp_ieee_inexact 0
		.amdhsa_exception_int_div_zero 0
	.end_amdhsa_kernel
	.section	.text._ZN7rocprim17ROCPRIM_400000_NS6detail17trampoline_kernelINS0_14default_configENS1_25partition_config_selectorILNS1_17partition_subalgoE8EsNS0_10empty_typeEbEEZZNS1_14partition_implILS5_8ELb0ES3_jPKsPS6_PKS6_NS0_5tupleIJPsS6_EEENSE_IJSB_SB_EEENS0_18inequality_wrapperIN6hipcub16HIPCUB_304000_NS8EqualityEEEPlJS6_EEE10hipError_tPvRmT3_T4_T5_T6_T7_T9_mT8_P12ihipStream_tbDpT10_ENKUlT_T0_E_clISt17integral_constantIbLb1EES17_EEDaS12_S13_EUlS12_E_NS1_11comp_targetILNS1_3genE5ELNS1_11target_archE942ELNS1_3gpuE9ELNS1_3repE0EEENS1_30default_config_static_selectorELNS0_4arch9wavefront6targetE0EEEvT1_,"axG",@progbits,_ZN7rocprim17ROCPRIM_400000_NS6detail17trampoline_kernelINS0_14default_configENS1_25partition_config_selectorILNS1_17partition_subalgoE8EsNS0_10empty_typeEbEEZZNS1_14partition_implILS5_8ELb0ES3_jPKsPS6_PKS6_NS0_5tupleIJPsS6_EEENSE_IJSB_SB_EEENS0_18inequality_wrapperIN6hipcub16HIPCUB_304000_NS8EqualityEEEPlJS6_EEE10hipError_tPvRmT3_T4_T5_T6_T7_T9_mT8_P12ihipStream_tbDpT10_ENKUlT_T0_E_clISt17integral_constantIbLb1EES17_EEDaS12_S13_EUlS12_E_NS1_11comp_targetILNS1_3genE5ELNS1_11target_archE942ELNS1_3gpuE9ELNS1_3repE0EEENS1_30default_config_static_selectorELNS0_4arch9wavefront6targetE0EEEvT1_,comdat
.Lfunc_end557:
	.size	_ZN7rocprim17ROCPRIM_400000_NS6detail17trampoline_kernelINS0_14default_configENS1_25partition_config_selectorILNS1_17partition_subalgoE8EsNS0_10empty_typeEbEEZZNS1_14partition_implILS5_8ELb0ES3_jPKsPS6_PKS6_NS0_5tupleIJPsS6_EEENSE_IJSB_SB_EEENS0_18inequality_wrapperIN6hipcub16HIPCUB_304000_NS8EqualityEEEPlJS6_EEE10hipError_tPvRmT3_T4_T5_T6_T7_T9_mT8_P12ihipStream_tbDpT10_ENKUlT_T0_E_clISt17integral_constantIbLb1EES17_EEDaS12_S13_EUlS12_E_NS1_11comp_targetILNS1_3genE5ELNS1_11target_archE942ELNS1_3gpuE9ELNS1_3repE0EEENS1_30default_config_static_selectorELNS0_4arch9wavefront6targetE0EEEvT1_, .Lfunc_end557-_ZN7rocprim17ROCPRIM_400000_NS6detail17trampoline_kernelINS0_14default_configENS1_25partition_config_selectorILNS1_17partition_subalgoE8EsNS0_10empty_typeEbEEZZNS1_14partition_implILS5_8ELb0ES3_jPKsPS6_PKS6_NS0_5tupleIJPsS6_EEENSE_IJSB_SB_EEENS0_18inequality_wrapperIN6hipcub16HIPCUB_304000_NS8EqualityEEEPlJS6_EEE10hipError_tPvRmT3_T4_T5_T6_T7_T9_mT8_P12ihipStream_tbDpT10_ENKUlT_T0_E_clISt17integral_constantIbLb1EES17_EEDaS12_S13_EUlS12_E_NS1_11comp_targetILNS1_3genE5ELNS1_11target_archE942ELNS1_3gpuE9ELNS1_3repE0EEENS1_30default_config_static_selectorELNS0_4arch9wavefront6targetE0EEEvT1_
                                        ; -- End function
	.set _ZN7rocprim17ROCPRIM_400000_NS6detail17trampoline_kernelINS0_14default_configENS1_25partition_config_selectorILNS1_17partition_subalgoE8EsNS0_10empty_typeEbEEZZNS1_14partition_implILS5_8ELb0ES3_jPKsPS6_PKS6_NS0_5tupleIJPsS6_EEENSE_IJSB_SB_EEENS0_18inequality_wrapperIN6hipcub16HIPCUB_304000_NS8EqualityEEEPlJS6_EEE10hipError_tPvRmT3_T4_T5_T6_T7_T9_mT8_P12ihipStream_tbDpT10_ENKUlT_T0_E_clISt17integral_constantIbLb1EES17_EEDaS12_S13_EUlS12_E_NS1_11comp_targetILNS1_3genE5ELNS1_11target_archE942ELNS1_3gpuE9ELNS1_3repE0EEENS1_30default_config_static_selectorELNS0_4arch9wavefront6targetE0EEEvT1_.num_vgpr, 0
	.set _ZN7rocprim17ROCPRIM_400000_NS6detail17trampoline_kernelINS0_14default_configENS1_25partition_config_selectorILNS1_17partition_subalgoE8EsNS0_10empty_typeEbEEZZNS1_14partition_implILS5_8ELb0ES3_jPKsPS6_PKS6_NS0_5tupleIJPsS6_EEENSE_IJSB_SB_EEENS0_18inequality_wrapperIN6hipcub16HIPCUB_304000_NS8EqualityEEEPlJS6_EEE10hipError_tPvRmT3_T4_T5_T6_T7_T9_mT8_P12ihipStream_tbDpT10_ENKUlT_T0_E_clISt17integral_constantIbLb1EES17_EEDaS12_S13_EUlS12_E_NS1_11comp_targetILNS1_3genE5ELNS1_11target_archE942ELNS1_3gpuE9ELNS1_3repE0EEENS1_30default_config_static_selectorELNS0_4arch9wavefront6targetE0EEEvT1_.num_agpr, 0
	.set _ZN7rocprim17ROCPRIM_400000_NS6detail17trampoline_kernelINS0_14default_configENS1_25partition_config_selectorILNS1_17partition_subalgoE8EsNS0_10empty_typeEbEEZZNS1_14partition_implILS5_8ELb0ES3_jPKsPS6_PKS6_NS0_5tupleIJPsS6_EEENSE_IJSB_SB_EEENS0_18inequality_wrapperIN6hipcub16HIPCUB_304000_NS8EqualityEEEPlJS6_EEE10hipError_tPvRmT3_T4_T5_T6_T7_T9_mT8_P12ihipStream_tbDpT10_ENKUlT_T0_E_clISt17integral_constantIbLb1EES17_EEDaS12_S13_EUlS12_E_NS1_11comp_targetILNS1_3genE5ELNS1_11target_archE942ELNS1_3gpuE9ELNS1_3repE0EEENS1_30default_config_static_selectorELNS0_4arch9wavefront6targetE0EEEvT1_.numbered_sgpr, 0
	.set _ZN7rocprim17ROCPRIM_400000_NS6detail17trampoline_kernelINS0_14default_configENS1_25partition_config_selectorILNS1_17partition_subalgoE8EsNS0_10empty_typeEbEEZZNS1_14partition_implILS5_8ELb0ES3_jPKsPS6_PKS6_NS0_5tupleIJPsS6_EEENSE_IJSB_SB_EEENS0_18inequality_wrapperIN6hipcub16HIPCUB_304000_NS8EqualityEEEPlJS6_EEE10hipError_tPvRmT3_T4_T5_T6_T7_T9_mT8_P12ihipStream_tbDpT10_ENKUlT_T0_E_clISt17integral_constantIbLb1EES17_EEDaS12_S13_EUlS12_E_NS1_11comp_targetILNS1_3genE5ELNS1_11target_archE942ELNS1_3gpuE9ELNS1_3repE0EEENS1_30default_config_static_selectorELNS0_4arch9wavefront6targetE0EEEvT1_.num_named_barrier, 0
	.set _ZN7rocprim17ROCPRIM_400000_NS6detail17trampoline_kernelINS0_14default_configENS1_25partition_config_selectorILNS1_17partition_subalgoE8EsNS0_10empty_typeEbEEZZNS1_14partition_implILS5_8ELb0ES3_jPKsPS6_PKS6_NS0_5tupleIJPsS6_EEENSE_IJSB_SB_EEENS0_18inequality_wrapperIN6hipcub16HIPCUB_304000_NS8EqualityEEEPlJS6_EEE10hipError_tPvRmT3_T4_T5_T6_T7_T9_mT8_P12ihipStream_tbDpT10_ENKUlT_T0_E_clISt17integral_constantIbLb1EES17_EEDaS12_S13_EUlS12_E_NS1_11comp_targetILNS1_3genE5ELNS1_11target_archE942ELNS1_3gpuE9ELNS1_3repE0EEENS1_30default_config_static_selectorELNS0_4arch9wavefront6targetE0EEEvT1_.private_seg_size, 0
	.set _ZN7rocprim17ROCPRIM_400000_NS6detail17trampoline_kernelINS0_14default_configENS1_25partition_config_selectorILNS1_17partition_subalgoE8EsNS0_10empty_typeEbEEZZNS1_14partition_implILS5_8ELb0ES3_jPKsPS6_PKS6_NS0_5tupleIJPsS6_EEENSE_IJSB_SB_EEENS0_18inequality_wrapperIN6hipcub16HIPCUB_304000_NS8EqualityEEEPlJS6_EEE10hipError_tPvRmT3_T4_T5_T6_T7_T9_mT8_P12ihipStream_tbDpT10_ENKUlT_T0_E_clISt17integral_constantIbLb1EES17_EEDaS12_S13_EUlS12_E_NS1_11comp_targetILNS1_3genE5ELNS1_11target_archE942ELNS1_3gpuE9ELNS1_3repE0EEENS1_30default_config_static_selectorELNS0_4arch9wavefront6targetE0EEEvT1_.uses_vcc, 0
	.set _ZN7rocprim17ROCPRIM_400000_NS6detail17trampoline_kernelINS0_14default_configENS1_25partition_config_selectorILNS1_17partition_subalgoE8EsNS0_10empty_typeEbEEZZNS1_14partition_implILS5_8ELb0ES3_jPKsPS6_PKS6_NS0_5tupleIJPsS6_EEENSE_IJSB_SB_EEENS0_18inequality_wrapperIN6hipcub16HIPCUB_304000_NS8EqualityEEEPlJS6_EEE10hipError_tPvRmT3_T4_T5_T6_T7_T9_mT8_P12ihipStream_tbDpT10_ENKUlT_T0_E_clISt17integral_constantIbLb1EES17_EEDaS12_S13_EUlS12_E_NS1_11comp_targetILNS1_3genE5ELNS1_11target_archE942ELNS1_3gpuE9ELNS1_3repE0EEENS1_30default_config_static_selectorELNS0_4arch9wavefront6targetE0EEEvT1_.uses_flat_scratch, 0
	.set _ZN7rocprim17ROCPRIM_400000_NS6detail17trampoline_kernelINS0_14default_configENS1_25partition_config_selectorILNS1_17partition_subalgoE8EsNS0_10empty_typeEbEEZZNS1_14partition_implILS5_8ELb0ES3_jPKsPS6_PKS6_NS0_5tupleIJPsS6_EEENSE_IJSB_SB_EEENS0_18inequality_wrapperIN6hipcub16HIPCUB_304000_NS8EqualityEEEPlJS6_EEE10hipError_tPvRmT3_T4_T5_T6_T7_T9_mT8_P12ihipStream_tbDpT10_ENKUlT_T0_E_clISt17integral_constantIbLb1EES17_EEDaS12_S13_EUlS12_E_NS1_11comp_targetILNS1_3genE5ELNS1_11target_archE942ELNS1_3gpuE9ELNS1_3repE0EEENS1_30default_config_static_selectorELNS0_4arch9wavefront6targetE0EEEvT1_.has_dyn_sized_stack, 0
	.set _ZN7rocprim17ROCPRIM_400000_NS6detail17trampoline_kernelINS0_14default_configENS1_25partition_config_selectorILNS1_17partition_subalgoE8EsNS0_10empty_typeEbEEZZNS1_14partition_implILS5_8ELb0ES3_jPKsPS6_PKS6_NS0_5tupleIJPsS6_EEENSE_IJSB_SB_EEENS0_18inequality_wrapperIN6hipcub16HIPCUB_304000_NS8EqualityEEEPlJS6_EEE10hipError_tPvRmT3_T4_T5_T6_T7_T9_mT8_P12ihipStream_tbDpT10_ENKUlT_T0_E_clISt17integral_constantIbLb1EES17_EEDaS12_S13_EUlS12_E_NS1_11comp_targetILNS1_3genE5ELNS1_11target_archE942ELNS1_3gpuE9ELNS1_3repE0EEENS1_30default_config_static_selectorELNS0_4arch9wavefront6targetE0EEEvT1_.has_recursion, 0
	.set _ZN7rocprim17ROCPRIM_400000_NS6detail17trampoline_kernelINS0_14default_configENS1_25partition_config_selectorILNS1_17partition_subalgoE8EsNS0_10empty_typeEbEEZZNS1_14partition_implILS5_8ELb0ES3_jPKsPS6_PKS6_NS0_5tupleIJPsS6_EEENSE_IJSB_SB_EEENS0_18inequality_wrapperIN6hipcub16HIPCUB_304000_NS8EqualityEEEPlJS6_EEE10hipError_tPvRmT3_T4_T5_T6_T7_T9_mT8_P12ihipStream_tbDpT10_ENKUlT_T0_E_clISt17integral_constantIbLb1EES17_EEDaS12_S13_EUlS12_E_NS1_11comp_targetILNS1_3genE5ELNS1_11target_archE942ELNS1_3gpuE9ELNS1_3repE0EEENS1_30default_config_static_selectorELNS0_4arch9wavefront6targetE0EEEvT1_.has_indirect_call, 0
	.section	.AMDGPU.csdata,"",@progbits
; Kernel info:
; codeLenInByte = 0
; TotalNumSgprs: 0
; NumVgprs: 0
; ScratchSize: 0
; MemoryBound: 0
; FloatMode: 240
; IeeeMode: 1
; LDSByteSize: 0 bytes/workgroup (compile time only)
; SGPRBlocks: 0
; VGPRBlocks: 0
; NumSGPRsForWavesPerEU: 1
; NumVGPRsForWavesPerEU: 1
; NamedBarCnt: 0
; Occupancy: 16
; WaveLimiterHint : 0
; COMPUTE_PGM_RSRC2:SCRATCH_EN: 0
; COMPUTE_PGM_RSRC2:USER_SGPR: 2
; COMPUTE_PGM_RSRC2:TRAP_HANDLER: 0
; COMPUTE_PGM_RSRC2:TGID_X_EN: 1
; COMPUTE_PGM_RSRC2:TGID_Y_EN: 0
; COMPUTE_PGM_RSRC2:TGID_Z_EN: 0
; COMPUTE_PGM_RSRC2:TIDIG_COMP_CNT: 0
	.section	.text._ZN7rocprim17ROCPRIM_400000_NS6detail17trampoline_kernelINS0_14default_configENS1_25partition_config_selectorILNS1_17partition_subalgoE8EsNS0_10empty_typeEbEEZZNS1_14partition_implILS5_8ELb0ES3_jPKsPS6_PKS6_NS0_5tupleIJPsS6_EEENSE_IJSB_SB_EEENS0_18inequality_wrapperIN6hipcub16HIPCUB_304000_NS8EqualityEEEPlJS6_EEE10hipError_tPvRmT3_T4_T5_T6_T7_T9_mT8_P12ihipStream_tbDpT10_ENKUlT_T0_E_clISt17integral_constantIbLb1EES17_EEDaS12_S13_EUlS12_E_NS1_11comp_targetILNS1_3genE4ELNS1_11target_archE910ELNS1_3gpuE8ELNS1_3repE0EEENS1_30default_config_static_selectorELNS0_4arch9wavefront6targetE0EEEvT1_,"axG",@progbits,_ZN7rocprim17ROCPRIM_400000_NS6detail17trampoline_kernelINS0_14default_configENS1_25partition_config_selectorILNS1_17partition_subalgoE8EsNS0_10empty_typeEbEEZZNS1_14partition_implILS5_8ELb0ES3_jPKsPS6_PKS6_NS0_5tupleIJPsS6_EEENSE_IJSB_SB_EEENS0_18inequality_wrapperIN6hipcub16HIPCUB_304000_NS8EqualityEEEPlJS6_EEE10hipError_tPvRmT3_T4_T5_T6_T7_T9_mT8_P12ihipStream_tbDpT10_ENKUlT_T0_E_clISt17integral_constantIbLb1EES17_EEDaS12_S13_EUlS12_E_NS1_11comp_targetILNS1_3genE4ELNS1_11target_archE910ELNS1_3gpuE8ELNS1_3repE0EEENS1_30default_config_static_selectorELNS0_4arch9wavefront6targetE0EEEvT1_,comdat
	.protected	_ZN7rocprim17ROCPRIM_400000_NS6detail17trampoline_kernelINS0_14default_configENS1_25partition_config_selectorILNS1_17partition_subalgoE8EsNS0_10empty_typeEbEEZZNS1_14partition_implILS5_8ELb0ES3_jPKsPS6_PKS6_NS0_5tupleIJPsS6_EEENSE_IJSB_SB_EEENS0_18inequality_wrapperIN6hipcub16HIPCUB_304000_NS8EqualityEEEPlJS6_EEE10hipError_tPvRmT3_T4_T5_T6_T7_T9_mT8_P12ihipStream_tbDpT10_ENKUlT_T0_E_clISt17integral_constantIbLb1EES17_EEDaS12_S13_EUlS12_E_NS1_11comp_targetILNS1_3genE4ELNS1_11target_archE910ELNS1_3gpuE8ELNS1_3repE0EEENS1_30default_config_static_selectorELNS0_4arch9wavefront6targetE0EEEvT1_ ; -- Begin function _ZN7rocprim17ROCPRIM_400000_NS6detail17trampoline_kernelINS0_14default_configENS1_25partition_config_selectorILNS1_17partition_subalgoE8EsNS0_10empty_typeEbEEZZNS1_14partition_implILS5_8ELb0ES3_jPKsPS6_PKS6_NS0_5tupleIJPsS6_EEENSE_IJSB_SB_EEENS0_18inequality_wrapperIN6hipcub16HIPCUB_304000_NS8EqualityEEEPlJS6_EEE10hipError_tPvRmT3_T4_T5_T6_T7_T9_mT8_P12ihipStream_tbDpT10_ENKUlT_T0_E_clISt17integral_constantIbLb1EES17_EEDaS12_S13_EUlS12_E_NS1_11comp_targetILNS1_3genE4ELNS1_11target_archE910ELNS1_3gpuE8ELNS1_3repE0EEENS1_30default_config_static_selectorELNS0_4arch9wavefront6targetE0EEEvT1_
	.globl	_ZN7rocprim17ROCPRIM_400000_NS6detail17trampoline_kernelINS0_14default_configENS1_25partition_config_selectorILNS1_17partition_subalgoE8EsNS0_10empty_typeEbEEZZNS1_14partition_implILS5_8ELb0ES3_jPKsPS6_PKS6_NS0_5tupleIJPsS6_EEENSE_IJSB_SB_EEENS0_18inequality_wrapperIN6hipcub16HIPCUB_304000_NS8EqualityEEEPlJS6_EEE10hipError_tPvRmT3_T4_T5_T6_T7_T9_mT8_P12ihipStream_tbDpT10_ENKUlT_T0_E_clISt17integral_constantIbLb1EES17_EEDaS12_S13_EUlS12_E_NS1_11comp_targetILNS1_3genE4ELNS1_11target_archE910ELNS1_3gpuE8ELNS1_3repE0EEENS1_30default_config_static_selectorELNS0_4arch9wavefront6targetE0EEEvT1_
	.p2align	8
	.type	_ZN7rocprim17ROCPRIM_400000_NS6detail17trampoline_kernelINS0_14default_configENS1_25partition_config_selectorILNS1_17partition_subalgoE8EsNS0_10empty_typeEbEEZZNS1_14partition_implILS5_8ELb0ES3_jPKsPS6_PKS6_NS0_5tupleIJPsS6_EEENSE_IJSB_SB_EEENS0_18inequality_wrapperIN6hipcub16HIPCUB_304000_NS8EqualityEEEPlJS6_EEE10hipError_tPvRmT3_T4_T5_T6_T7_T9_mT8_P12ihipStream_tbDpT10_ENKUlT_T0_E_clISt17integral_constantIbLb1EES17_EEDaS12_S13_EUlS12_E_NS1_11comp_targetILNS1_3genE4ELNS1_11target_archE910ELNS1_3gpuE8ELNS1_3repE0EEENS1_30default_config_static_selectorELNS0_4arch9wavefront6targetE0EEEvT1_,@function
_ZN7rocprim17ROCPRIM_400000_NS6detail17trampoline_kernelINS0_14default_configENS1_25partition_config_selectorILNS1_17partition_subalgoE8EsNS0_10empty_typeEbEEZZNS1_14partition_implILS5_8ELb0ES3_jPKsPS6_PKS6_NS0_5tupleIJPsS6_EEENSE_IJSB_SB_EEENS0_18inequality_wrapperIN6hipcub16HIPCUB_304000_NS8EqualityEEEPlJS6_EEE10hipError_tPvRmT3_T4_T5_T6_T7_T9_mT8_P12ihipStream_tbDpT10_ENKUlT_T0_E_clISt17integral_constantIbLb1EES17_EEDaS12_S13_EUlS12_E_NS1_11comp_targetILNS1_3genE4ELNS1_11target_archE910ELNS1_3gpuE8ELNS1_3repE0EEENS1_30default_config_static_selectorELNS0_4arch9wavefront6targetE0EEEvT1_: ; @_ZN7rocprim17ROCPRIM_400000_NS6detail17trampoline_kernelINS0_14default_configENS1_25partition_config_selectorILNS1_17partition_subalgoE8EsNS0_10empty_typeEbEEZZNS1_14partition_implILS5_8ELb0ES3_jPKsPS6_PKS6_NS0_5tupleIJPsS6_EEENSE_IJSB_SB_EEENS0_18inequality_wrapperIN6hipcub16HIPCUB_304000_NS8EqualityEEEPlJS6_EEE10hipError_tPvRmT3_T4_T5_T6_T7_T9_mT8_P12ihipStream_tbDpT10_ENKUlT_T0_E_clISt17integral_constantIbLb1EES17_EEDaS12_S13_EUlS12_E_NS1_11comp_targetILNS1_3genE4ELNS1_11target_archE910ELNS1_3gpuE8ELNS1_3repE0EEENS1_30default_config_static_selectorELNS0_4arch9wavefront6targetE0EEEvT1_
; %bb.0:
	.section	.rodata,"a",@progbits
	.p2align	6, 0x0
	.amdhsa_kernel _ZN7rocprim17ROCPRIM_400000_NS6detail17trampoline_kernelINS0_14default_configENS1_25partition_config_selectorILNS1_17partition_subalgoE8EsNS0_10empty_typeEbEEZZNS1_14partition_implILS5_8ELb0ES3_jPKsPS6_PKS6_NS0_5tupleIJPsS6_EEENSE_IJSB_SB_EEENS0_18inequality_wrapperIN6hipcub16HIPCUB_304000_NS8EqualityEEEPlJS6_EEE10hipError_tPvRmT3_T4_T5_T6_T7_T9_mT8_P12ihipStream_tbDpT10_ENKUlT_T0_E_clISt17integral_constantIbLb1EES17_EEDaS12_S13_EUlS12_E_NS1_11comp_targetILNS1_3genE4ELNS1_11target_archE910ELNS1_3gpuE8ELNS1_3repE0EEENS1_30default_config_static_selectorELNS0_4arch9wavefront6targetE0EEEvT1_
		.amdhsa_group_segment_fixed_size 0
		.amdhsa_private_segment_fixed_size 0
		.amdhsa_kernarg_size 128
		.amdhsa_user_sgpr_count 2
		.amdhsa_user_sgpr_dispatch_ptr 0
		.amdhsa_user_sgpr_queue_ptr 0
		.amdhsa_user_sgpr_kernarg_segment_ptr 1
		.amdhsa_user_sgpr_dispatch_id 0
		.amdhsa_user_sgpr_kernarg_preload_length 0
		.amdhsa_user_sgpr_kernarg_preload_offset 0
		.amdhsa_user_sgpr_private_segment_size 0
		.amdhsa_wavefront_size32 1
		.amdhsa_uses_dynamic_stack 0
		.amdhsa_enable_private_segment 0
		.amdhsa_system_sgpr_workgroup_id_x 1
		.amdhsa_system_sgpr_workgroup_id_y 0
		.amdhsa_system_sgpr_workgroup_id_z 0
		.amdhsa_system_sgpr_workgroup_info 0
		.amdhsa_system_vgpr_workitem_id 0
		.amdhsa_next_free_vgpr 1
		.amdhsa_next_free_sgpr 1
		.amdhsa_named_barrier_count 0
		.amdhsa_reserve_vcc 0
		.amdhsa_float_round_mode_32 0
		.amdhsa_float_round_mode_16_64 0
		.amdhsa_float_denorm_mode_32 3
		.amdhsa_float_denorm_mode_16_64 3
		.amdhsa_fp16_overflow 0
		.amdhsa_memory_ordered 1
		.amdhsa_forward_progress 1
		.amdhsa_inst_pref_size 0
		.amdhsa_round_robin_scheduling 0
		.amdhsa_exception_fp_ieee_invalid_op 0
		.amdhsa_exception_fp_denorm_src 0
		.amdhsa_exception_fp_ieee_div_zero 0
		.amdhsa_exception_fp_ieee_overflow 0
		.amdhsa_exception_fp_ieee_underflow 0
		.amdhsa_exception_fp_ieee_inexact 0
		.amdhsa_exception_int_div_zero 0
	.end_amdhsa_kernel
	.section	.text._ZN7rocprim17ROCPRIM_400000_NS6detail17trampoline_kernelINS0_14default_configENS1_25partition_config_selectorILNS1_17partition_subalgoE8EsNS0_10empty_typeEbEEZZNS1_14partition_implILS5_8ELb0ES3_jPKsPS6_PKS6_NS0_5tupleIJPsS6_EEENSE_IJSB_SB_EEENS0_18inequality_wrapperIN6hipcub16HIPCUB_304000_NS8EqualityEEEPlJS6_EEE10hipError_tPvRmT3_T4_T5_T6_T7_T9_mT8_P12ihipStream_tbDpT10_ENKUlT_T0_E_clISt17integral_constantIbLb1EES17_EEDaS12_S13_EUlS12_E_NS1_11comp_targetILNS1_3genE4ELNS1_11target_archE910ELNS1_3gpuE8ELNS1_3repE0EEENS1_30default_config_static_selectorELNS0_4arch9wavefront6targetE0EEEvT1_,"axG",@progbits,_ZN7rocprim17ROCPRIM_400000_NS6detail17trampoline_kernelINS0_14default_configENS1_25partition_config_selectorILNS1_17partition_subalgoE8EsNS0_10empty_typeEbEEZZNS1_14partition_implILS5_8ELb0ES3_jPKsPS6_PKS6_NS0_5tupleIJPsS6_EEENSE_IJSB_SB_EEENS0_18inequality_wrapperIN6hipcub16HIPCUB_304000_NS8EqualityEEEPlJS6_EEE10hipError_tPvRmT3_T4_T5_T6_T7_T9_mT8_P12ihipStream_tbDpT10_ENKUlT_T0_E_clISt17integral_constantIbLb1EES17_EEDaS12_S13_EUlS12_E_NS1_11comp_targetILNS1_3genE4ELNS1_11target_archE910ELNS1_3gpuE8ELNS1_3repE0EEENS1_30default_config_static_selectorELNS0_4arch9wavefront6targetE0EEEvT1_,comdat
.Lfunc_end558:
	.size	_ZN7rocprim17ROCPRIM_400000_NS6detail17trampoline_kernelINS0_14default_configENS1_25partition_config_selectorILNS1_17partition_subalgoE8EsNS0_10empty_typeEbEEZZNS1_14partition_implILS5_8ELb0ES3_jPKsPS6_PKS6_NS0_5tupleIJPsS6_EEENSE_IJSB_SB_EEENS0_18inequality_wrapperIN6hipcub16HIPCUB_304000_NS8EqualityEEEPlJS6_EEE10hipError_tPvRmT3_T4_T5_T6_T7_T9_mT8_P12ihipStream_tbDpT10_ENKUlT_T0_E_clISt17integral_constantIbLb1EES17_EEDaS12_S13_EUlS12_E_NS1_11comp_targetILNS1_3genE4ELNS1_11target_archE910ELNS1_3gpuE8ELNS1_3repE0EEENS1_30default_config_static_selectorELNS0_4arch9wavefront6targetE0EEEvT1_, .Lfunc_end558-_ZN7rocprim17ROCPRIM_400000_NS6detail17trampoline_kernelINS0_14default_configENS1_25partition_config_selectorILNS1_17partition_subalgoE8EsNS0_10empty_typeEbEEZZNS1_14partition_implILS5_8ELb0ES3_jPKsPS6_PKS6_NS0_5tupleIJPsS6_EEENSE_IJSB_SB_EEENS0_18inequality_wrapperIN6hipcub16HIPCUB_304000_NS8EqualityEEEPlJS6_EEE10hipError_tPvRmT3_T4_T5_T6_T7_T9_mT8_P12ihipStream_tbDpT10_ENKUlT_T0_E_clISt17integral_constantIbLb1EES17_EEDaS12_S13_EUlS12_E_NS1_11comp_targetILNS1_3genE4ELNS1_11target_archE910ELNS1_3gpuE8ELNS1_3repE0EEENS1_30default_config_static_selectorELNS0_4arch9wavefront6targetE0EEEvT1_
                                        ; -- End function
	.set _ZN7rocprim17ROCPRIM_400000_NS6detail17trampoline_kernelINS0_14default_configENS1_25partition_config_selectorILNS1_17partition_subalgoE8EsNS0_10empty_typeEbEEZZNS1_14partition_implILS5_8ELb0ES3_jPKsPS6_PKS6_NS0_5tupleIJPsS6_EEENSE_IJSB_SB_EEENS0_18inequality_wrapperIN6hipcub16HIPCUB_304000_NS8EqualityEEEPlJS6_EEE10hipError_tPvRmT3_T4_T5_T6_T7_T9_mT8_P12ihipStream_tbDpT10_ENKUlT_T0_E_clISt17integral_constantIbLb1EES17_EEDaS12_S13_EUlS12_E_NS1_11comp_targetILNS1_3genE4ELNS1_11target_archE910ELNS1_3gpuE8ELNS1_3repE0EEENS1_30default_config_static_selectorELNS0_4arch9wavefront6targetE0EEEvT1_.num_vgpr, 0
	.set _ZN7rocprim17ROCPRIM_400000_NS6detail17trampoline_kernelINS0_14default_configENS1_25partition_config_selectorILNS1_17partition_subalgoE8EsNS0_10empty_typeEbEEZZNS1_14partition_implILS5_8ELb0ES3_jPKsPS6_PKS6_NS0_5tupleIJPsS6_EEENSE_IJSB_SB_EEENS0_18inequality_wrapperIN6hipcub16HIPCUB_304000_NS8EqualityEEEPlJS6_EEE10hipError_tPvRmT3_T4_T5_T6_T7_T9_mT8_P12ihipStream_tbDpT10_ENKUlT_T0_E_clISt17integral_constantIbLb1EES17_EEDaS12_S13_EUlS12_E_NS1_11comp_targetILNS1_3genE4ELNS1_11target_archE910ELNS1_3gpuE8ELNS1_3repE0EEENS1_30default_config_static_selectorELNS0_4arch9wavefront6targetE0EEEvT1_.num_agpr, 0
	.set _ZN7rocprim17ROCPRIM_400000_NS6detail17trampoline_kernelINS0_14default_configENS1_25partition_config_selectorILNS1_17partition_subalgoE8EsNS0_10empty_typeEbEEZZNS1_14partition_implILS5_8ELb0ES3_jPKsPS6_PKS6_NS0_5tupleIJPsS6_EEENSE_IJSB_SB_EEENS0_18inequality_wrapperIN6hipcub16HIPCUB_304000_NS8EqualityEEEPlJS6_EEE10hipError_tPvRmT3_T4_T5_T6_T7_T9_mT8_P12ihipStream_tbDpT10_ENKUlT_T0_E_clISt17integral_constantIbLb1EES17_EEDaS12_S13_EUlS12_E_NS1_11comp_targetILNS1_3genE4ELNS1_11target_archE910ELNS1_3gpuE8ELNS1_3repE0EEENS1_30default_config_static_selectorELNS0_4arch9wavefront6targetE0EEEvT1_.numbered_sgpr, 0
	.set _ZN7rocprim17ROCPRIM_400000_NS6detail17trampoline_kernelINS0_14default_configENS1_25partition_config_selectorILNS1_17partition_subalgoE8EsNS0_10empty_typeEbEEZZNS1_14partition_implILS5_8ELb0ES3_jPKsPS6_PKS6_NS0_5tupleIJPsS6_EEENSE_IJSB_SB_EEENS0_18inequality_wrapperIN6hipcub16HIPCUB_304000_NS8EqualityEEEPlJS6_EEE10hipError_tPvRmT3_T4_T5_T6_T7_T9_mT8_P12ihipStream_tbDpT10_ENKUlT_T0_E_clISt17integral_constantIbLb1EES17_EEDaS12_S13_EUlS12_E_NS1_11comp_targetILNS1_3genE4ELNS1_11target_archE910ELNS1_3gpuE8ELNS1_3repE0EEENS1_30default_config_static_selectorELNS0_4arch9wavefront6targetE0EEEvT1_.num_named_barrier, 0
	.set _ZN7rocprim17ROCPRIM_400000_NS6detail17trampoline_kernelINS0_14default_configENS1_25partition_config_selectorILNS1_17partition_subalgoE8EsNS0_10empty_typeEbEEZZNS1_14partition_implILS5_8ELb0ES3_jPKsPS6_PKS6_NS0_5tupleIJPsS6_EEENSE_IJSB_SB_EEENS0_18inequality_wrapperIN6hipcub16HIPCUB_304000_NS8EqualityEEEPlJS6_EEE10hipError_tPvRmT3_T4_T5_T6_T7_T9_mT8_P12ihipStream_tbDpT10_ENKUlT_T0_E_clISt17integral_constantIbLb1EES17_EEDaS12_S13_EUlS12_E_NS1_11comp_targetILNS1_3genE4ELNS1_11target_archE910ELNS1_3gpuE8ELNS1_3repE0EEENS1_30default_config_static_selectorELNS0_4arch9wavefront6targetE0EEEvT1_.private_seg_size, 0
	.set _ZN7rocprim17ROCPRIM_400000_NS6detail17trampoline_kernelINS0_14default_configENS1_25partition_config_selectorILNS1_17partition_subalgoE8EsNS0_10empty_typeEbEEZZNS1_14partition_implILS5_8ELb0ES3_jPKsPS6_PKS6_NS0_5tupleIJPsS6_EEENSE_IJSB_SB_EEENS0_18inequality_wrapperIN6hipcub16HIPCUB_304000_NS8EqualityEEEPlJS6_EEE10hipError_tPvRmT3_T4_T5_T6_T7_T9_mT8_P12ihipStream_tbDpT10_ENKUlT_T0_E_clISt17integral_constantIbLb1EES17_EEDaS12_S13_EUlS12_E_NS1_11comp_targetILNS1_3genE4ELNS1_11target_archE910ELNS1_3gpuE8ELNS1_3repE0EEENS1_30default_config_static_selectorELNS0_4arch9wavefront6targetE0EEEvT1_.uses_vcc, 0
	.set _ZN7rocprim17ROCPRIM_400000_NS6detail17trampoline_kernelINS0_14default_configENS1_25partition_config_selectorILNS1_17partition_subalgoE8EsNS0_10empty_typeEbEEZZNS1_14partition_implILS5_8ELb0ES3_jPKsPS6_PKS6_NS0_5tupleIJPsS6_EEENSE_IJSB_SB_EEENS0_18inequality_wrapperIN6hipcub16HIPCUB_304000_NS8EqualityEEEPlJS6_EEE10hipError_tPvRmT3_T4_T5_T6_T7_T9_mT8_P12ihipStream_tbDpT10_ENKUlT_T0_E_clISt17integral_constantIbLb1EES17_EEDaS12_S13_EUlS12_E_NS1_11comp_targetILNS1_3genE4ELNS1_11target_archE910ELNS1_3gpuE8ELNS1_3repE0EEENS1_30default_config_static_selectorELNS0_4arch9wavefront6targetE0EEEvT1_.uses_flat_scratch, 0
	.set _ZN7rocprim17ROCPRIM_400000_NS6detail17trampoline_kernelINS0_14default_configENS1_25partition_config_selectorILNS1_17partition_subalgoE8EsNS0_10empty_typeEbEEZZNS1_14partition_implILS5_8ELb0ES3_jPKsPS6_PKS6_NS0_5tupleIJPsS6_EEENSE_IJSB_SB_EEENS0_18inequality_wrapperIN6hipcub16HIPCUB_304000_NS8EqualityEEEPlJS6_EEE10hipError_tPvRmT3_T4_T5_T6_T7_T9_mT8_P12ihipStream_tbDpT10_ENKUlT_T0_E_clISt17integral_constantIbLb1EES17_EEDaS12_S13_EUlS12_E_NS1_11comp_targetILNS1_3genE4ELNS1_11target_archE910ELNS1_3gpuE8ELNS1_3repE0EEENS1_30default_config_static_selectorELNS0_4arch9wavefront6targetE0EEEvT1_.has_dyn_sized_stack, 0
	.set _ZN7rocprim17ROCPRIM_400000_NS6detail17trampoline_kernelINS0_14default_configENS1_25partition_config_selectorILNS1_17partition_subalgoE8EsNS0_10empty_typeEbEEZZNS1_14partition_implILS5_8ELb0ES3_jPKsPS6_PKS6_NS0_5tupleIJPsS6_EEENSE_IJSB_SB_EEENS0_18inequality_wrapperIN6hipcub16HIPCUB_304000_NS8EqualityEEEPlJS6_EEE10hipError_tPvRmT3_T4_T5_T6_T7_T9_mT8_P12ihipStream_tbDpT10_ENKUlT_T0_E_clISt17integral_constantIbLb1EES17_EEDaS12_S13_EUlS12_E_NS1_11comp_targetILNS1_3genE4ELNS1_11target_archE910ELNS1_3gpuE8ELNS1_3repE0EEENS1_30default_config_static_selectorELNS0_4arch9wavefront6targetE0EEEvT1_.has_recursion, 0
	.set _ZN7rocprim17ROCPRIM_400000_NS6detail17trampoline_kernelINS0_14default_configENS1_25partition_config_selectorILNS1_17partition_subalgoE8EsNS0_10empty_typeEbEEZZNS1_14partition_implILS5_8ELb0ES3_jPKsPS6_PKS6_NS0_5tupleIJPsS6_EEENSE_IJSB_SB_EEENS0_18inequality_wrapperIN6hipcub16HIPCUB_304000_NS8EqualityEEEPlJS6_EEE10hipError_tPvRmT3_T4_T5_T6_T7_T9_mT8_P12ihipStream_tbDpT10_ENKUlT_T0_E_clISt17integral_constantIbLb1EES17_EEDaS12_S13_EUlS12_E_NS1_11comp_targetILNS1_3genE4ELNS1_11target_archE910ELNS1_3gpuE8ELNS1_3repE0EEENS1_30default_config_static_selectorELNS0_4arch9wavefront6targetE0EEEvT1_.has_indirect_call, 0
	.section	.AMDGPU.csdata,"",@progbits
; Kernel info:
; codeLenInByte = 0
; TotalNumSgprs: 0
; NumVgprs: 0
; ScratchSize: 0
; MemoryBound: 0
; FloatMode: 240
; IeeeMode: 1
; LDSByteSize: 0 bytes/workgroup (compile time only)
; SGPRBlocks: 0
; VGPRBlocks: 0
; NumSGPRsForWavesPerEU: 1
; NumVGPRsForWavesPerEU: 1
; NamedBarCnt: 0
; Occupancy: 16
; WaveLimiterHint : 0
; COMPUTE_PGM_RSRC2:SCRATCH_EN: 0
; COMPUTE_PGM_RSRC2:USER_SGPR: 2
; COMPUTE_PGM_RSRC2:TRAP_HANDLER: 0
; COMPUTE_PGM_RSRC2:TGID_X_EN: 1
; COMPUTE_PGM_RSRC2:TGID_Y_EN: 0
; COMPUTE_PGM_RSRC2:TGID_Z_EN: 0
; COMPUTE_PGM_RSRC2:TIDIG_COMP_CNT: 0
	.section	.text._ZN7rocprim17ROCPRIM_400000_NS6detail17trampoline_kernelINS0_14default_configENS1_25partition_config_selectorILNS1_17partition_subalgoE8EsNS0_10empty_typeEbEEZZNS1_14partition_implILS5_8ELb0ES3_jPKsPS6_PKS6_NS0_5tupleIJPsS6_EEENSE_IJSB_SB_EEENS0_18inequality_wrapperIN6hipcub16HIPCUB_304000_NS8EqualityEEEPlJS6_EEE10hipError_tPvRmT3_T4_T5_T6_T7_T9_mT8_P12ihipStream_tbDpT10_ENKUlT_T0_E_clISt17integral_constantIbLb1EES17_EEDaS12_S13_EUlS12_E_NS1_11comp_targetILNS1_3genE3ELNS1_11target_archE908ELNS1_3gpuE7ELNS1_3repE0EEENS1_30default_config_static_selectorELNS0_4arch9wavefront6targetE0EEEvT1_,"axG",@progbits,_ZN7rocprim17ROCPRIM_400000_NS6detail17trampoline_kernelINS0_14default_configENS1_25partition_config_selectorILNS1_17partition_subalgoE8EsNS0_10empty_typeEbEEZZNS1_14partition_implILS5_8ELb0ES3_jPKsPS6_PKS6_NS0_5tupleIJPsS6_EEENSE_IJSB_SB_EEENS0_18inequality_wrapperIN6hipcub16HIPCUB_304000_NS8EqualityEEEPlJS6_EEE10hipError_tPvRmT3_T4_T5_T6_T7_T9_mT8_P12ihipStream_tbDpT10_ENKUlT_T0_E_clISt17integral_constantIbLb1EES17_EEDaS12_S13_EUlS12_E_NS1_11comp_targetILNS1_3genE3ELNS1_11target_archE908ELNS1_3gpuE7ELNS1_3repE0EEENS1_30default_config_static_selectorELNS0_4arch9wavefront6targetE0EEEvT1_,comdat
	.protected	_ZN7rocprim17ROCPRIM_400000_NS6detail17trampoline_kernelINS0_14default_configENS1_25partition_config_selectorILNS1_17partition_subalgoE8EsNS0_10empty_typeEbEEZZNS1_14partition_implILS5_8ELb0ES3_jPKsPS6_PKS6_NS0_5tupleIJPsS6_EEENSE_IJSB_SB_EEENS0_18inequality_wrapperIN6hipcub16HIPCUB_304000_NS8EqualityEEEPlJS6_EEE10hipError_tPvRmT3_T4_T5_T6_T7_T9_mT8_P12ihipStream_tbDpT10_ENKUlT_T0_E_clISt17integral_constantIbLb1EES17_EEDaS12_S13_EUlS12_E_NS1_11comp_targetILNS1_3genE3ELNS1_11target_archE908ELNS1_3gpuE7ELNS1_3repE0EEENS1_30default_config_static_selectorELNS0_4arch9wavefront6targetE0EEEvT1_ ; -- Begin function _ZN7rocprim17ROCPRIM_400000_NS6detail17trampoline_kernelINS0_14default_configENS1_25partition_config_selectorILNS1_17partition_subalgoE8EsNS0_10empty_typeEbEEZZNS1_14partition_implILS5_8ELb0ES3_jPKsPS6_PKS6_NS0_5tupleIJPsS6_EEENSE_IJSB_SB_EEENS0_18inequality_wrapperIN6hipcub16HIPCUB_304000_NS8EqualityEEEPlJS6_EEE10hipError_tPvRmT3_T4_T5_T6_T7_T9_mT8_P12ihipStream_tbDpT10_ENKUlT_T0_E_clISt17integral_constantIbLb1EES17_EEDaS12_S13_EUlS12_E_NS1_11comp_targetILNS1_3genE3ELNS1_11target_archE908ELNS1_3gpuE7ELNS1_3repE0EEENS1_30default_config_static_selectorELNS0_4arch9wavefront6targetE0EEEvT1_
	.globl	_ZN7rocprim17ROCPRIM_400000_NS6detail17trampoline_kernelINS0_14default_configENS1_25partition_config_selectorILNS1_17partition_subalgoE8EsNS0_10empty_typeEbEEZZNS1_14partition_implILS5_8ELb0ES3_jPKsPS6_PKS6_NS0_5tupleIJPsS6_EEENSE_IJSB_SB_EEENS0_18inequality_wrapperIN6hipcub16HIPCUB_304000_NS8EqualityEEEPlJS6_EEE10hipError_tPvRmT3_T4_T5_T6_T7_T9_mT8_P12ihipStream_tbDpT10_ENKUlT_T0_E_clISt17integral_constantIbLb1EES17_EEDaS12_S13_EUlS12_E_NS1_11comp_targetILNS1_3genE3ELNS1_11target_archE908ELNS1_3gpuE7ELNS1_3repE0EEENS1_30default_config_static_selectorELNS0_4arch9wavefront6targetE0EEEvT1_
	.p2align	8
	.type	_ZN7rocprim17ROCPRIM_400000_NS6detail17trampoline_kernelINS0_14default_configENS1_25partition_config_selectorILNS1_17partition_subalgoE8EsNS0_10empty_typeEbEEZZNS1_14partition_implILS5_8ELb0ES3_jPKsPS6_PKS6_NS0_5tupleIJPsS6_EEENSE_IJSB_SB_EEENS0_18inequality_wrapperIN6hipcub16HIPCUB_304000_NS8EqualityEEEPlJS6_EEE10hipError_tPvRmT3_T4_T5_T6_T7_T9_mT8_P12ihipStream_tbDpT10_ENKUlT_T0_E_clISt17integral_constantIbLb1EES17_EEDaS12_S13_EUlS12_E_NS1_11comp_targetILNS1_3genE3ELNS1_11target_archE908ELNS1_3gpuE7ELNS1_3repE0EEENS1_30default_config_static_selectorELNS0_4arch9wavefront6targetE0EEEvT1_,@function
_ZN7rocprim17ROCPRIM_400000_NS6detail17trampoline_kernelINS0_14default_configENS1_25partition_config_selectorILNS1_17partition_subalgoE8EsNS0_10empty_typeEbEEZZNS1_14partition_implILS5_8ELb0ES3_jPKsPS6_PKS6_NS0_5tupleIJPsS6_EEENSE_IJSB_SB_EEENS0_18inequality_wrapperIN6hipcub16HIPCUB_304000_NS8EqualityEEEPlJS6_EEE10hipError_tPvRmT3_T4_T5_T6_T7_T9_mT8_P12ihipStream_tbDpT10_ENKUlT_T0_E_clISt17integral_constantIbLb1EES17_EEDaS12_S13_EUlS12_E_NS1_11comp_targetILNS1_3genE3ELNS1_11target_archE908ELNS1_3gpuE7ELNS1_3repE0EEENS1_30default_config_static_selectorELNS0_4arch9wavefront6targetE0EEEvT1_: ; @_ZN7rocprim17ROCPRIM_400000_NS6detail17trampoline_kernelINS0_14default_configENS1_25partition_config_selectorILNS1_17partition_subalgoE8EsNS0_10empty_typeEbEEZZNS1_14partition_implILS5_8ELb0ES3_jPKsPS6_PKS6_NS0_5tupleIJPsS6_EEENSE_IJSB_SB_EEENS0_18inequality_wrapperIN6hipcub16HIPCUB_304000_NS8EqualityEEEPlJS6_EEE10hipError_tPvRmT3_T4_T5_T6_T7_T9_mT8_P12ihipStream_tbDpT10_ENKUlT_T0_E_clISt17integral_constantIbLb1EES17_EEDaS12_S13_EUlS12_E_NS1_11comp_targetILNS1_3genE3ELNS1_11target_archE908ELNS1_3gpuE7ELNS1_3repE0EEENS1_30default_config_static_selectorELNS0_4arch9wavefront6targetE0EEEvT1_
; %bb.0:
	.section	.rodata,"a",@progbits
	.p2align	6, 0x0
	.amdhsa_kernel _ZN7rocprim17ROCPRIM_400000_NS6detail17trampoline_kernelINS0_14default_configENS1_25partition_config_selectorILNS1_17partition_subalgoE8EsNS0_10empty_typeEbEEZZNS1_14partition_implILS5_8ELb0ES3_jPKsPS6_PKS6_NS0_5tupleIJPsS6_EEENSE_IJSB_SB_EEENS0_18inequality_wrapperIN6hipcub16HIPCUB_304000_NS8EqualityEEEPlJS6_EEE10hipError_tPvRmT3_T4_T5_T6_T7_T9_mT8_P12ihipStream_tbDpT10_ENKUlT_T0_E_clISt17integral_constantIbLb1EES17_EEDaS12_S13_EUlS12_E_NS1_11comp_targetILNS1_3genE3ELNS1_11target_archE908ELNS1_3gpuE7ELNS1_3repE0EEENS1_30default_config_static_selectorELNS0_4arch9wavefront6targetE0EEEvT1_
		.amdhsa_group_segment_fixed_size 0
		.amdhsa_private_segment_fixed_size 0
		.amdhsa_kernarg_size 128
		.amdhsa_user_sgpr_count 2
		.amdhsa_user_sgpr_dispatch_ptr 0
		.amdhsa_user_sgpr_queue_ptr 0
		.amdhsa_user_sgpr_kernarg_segment_ptr 1
		.amdhsa_user_sgpr_dispatch_id 0
		.amdhsa_user_sgpr_kernarg_preload_length 0
		.amdhsa_user_sgpr_kernarg_preload_offset 0
		.amdhsa_user_sgpr_private_segment_size 0
		.amdhsa_wavefront_size32 1
		.amdhsa_uses_dynamic_stack 0
		.amdhsa_enable_private_segment 0
		.amdhsa_system_sgpr_workgroup_id_x 1
		.amdhsa_system_sgpr_workgroup_id_y 0
		.amdhsa_system_sgpr_workgroup_id_z 0
		.amdhsa_system_sgpr_workgroup_info 0
		.amdhsa_system_vgpr_workitem_id 0
		.amdhsa_next_free_vgpr 1
		.amdhsa_next_free_sgpr 1
		.amdhsa_named_barrier_count 0
		.amdhsa_reserve_vcc 0
		.amdhsa_float_round_mode_32 0
		.amdhsa_float_round_mode_16_64 0
		.amdhsa_float_denorm_mode_32 3
		.amdhsa_float_denorm_mode_16_64 3
		.amdhsa_fp16_overflow 0
		.amdhsa_memory_ordered 1
		.amdhsa_forward_progress 1
		.amdhsa_inst_pref_size 0
		.amdhsa_round_robin_scheduling 0
		.amdhsa_exception_fp_ieee_invalid_op 0
		.amdhsa_exception_fp_denorm_src 0
		.amdhsa_exception_fp_ieee_div_zero 0
		.amdhsa_exception_fp_ieee_overflow 0
		.amdhsa_exception_fp_ieee_underflow 0
		.amdhsa_exception_fp_ieee_inexact 0
		.amdhsa_exception_int_div_zero 0
	.end_amdhsa_kernel
	.section	.text._ZN7rocprim17ROCPRIM_400000_NS6detail17trampoline_kernelINS0_14default_configENS1_25partition_config_selectorILNS1_17partition_subalgoE8EsNS0_10empty_typeEbEEZZNS1_14partition_implILS5_8ELb0ES3_jPKsPS6_PKS6_NS0_5tupleIJPsS6_EEENSE_IJSB_SB_EEENS0_18inequality_wrapperIN6hipcub16HIPCUB_304000_NS8EqualityEEEPlJS6_EEE10hipError_tPvRmT3_T4_T5_T6_T7_T9_mT8_P12ihipStream_tbDpT10_ENKUlT_T0_E_clISt17integral_constantIbLb1EES17_EEDaS12_S13_EUlS12_E_NS1_11comp_targetILNS1_3genE3ELNS1_11target_archE908ELNS1_3gpuE7ELNS1_3repE0EEENS1_30default_config_static_selectorELNS0_4arch9wavefront6targetE0EEEvT1_,"axG",@progbits,_ZN7rocprim17ROCPRIM_400000_NS6detail17trampoline_kernelINS0_14default_configENS1_25partition_config_selectorILNS1_17partition_subalgoE8EsNS0_10empty_typeEbEEZZNS1_14partition_implILS5_8ELb0ES3_jPKsPS6_PKS6_NS0_5tupleIJPsS6_EEENSE_IJSB_SB_EEENS0_18inequality_wrapperIN6hipcub16HIPCUB_304000_NS8EqualityEEEPlJS6_EEE10hipError_tPvRmT3_T4_T5_T6_T7_T9_mT8_P12ihipStream_tbDpT10_ENKUlT_T0_E_clISt17integral_constantIbLb1EES17_EEDaS12_S13_EUlS12_E_NS1_11comp_targetILNS1_3genE3ELNS1_11target_archE908ELNS1_3gpuE7ELNS1_3repE0EEENS1_30default_config_static_selectorELNS0_4arch9wavefront6targetE0EEEvT1_,comdat
.Lfunc_end559:
	.size	_ZN7rocprim17ROCPRIM_400000_NS6detail17trampoline_kernelINS0_14default_configENS1_25partition_config_selectorILNS1_17partition_subalgoE8EsNS0_10empty_typeEbEEZZNS1_14partition_implILS5_8ELb0ES3_jPKsPS6_PKS6_NS0_5tupleIJPsS6_EEENSE_IJSB_SB_EEENS0_18inequality_wrapperIN6hipcub16HIPCUB_304000_NS8EqualityEEEPlJS6_EEE10hipError_tPvRmT3_T4_T5_T6_T7_T9_mT8_P12ihipStream_tbDpT10_ENKUlT_T0_E_clISt17integral_constantIbLb1EES17_EEDaS12_S13_EUlS12_E_NS1_11comp_targetILNS1_3genE3ELNS1_11target_archE908ELNS1_3gpuE7ELNS1_3repE0EEENS1_30default_config_static_selectorELNS0_4arch9wavefront6targetE0EEEvT1_, .Lfunc_end559-_ZN7rocprim17ROCPRIM_400000_NS6detail17trampoline_kernelINS0_14default_configENS1_25partition_config_selectorILNS1_17partition_subalgoE8EsNS0_10empty_typeEbEEZZNS1_14partition_implILS5_8ELb0ES3_jPKsPS6_PKS6_NS0_5tupleIJPsS6_EEENSE_IJSB_SB_EEENS0_18inequality_wrapperIN6hipcub16HIPCUB_304000_NS8EqualityEEEPlJS6_EEE10hipError_tPvRmT3_T4_T5_T6_T7_T9_mT8_P12ihipStream_tbDpT10_ENKUlT_T0_E_clISt17integral_constantIbLb1EES17_EEDaS12_S13_EUlS12_E_NS1_11comp_targetILNS1_3genE3ELNS1_11target_archE908ELNS1_3gpuE7ELNS1_3repE0EEENS1_30default_config_static_selectorELNS0_4arch9wavefront6targetE0EEEvT1_
                                        ; -- End function
	.set _ZN7rocprim17ROCPRIM_400000_NS6detail17trampoline_kernelINS0_14default_configENS1_25partition_config_selectorILNS1_17partition_subalgoE8EsNS0_10empty_typeEbEEZZNS1_14partition_implILS5_8ELb0ES3_jPKsPS6_PKS6_NS0_5tupleIJPsS6_EEENSE_IJSB_SB_EEENS0_18inequality_wrapperIN6hipcub16HIPCUB_304000_NS8EqualityEEEPlJS6_EEE10hipError_tPvRmT3_T4_T5_T6_T7_T9_mT8_P12ihipStream_tbDpT10_ENKUlT_T0_E_clISt17integral_constantIbLb1EES17_EEDaS12_S13_EUlS12_E_NS1_11comp_targetILNS1_3genE3ELNS1_11target_archE908ELNS1_3gpuE7ELNS1_3repE0EEENS1_30default_config_static_selectorELNS0_4arch9wavefront6targetE0EEEvT1_.num_vgpr, 0
	.set _ZN7rocprim17ROCPRIM_400000_NS6detail17trampoline_kernelINS0_14default_configENS1_25partition_config_selectorILNS1_17partition_subalgoE8EsNS0_10empty_typeEbEEZZNS1_14partition_implILS5_8ELb0ES3_jPKsPS6_PKS6_NS0_5tupleIJPsS6_EEENSE_IJSB_SB_EEENS0_18inequality_wrapperIN6hipcub16HIPCUB_304000_NS8EqualityEEEPlJS6_EEE10hipError_tPvRmT3_T4_T5_T6_T7_T9_mT8_P12ihipStream_tbDpT10_ENKUlT_T0_E_clISt17integral_constantIbLb1EES17_EEDaS12_S13_EUlS12_E_NS1_11comp_targetILNS1_3genE3ELNS1_11target_archE908ELNS1_3gpuE7ELNS1_3repE0EEENS1_30default_config_static_selectorELNS0_4arch9wavefront6targetE0EEEvT1_.num_agpr, 0
	.set _ZN7rocprim17ROCPRIM_400000_NS6detail17trampoline_kernelINS0_14default_configENS1_25partition_config_selectorILNS1_17partition_subalgoE8EsNS0_10empty_typeEbEEZZNS1_14partition_implILS5_8ELb0ES3_jPKsPS6_PKS6_NS0_5tupleIJPsS6_EEENSE_IJSB_SB_EEENS0_18inequality_wrapperIN6hipcub16HIPCUB_304000_NS8EqualityEEEPlJS6_EEE10hipError_tPvRmT3_T4_T5_T6_T7_T9_mT8_P12ihipStream_tbDpT10_ENKUlT_T0_E_clISt17integral_constantIbLb1EES17_EEDaS12_S13_EUlS12_E_NS1_11comp_targetILNS1_3genE3ELNS1_11target_archE908ELNS1_3gpuE7ELNS1_3repE0EEENS1_30default_config_static_selectorELNS0_4arch9wavefront6targetE0EEEvT1_.numbered_sgpr, 0
	.set _ZN7rocprim17ROCPRIM_400000_NS6detail17trampoline_kernelINS0_14default_configENS1_25partition_config_selectorILNS1_17partition_subalgoE8EsNS0_10empty_typeEbEEZZNS1_14partition_implILS5_8ELb0ES3_jPKsPS6_PKS6_NS0_5tupleIJPsS6_EEENSE_IJSB_SB_EEENS0_18inequality_wrapperIN6hipcub16HIPCUB_304000_NS8EqualityEEEPlJS6_EEE10hipError_tPvRmT3_T4_T5_T6_T7_T9_mT8_P12ihipStream_tbDpT10_ENKUlT_T0_E_clISt17integral_constantIbLb1EES17_EEDaS12_S13_EUlS12_E_NS1_11comp_targetILNS1_3genE3ELNS1_11target_archE908ELNS1_3gpuE7ELNS1_3repE0EEENS1_30default_config_static_selectorELNS0_4arch9wavefront6targetE0EEEvT1_.num_named_barrier, 0
	.set _ZN7rocprim17ROCPRIM_400000_NS6detail17trampoline_kernelINS0_14default_configENS1_25partition_config_selectorILNS1_17partition_subalgoE8EsNS0_10empty_typeEbEEZZNS1_14partition_implILS5_8ELb0ES3_jPKsPS6_PKS6_NS0_5tupleIJPsS6_EEENSE_IJSB_SB_EEENS0_18inequality_wrapperIN6hipcub16HIPCUB_304000_NS8EqualityEEEPlJS6_EEE10hipError_tPvRmT3_T4_T5_T6_T7_T9_mT8_P12ihipStream_tbDpT10_ENKUlT_T0_E_clISt17integral_constantIbLb1EES17_EEDaS12_S13_EUlS12_E_NS1_11comp_targetILNS1_3genE3ELNS1_11target_archE908ELNS1_3gpuE7ELNS1_3repE0EEENS1_30default_config_static_selectorELNS0_4arch9wavefront6targetE0EEEvT1_.private_seg_size, 0
	.set _ZN7rocprim17ROCPRIM_400000_NS6detail17trampoline_kernelINS0_14default_configENS1_25partition_config_selectorILNS1_17partition_subalgoE8EsNS0_10empty_typeEbEEZZNS1_14partition_implILS5_8ELb0ES3_jPKsPS6_PKS6_NS0_5tupleIJPsS6_EEENSE_IJSB_SB_EEENS0_18inequality_wrapperIN6hipcub16HIPCUB_304000_NS8EqualityEEEPlJS6_EEE10hipError_tPvRmT3_T4_T5_T6_T7_T9_mT8_P12ihipStream_tbDpT10_ENKUlT_T0_E_clISt17integral_constantIbLb1EES17_EEDaS12_S13_EUlS12_E_NS1_11comp_targetILNS1_3genE3ELNS1_11target_archE908ELNS1_3gpuE7ELNS1_3repE0EEENS1_30default_config_static_selectorELNS0_4arch9wavefront6targetE0EEEvT1_.uses_vcc, 0
	.set _ZN7rocprim17ROCPRIM_400000_NS6detail17trampoline_kernelINS0_14default_configENS1_25partition_config_selectorILNS1_17partition_subalgoE8EsNS0_10empty_typeEbEEZZNS1_14partition_implILS5_8ELb0ES3_jPKsPS6_PKS6_NS0_5tupleIJPsS6_EEENSE_IJSB_SB_EEENS0_18inequality_wrapperIN6hipcub16HIPCUB_304000_NS8EqualityEEEPlJS6_EEE10hipError_tPvRmT3_T4_T5_T6_T7_T9_mT8_P12ihipStream_tbDpT10_ENKUlT_T0_E_clISt17integral_constantIbLb1EES17_EEDaS12_S13_EUlS12_E_NS1_11comp_targetILNS1_3genE3ELNS1_11target_archE908ELNS1_3gpuE7ELNS1_3repE0EEENS1_30default_config_static_selectorELNS0_4arch9wavefront6targetE0EEEvT1_.uses_flat_scratch, 0
	.set _ZN7rocprim17ROCPRIM_400000_NS6detail17trampoline_kernelINS0_14default_configENS1_25partition_config_selectorILNS1_17partition_subalgoE8EsNS0_10empty_typeEbEEZZNS1_14partition_implILS5_8ELb0ES3_jPKsPS6_PKS6_NS0_5tupleIJPsS6_EEENSE_IJSB_SB_EEENS0_18inequality_wrapperIN6hipcub16HIPCUB_304000_NS8EqualityEEEPlJS6_EEE10hipError_tPvRmT3_T4_T5_T6_T7_T9_mT8_P12ihipStream_tbDpT10_ENKUlT_T0_E_clISt17integral_constantIbLb1EES17_EEDaS12_S13_EUlS12_E_NS1_11comp_targetILNS1_3genE3ELNS1_11target_archE908ELNS1_3gpuE7ELNS1_3repE0EEENS1_30default_config_static_selectorELNS0_4arch9wavefront6targetE0EEEvT1_.has_dyn_sized_stack, 0
	.set _ZN7rocprim17ROCPRIM_400000_NS6detail17trampoline_kernelINS0_14default_configENS1_25partition_config_selectorILNS1_17partition_subalgoE8EsNS0_10empty_typeEbEEZZNS1_14partition_implILS5_8ELb0ES3_jPKsPS6_PKS6_NS0_5tupleIJPsS6_EEENSE_IJSB_SB_EEENS0_18inequality_wrapperIN6hipcub16HIPCUB_304000_NS8EqualityEEEPlJS6_EEE10hipError_tPvRmT3_T4_T5_T6_T7_T9_mT8_P12ihipStream_tbDpT10_ENKUlT_T0_E_clISt17integral_constantIbLb1EES17_EEDaS12_S13_EUlS12_E_NS1_11comp_targetILNS1_3genE3ELNS1_11target_archE908ELNS1_3gpuE7ELNS1_3repE0EEENS1_30default_config_static_selectorELNS0_4arch9wavefront6targetE0EEEvT1_.has_recursion, 0
	.set _ZN7rocprim17ROCPRIM_400000_NS6detail17trampoline_kernelINS0_14default_configENS1_25partition_config_selectorILNS1_17partition_subalgoE8EsNS0_10empty_typeEbEEZZNS1_14partition_implILS5_8ELb0ES3_jPKsPS6_PKS6_NS0_5tupleIJPsS6_EEENSE_IJSB_SB_EEENS0_18inequality_wrapperIN6hipcub16HIPCUB_304000_NS8EqualityEEEPlJS6_EEE10hipError_tPvRmT3_T4_T5_T6_T7_T9_mT8_P12ihipStream_tbDpT10_ENKUlT_T0_E_clISt17integral_constantIbLb1EES17_EEDaS12_S13_EUlS12_E_NS1_11comp_targetILNS1_3genE3ELNS1_11target_archE908ELNS1_3gpuE7ELNS1_3repE0EEENS1_30default_config_static_selectorELNS0_4arch9wavefront6targetE0EEEvT1_.has_indirect_call, 0
	.section	.AMDGPU.csdata,"",@progbits
; Kernel info:
; codeLenInByte = 0
; TotalNumSgprs: 0
; NumVgprs: 0
; ScratchSize: 0
; MemoryBound: 0
; FloatMode: 240
; IeeeMode: 1
; LDSByteSize: 0 bytes/workgroup (compile time only)
; SGPRBlocks: 0
; VGPRBlocks: 0
; NumSGPRsForWavesPerEU: 1
; NumVGPRsForWavesPerEU: 1
; NamedBarCnt: 0
; Occupancy: 16
; WaveLimiterHint : 0
; COMPUTE_PGM_RSRC2:SCRATCH_EN: 0
; COMPUTE_PGM_RSRC2:USER_SGPR: 2
; COMPUTE_PGM_RSRC2:TRAP_HANDLER: 0
; COMPUTE_PGM_RSRC2:TGID_X_EN: 1
; COMPUTE_PGM_RSRC2:TGID_Y_EN: 0
; COMPUTE_PGM_RSRC2:TGID_Z_EN: 0
; COMPUTE_PGM_RSRC2:TIDIG_COMP_CNT: 0
	.section	.text._ZN7rocprim17ROCPRIM_400000_NS6detail17trampoline_kernelINS0_14default_configENS1_25partition_config_selectorILNS1_17partition_subalgoE8EsNS0_10empty_typeEbEEZZNS1_14partition_implILS5_8ELb0ES3_jPKsPS6_PKS6_NS0_5tupleIJPsS6_EEENSE_IJSB_SB_EEENS0_18inequality_wrapperIN6hipcub16HIPCUB_304000_NS8EqualityEEEPlJS6_EEE10hipError_tPvRmT3_T4_T5_T6_T7_T9_mT8_P12ihipStream_tbDpT10_ENKUlT_T0_E_clISt17integral_constantIbLb1EES17_EEDaS12_S13_EUlS12_E_NS1_11comp_targetILNS1_3genE2ELNS1_11target_archE906ELNS1_3gpuE6ELNS1_3repE0EEENS1_30default_config_static_selectorELNS0_4arch9wavefront6targetE0EEEvT1_,"axG",@progbits,_ZN7rocprim17ROCPRIM_400000_NS6detail17trampoline_kernelINS0_14default_configENS1_25partition_config_selectorILNS1_17partition_subalgoE8EsNS0_10empty_typeEbEEZZNS1_14partition_implILS5_8ELb0ES3_jPKsPS6_PKS6_NS0_5tupleIJPsS6_EEENSE_IJSB_SB_EEENS0_18inequality_wrapperIN6hipcub16HIPCUB_304000_NS8EqualityEEEPlJS6_EEE10hipError_tPvRmT3_T4_T5_T6_T7_T9_mT8_P12ihipStream_tbDpT10_ENKUlT_T0_E_clISt17integral_constantIbLb1EES17_EEDaS12_S13_EUlS12_E_NS1_11comp_targetILNS1_3genE2ELNS1_11target_archE906ELNS1_3gpuE6ELNS1_3repE0EEENS1_30default_config_static_selectorELNS0_4arch9wavefront6targetE0EEEvT1_,comdat
	.protected	_ZN7rocprim17ROCPRIM_400000_NS6detail17trampoline_kernelINS0_14default_configENS1_25partition_config_selectorILNS1_17partition_subalgoE8EsNS0_10empty_typeEbEEZZNS1_14partition_implILS5_8ELb0ES3_jPKsPS6_PKS6_NS0_5tupleIJPsS6_EEENSE_IJSB_SB_EEENS0_18inequality_wrapperIN6hipcub16HIPCUB_304000_NS8EqualityEEEPlJS6_EEE10hipError_tPvRmT3_T4_T5_T6_T7_T9_mT8_P12ihipStream_tbDpT10_ENKUlT_T0_E_clISt17integral_constantIbLb1EES17_EEDaS12_S13_EUlS12_E_NS1_11comp_targetILNS1_3genE2ELNS1_11target_archE906ELNS1_3gpuE6ELNS1_3repE0EEENS1_30default_config_static_selectorELNS0_4arch9wavefront6targetE0EEEvT1_ ; -- Begin function _ZN7rocprim17ROCPRIM_400000_NS6detail17trampoline_kernelINS0_14default_configENS1_25partition_config_selectorILNS1_17partition_subalgoE8EsNS0_10empty_typeEbEEZZNS1_14partition_implILS5_8ELb0ES3_jPKsPS6_PKS6_NS0_5tupleIJPsS6_EEENSE_IJSB_SB_EEENS0_18inequality_wrapperIN6hipcub16HIPCUB_304000_NS8EqualityEEEPlJS6_EEE10hipError_tPvRmT3_T4_T5_T6_T7_T9_mT8_P12ihipStream_tbDpT10_ENKUlT_T0_E_clISt17integral_constantIbLb1EES17_EEDaS12_S13_EUlS12_E_NS1_11comp_targetILNS1_3genE2ELNS1_11target_archE906ELNS1_3gpuE6ELNS1_3repE0EEENS1_30default_config_static_selectorELNS0_4arch9wavefront6targetE0EEEvT1_
	.globl	_ZN7rocprim17ROCPRIM_400000_NS6detail17trampoline_kernelINS0_14default_configENS1_25partition_config_selectorILNS1_17partition_subalgoE8EsNS0_10empty_typeEbEEZZNS1_14partition_implILS5_8ELb0ES3_jPKsPS6_PKS6_NS0_5tupleIJPsS6_EEENSE_IJSB_SB_EEENS0_18inequality_wrapperIN6hipcub16HIPCUB_304000_NS8EqualityEEEPlJS6_EEE10hipError_tPvRmT3_T4_T5_T6_T7_T9_mT8_P12ihipStream_tbDpT10_ENKUlT_T0_E_clISt17integral_constantIbLb1EES17_EEDaS12_S13_EUlS12_E_NS1_11comp_targetILNS1_3genE2ELNS1_11target_archE906ELNS1_3gpuE6ELNS1_3repE0EEENS1_30default_config_static_selectorELNS0_4arch9wavefront6targetE0EEEvT1_
	.p2align	8
	.type	_ZN7rocprim17ROCPRIM_400000_NS6detail17trampoline_kernelINS0_14default_configENS1_25partition_config_selectorILNS1_17partition_subalgoE8EsNS0_10empty_typeEbEEZZNS1_14partition_implILS5_8ELb0ES3_jPKsPS6_PKS6_NS0_5tupleIJPsS6_EEENSE_IJSB_SB_EEENS0_18inequality_wrapperIN6hipcub16HIPCUB_304000_NS8EqualityEEEPlJS6_EEE10hipError_tPvRmT3_T4_T5_T6_T7_T9_mT8_P12ihipStream_tbDpT10_ENKUlT_T0_E_clISt17integral_constantIbLb1EES17_EEDaS12_S13_EUlS12_E_NS1_11comp_targetILNS1_3genE2ELNS1_11target_archE906ELNS1_3gpuE6ELNS1_3repE0EEENS1_30default_config_static_selectorELNS0_4arch9wavefront6targetE0EEEvT1_,@function
_ZN7rocprim17ROCPRIM_400000_NS6detail17trampoline_kernelINS0_14default_configENS1_25partition_config_selectorILNS1_17partition_subalgoE8EsNS0_10empty_typeEbEEZZNS1_14partition_implILS5_8ELb0ES3_jPKsPS6_PKS6_NS0_5tupleIJPsS6_EEENSE_IJSB_SB_EEENS0_18inequality_wrapperIN6hipcub16HIPCUB_304000_NS8EqualityEEEPlJS6_EEE10hipError_tPvRmT3_T4_T5_T6_T7_T9_mT8_P12ihipStream_tbDpT10_ENKUlT_T0_E_clISt17integral_constantIbLb1EES17_EEDaS12_S13_EUlS12_E_NS1_11comp_targetILNS1_3genE2ELNS1_11target_archE906ELNS1_3gpuE6ELNS1_3repE0EEENS1_30default_config_static_selectorELNS0_4arch9wavefront6targetE0EEEvT1_: ; @_ZN7rocprim17ROCPRIM_400000_NS6detail17trampoline_kernelINS0_14default_configENS1_25partition_config_selectorILNS1_17partition_subalgoE8EsNS0_10empty_typeEbEEZZNS1_14partition_implILS5_8ELb0ES3_jPKsPS6_PKS6_NS0_5tupleIJPsS6_EEENSE_IJSB_SB_EEENS0_18inequality_wrapperIN6hipcub16HIPCUB_304000_NS8EqualityEEEPlJS6_EEE10hipError_tPvRmT3_T4_T5_T6_T7_T9_mT8_P12ihipStream_tbDpT10_ENKUlT_T0_E_clISt17integral_constantIbLb1EES17_EEDaS12_S13_EUlS12_E_NS1_11comp_targetILNS1_3genE2ELNS1_11target_archE906ELNS1_3gpuE6ELNS1_3repE0EEENS1_30default_config_static_selectorELNS0_4arch9wavefront6targetE0EEEvT1_
; %bb.0:
	.section	.rodata,"a",@progbits
	.p2align	6, 0x0
	.amdhsa_kernel _ZN7rocprim17ROCPRIM_400000_NS6detail17trampoline_kernelINS0_14default_configENS1_25partition_config_selectorILNS1_17partition_subalgoE8EsNS0_10empty_typeEbEEZZNS1_14partition_implILS5_8ELb0ES3_jPKsPS6_PKS6_NS0_5tupleIJPsS6_EEENSE_IJSB_SB_EEENS0_18inequality_wrapperIN6hipcub16HIPCUB_304000_NS8EqualityEEEPlJS6_EEE10hipError_tPvRmT3_T4_T5_T6_T7_T9_mT8_P12ihipStream_tbDpT10_ENKUlT_T0_E_clISt17integral_constantIbLb1EES17_EEDaS12_S13_EUlS12_E_NS1_11comp_targetILNS1_3genE2ELNS1_11target_archE906ELNS1_3gpuE6ELNS1_3repE0EEENS1_30default_config_static_selectorELNS0_4arch9wavefront6targetE0EEEvT1_
		.amdhsa_group_segment_fixed_size 0
		.amdhsa_private_segment_fixed_size 0
		.amdhsa_kernarg_size 128
		.amdhsa_user_sgpr_count 2
		.amdhsa_user_sgpr_dispatch_ptr 0
		.amdhsa_user_sgpr_queue_ptr 0
		.amdhsa_user_sgpr_kernarg_segment_ptr 1
		.amdhsa_user_sgpr_dispatch_id 0
		.amdhsa_user_sgpr_kernarg_preload_length 0
		.amdhsa_user_sgpr_kernarg_preload_offset 0
		.amdhsa_user_sgpr_private_segment_size 0
		.amdhsa_wavefront_size32 1
		.amdhsa_uses_dynamic_stack 0
		.amdhsa_enable_private_segment 0
		.amdhsa_system_sgpr_workgroup_id_x 1
		.amdhsa_system_sgpr_workgroup_id_y 0
		.amdhsa_system_sgpr_workgroup_id_z 0
		.amdhsa_system_sgpr_workgroup_info 0
		.amdhsa_system_vgpr_workitem_id 0
		.amdhsa_next_free_vgpr 1
		.amdhsa_next_free_sgpr 1
		.amdhsa_named_barrier_count 0
		.amdhsa_reserve_vcc 0
		.amdhsa_float_round_mode_32 0
		.amdhsa_float_round_mode_16_64 0
		.amdhsa_float_denorm_mode_32 3
		.amdhsa_float_denorm_mode_16_64 3
		.amdhsa_fp16_overflow 0
		.amdhsa_memory_ordered 1
		.amdhsa_forward_progress 1
		.amdhsa_inst_pref_size 0
		.amdhsa_round_robin_scheduling 0
		.amdhsa_exception_fp_ieee_invalid_op 0
		.amdhsa_exception_fp_denorm_src 0
		.amdhsa_exception_fp_ieee_div_zero 0
		.amdhsa_exception_fp_ieee_overflow 0
		.amdhsa_exception_fp_ieee_underflow 0
		.amdhsa_exception_fp_ieee_inexact 0
		.amdhsa_exception_int_div_zero 0
	.end_amdhsa_kernel
	.section	.text._ZN7rocprim17ROCPRIM_400000_NS6detail17trampoline_kernelINS0_14default_configENS1_25partition_config_selectorILNS1_17partition_subalgoE8EsNS0_10empty_typeEbEEZZNS1_14partition_implILS5_8ELb0ES3_jPKsPS6_PKS6_NS0_5tupleIJPsS6_EEENSE_IJSB_SB_EEENS0_18inequality_wrapperIN6hipcub16HIPCUB_304000_NS8EqualityEEEPlJS6_EEE10hipError_tPvRmT3_T4_T5_T6_T7_T9_mT8_P12ihipStream_tbDpT10_ENKUlT_T0_E_clISt17integral_constantIbLb1EES17_EEDaS12_S13_EUlS12_E_NS1_11comp_targetILNS1_3genE2ELNS1_11target_archE906ELNS1_3gpuE6ELNS1_3repE0EEENS1_30default_config_static_selectorELNS0_4arch9wavefront6targetE0EEEvT1_,"axG",@progbits,_ZN7rocprim17ROCPRIM_400000_NS6detail17trampoline_kernelINS0_14default_configENS1_25partition_config_selectorILNS1_17partition_subalgoE8EsNS0_10empty_typeEbEEZZNS1_14partition_implILS5_8ELb0ES3_jPKsPS6_PKS6_NS0_5tupleIJPsS6_EEENSE_IJSB_SB_EEENS0_18inequality_wrapperIN6hipcub16HIPCUB_304000_NS8EqualityEEEPlJS6_EEE10hipError_tPvRmT3_T4_T5_T6_T7_T9_mT8_P12ihipStream_tbDpT10_ENKUlT_T0_E_clISt17integral_constantIbLb1EES17_EEDaS12_S13_EUlS12_E_NS1_11comp_targetILNS1_3genE2ELNS1_11target_archE906ELNS1_3gpuE6ELNS1_3repE0EEENS1_30default_config_static_selectorELNS0_4arch9wavefront6targetE0EEEvT1_,comdat
.Lfunc_end560:
	.size	_ZN7rocprim17ROCPRIM_400000_NS6detail17trampoline_kernelINS0_14default_configENS1_25partition_config_selectorILNS1_17partition_subalgoE8EsNS0_10empty_typeEbEEZZNS1_14partition_implILS5_8ELb0ES3_jPKsPS6_PKS6_NS0_5tupleIJPsS6_EEENSE_IJSB_SB_EEENS0_18inequality_wrapperIN6hipcub16HIPCUB_304000_NS8EqualityEEEPlJS6_EEE10hipError_tPvRmT3_T4_T5_T6_T7_T9_mT8_P12ihipStream_tbDpT10_ENKUlT_T0_E_clISt17integral_constantIbLb1EES17_EEDaS12_S13_EUlS12_E_NS1_11comp_targetILNS1_3genE2ELNS1_11target_archE906ELNS1_3gpuE6ELNS1_3repE0EEENS1_30default_config_static_selectorELNS0_4arch9wavefront6targetE0EEEvT1_, .Lfunc_end560-_ZN7rocprim17ROCPRIM_400000_NS6detail17trampoline_kernelINS0_14default_configENS1_25partition_config_selectorILNS1_17partition_subalgoE8EsNS0_10empty_typeEbEEZZNS1_14partition_implILS5_8ELb0ES3_jPKsPS6_PKS6_NS0_5tupleIJPsS6_EEENSE_IJSB_SB_EEENS0_18inequality_wrapperIN6hipcub16HIPCUB_304000_NS8EqualityEEEPlJS6_EEE10hipError_tPvRmT3_T4_T5_T6_T7_T9_mT8_P12ihipStream_tbDpT10_ENKUlT_T0_E_clISt17integral_constantIbLb1EES17_EEDaS12_S13_EUlS12_E_NS1_11comp_targetILNS1_3genE2ELNS1_11target_archE906ELNS1_3gpuE6ELNS1_3repE0EEENS1_30default_config_static_selectorELNS0_4arch9wavefront6targetE0EEEvT1_
                                        ; -- End function
	.set _ZN7rocprim17ROCPRIM_400000_NS6detail17trampoline_kernelINS0_14default_configENS1_25partition_config_selectorILNS1_17partition_subalgoE8EsNS0_10empty_typeEbEEZZNS1_14partition_implILS5_8ELb0ES3_jPKsPS6_PKS6_NS0_5tupleIJPsS6_EEENSE_IJSB_SB_EEENS0_18inequality_wrapperIN6hipcub16HIPCUB_304000_NS8EqualityEEEPlJS6_EEE10hipError_tPvRmT3_T4_T5_T6_T7_T9_mT8_P12ihipStream_tbDpT10_ENKUlT_T0_E_clISt17integral_constantIbLb1EES17_EEDaS12_S13_EUlS12_E_NS1_11comp_targetILNS1_3genE2ELNS1_11target_archE906ELNS1_3gpuE6ELNS1_3repE0EEENS1_30default_config_static_selectorELNS0_4arch9wavefront6targetE0EEEvT1_.num_vgpr, 0
	.set _ZN7rocprim17ROCPRIM_400000_NS6detail17trampoline_kernelINS0_14default_configENS1_25partition_config_selectorILNS1_17partition_subalgoE8EsNS0_10empty_typeEbEEZZNS1_14partition_implILS5_8ELb0ES3_jPKsPS6_PKS6_NS0_5tupleIJPsS6_EEENSE_IJSB_SB_EEENS0_18inequality_wrapperIN6hipcub16HIPCUB_304000_NS8EqualityEEEPlJS6_EEE10hipError_tPvRmT3_T4_T5_T6_T7_T9_mT8_P12ihipStream_tbDpT10_ENKUlT_T0_E_clISt17integral_constantIbLb1EES17_EEDaS12_S13_EUlS12_E_NS1_11comp_targetILNS1_3genE2ELNS1_11target_archE906ELNS1_3gpuE6ELNS1_3repE0EEENS1_30default_config_static_selectorELNS0_4arch9wavefront6targetE0EEEvT1_.num_agpr, 0
	.set _ZN7rocprim17ROCPRIM_400000_NS6detail17trampoline_kernelINS0_14default_configENS1_25partition_config_selectorILNS1_17partition_subalgoE8EsNS0_10empty_typeEbEEZZNS1_14partition_implILS5_8ELb0ES3_jPKsPS6_PKS6_NS0_5tupleIJPsS6_EEENSE_IJSB_SB_EEENS0_18inequality_wrapperIN6hipcub16HIPCUB_304000_NS8EqualityEEEPlJS6_EEE10hipError_tPvRmT3_T4_T5_T6_T7_T9_mT8_P12ihipStream_tbDpT10_ENKUlT_T0_E_clISt17integral_constantIbLb1EES17_EEDaS12_S13_EUlS12_E_NS1_11comp_targetILNS1_3genE2ELNS1_11target_archE906ELNS1_3gpuE6ELNS1_3repE0EEENS1_30default_config_static_selectorELNS0_4arch9wavefront6targetE0EEEvT1_.numbered_sgpr, 0
	.set _ZN7rocprim17ROCPRIM_400000_NS6detail17trampoline_kernelINS0_14default_configENS1_25partition_config_selectorILNS1_17partition_subalgoE8EsNS0_10empty_typeEbEEZZNS1_14partition_implILS5_8ELb0ES3_jPKsPS6_PKS6_NS0_5tupleIJPsS6_EEENSE_IJSB_SB_EEENS0_18inequality_wrapperIN6hipcub16HIPCUB_304000_NS8EqualityEEEPlJS6_EEE10hipError_tPvRmT3_T4_T5_T6_T7_T9_mT8_P12ihipStream_tbDpT10_ENKUlT_T0_E_clISt17integral_constantIbLb1EES17_EEDaS12_S13_EUlS12_E_NS1_11comp_targetILNS1_3genE2ELNS1_11target_archE906ELNS1_3gpuE6ELNS1_3repE0EEENS1_30default_config_static_selectorELNS0_4arch9wavefront6targetE0EEEvT1_.num_named_barrier, 0
	.set _ZN7rocprim17ROCPRIM_400000_NS6detail17trampoline_kernelINS0_14default_configENS1_25partition_config_selectorILNS1_17partition_subalgoE8EsNS0_10empty_typeEbEEZZNS1_14partition_implILS5_8ELb0ES3_jPKsPS6_PKS6_NS0_5tupleIJPsS6_EEENSE_IJSB_SB_EEENS0_18inequality_wrapperIN6hipcub16HIPCUB_304000_NS8EqualityEEEPlJS6_EEE10hipError_tPvRmT3_T4_T5_T6_T7_T9_mT8_P12ihipStream_tbDpT10_ENKUlT_T0_E_clISt17integral_constantIbLb1EES17_EEDaS12_S13_EUlS12_E_NS1_11comp_targetILNS1_3genE2ELNS1_11target_archE906ELNS1_3gpuE6ELNS1_3repE0EEENS1_30default_config_static_selectorELNS0_4arch9wavefront6targetE0EEEvT1_.private_seg_size, 0
	.set _ZN7rocprim17ROCPRIM_400000_NS6detail17trampoline_kernelINS0_14default_configENS1_25partition_config_selectorILNS1_17partition_subalgoE8EsNS0_10empty_typeEbEEZZNS1_14partition_implILS5_8ELb0ES3_jPKsPS6_PKS6_NS0_5tupleIJPsS6_EEENSE_IJSB_SB_EEENS0_18inequality_wrapperIN6hipcub16HIPCUB_304000_NS8EqualityEEEPlJS6_EEE10hipError_tPvRmT3_T4_T5_T6_T7_T9_mT8_P12ihipStream_tbDpT10_ENKUlT_T0_E_clISt17integral_constantIbLb1EES17_EEDaS12_S13_EUlS12_E_NS1_11comp_targetILNS1_3genE2ELNS1_11target_archE906ELNS1_3gpuE6ELNS1_3repE0EEENS1_30default_config_static_selectorELNS0_4arch9wavefront6targetE0EEEvT1_.uses_vcc, 0
	.set _ZN7rocprim17ROCPRIM_400000_NS6detail17trampoline_kernelINS0_14default_configENS1_25partition_config_selectorILNS1_17partition_subalgoE8EsNS0_10empty_typeEbEEZZNS1_14partition_implILS5_8ELb0ES3_jPKsPS6_PKS6_NS0_5tupleIJPsS6_EEENSE_IJSB_SB_EEENS0_18inequality_wrapperIN6hipcub16HIPCUB_304000_NS8EqualityEEEPlJS6_EEE10hipError_tPvRmT3_T4_T5_T6_T7_T9_mT8_P12ihipStream_tbDpT10_ENKUlT_T0_E_clISt17integral_constantIbLb1EES17_EEDaS12_S13_EUlS12_E_NS1_11comp_targetILNS1_3genE2ELNS1_11target_archE906ELNS1_3gpuE6ELNS1_3repE0EEENS1_30default_config_static_selectorELNS0_4arch9wavefront6targetE0EEEvT1_.uses_flat_scratch, 0
	.set _ZN7rocprim17ROCPRIM_400000_NS6detail17trampoline_kernelINS0_14default_configENS1_25partition_config_selectorILNS1_17partition_subalgoE8EsNS0_10empty_typeEbEEZZNS1_14partition_implILS5_8ELb0ES3_jPKsPS6_PKS6_NS0_5tupleIJPsS6_EEENSE_IJSB_SB_EEENS0_18inequality_wrapperIN6hipcub16HIPCUB_304000_NS8EqualityEEEPlJS6_EEE10hipError_tPvRmT3_T4_T5_T6_T7_T9_mT8_P12ihipStream_tbDpT10_ENKUlT_T0_E_clISt17integral_constantIbLb1EES17_EEDaS12_S13_EUlS12_E_NS1_11comp_targetILNS1_3genE2ELNS1_11target_archE906ELNS1_3gpuE6ELNS1_3repE0EEENS1_30default_config_static_selectorELNS0_4arch9wavefront6targetE0EEEvT1_.has_dyn_sized_stack, 0
	.set _ZN7rocprim17ROCPRIM_400000_NS6detail17trampoline_kernelINS0_14default_configENS1_25partition_config_selectorILNS1_17partition_subalgoE8EsNS0_10empty_typeEbEEZZNS1_14partition_implILS5_8ELb0ES3_jPKsPS6_PKS6_NS0_5tupleIJPsS6_EEENSE_IJSB_SB_EEENS0_18inequality_wrapperIN6hipcub16HIPCUB_304000_NS8EqualityEEEPlJS6_EEE10hipError_tPvRmT3_T4_T5_T6_T7_T9_mT8_P12ihipStream_tbDpT10_ENKUlT_T0_E_clISt17integral_constantIbLb1EES17_EEDaS12_S13_EUlS12_E_NS1_11comp_targetILNS1_3genE2ELNS1_11target_archE906ELNS1_3gpuE6ELNS1_3repE0EEENS1_30default_config_static_selectorELNS0_4arch9wavefront6targetE0EEEvT1_.has_recursion, 0
	.set _ZN7rocprim17ROCPRIM_400000_NS6detail17trampoline_kernelINS0_14default_configENS1_25partition_config_selectorILNS1_17partition_subalgoE8EsNS0_10empty_typeEbEEZZNS1_14partition_implILS5_8ELb0ES3_jPKsPS6_PKS6_NS0_5tupleIJPsS6_EEENSE_IJSB_SB_EEENS0_18inequality_wrapperIN6hipcub16HIPCUB_304000_NS8EqualityEEEPlJS6_EEE10hipError_tPvRmT3_T4_T5_T6_T7_T9_mT8_P12ihipStream_tbDpT10_ENKUlT_T0_E_clISt17integral_constantIbLb1EES17_EEDaS12_S13_EUlS12_E_NS1_11comp_targetILNS1_3genE2ELNS1_11target_archE906ELNS1_3gpuE6ELNS1_3repE0EEENS1_30default_config_static_selectorELNS0_4arch9wavefront6targetE0EEEvT1_.has_indirect_call, 0
	.section	.AMDGPU.csdata,"",@progbits
; Kernel info:
; codeLenInByte = 0
; TotalNumSgprs: 0
; NumVgprs: 0
; ScratchSize: 0
; MemoryBound: 0
; FloatMode: 240
; IeeeMode: 1
; LDSByteSize: 0 bytes/workgroup (compile time only)
; SGPRBlocks: 0
; VGPRBlocks: 0
; NumSGPRsForWavesPerEU: 1
; NumVGPRsForWavesPerEU: 1
; NamedBarCnt: 0
; Occupancy: 16
; WaveLimiterHint : 0
; COMPUTE_PGM_RSRC2:SCRATCH_EN: 0
; COMPUTE_PGM_RSRC2:USER_SGPR: 2
; COMPUTE_PGM_RSRC2:TRAP_HANDLER: 0
; COMPUTE_PGM_RSRC2:TGID_X_EN: 1
; COMPUTE_PGM_RSRC2:TGID_Y_EN: 0
; COMPUTE_PGM_RSRC2:TGID_Z_EN: 0
; COMPUTE_PGM_RSRC2:TIDIG_COMP_CNT: 0
	.section	.text._ZN7rocprim17ROCPRIM_400000_NS6detail17trampoline_kernelINS0_14default_configENS1_25partition_config_selectorILNS1_17partition_subalgoE8EsNS0_10empty_typeEbEEZZNS1_14partition_implILS5_8ELb0ES3_jPKsPS6_PKS6_NS0_5tupleIJPsS6_EEENSE_IJSB_SB_EEENS0_18inequality_wrapperIN6hipcub16HIPCUB_304000_NS8EqualityEEEPlJS6_EEE10hipError_tPvRmT3_T4_T5_T6_T7_T9_mT8_P12ihipStream_tbDpT10_ENKUlT_T0_E_clISt17integral_constantIbLb1EES17_EEDaS12_S13_EUlS12_E_NS1_11comp_targetILNS1_3genE10ELNS1_11target_archE1200ELNS1_3gpuE4ELNS1_3repE0EEENS1_30default_config_static_selectorELNS0_4arch9wavefront6targetE0EEEvT1_,"axG",@progbits,_ZN7rocprim17ROCPRIM_400000_NS6detail17trampoline_kernelINS0_14default_configENS1_25partition_config_selectorILNS1_17partition_subalgoE8EsNS0_10empty_typeEbEEZZNS1_14partition_implILS5_8ELb0ES3_jPKsPS6_PKS6_NS0_5tupleIJPsS6_EEENSE_IJSB_SB_EEENS0_18inequality_wrapperIN6hipcub16HIPCUB_304000_NS8EqualityEEEPlJS6_EEE10hipError_tPvRmT3_T4_T5_T6_T7_T9_mT8_P12ihipStream_tbDpT10_ENKUlT_T0_E_clISt17integral_constantIbLb1EES17_EEDaS12_S13_EUlS12_E_NS1_11comp_targetILNS1_3genE10ELNS1_11target_archE1200ELNS1_3gpuE4ELNS1_3repE0EEENS1_30default_config_static_selectorELNS0_4arch9wavefront6targetE0EEEvT1_,comdat
	.protected	_ZN7rocprim17ROCPRIM_400000_NS6detail17trampoline_kernelINS0_14default_configENS1_25partition_config_selectorILNS1_17partition_subalgoE8EsNS0_10empty_typeEbEEZZNS1_14partition_implILS5_8ELb0ES3_jPKsPS6_PKS6_NS0_5tupleIJPsS6_EEENSE_IJSB_SB_EEENS0_18inequality_wrapperIN6hipcub16HIPCUB_304000_NS8EqualityEEEPlJS6_EEE10hipError_tPvRmT3_T4_T5_T6_T7_T9_mT8_P12ihipStream_tbDpT10_ENKUlT_T0_E_clISt17integral_constantIbLb1EES17_EEDaS12_S13_EUlS12_E_NS1_11comp_targetILNS1_3genE10ELNS1_11target_archE1200ELNS1_3gpuE4ELNS1_3repE0EEENS1_30default_config_static_selectorELNS0_4arch9wavefront6targetE0EEEvT1_ ; -- Begin function _ZN7rocprim17ROCPRIM_400000_NS6detail17trampoline_kernelINS0_14default_configENS1_25partition_config_selectorILNS1_17partition_subalgoE8EsNS0_10empty_typeEbEEZZNS1_14partition_implILS5_8ELb0ES3_jPKsPS6_PKS6_NS0_5tupleIJPsS6_EEENSE_IJSB_SB_EEENS0_18inequality_wrapperIN6hipcub16HIPCUB_304000_NS8EqualityEEEPlJS6_EEE10hipError_tPvRmT3_T4_T5_T6_T7_T9_mT8_P12ihipStream_tbDpT10_ENKUlT_T0_E_clISt17integral_constantIbLb1EES17_EEDaS12_S13_EUlS12_E_NS1_11comp_targetILNS1_3genE10ELNS1_11target_archE1200ELNS1_3gpuE4ELNS1_3repE0EEENS1_30default_config_static_selectorELNS0_4arch9wavefront6targetE0EEEvT1_
	.globl	_ZN7rocprim17ROCPRIM_400000_NS6detail17trampoline_kernelINS0_14default_configENS1_25partition_config_selectorILNS1_17partition_subalgoE8EsNS0_10empty_typeEbEEZZNS1_14partition_implILS5_8ELb0ES3_jPKsPS6_PKS6_NS0_5tupleIJPsS6_EEENSE_IJSB_SB_EEENS0_18inequality_wrapperIN6hipcub16HIPCUB_304000_NS8EqualityEEEPlJS6_EEE10hipError_tPvRmT3_T4_T5_T6_T7_T9_mT8_P12ihipStream_tbDpT10_ENKUlT_T0_E_clISt17integral_constantIbLb1EES17_EEDaS12_S13_EUlS12_E_NS1_11comp_targetILNS1_3genE10ELNS1_11target_archE1200ELNS1_3gpuE4ELNS1_3repE0EEENS1_30default_config_static_selectorELNS0_4arch9wavefront6targetE0EEEvT1_
	.p2align	8
	.type	_ZN7rocprim17ROCPRIM_400000_NS6detail17trampoline_kernelINS0_14default_configENS1_25partition_config_selectorILNS1_17partition_subalgoE8EsNS0_10empty_typeEbEEZZNS1_14partition_implILS5_8ELb0ES3_jPKsPS6_PKS6_NS0_5tupleIJPsS6_EEENSE_IJSB_SB_EEENS0_18inequality_wrapperIN6hipcub16HIPCUB_304000_NS8EqualityEEEPlJS6_EEE10hipError_tPvRmT3_T4_T5_T6_T7_T9_mT8_P12ihipStream_tbDpT10_ENKUlT_T0_E_clISt17integral_constantIbLb1EES17_EEDaS12_S13_EUlS12_E_NS1_11comp_targetILNS1_3genE10ELNS1_11target_archE1200ELNS1_3gpuE4ELNS1_3repE0EEENS1_30default_config_static_selectorELNS0_4arch9wavefront6targetE0EEEvT1_,@function
_ZN7rocprim17ROCPRIM_400000_NS6detail17trampoline_kernelINS0_14default_configENS1_25partition_config_selectorILNS1_17partition_subalgoE8EsNS0_10empty_typeEbEEZZNS1_14partition_implILS5_8ELb0ES3_jPKsPS6_PKS6_NS0_5tupleIJPsS6_EEENSE_IJSB_SB_EEENS0_18inequality_wrapperIN6hipcub16HIPCUB_304000_NS8EqualityEEEPlJS6_EEE10hipError_tPvRmT3_T4_T5_T6_T7_T9_mT8_P12ihipStream_tbDpT10_ENKUlT_T0_E_clISt17integral_constantIbLb1EES17_EEDaS12_S13_EUlS12_E_NS1_11comp_targetILNS1_3genE10ELNS1_11target_archE1200ELNS1_3gpuE4ELNS1_3repE0EEENS1_30default_config_static_selectorELNS0_4arch9wavefront6targetE0EEEvT1_: ; @_ZN7rocprim17ROCPRIM_400000_NS6detail17trampoline_kernelINS0_14default_configENS1_25partition_config_selectorILNS1_17partition_subalgoE8EsNS0_10empty_typeEbEEZZNS1_14partition_implILS5_8ELb0ES3_jPKsPS6_PKS6_NS0_5tupleIJPsS6_EEENSE_IJSB_SB_EEENS0_18inequality_wrapperIN6hipcub16HIPCUB_304000_NS8EqualityEEEPlJS6_EEE10hipError_tPvRmT3_T4_T5_T6_T7_T9_mT8_P12ihipStream_tbDpT10_ENKUlT_T0_E_clISt17integral_constantIbLb1EES17_EEDaS12_S13_EUlS12_E_NS1_11comp_targetILNS1_3genE10ELNS1_11target_archE1200ELNS1_3gpuE4ELNS1_3repE0EEENS1_30default_config_static_selectorELNS0_4arch9wavefront6targetE0EEEvT1_
; %bb.0:
	.section	.rodata,"a",@progbits
	.p2align	6, 0x0
	.amdhsa_kernel _ZN7rocprim17ROCPRIM_400000_NS6detail17trampoline_kernelINS0_14default_configENS1_25partition_config_selectorILNS1_17partition_subalgoE8EsNS0_10empty_typeEbEEZZNS1_14partition_implILS5_8ELb0ES3_jPKsPS6_PKS6_NS0_5tupleIJPsS6_EEENSE_IJSB_SB_EEENS0_18inequality_wrapperIN6hipcub16HIPCUB_304000_NS8EqualityEEEPlJS6_EEE10hipError_tPvRmT3_T4_T5_T6_T7_T9_mT8_P12ihipStream_tbDpT10_ENKUlT_T0_E_clISt17integral_constantIbLb1EES17_EEDaS12_S13_EUlS12_E_NS1_11comp_targetILNS1_3genE10ELNS1_11target_archE1200ELNS1_3gpuE4ELNS1_3repE0EEENS1_30default_config_static_selectorELNS0_4arch9wavefront6targetE0EEEvT1_
		.amdhsa_group_segment_fixed_size 0
		.amdhsa_private_segment_fixed_size 0
		.amdhsa_kernarg_size 128
		.amdhsa_user_sgpr_count 2
		.amdhsa_user_sgpr_dispatch_ptr 0
		.amdhsa_user_sgpr_queue_ptr 0
		.amdhsa_user_sgpr_kernarg_segment_ptr 1
		.amdhsa_user_sgpr_dispatch_id 0
		.amdhsa_user_sgpr_kernarg_preload_length 0
		.amdhsa_user_sgpr_kernarg_preload_offset 0
		.amdhsa_user_sgpr_private_segment_size 0
		.amdhsa_wavefront_size32 1
		.amdhsa_uses_dynamic_stack 0
		.amdhsa_enable_private_segment 0
		.amdhsa_system_sgpr_workgroup_id_x 1
		.amdhsa_system_sgpr_workgroup_id_y 0
		.amdhsa_system_sgpr_workgroup_id_z 0
		.amdhsa_system_sgpr_workgroup_info 0
		.amdhsa_system_vgpr_workitem_id 0
		.amdhsa_next_free_vgpr 1
		.amdhsa_next_free_sgpr 1
		.amdhsa_named_barrier_count 0
		.amdhsa_reserve_vcc 0
		.amdhsa_float_round_mode_32 0
		.amdhsa_float_round_mode_16_64 0
		.amdhsa_float_denorm_mode_32 3
		.amdhsa_float_denorm_mode_16_64 3
		.amdhsa_fp16_overflow 0
		.amdhsa_memory_ordered 1
		.amdhsa_forward_progress 1
		.amdhsa_inst_pref_size 0
		.amdhsa_round_robin_scheduling 0
		.amdhsa_exception_fp_ieee_invalid_op 0
		.amdhsa_exception_fp_denorm_src 0
		.amdhsa_exception_fp_ieee_div_zero 0
		.amdhsa_exception_fp_ieee_overflow 0
		.amdhsa_exception_fp_ieee_underflow 0
		.amdhsa_exception_fp_ieee_inexact 0
		.amdhsa_exception_int_div_zero 0
	.end_amdhsa_kernel
	.section	.text._ZN7rocprim17ROCPRIM_400000_NS6detail17trampoline_kernelINS0_14default_configENS1_25partition_config_selectorILNS1_17partition_subalgoE8EsNS0_10empty_typeEbEEZZNS1_14partition_implILS5_8ELb0ES3_jPKsPS6_PKS6_NS0_5tupleIJPsS6_EEENSE_IJSB_SB_EEENS0_18inequality_wrapperIN6hipcub16HIPCUB_304000_NS8EqualityEEEPlJS6_EEE10hipError_tPvRmT3_T4_T5_T6_T7_T9_mT8_P12ihipStream_tbDpT10_ENKUlT_T0_E_clISt17integral_constantIbLb1EES17_EEDaS12_S13_EUlS12_E_NS1_11comp_targetILNS1_3genE10ELNS1_11target_archE1200ELNS1_3gpuE4ELNS1_3repE0EEENS1_30default_config_static_selectorELNS0_4arch9wavefront6targetE0EEEvT1_,"axG",@progbits,_ZN7rocprim17ROCPRIM_400000_NS6detail17trampoline_kernelINS0_14default_configENS1_25partition_config_selectorILNS1_17partition_subalgoE8EsNS0_10empty_typeEbEEZZNS1_14partition_implILS5_8ELb0ES3_jPKsPS6_PKS6_NS0_5tupleIJPsS6_EEENSE_IJSB_SB_EEENS0_18inequality_wrapperIN6hipcub16HIPCUB_304000_NS8EqualityEEEPlJS6_EEE10hipError_tPvRmT3_T4_T5_T6_T7_T9_mT8_P12ihipStream_tbDpT10_ENKUlT_T0_E_clISt17integral_constantIbLb1EES17_EEDaS12_S13_EUlS12_E_NS1_11comp_targetILNS1_3genE10ELNS1_11target_archE1200ELNS1_3gpuE4ELNS1_3repE0EEENS1_30default_config_static_selectorELNS0_4arch9wavefront6targetE0EEEvT1_,comdat
.Lfunc_end561:
	.size	_ZN7rocprim17ROCPRIM_400000_NS6detail17trampoline_kernelINS0_14default_configENS1_25partition_config_selectorILNS1_17partition_subalgoE8EsNS0_10empty_typeEbEEZZNS1_14partition_implILS5_8ELb0ES3_jPKsPS6_PKS6_NS0_5tupleIJPsS6_EEENSE_IJSB_SB_EEENS0_18inequality_wrapperIN6hipcub16HIPCUB_304000_NS8EqualityEEEPlJS6_EEE10hipError_tPvRmT3_T4_T5_T6_T7_T9_mT8_P12ihipStream_tbDpT10_ENKUlT_T0_E_clISt17integral_constantIbLb1EES17_EEDaS12_S13_EUlS12_E_NS1_11comp_targetILNS1_3genE10ELNS1_11target_archE1200ELNS1_3gpuE4ELNS1_3repE0EEENS1_30default_config_static_selectorELNS0_4arch9wavefront6targetE0EEEvT1_, .Lfunc_end561-_ZN7rocprim17ROCPRIM_400000_NS6detail17trampoline_kernelINS0_14default_configENS1_25partition_config_selectorILNS1_17partition_subalgoE8EsNS0_10empty_typeEbEEZZNS1_14partition_implILS5_8ELb0ES3_jPKsPS6_PKS6_NS0_5tupleIJPsS6_EEENSE_IJSB_SB_EEENS0_18inequality_wrapperIN6hipcub16HIPCUB_304000_NS8EqualityEEEPlJS6_EEE10hipError_tPvRmT3_T4_T5_T6_T7_T9_mT8_P12ihipStream_tbDpT10_ENKUlT_T0_E_clISt17integral_constantIbLb1EES17_EEDaS12_S13_EUlS12_E_NS1_11comp_targetILNS1_3genE10ELNS1_11target_archE1200ELNS1_3gpuE4ELNS1_3repE0EEENS1_30default_config_static_selectorELNS0_4arch9wavefront6targetE0EEEvT1_
                                        ; -- End function
	.set _ZN7rocprim17ROCPRIM_400000_NS6detail17trampoline_kernelINS0_14default_configENS1_25partition_config_selectorILNS1_17partition_subalgoE8EsNS0_10empty_typeEbEEZZNS1_14partition_implILS5_8ELb0ES3_jPKsPS6_PKS6_NS0_5tupleIJPsS6_EEENSE_IJSB_SB_EEENS0_18inequality_wrapperIN6hipcub16HIPCUB_304000_NS8EqualityEEEPlJS6_EEE10hipError_tPvRmT3_T4_T5_T6_T7_T9_mT8_P12ihipStream_tbDpT10_ENKUlT_T0_E_clISt17integral_constantIbLb1EES17_EEDaS12_S13_EUlS12_E_NS1_11comp_targetILNS1_3genE10ELNS1_11target_archE1200ELNS1_3gpuE4ELNS1_3repE0EEENS1_30default_config_static_selectorELNS0_4arch9wavefront6targetE0EEEvT1_.num_vgpr, 0
	.set _ZN7rocprim17ROCPRIM_400000_NS6detail17trampoline_kernelINS0_14default_configENS1_25partition_config_selectorILNS1_17partition_subalgoE8EsNS0_10empty_typeEbEEZZNS1_14partition_implILS5_8ELb0ES3_jPKsPS6_PKS6_NS0_5tupleIJPsS6_EEENSE_IJSB_SB_EEENS0_18inequality_wrapperIN6hipcub16HIPCUB_304000_NS8EqualityEEEPlJS6_EEE10hipError_tPvRmT3_T4_T5_T6_T7_T9_mT8_P12ihipStream_tbDpT10_ENKUlT_T0_E_clISt17integral_constantIbLb1EES17_EEDaS12_S13_EUlS12_E_NS1_11comp_targetILNS1_3genE10ELNS1_11target_archE1200ELNS1_3gpuE4ELNS1_3repE0EEENS1_30default_config_static_selectorELNS0_4arch9wavefront6targetE0EEEvT1_.num_agpr, 0
	.set _ZN7rocprim17ROCPRIM_400000_NS6detail17trampoline_kernelINS0_14default_configENS1_25partition_config_selectorILNS1_17partition_subalgoE8EsNS0_10empty_typeEbEEZZNS1_14partition_implILS5_8ELb0ES3_jPKsPS6_PKS6_NS0_5tupleIJPsS6_EEENSE_IJSB_SB_EEENS0_18inequality_wrapperIN6hipcub16HIPCUB_304000_NS8EqualityEEEPlJS6_EEE10hipError_tPvRmT3_T4_T5_T6_T7_T9_mT8_P12ihipStream_tbDpT10_ENKUlT_T0_E_clISt17integral_constantIbLb1EES17_EEDaS12_S13_EUlS12_E_NS1_11comp_targetILNS1_3genE10ELNS1_11target_archE1200ELNS1_3gpuE4ELNS1_3repE0EEENS1_30default_config_static_selectorELNS0_4arch9wavefront6targetE0EEEvT1_.numbered_sgpr, 0
	.set _ZN7rocprim17ROCPRIM_400000_NS6detail17trampoline_kernelINS0_14default_configENS1_25partition_config_selectorILNS1_17partition_subalgoE8EsNS0_10empty_typeEbEEZZNS1_14partition_implILS5_8ELb0ES3_jPKsPS6_PKS6_NS0_5tupleIJPsS6_EEENSE_IJSB_SB_EEENS0_18inequality_wrapperIN6hipcub16HIPCUB_304000_NS8EqualityEEEPlJS6_EEE10hipError_tPvRmT3_T4_T5_T6_T7_T9_mT8_P12ihipStream_tbDpT10_ENKUlT_T0_E_clISt17integral_constantIbLb1EES17_EEDaS12_S13_EUlS12_E_NS1_11comp_targetILNS1_3genE10ELNS1_11target_archE1200ELNS1_3gpuE4ELNS1_3repE0EEENS1_30default_config_static_selectorELNS0_4arch9wavefront6targetE0EEEvT1_.num_named_barrier, 0
	.set _ZN7rocprim17ROCPRIM_400000_NS6detail17trampoline_kernelINS0_14default_configENS1_25partition_config_selectorILNS1_17partition_subalgoE8EsNS0_10empty_typeEbEEZZNS1_14partition_implILS5_8ELb0ES3_jPKsPS6_PKS6_NS0_5tupleIJPsS6_EEENSE_IJSB_SB_EEENS0_18inequality_wrapperIN6hipcub16HIPCUB_304000_NS8EqualityEEEPlJS6_EEE10hipError_tPvRmT3_T4_T5_T6_T7_T9_mT8_P12ihipStream_tbDpT10_ENKUlT_T0_E_clISt17integral_constantIbLb1EES17_EEDaS12_S13_EUlS12_E_NS1_11comp_targetILNS1_3genE10ELNS1_11target_archE1200ELNS1_3gpuE4ELNS1_3repE0EEENS1_30default_config_static_selectorELNS0_4arch9wavefront6targetE0EEEvT1_.private_seg_size, 0
	.set _ZN7rocprim17ROCPRIM_400000_NS6detail17trampoline_kernelINS0_14default_configENS1_25partition_config_selectorILNS1_17partition_subalgoE8EsNS0_10empty_typeEbEEZZNS1_14partition_implILS5_8ELb0ES3_jPKsPS6_PKS6_NS0_5tupleIJPsS6_EEENSE_IJSB_SB_EEENS0_18inequality_wrapperIN6hipcub16HIPCUB_304000_NS8EqualityEEEPlJS6_EEE10hipError_tPvRmT3_T4_T5_T6_T7_T9_mT8_P12ihipStream_tbDpT10_ENKUlT_T0_E_clISt17integral_constantIbLb1EES17_EEDaS12_S13_EUlS12_E_NS1_11comp_targetILNS1_3genE10ELNS1_11target_archE1200ELNS1_3gpuE4ELNS1_3repE0EEENS1_30default_config_static_selectorELNS0_4arch9wavefront6targetE0EEEvT1_.uses_vcc, 0
	.set _ZN7rocprim17ROCPRIM_400000_NS6detail17trampoline_kernelINS0_14default_configENS1_25partition_config_selectorILNS1_17partition_subalgoE8EsNS0_10empty_typeEbEEZZNS1_14partition_implILS5_8ELb0ES3_jPKsPS6_PKS6_NS0_5tupleIJPsS6_EEENSE_IJSB_SB_EEENS0_18inequality_wrapperIN6hipcub16HIPCUB_304000_NS8EqualityEEEPlJS6_EEE10hipError_tPvRmT3_T4_T5_T6_T7_T9_mT8_P12ihipStream_tbDpT10_ENKUlT_T0_E_clISt17integral_constantIbLb1EES17_EEDaS12_S13_EUlS12_E_NS1_11comp_targetILNS1_3genE10ELNS1_11target_archE1200ELNS1_3gpuE4ELNS1_3repE0EEENS1_30default_config_static_selectorELNS0_4arch9wavefront6targetE0EEEvT1_.uses_flat_scratch, 0
	.set _ZN7rocprim17ROCPRIM_400000_NS6detail17trampoline_kernelINS0_14default_configENS1_25partition_config_selectorILNS1_17partition_subalgoE8EsNS0_10empty_typeEbEEZZNS1_14partition_implILS5_8ELb0ES3_jPKsPS6_PKS6_NS0_5tupleIJPsS6_EEENSE_IJSB_SB_EEENS0_18inequality_wrapperIN6hipcub16HIPCUB_304000_NS8EqualityEEEPlJS6_EEE10hipError_tPvRmT3_T4_T5_T6_T7_T9_mT8_P12ihipStream_tbDpT10_ENKUlT_T0_E_clISt17integral_constantIbLb1EES17_EEDaS12_S13_EUlS12_E_NS1_11comp_targetILNS1_3genE10ELNS1_11target_archE1200ELNS1_3gpuE4ELNS1_3repE0EEENS1_30default_config_static_selectorELNS0_4arch9wavefront6targetE0EEEvT1_.has_dyn_sized_stack, 0
	.set _ZN7rocprim17ROCPRIM_400000_NS6detail17trampoline_kernelINS0_14default_configENS1_25partition_config_selectorILNS1_17partition_subalgoE8EsNS0_10empty_typeEbEEZZNS1_14partition_implILS5_8ELb0ES3_jPKsPS6_PKS6_NS0_5tupleIJPsS6_EEENSE_IJSB_SB_EEENS0_18inequality_wrapperIN6hipcub16HIPCUB_304000_NS8EqualityEEEPlJS6_EEE10hipError_tPvRmT3_T4_T5_T6_T7_T9_mT8_P12ihipStream_tbDpT10_ENKUlT_T0_E_clISt17integral_constantIbLb1EES17_EEDaS12_S13_EUlS12_E_NS1_11comp_targetILNS1_3genE10ELNS1_11target_archE1200ELNS1_3gpuE4ELNS1_3repE0EEENS1_30default_config_static_selectorELNS0_4arch9wavefront6targetE0EEEvT1_.has_recursion, 0
	.set _ZN7rocprim17ROCPRIM_400000_NS6detail17trampoline_kernelINS0_14default_configENS1_25partition_config_selectorILNS1_17partition_subalgoE8EsNS0_10empty_typeEbEEZZNS1_14partition_implILS5_8ELb0ES3_jPKsPS6_PKS6_NS0_5tupleIJPsS6_EEENSE_IJSB_SB_EEENS0_18inequality_wrapperIN6hipcub16HIPCUB_304000_NS8EqualityEEEPlJS6_EEE10hipError_tPvRmT3_T4_T5_T6_T7_T9_mT8_P12ihipStream_tbDpT10_ENKUlT_T0_E_clISt17integral_constantIbLb1EES17_EEDaS12_S13_EUlS12_E_NS1_11comp_targetILNS1_3genE10ELNS1_11target_archE1200ELNS1_3gpuE4ELNS1_3repE0EEENS1_30default_config_static_selectorELNS0_4arch9wavefront6targetE0EEEvT1_.has_indirect_call, 0
	.section	.AMDGPU.csdata,"",@progbits
; Kernel info:
; codeLenInByte = 0
; TotalNumSgprs: 0
; NumVgprs: 0
; ScratchSize: 0
; MemoryBound: 0
; FloatMode: 240
; IeeeMode: 1
; LDSByteSize: 0 bytes/workgroup (compile time only)
; SGPRBlocks: 0
; VGPRBlocks: 0
; NumSGPRsForWavesPerEU: 1
; NumVGPRsForWavesPerEU: 1
; NamedBarCnt: 0
; Occupancy: 16
; WaveLimiterHint : 0
; COMPUTE_PGM_RSRC2:SCRATCH_EN: 0
; COMPUTE_PGM_RSRC2:USER_SGPR: 2
; COMPUTE_PGM_RSRC2:TRAP_HANDLER: 0
; COMPUTE_PGM_RSRC2:TGID_X_EN: 1
; COMPUTE_PGM_RSRC2:TGID_Y_EN: 0
; COMPUTE_PGM_RSRC2:TGID_Z_EN: 0
; COMPUTE_PGM_RSRC2:TIDIG_COMP_CNT: 0
	.section	.text._ZN7rocprim17ROCPRIM_400000_NS6detail17trampoline_kernelINS0_14default_configENS1_25partition_config_selectorILNS1_17partition_subalgoE8EsNS0_10empty_typeEbEEZZNS1_14partition_implILS5_8ELb0ES3_jPKsPS6_PKS6_NS0_5tupleIJPsS6_EEENSE_IJSB_SB_EEENS0_18inequality_wrapperIN6hipcub16HIPCUB_304000_NS8EqualityEEEPlJS6_EEE10hipError_tPvRmT3_T4_T5_T6_T7_T9_mT8_P12ihipStream_tbDpT10_ENKUlT_T0_E_clISt17integral_constantIbLb1EES17_EEDaS12_S13_EUlS12_E_NS1_11comp_targetILNS1_3genE9ELNS1_11target_archE1100ELNS1_3gpuE3ELNS1_3repE0EEENS1_30default_config_static_selectorELNS0_4arch9wavefront6targetE0EEEvT1_,"axG",@progbits,_ZN7rocprim17ROCPRIM_400000_NS6detail17trampoline_kernelINS0_14default_configENS1_25partition_config_selectorILNS1_17partition_subalgoE8EsNS0_10empty_typeEbEEZZNS1_14partition_implILS5_8ELb0ES3_jPKsPS6_PKS6_NS0_5tupleIJPsS6_EEENSE_IJSB_SB_EEENS0_18inequality_wrapperIN6hipcub16HIPCUB_304000_NS8EqualityEEEPlJS6_EEE10hipError_tPvRmT3_T4_T5_T6_T7_T9_mT8_P12ihipStream_tbDpT10_ENKUlT_T0_E_clISt17integral_constantIbLb1EES17_EEDaS12_S13_EUlS12_E_NS1_11comp_targetILNS1_3genE9ELNS1_11target_archE1100ELNS1_3gpuE3ELNS1_3repE0EEENS1_30default_config_static_selectorELNS0_4arch9wavefront6targetE0EEEvT1_,comdat
	.protected	_ZN7rocprim17ROCPRIM_400000_NS6detail17trampoline_kernelINS0_14default_configENS1_25partition_config_selectorILNS1_17partition_subalgoE8EsNS0_10empty_typeEbEEZZNS1_14partition_implILS5_8ELb0ES3_jPKsPS6_PKS6_NS0_5tupleIJPsS6_EEENSE_IJSB_SB_EEENS0_18inequality_wrapperIN6hipcub16HIPCUB_304000_NS8EqualityEEEPlJS6_EEE10hipError_tPvRmT3_T4_T5_T6_T7_T9_mT8_P12ihipStream_tbDpT10_ENKUlT_T0_E_clISt17integral_constantIbLb1EES17_EEDaS12_S13_EUlS12_E_NS1_11comp_targetILNS1_3genE9ELNS1_11target_archE1100ELNS1_3gpuE3ELNS1_3repE0EEENS1_30default_config_static_selectorELNS0_4arch9wavefront6targetE0EEEvT1_ ; -- Begin function _ZN7rocprim17ROCPRIM_400000_NS6detail17trampoline_kernelINS0_14default_configENS1_25partition_config_selectorILNS1_17partition_subalgoE8EsNS0_10empty_typeEbEEZZNS1_14partition_implILS5_8ELb0ES3_jPKsPS6_PKS6_NS0_5tupleIJPsS6_EEENSE_IJSB_SB_EEENS0_18inequality_wrapperIN6hipcub16HIPCUB_304000_NS8EqualityEEEPlJS6_EEE10hipError_tPvRmT3_T4_T5_T6_T7_T9_mT8_P12ihipStream_tbDpT10_ENKUlT_T0_E_clISt17integral_constantIbLb1EES17_EEDaS12_S13_EUlS12_E_NS1_11comp_targetILNS1_3genE9ELNS1_11target_archE1100ELNS1_3gpuE3ELNS1_3repE0EEENS1_30default_config_static_selectorELNS0_4arch9wavefront6targetE0EEEvT1_
	.globl	_ZN7rocprim17ROCPRIM_400000_NS6detail17trampoline_kernelINS0_14default_configENS1_25partition_config_selectorILNS1_17partition_subalgoE8EsNS0_10empty_typeEbEEZZNS1_14partition_implILS5_8ELb0ES3_jPKsPS6_PKS6_NS0_5tupleIJPsS6_EEENSE_IJSB_SB_EEENS0_18inequality_wrapperIN6hipcub16HIPCUB_304000_NS8EqualityEEEPlJS6_EEE10hipError_tPvRmT3_T4_T5_T6_T7_T9_mT8_P12ihipStream_tbDpT10_ENKUlT_T0_E_clISt17integral_constantIbLb1EES17_EEDaS12_S13_EUlS12_E_NS1_11comp_targetILNS1_3genE9ELNS1_11target_archE1100ELNS1_3gpuE3ELNS1_3repE0EEENS1_30default_config_static_selectorELNS0_4arch9wavefront6targetE0EEEvT1_
	.p2align	8
	.type	_ZN7rocprim17ROCPRIM_400000_NS6detail17trampoline_kernelINS0_14default_configENS1_25partition_config_selectorILNS1_17partition_subalgoE8EsNS0_10empty_typeEbEEZZNS1_14partition_implILS5_8ELb0ES3_jPKsPS6_PKS6_NS0_5tupleIJPsS6_EEENSE_IJSB_SB_EEENS0_18inequality_wrapperIN6hipcub16HIPCUB_304000_NS8EqualityEEEPlJS6_EEE10hipError_tPvRmT3_T4_T5_T6_T7_T9_mT8_P12ihipStream_tbDpT10_ENKUlT_T0_E_clISt17integral_constantIbLb1EES17_EEDaS12_S13_EUlS12_E_NS1_11comp_targetILNS1_3genE9ELNS1_11target_archE1100ELNS1_3gpuE3ELNS1_3repE0EEENS1_30default_config_static_selectorELNS0_4arch9wavefront6targetE0EEEvT1_,@function
_ZN7rocprim17ROCPRIM_400000_NS6detail17trampoline_kernelINS0_14default_configENS1_25partition_config_selectorILNS1_17partition_subalgoE8EsNS0_10empty_typeEbEEZZNS1_14partition_implILS5_8ELb0ES3_jPKsPS6_PKS6_NS0_5tupleIJPsS6_EEENSE_IJSB_SB_EEENS0_18inequality_wrapperIN6hipcub16HIPCUB_304000_NS8EqualityEEEPlJS6_EEE10hipError_tPvRmT3_T4_T5_T6_T7_T9_mT8_P12ihipStream_tbDpT10_ENKUlT_T0_E_clISt17integral_constantIbLb1EES17_EEDaS12_S13_EUlS12_E_NS1_11comp_targetILNS1_3genE9ELNS1_11target_archE1100ELNS1_3gpuE3ELNS1_3repE0EEENS1_30default_config_static_selectorELNS0_4arch9wavefront6targetE0EEEvT1_: ; @_ZN7rocprim17ROCPRIM_400000_NS6detail17trampoline_kernelINS0_14default_configENS1_25partition_config_selectorILNS1_17partition_subalgoE8EsNS0_10empty_typeEbEEZZNS1_14partition_implILS5_8ELb0ES3_jPKsPS6_PKS6_NS0_5tupleIJPsS6_EEENSE_IJSB_SB_EEENS0_18inequality_wrapperIN6hipcub16HIPCUB_304000_NS8EqualityEEEPlJS6_EEE10hipError_tPvRmT3_T4_T5_T6_T7_T9_mT8_P12ihipStream_tbDpT10_ENKUlT_T0_E_clISt17integral_constantIbLb1EES17_EEDaS12_S13_EUlS12_E_NS1_11comp_targetILNS1_3genE9ELNS1_11target_archE1100ELNS1_3gpuE3ELNS1_3repE0EEENS1_30default_config_static_selectorELNS0_4arch9wavefront6targetE0EEEvT1_
; %bb.0:
	.section	.rodata,"a",@progbits
	.p2align	6, 0x0
	.amdhsa_kernel _ZN7rocprim17ROCPRIM_400000_NS6detail17trampoline_kernelINS0_14default_configENS1_25partition_config_selectorILNS1_17partition_subalgoE8EsNS0_10empty_typeEbEEZZNS1_14partition_implILS5_8ELb0ES3_jPKsPS6_PKS6_NS0_5tupleIJPsS6_EEENSE_IJSB_SB_EEENS0_18inequality_wrapperIN6hipcub16HIPCUB_304000_NS8EqualityEEEPlJS6_EEE10hipError_tPvRmT3_T4_T5_T6_T7_T9_mT8_P12ihipStream_tbDpT10_ENKUlT_T0_E_clISt17integral_constantIbLb1EES17_EEDaS12_S13_EUlS12_E_NS1_11comp_targetILNS1_3genE9ELNS1_11target_archE1100ELNS1_3gpuE3ELNS1_3repE0EEENS1_30default_config_static_selectorELNS0_4arch9wavefront6targetE0EEEvT1_
		.amdhsa_group_segment_fixed_size 0
		.amdhsa_private_segment_fixed_size 0
		.amdhsa_kernarg_size 128
		.amdhsa_user_sgpr_count 2
		.amdhsa_user_sgpr_dispatch_ptr 0
		.amdhsa_user_sgpr_queue_ptr 0
		.amdhsa_user_sgpr_kernarg_segment_ptr 1
		.amdhsa_user_sgpr_dispatch_id 0
		.amdhsa_user_sgpr_kernarg_preload_length 0
		.amdhsa_user_sgpr_kernarg_preload_offset 0
		.amdhsa_user_sgpr_private_segment_size 0
		.amdhsa_wavefront_size32 1
		.amdhsa_uses_dynamic_stack 0
		.amdhsa_enable_private_segment 0
		.amdhsa_system_sgpr_workgroup_id_x 1
		.amdhsa_system_sgpr_workgroup_id_y 0
		.amdhsa_system_sgpr_workgroup_id_z 0
		.amdhsa_system_sgpr_workgroup_info 0
		.amdhsa_system_vgpr_workitem_id 0
		.amdhsa_next_free_vgpr 1
		.amdhsa_next_free_sgpr 1
		.amdhsa_named_barrier_count 0
		.amdhsa_reserve_vcc 0
		.amdhsa_float_round_mode_32 0
		.amdhsa_float_round_mode_16_64 0
		.amdhsa_float_denorm_mode_32 3
		.amdhsa_float_denorm_mode_16_64 3
		.amdhsa_fp16_overflow 0
		.amdhsa_memory_ordered 1
		.amdhsa_forward_progress 1
		.amdhsa_inst_pref_size 0
		.amdhsa_round_robin_scheduling 0
		.amdhsa_exception_fp_ieee_invalid_op 0
		.amdhsa_exception_fp_denorm_src 0
		.amdhsa_exception_fp_ieee_div_zero 0
		.amdhsa_exception_fp_ieee_overflow 0
		.amdhsa_exception_fp_ieee_underflow 0
		.amdhsa_exception_fp_ieee_inexact 0
		.amdhsa_exception_int_div_zero 0
	.end_amdhsa_kernel
	.section	.text._ZN7rocprim17ROCPRIM_400000_NS6detail17trampoline_kernelINS0_14default_configENS1_25partition_config_selectorILNS1_17partition_subalgoE8EsNS0_10empty_typeEbEEZZNS1_14partition_implILS5_8ELb0ES3_jPKsPS6_PKS6_NS0_5tupleIJPsS6_EEENSE_IJSB_SB_EEENS0_18inequality_wrapperIN6hipcub16HIPCUB_304000_NS8EqualityEEEPlJS6_EEE10hipError_tPvRmT3_T4_T5_T6_T7_T9_mT8_P12ihipStream_tbDpT10_ENKUlT_T0_E_clISt17integral_constantIbLb1EES17_EEDaS12_S13_EUlS12_E_NS1_11comp_targetILNS1_3genE9ELNS1_11target_archE1100ELNS1_3gpuE3ELNS1_3repE0EEENS1_30default_config_static_selectorELNS0_4arch9wavefront6targetE0EEEvT1_,"axG",@progbits,_ZN7rocprim17ROCPRIM_400000_NS6detail17trampoline_kernelINS0_14default_configENS1_25partition_config_selectorILNS1_17partition_subalgoE8EsNS0_10empty_typeEbEEZZNS1_14partition_implILS5_8ELb0ES3_jPKsPS6_PKS6_NS0_5tupleIJPsS6_EEENSE_IJSB_SB_EEENS0_18inequality_wrapperIN6hipcub16HIPCUB_304000_NS8EqualityEEEPlJS6_EEE10hipError_tPvRmT3_T4_T5_T6_T7_T9_mT8_P12ihipStream_tbDpT10_ENKUlT_T0_E_clISt17integral_constantIbLb1EES17_EEDaS12_S13_EUlS12_E_NS1_11comp_targetILNS1_3genE9ELNS1_11target_archE1100ELNS1_3gpuE3ELNS1_3repE0EEENS1_30default_config_static_selectorELNS0_4arch9wavefront6targetE0EEEvT1_,comdat
.Lfunc_end562:
	.size	_ZN7rocprim17ROCPRIM_400000_NS6detail17trampoline_kernelINS0_14default_configENS1_25partition_config_selectorILNS1_17partition_subalgoE8EsNS0_10empty_typeEbEEZZNS1_14partition_implILS5_8ELb0ES3_jPKsPS6_PKS6_NS0_5tupleIJPsS6_EEENSE_IJSB_SB_EEENS0_18inequality_wrapperIN6hipcub16HIPCUB_304000_NS8EqualityEEEPlJS6_EEE10hipError_tPvRmT3_T4_T5_T6_T7_T9_mT8_P12ihipStream_tbDpT10_ENKUlT_T0_E_clISt17integral_constantIbLb1EES17_EEDaS12_S13_EUlS12_E_NS1_11comp_targetILNS1_3genE9ELNS1_11target_archE1100ELNS1_3gpuE3ELNS1_3repE0EEENS1_30default_config_static_selectorELNS0_4arch9wavefront6targetE0EEEvT1_, .Lfunc_end562-_ZN7rocprim17ROCPRIM_400000_NS6detail17trampoline_kernelINS0_14default_configENS1_25partition_config_selectorILNS1_17partition_subalgoE8EsNS0_10empty_typeEbEEZZNS1_14partition_implILS5_8ELb0ES3_jPKsPS6_PKS6_NS0_5tupleIJPsS6_EEENSE_IJSB_SB_EEENS0_18inequality_wrapperIN6hipcub16HIPCUB_304000_NS8EqualityEEEPlJS6_EEE10hipError_tPvRmT3_T4_T5_T6_T7_T9_mT8_P12ihipStream_tbDpT10_ENKUlT_T0_E_clISt17integral_constantIbLb1EES17_EEDaS12_S13_EUlS12_E_NS1_11comp_targetILNS1_3genE9ELNS1_11target_archE1100ELNS1_3gpuE3ELNS1_3repE0EEENS1_30default_config_static_selectorELNS0_4arch9wavefront6targetE0EEEvT1_
                                        ; -- End function
	.set _ZN7rocprim17ROCPRIM_400000_NS6detail17trampoline_kernelINS0_14default_configENS1_25partition_config_selectorILNS1_17partition_subalgoE8EsNS0_10empty_typeEbEEZZNS1_14partition_implILS5_8ELb0ES3_jPKsPS6_PKS6_NS0_5tupleIJPsS6_EEENSE_IJSB_SB_EEENS0_18inequality_wrapperIN6hipcub16HIPCUB_304000_NS8EqualityEEEPlJS6_EEE10hipError_tPvRmT3_T4_T5_T6_T7_T9_mT8_P12ihipStream_tbDpT10_ENKUlT_T0_E_clISt17integral_constantIbLb1EES17_EEDaS12_S13_EUlS12_E_NS1_11comp_targetILNS1_3genE9ELNS1_11target_archE1100ELNS1_3gpuE3ELNS1_3repE0EEENS1_30default_config_static_selectorELNS0_4arch9wavefront6targetE0EEEvT1_.num_vgpr, 0
	.set _ZN7rocprim17ROCPRIM_400000_NS6detail17trampoline_kernelINS0_14default_configENS1_25partition_config_selectorILNS1_17partition_subalgoE8EsNS0_10empty_typeEbEEZZNS1_14partition_implILS5_8ELb0ES3_jPKsPS6_PKS6_NS0_5tupleIJPsS6_EEENSE_IJSB_SB_EEENS0_18inequality_wrapperIN6hipcub16HIPCUB_304000_NS8EqualityEEEPlJS6_EEE10hipError_tPvRmT3_T4_T5_T6_T7_T9_mT8_P12ihipStream_tbDpT10_ENKUlT_T0_E_clISt17integral_constantIbLb1EES17_EEDaS12_S13_EUlS12_E_NS1_11comp_targetILNS1_3genE9ELNS1_11target_archE1100ELNS1_3gpuE3ELNS1_3repE0EEENS1_30default_config_static_selectorELNS0_4arch9wavefront6targetE0EEEvT1_.num_agpr, 0
	.set _ZN7rocprim17ROCPRIM_400000_NS6detail17trampoline_kernelINS0_14default_configENS1_25partition_config_selectorILNS1_17partition_subalgoE8EsNS0_10empty_typeEbEEZZNS1_14partition_implILS5_8ELb0ES3_jPKsPS6_PKS6_NS0_5tupleIJPsS6_EEENSE_IJSB_SB_EEENS0_18inequality_wrapperIN6hipcub16HIPCUB_304000_NS8EqualityEEEPlJS6_EEE10hipError_tPvRmT3_T4_T5_T6_T7_T9_mT8_P12ihipStream_tbDpT10_ENKUlT_T0_E_clISt17integral_constantIbLb1EES17_EEDaS12_S13_EUlS12_E_NS1_11comp_targetILNS1_3genE9ELNS1_11target_archE1100ELNS1_3gpuE3ELNS1_3repE0EEENS1_30default_config_static_selectorELNS0_4arch9wavefront6targetE0EEEvT1_.numbered_sgpr, 0
	.set _ZN7rocprim17ROCPRIM_400000_NS6detail17trampoline_kernelINS0_14default_configENS1_25partition_config_selectorILNS1_17partition_subalgoE8EsNS0_10empty_typeEbEEZZNS1_14partition_implILS5_8ELb0ES3_jPKsPS6_PKS6_NS0_5tupleIJPsS6_EEENSE_IJSB_SB_EEENS0_18inequality_wrapperIN6hipcub16HIPCUB_304000_NS8EqualityEEEPlJS6_EEE10hipError_tPvRmT3_T4_T5_T6_T7_T9_mT8_P12ihipStream_tbDpT10_ENKUlT_T0_E_clISt17integral_constantIbLb1EES17_EEDaS12_S13_EUlS12_E_NS1_11comp_targetILNS1_3genE9ELNS1_11target_archE1100ELNS1_3gpuE3ELNS1_3repE0EEENS1_30default_config_static_selectorELNS0_4arch9wavefront6targetE0EEEvT1_.num_named_barrier, 0
	.set _ZN7rocprim17ROCPRIM_400000_NS6detail17trampoline_kernelINS0_14default_configENS1_25partition_config_selectorILNS1_17partition_subalgoE8EsNS0_10empty_typeEbEEZZNS1_14partition_implILS5_8ELb0ES3_jPKsPS6_PKS6_NS0_5tupleIJPsS6_EEENSE_IJSB_SB_EEENS0_18inequality_wrapperIN6hipcub16HIPCUB_304000_NS8EqualityEEEPlJS6_EEE10hipError_tPvRmT3_T4_T5_T6_T7_T9_mT8_P12ihipStream_tbDpT10_ENKUlT_T0_E_clISt17integral_constantIbLb1EES17_EEDaS12_S13_EUlS12_E_NS1_11comp_targetILNS1_3genE9ELNS1_11target_archE1100ELNS1_3gpuE3ELNS1_3repE0EEENS1_30default_config_static_selectorELNS0_4arch9wavefront6targetE0EEEvT1_.private_seg_size, 0
	.set _ZN7rocprim17ROCPRIM_400000_NS6detail17trampoline_kernelINS0_14default_configENS1_25partition_config_selectorILNS1_17partition_subalgoE8EsNS0_10empty_typeEbEEZZNS1_14partition_implILS5_8ELb0ES3_jPKsPS6_PKS6_NS0_5tupleIJPsS6_EEENSE_IJSB_SB_EEENS0_18inequality_wrapperIN6hipcub16HIPCUB_304000_NS8EqualityEEEPlJS6_EEE10hipError_tPvRmT3_T4_T5_T6_T7_T9_mT8_P12ihipStream_tbDpT10_ENKUlT_T0_E_clISt17integral_constantIbLb1EES17_EEDaS12_S13_EUlS12_E_NS1_11comp_targetILNS1_3genE9ELNS1_11target_archE1100ELNS1_3gpuE3ELNS1_3repE0EEENS1_30default_config_static_selectorELNS0_4arch9wavefront6targetE0EEEvT1_.uses_vcc, 0
	.set _ZN7rocprim17ROCPRIM_400000_NS6detail17trampoline_kernelINS0_14default_configENS1_25partition_config_selectorILNS1_17partition_subalgoE8EsNS0_10empty_typeEbEEZZNS1_14partition_implILS5_8ELb0ES3_jPKsPS6_PKS6_NS0_5tupleIJPsS6_EEENSE_IJSB_SB_EEENS0_18inequality_wrapperIN6hipcub16HIPCUB_304000_NS8EqualityEEEPlJS6_EEE10hipError_tPvRmT3_T4_T5_T6_T7_T9_mT8_P12ihipStream_tbDpT10_ENKUlT_T0_E_clISt17integral_constantIbLb1EES17_EEDaS12_S13_EUlS12_E_NS1_11comp_targetILNS1_3genE9ELNS1_11target_archE1100ELNS1_3gpuE3ELNS1_3repE0EEENS1_30default_config_static_selectorELNS0_4arch9wavefront6targetE0EEEvT1_.uses_flat_scratch, 0
	.set _ZN7rocprim17ROCPRIM_400000_NS6detail17trampoline_kernelINS0_14default_configENS1_25partition_config_selectorILNS1_17partition_subalgoE8EsNS0_10empty_typeEbEEZZNS1_14partition_implILS5_8ELb0ES3_jPKsPS6_PKS6_NS0_5tupleIJPsS6_EEENSE_IJSB_SB_EEENS0_18inequality_wrapperIN6hipcub16HIPCUB_304000_NS8EqualityEEEPlJS6_EEE10hipError_tPvRmT3_T4_T5_T6_T7_T9_mT8_P12ihipStream_tbDpT10_ENKUlT_T0_E_clISt17integral_constantIbLb1EES17_EEDaS12_S13_EUlS12_E_NS1_11comp_targetILNS1_3genE9ELNS1_11target_archE1100ELNS1_3gpuE3ELNS1_3repE0EEENS1_30default_config_static_selectorELNS0_4arch9wavefront6targetE0EEEvT1_.has_dyn_sized_stack, 0
	.set _ZN7rocprim17ROCPRIM_400000_NS6detail17trampoline_kernelINS0_14default_configENS1_25partition_config_selectorILNS1_17partition_subalgoE8EsNS0_10empty_typeEbEEZZNS1_14partition_implILS5_8ELb0ES3_jPKsPS6_PKS6_NS0_5tupleIJPsS6_EEENSE_IJSB_SB_EEENS0_18inequality_wrapperIN6hipcub16HIPCUB_304000_NS8EqualityEEEPlJS6_EEE10hipError_tPvRmT3_T4_T5_T6_T7_T9_mT8_P12ihipStream_tbDpT10_ENKUlT_T0_E_clISt17integral_constantIbLb1EES17_EEDaS12_S13_EUlS12_E_NS1_11comp_targetILNS1_3genE9ELNS1_11target_archE1100ELNS1_3gpuE3ELNS1_3repE0EEENS1_30default_config_static_selectorELNS0_4arch9wavefront6targetE0EEEvT1_.has_recursion, 0
	.set _ZN7rocprim17ROCPRIM_400000_NS6detail17trampoline_kernelINS0_14default_configENS1_25partition_config_selectorILNS1_17partition_subalgoE8EsNS0_10empty_typeEbEEZZNS1_14partition_implILS5_8ELb0ES3_jPKsPS6_PKS6_NS0_5tupleIJPsS6_EEENSE_IJSB_SB_EEENS0_18inequality_wrapperIN6hipcub16HIPCUB_304000_NS8EqualityEEEPlJS6_EEE10hipError_tPvRmT3_T4_T5_T6_T7_T9_mT8_P12ihipStream_tbDpT10_ENKUlT_T0_E_clISt17integral_constantIbLb1EES17_EEDaS12_S13_EUlS12_E_NS1_11comp_targetILNS1_3genE9ELNS1_11target_archE1100ELNS1_3gpuE3ELNS1_3repE0EEENS1_30default_config_static_selectorELNS0_4arch9wavefront6targetE0EEEvT1_.has_indirect_call, 0
	.section	.AMDGPU.csdata,"",@progbits
; Kernel info:
; codeLenInByte = 0
; TotalNumSgprs: 0
; NumVgprs: 0
; ScratchSize: 0
; MemoryBound: 0
; FloatMode: 240
; IeeeMode: 1
; LDSByteSize: 0 bytes/workgroup (compile time only)
; SGPRBlocks: 0
; VGPRBlocks: 0
; NumSGPRsForWavesPerEU: 1
; NumVGPRsForWavesPerEU: 1
; NamedBarCnt: 0
; Occupancy: 16
; WaveLimiterHint : 0
; COMPUTE_PGM_RSRC2:SCRATCH_EN: 0
; COMPUTE_PGM_RSRC2:USER_SGPR: 2
; COMPUTE_PGM_RSRC2:TRAP_HANDLER: 0
; COMPUTE_PGM_RSRC2:TGID_X_EN: 1
; COMPUTE_PGM_RSRC2:TGID_Y_EN: 0
; COMPUTE_PGM_RSRC2:TGID_Z_EN: 0
; COMPUTE_PGM_RSRC2:TIDIG_COMP_CNT: 0
	.section	.text._ZN7rocprim17ROCPRIM_400000_NS6detail17trampoline_kernelINS0_14default_configENS1_25partition_config_selectorILNS1_17partition_subalgoE8EsNS0_10empty_typeEbEEZZNS1_14partition_implILS5_8ELb0ES3_jPKsPS6_PKS6_NS0_5tupleIJPsS6_EEENSE_IJSB_SB_EEENS0_18inequality_wrapperIN6hipcub16HIPCUB_304000_NS8EqualityEEEPlJS6_EEE10hipError_tPvRmT3_T4_T5_T6_T7_T9_mT8_P12ihipStream_tbDpT10_ENKUlT_T0_E_clISt17integral_constantIbLb1EES17_EEDaS12_S13_EUlS12_E_NS1_11comp_targetILNS1_3genE8ELNS1_11target_archE1030ELNS1_3gpuE2ELNS1_3repE0EEENS1_30default_config_static_selectorELNS0_4arch9wavefront6targetE0EEEvT1_,"axG",@progbits,_ZN7rocprim17ROCPRIM_400000_NS6detail17trampoline_kernelINS0_14default_configENS1_25partition_config_selectorILNS1_17partition_subalgoE8EsNS0_10empty_typeEbEEZZNS1_14partition_implILS5_8ELb0ES3_jPKsPS6_PKS6_NS0_5tupleIJPsS6_EEENSE_IJSB_SB_EEENS0_18inequality_wrapperIN6hipcub16HIPCUB_304000_NS8EqualityEEEPlJS6_EEE10hipError_tPvRmT3_T4_T5_T6_T7_T9_mT8_P12ihipStream_tbDpT10_ENKUlT_T0_E_clISt17integral_constantIbLb1EES17_EEDaS12_S13_EUlS12_E_NS1_11comp_targetILNS1_3genE8ELNS1_11target_archE1030ELNS1_3gpuE2ELNS1_3repE0EEENS1_30default_config_static_selectorELNS0_4arch9wavefront6targetE0EEEvT1_,comdat
	.protected	_ZN7rocprim17ROCPRIM_400000_NS6detail17trampoline_kernelINS0_14default_configENS1_25partition_config_selectorILNS1_17partition_subalgoE8EsNS0_10empty_typeEbEEZZNS1_14partition_implILS5_8ELb0ES3_jPKsPS6_PKS6_NS0_5tupleIJPsS6_EEENSE_IJSB_SB_EEENS0_18inequality_wrapperIN6hipcub16HIPCUB_304000_NS8EqualityEEEPlJS6_EEE10hipError_tPvRmT3_T4_T5_T6_T7_T9_mT8_P12ihipStream_tbDpT10_ENKUlT_T0_E_clISt17integral_constantIbLb1EES17_EEDaS12_S13_EUlS12_E_NS1_11comp_targetILNS1_3genE8ELNS1_11target_archE1030ELNS1_3gpuE2ELNS1_3repE0EEENS1_30default_config_static_selectorELNS0_4arch9wavefront6targetE0EEEvT1_ ; -- Begin function _ZN7rocprim17ROCPRIM_400000_NS6detail17trampoline_kernelINS0_14default_configENS1_25partition_config_selectorILNS1_17partition_subalgoE8EsNS0_10empty_typeEbEEZZNS1_14partition_implILS5_8ELb0ES3_jPKsPS6_PKS6_NS0_5tupleIJPsS6_EEENSE_IJSB_SB_EEENS0_18inequality_wrapperIN6hipcub16HIPCUB_304000_NS8EqualityEEEPlJS6_EEE10hipError_tPvRmT3_T4_T5_T6_T7_T9_mT8_P12ihipStream_tbDpT10_ENKUlT_T0_E_clISt17integral_constantIbLb1EES17_EEDaS12_S13_EUlS12_E_NS1_11comp_targetILNS1_3genE8ELNS1_11target_archE1030ELNS1_3gpuE2ELNS1_3repE0EEENS1_30default_config_static_selectorELNS0_4arch9wavefront6targetE0EEEvT1_
	.globl	_ZN7rocprim17ROCPRIM_400000_NS6detail17trampoline_kernelINS0_14default_configENS1_25partition_config_selectorILNS1_17partition_subalgoE8EsNS0_10empty_typeEbEEZZNS1_14partition_implILS5_8ELb0ES3_jPKsPS6_PKS6_NS0_5tupleIJPsS6_EEENSE_IJSB_SB_EEENS0_18inequality_wrapperIN6hipcub16HIPCUB_304000_NS8EqualityEEEPlJS6_EEE10hipError_tPvRmT3_T4_T5_T6_T7_T9_mT8_P12ihipStream_tbDpT10_ENKUlT_T0_E_clISt17integral_constantIbLb1EES17_EEDaS12_S13_EUlS12_E_NS1_11comp_targetILNS1_3genE8ELNS1_11target_archE1030ELNS1_3gpuE2ELNS1_3repE0EEENS1_30default_config_static_selectorELNS0_4arch9wavefront6targetE0EEEvT1_
	.p2align	8
	.type	_ZN7rocprim17ROCPRIM_400000_NS6detail17trampoline_kernelINS0_14default_configENS1_25partition_config_selectorILNS1_17partition_subalgoE8EsNS0_10empty_typeEbEEZZNS1_14partition_implILS5_8ELb0ES3_jPKsPS6_PKS6_NS0_5tupleIJPsS6_EEENSE_IJSB_SB_EEENS0_18inequality_wrapperIN6hipcub16HIPCUB_304000_NS8EqualityEEEPlJS6_EEE10hipError_tPvRmT3_T4_T5_T6_T7_T9_mT8_P12ihipStream_tbDpT10_ENKUlT_T0_E_clISt17integral_constantIbLb1EES17_EEDaS12_S13_EUlS12_E_NS1_11comp_targetILNS1_3genE8ELNS1_11target_archE1030ELNS1_3gpuE2ELNS1_3repE0EEENS1_30default_config_static_selectorELNS0_4arch9wavefront6targetE0EEEvT1_,@function
_ZN7rocprim17ROCPRIM_400000_NS6detail17trampoline_kernelINS0_14default_configENS1_25partition_config_selectorILNS1_17partition_subalgoE8EsNS0_10empty_typeEbEEZZNS1_14partition_implILS5_8ELb0ES3_jPKsPS6_PKS6_NS0_5tupleIJPsS6_EEENSE_IJSB_SB_EEENS0_18inequality_wrapperIN6hipcub16HIPCUB_304000_NS8EqualityEEEPlJS6_EEE10hipError_tPvRmT3_T4_T5_T6_T7_T9_mT8_P12ihipStream_tbDpT10_ENKUlT_T0_E_clISt17integral_constantIbLb1EES17_EEDaS12_S13_EUlS12_E_NS1_11comp_targetILNS1_3genE8ELNS1_11target_archE1030ELNS1_3gpuE2ELNS1_3repE0EEENS1_30default_config_static_selectorELNS0_4arch9wavefront6targetE0EEEvT1_: ; @_ZN7rocprim17ROCPRIM_400000_NS6detail17trampoline_kernelINS0_14default_configENS1_25partition_config_selectorILNS1_17partition_subalgoE8EsNS0_10empty_typeEbEEZZNS1_14partition_implILS5_8ELb0ES3_jPKsPS6_PKS6_NS0_5tupleIJPsS6_EEENSE_IJSB_SB_EEENS0_18inequality_wrapperIN6hipcub16HIPCUB_304000_NS8EqualityEEEPlJS6_EEE10hipError_tPvRmT3_T4_T5_T6_T7_T9_mT8_P12ihipStream_tbDpT10_ENKUlT_T0_E_clISt17integral_constantIbLb1EES17_EEDaS12_S13_EUlS12_E_NS1_11comp_targetILNS1_3genE8ELNS1_11target_archE1030ELNS1_3gpuE2ELNS1_3repE0EEENS1_30default_config_static_selectorELNS0_4arch9wavefront6targetE0EEEvT1_
; %bb.0:
	.section	.rodata,"a",@progbits
	.p2align	6, 0x0
	.amdhsa_kernel _ZN7rocprim17ROCPRIM_400000_NS6detail17trampoline_kernelINS0_14default_configENS1_25partition_config_selectorILNS1_17partition_subalgoE8EsNS0_10empty_typeEbEEZZNS1_14partition_implILS5_8ELb0ES3_jPKsPS6_PKS6_NS0_5tupleIJPsS6_EEENSE_IJSB_SB_EEENS0_18inequality_wrapperIN6hipcub16HIPCUB_304000_NS8EqualityEEEPlJS6_EEE10hipError_tPvRmT3_T4_T5_T6_T7_T9_mT8_P12ihipStream_tbDpT10_ENKUlT_T0_E_clISt17integral_constantIbLb1EES17_EEDaS12_S13_EUlS12_E_NS1_11comp_targetILNS1_3genE8ELNS1_11target_archE1030ELNS1_3gpuE2ELNS1_3repE0EEENS1_30default_config_static_selectorELNS0_4arch9wavefront6targetE0EEEvT1_
		.amdhsa_group_segment_fixed_size 0
		.amdhsa_private_segment_fixed_size 0
		.amdhsa_kernarg_size 128
		.amdhsa_user_sgpr_count 2
		.amdhsa_user_sgpr_dispatch_ptr 0
		.amdhsa_user_sgpr_queue_ptr 0
		.amdhsa_user_sgpr_kernarg_segment_ptr 1
		.amdhsa_user_sgpr_dispatch_id 0
		.amdhsa_user_sgpr_kernarg_preload_length 0
		.amdhsa_user_sgpr_kernarg_preload_offset 0
		.amdhsa_user_sgpr_private_segment_size 0
		.amdhsa_wavefront_size32 1
		.amdhsa_uses_dynamic_stack 0
		.amdhsa_enable_private_segment 0
		.amdhsa_system_sgpr_workgroup_id_x 1
		.amdhsa_system_sgpr_workgroup_id_y 0
		.amdhsa_system_sgpr_workgroup_id_z 0
		.amdhsa_system_sgpr_workgroup_info 0
		.amdhsa_system_vgpr_workitem_id 0
		.amdhsa_next_free_vgpr 1
		.amdhsa_next_free_sgpr 1
		.amdhsa_named_barrier_count 0
		.amdhsa_reserve_vcc 0
		.amdhsa_float_round_mode_32 0
		.amdhsa_float_round_mode_16_64 0
		.amdhsa_float_denorm_mode_32 3
		.amdhsa_float_denorm_mode_16_64 3
		.amdhsa_fp16_overflow 0
		.amdhsa_memory_ordered 1
		.amdhsa_forward_progress 1
		.amdhsa_inst_pref_size 0
		.amdhsa_round_robin_scheduling 0
		.amdhsa_exception_fp_ieee_invalid_op 0
		.amdhsa_exception_fp_denorm_src 0
		.amdhsa_exception_fp_ieee_div_zero 0
		.amdhsa_exception_fp_ieee_overflow 0
		.amdhsa_exception_fp_ieee_underflow 0
		.amdhsa_exception_fp_ieee_inexact 0
		.amdhsa_exception_int_div_zero 0
	.end_amdhsa_kernel
	.section	.text._ZN7rocprim17ROCPRIM_400000_NS6detail17trampoline_kernelINS0_14default_configENS1_25partition_config_selectorILNS1_17partition_subalgoE8EsNS0_10empty_typeEbEEZZNS1_14partition_implILS5_8ELb0ES3_jPKsPS6_PKS6_NS0_5tupleIJPsS6_EEENSE_IJSB_SB_EEENS0_18inequality_wrapperIN6hipcub16HIPCUB_304000_NS8EqualityEEEPlJS6_EEE10hipError_tPvRmT3_T4_T5_T6_T7_T9_mT8_P12ihipStream_tbDpT10_ENKUlT_T0_E_clISt17integral_constantIbLb1EES17_EEDaS12_S13_EUlS12_E_NS1_11comp_targetILNS1_3genE8ELNS1_11target_archE1030ELNS1_3gpuE2ELNS1_3repE0EEENS1_30default_config_static_selectorELNS0_4arch9wavefront6targetE0EEEvT1_,"axG",@progbits,_ZN7rocprim17ROCPRIM_400000_NS6detail17trampoline_kernelINS0_14default_configENS1_25partition_config_selectorILNS1_17partition_subalgoE8EsNS0_10empty_typeEbEEZZNS1_14partition_implILS5_8ELb0ES3_jPKsPS6_PKS6_NS0_5tupleIJPsS6_EEENSE_IJSB_SB_EEENS0_18inequality_wrapperIN6hipcub16HIPCUB_304000_NS8EqualityEEEPlJS6_EEE10hipError_tPvRmT3_T4_T5_T6_T7_T9_mT8_P12ihipStream_tbDpT10_ENKUlT_T0_E_clISt17integral_constantIbLb1EES17_EEDaS12_S13_EUlS12_E_NS1_11comp_targetILNS1_3genE8ELNS1_11target_archE1030ELNS1_3gpuE2ELNS1_3repE0EEENS1_30default_config_static_selectorELNS0_4arch9wavefront6targetE0EEEvT1_,comdat
.Lfunc_end563:
	.size	_ZN7rocprim17ROCPRIM_400000_NS6detail17trampoline_kernelINS0_14default_configENS1_25partition_config_selectorILNS1_17partition_subalgoE8EsNS0_10empty_typeEbEEZZNS1_14partition_implILS5_8ELb0ES3_jPKsPS6_PKS6_NS0_5tupleIJPsS6_EEENSE_IJSB_SB_EEENS0_18inequality_wrapperIN6hipcub16HIPCUB_304000_NS8EqualityEEEPlJS6_EEE10hipError_tPvRmT3_T4_T5_T6_T7_T9_mT8_P12ihipStream_tbDpT10_ENKUlT_T0_E_clISt17integral_constantIbLb1EES17_EEDaS12_S13_EUlS12_E_NS1_11comp_targetILNS1_3genE8ELNS1_11target_archE1030ELNS1_3gpuE2ELNS1_3repE0EEENS1_30default_config_static_selectorELNS0_4arch9wavefront6targetE0EEEvT1_, .Lfunc_end563-_ZN7rocprim17ROCPRIM_400000_NS6detail17trampoline_kernelINS0_14default_configENS1_25partition_config_selectorILNS1_17partition_subalgoE8EsNS0_10empty_typeEbEEZZNS1_14partition_implILS5_8ELb0ES3_jPKsPS6_PKS6_NS0_5tupleIJPsS6_EEENSE_IJSB_SB_EEENS0_18inequality_wrapperIN6hipcub16HIPCUB_304000_NS8EqualityEEEPlJS6_EEE10hipError_tPvRmT3_T4_T5_T6_T7_T9_mT8_P12ihipStream_tbDpT10_ENKUlT_T0_E_clISt17integral_constantIbLb1EES17_EEDaS12_S13_EUlS12_E_NS1_11comp_targetILNS1_3genE8ELNS1_11target_archE1030ELNS1_3gpuE2ELNS1_3repE0EEENS1_30default_config_static_selectorELNS0_4arch9wavefront6targetE0EEEvT1_
                                        ; -- End function
	.set _ZN7rocprim17ROCPRIM_400000_NS6detail17trampoline_kernelINS0_14default_configENS1_25partition_config_selectorILNS1_17partition_subalgoE8EsNS0_10empty_typeEbEEZZNS1_14partition_implILS5_8ELb0ES3_jPKsPS6_PKS6_NS0_5tupleIJPsS6_EEENSE_IJSB_SB_EEENS0_18inequality_wrapperIN6hipcub16HIPCUB_304000_NS8EqualityEEEPlJS6_EEE10hipError_tPvRmT3_T4_T5_T6_T7_T9_mT8_P12ihipStream_tbDpT10_ENKUlT_T0_E_clISt17integral_constantIbLb1EES17_EEDaS12_S13_EUlS12_E_NS1_11comp_targetILNS1_3genE8ELNS1_11target_archE1030ELNS1_3gpuE2ELNS1_3repE0EEENS1_30default_config_static_selectorELNS0_4arch9wavefront6targetE0EEEvT1_.num_vgpr, 0
	.set _ZN7rocprim17ROCPRIM_400000_NS6detail17trampoline_kernelINS0_14default_configENS1_25partition_config_selectorILNS1_17partition_subalgoE8EsNS0_10empty_typeEbEEZZNS1_14partition_implILS5_8ELb0ES3_jPKsPS6_PKS6_NS0_5tupleIJPsS6_EEENSE_IJSB_SB_EEENS0_18inequality_wrapperIN6hipcub16HIPCUB_304000_NS8EqualityEEEPlJS6_EEE10hipError_tPvRmT3_T4_T5_T6_T7_T9_mT8_P12ihipStream_tbDpT10_ENKUlT_T0_E_clISt17integral_constantIbLb1EES17_EEDaS12_S13_EUlS12_E_NS1_11comp_targetILNS1_3genE8ELNS1_11target_archE1030ELNS1_3gpuE2ELNS1_3repE0EEENS1_30default_config_static_selectorELNS0_4arch9wavefront6targetE0EEEvT1_.num_agpr, 0
	.set _ZN7rocprim17ROCPRIM_400000_NS6detail17trampoline_kernelINS0_14default_configENS1_25partition_config_selectorILNS1_17partition_subalgoE8EsNS0_10empty_typeEbEEZZNS1_14partition_implILS5_8ELb0ES3_jPKsPS6_PKS6_NS0_5tupleIJPsS6_EEENSE_IJSB_SB_EEENS0_18inequality_wrapperIN6hipcub16HIPCUB_304000_NS8EqualityEEEPlJS6_EEE10hipError_tPvRmT3_T4_T5_T6_T7_T9_mT8_P12ihipStream_tbDpT10_ENKUlT_T0_E_clISt17integral_constantIbLb1EES17_EEDaS12_S13_EUlS12_E_NS1_11comp_targetILNS1_3genE8ELNS1_11target_archE1030ELNS1_3gpuE2ELNS1_3repE0EEENS1_30default_config_static_selectorELNS0_4arch9wavefront6targetE0EEEvT1_.numbered_sgpr, 0
	.set _ZN7rocprim17ROCPRIM_400000_NS6detail17trampoline_kernelINS0_14default_configENS1_25partition_config_selectorILNS1_17partition_subalgoE8EsNS0_10empty_typeEbEEZZNS1_14partition_implILS5_8ELb0ES3_jPKsPS6_PKS6_NS0_5tupleIJPsS6_EEENSE_IJSB_SB_EEENS0_18inequality_wrapperIN6hipcub16HIPCUB_304000_NS8EqualityEEEPlJS6_EEE10hipError_tPvRmT3_T4_T5_T6_T7_T9_mT8_P12ihipStream_tbDpT10_ENKUlT_T0_E_clISt17integral_constantIbLb1EES17_EEDaS12_S13_EUlS12_E_NS1_11comp_targetILNS1_3genE8ELNS1_11target_archE1030ELNS1_3gpuE2ELNS1_3repE0EEENS1_30default_config_static_selectorELNS0_4arch9wavefront6targetE0EEEvT1_.num_named_barrier, 0
	.set _ZN7rocprim17ROCPRIM_400000_NS6detail17trampoline_kernelINS0_14default_configENS1_25partition_config_selectorILNS1_17partition_subalgoE8EsNS0_10empty_typeEbEEZZNS1_14partition_implILS5_8ELb0ES3_jPKsPS6_PKS6_NS0_5tupleIJPsS6_EEENSE_IJSB_SB_EEENS0_18inequality_wrapperIN6hipcub16HIPCUB_304000_NS8EqualityEEEPlJS6_EEE10hipError_tPvRmT3_T4_T5_T6_T7_T9_mT8_P12ihipStream_tbDpT10_ENKUlT_T0_E_clISt17integral_constantIbLb1EES17_EEDaS12_S13_EUlS12_E_NS1_11comp_targetILNS1_3genE8ELNS1_11target_archE1030ELNS1_3gpuE2ELNS1_3repE0EEENS1_30default_config_static_selectorELNS0_4arch9wavefront6targetE0EEEvT1_.private_seg_size, 0
	.set _ZN7rocprim17ROCPRIM_400000_NS6detail17trampoline_kernelINS0_14default_configENS1_25partition_config_selectorILNS1_17partition_subalgoE8EsNS0_10empty_typeEbEEZZNS1_14partition_implILS5_8ELb0ES3_jPKsPS6_PKS6_NS0_5tupleIJPsS6_EEENSE_IJSB_SB_EEENS0_18inequality_wrapperIN6hipcub16HIPCUB_304000_NS8EqualityEEEPlJS6_EEE10hipError_tPvRmT3_T4_T5_T6_T7_T9_mT8_P12ihipStream_tbDpT10_ENKUlT_T0_E_clISt17integral_constantIbLb1EES17_EEDaS12_S13_EUlS12_E_NS1_11comp_targetILNS1_3genE8ELNS1_11target_archE1030ELNS1_3gpuE2ELNS1_3repE0EEENS1_30default_config_static_selectorELNS0_4arch9wavefront6targetE0EEEvT1_.uses_vcc, 0
	.set _ZN7rocprim17ROCPRIM_400000_NS6detail17trampoline_kernelINS0_14default_configENS1_25partition_config_selectorILNS1_17partition_subalgoE8EsNS0_10empty_typeEbEEZZNS1_14partition_implILS5_8ELb0ES3_jPKsPS6_PKS6_NS0_5tupleIJPsS6_EEENSE_IJSB_SB_EEENS0_18inequality_wrapperIN6hipcub16HIPCUB_304000_NS8EqualityEEEPlJS6_EEE10hipError_tPvRmT3_T4_T5_T6_T7_T9_mT8_P12ihipStream_tbDpT10_ENKUlT_T0_E_clISt17integral_constantIbLb1EES17_EEDaS12_S13_EUlS12_E_NS1_11comp_targetILNS1_3genE8ELNS1_11target_archE1030ELNS1_3gpuE2ELNS1_3repE0EEENS1_30default_config_static_selectorELNS0_4arch9wavefront6targetE0EEEvT1_.uses_flat_scratch, 0
	.set _ZN7rocprim17ROCPRIM_400000_NS6detail17trampoline_kernelINS0_14default_configENS1_25partition_config_selectorILNS1_17partition_subalgoE8EsNS0_10empty_typeEbEEZZNS1_14partition_implILS5_8ELb0ES3_jPKsPS6_PKS6_NS0_5tupleIJPsS6_EEENSE_IJSB_SB_EEENS0_18inequality_wrapperIN6hipcub16HIPCUB_304000_NS8EqualityEEEPlJS6_EEE10hipError_tPvRmT3_T4_T5_T6_T7_T9_mT8_P12ihipStream_tbDpT10_ENKUlT_T0_E_clISt17integral_constantIbLb1EES17_EEDaS12_S13_EUlS12_E_NS1_11comp_targetILNS1_3genE8ELNS1_11target_archE1030ELNS1_3gpuE2ELNS1_3repE0EEENS1_30default_config_static_selectorELNS0_4arch9wavefront6targetE0EEEvT1_.has_dyn_sized_stack, 0
	.set _ZN7rocprim17ROCPRIM_400000_NS6detail17trampoline_kernelINS0_14default_configENS1_25partition_config_selectorILNS1_17partition_subalgoE8EsNS0_10empty_typeEbEEZZNS1_14partition_implILS5_8ELb0ES3_jPKsPS6_PKS6_NS0_5tupleIJPsS6_EEENSE_IJSB_SB_EEENS0_18inequality_wrapperIN6hipcub16HIPCUB_304000_NS8EqualityEEEPlJS6_EEE10hipError_tPvRmT3_T4_T5_T6_T7_T9_mT8_P12ihipStream_tbDpT10_ENKUlT_T0_E_clISt17integral_constantIbLb1EES17_EEDaS12_S13_EUlS12_E_NS1_11comp_targetILNS1_3genE8ELNS1_11target_archE1030ELNS1_3gpuE2ELNS1_3repE0EEENS1_30default_config_static_selectorELNS0_4arch9wavefront6targetE0EEEvT1_.has_recursion, 0
	.set _ZN7rocprim17ROCPRIM_400000_NS6detail17trampoline_kernelINS0_14default_configENS1_25partition_config_selectorILNS1_17partition_subalgoE8EsNS0_10empty_typeEbEEZZNS1_14partition_implILS5_8ELb0ES3_jPKsPS6_PKS6_NS0_5tupleIJPsS6_EEENSE_IJSB_SB_EEENS0_18inequality_wrapperIN6hipcub16HIPCUB_304000_NS8EqualityEEEPlJS6_EEE10hipError_tPvRmT3_T4_T5_T6_T7_T9_mT8_P12ihipStream_tbDpT10_ENKUlT_T0_E_clISt17integral_constantIbLb1EES17_EEDaS12_S13_EUlS12_E_NS1_11comp_targetILNS1_3genE8ELNS1_11target_archE1030ELNS1_3gpuE2ELNS1_3repE0EEENS1_30default_config_static_selectorELNS0_4arch9wavefront6targetE0EEEvT1_.has_indirect_call, 0
	.section	.AMDGPU.csdata,"",@progbits
; Kernel info:
; codeLenInByte = 0
; TotalNumSgprs: 0
; NumVgprs: 0
; ScratchSize: 0
; MemoryBound: 0
; FloatMode: 240
; IeeeMode: 1
; LDSByteSize: 0 bytes/workgroup (compile time only)
; SGPRBlocks: 0
; VGPRBlocks: 0
; NumSGPRsForWavesPerEU: 1
; NumVGPRsForWavesPerEU: 1
; NamedBarCnt: 0
; Occupancy: 16
; WaveLimiterHint : 0
; COMPUTE_PGM_RSRC2:SCRATCH_EN: 0
; COMPUTE_PGM_RSRC2:USER_SGPR: 2
; COMPUTE_PGM_RSRC2:TRAP_HANDLER: 0
; COMPUTE_PGM_RSRC2:TGID_X_EN: 1
; COMPUTE_PGM_RSRC2:TGID_Y_EN: 0
; COMPUTE_PGM_RSRC2:TGID_Z_EN: 0
; COMPUTE_PGM_RSRC2:TIDIG_COMP_CNT: 0
	.section	.text._ZN7rocprim17ROCPRIM_400000_NS6detail17trampoline_kernelINS0_14default_configENS1_25partition_config_selectorILNS1_17partition_subalgoE8EsNS0_10empty_typeEbEEZZNS1_14partition_implILS5_8ELb0ES3_jPKsPS6_PKS6_NS0_5tupleIJPsS6_EEENSE_IJSB_SB_EEENS0_18inequality_wrapperIN6hipcub16HIPCUB_304000_NS8EqualityEEEPlJS6_EEE10hipError_tPvRmT3_T4_T5_T6_T7_T9_mT8_P12ihipStream_tbDpT10_ENKUlT_T0_E_clISt17integral_constantIbLb1EES16_IbLb0EEEEDaS12_S13_EUlS12_E_NS1_11comp_targetILNS1_3genE0ELNS1_11target_archE4294967295ELNS1_3gpuE0ELNS1_3repE0EEENS1_30default_config_static_selectorELNS0_4arch9wavefront6targetE0EEEvT1_,"axG",@progbits,_ZN7rocprim17ROCPRIM_400000_NS6detail17trampoline_kernelINS0_14default_configENS1_25partition_config_selectorILNS1_17partition_subalgoE8EsNS0_10empty_typeEbEEZZNS1_14partition_implILS5_8ELb0ES3_jPKsPS6_PKS6_NS0_5tupleIJPsS6_EEENSE_IJSB_SB_EEENS0_18inequality_wrapperIN6hipcub16HIPCUB_304000_NS8EqualityEEEPlJS6_EEE10hipError_tPvRmT3_T4_T5_T6_T7_T9_mT8_P12ihipStream_tbDpT10_ENKUlT_T0_E_clISt17integral_constantIbLb1EES16_IbLb0EEEEDaS12_S13_EUlS12_E_NS1_11comp_targetILNS1_3genE0ELNS1_11target_archE4294967295ELNS1_3gpuE0ELNS1_3repE0EEENS1_30default_config_static_selectorELNS0_4arch9wavefront6targetE0EEEvT1_,comdat
	.protected	_ZN7rocprim17ROCPRIM_400000_NS6detail17trampoline_kernelINS0_14default_configENS1_25partition_config_selectorILNS1_17partition_subalgoE8EsNS0_10empty_typeEbEEZZNS1_14partition_implILS5_8ELb0ES3_jPKsPS6_PKS6_NS0_5tupleIJPsS6_EEENSE_IJSB_SB_EEENS0_18inequality_wrapperIN6hipcub16HIPCUB_304000_NS8EqualityEEEPlJS6_EEE10hipError_tPvRmT3_T4_T5_T6_T7_T9_mT8_P12ihipStream_tbDpT10_ENKUlT_T0_E_clISt17integral_constantIbLb1EES16_IbLb0EEEEDaS12_S13_EUlS12_E_NS1_11comp_targetILNS1_3genE0ELNS1_11target_archE4294967295ELNS1_3gpuE0ELNS1_3repE0EEENS1_30default_config_static_selectorELNS0_4arch9wavefront6targetE0EEEvT1_ ; -- Begin function _ZN7rocprim17ROCPRIM_400000_NS6detail17trampoline_kernelINS0_14default_configENS1_25partition_config_selectorILNS1_17partition_subalgoE8EsNS0_10empty_typeEbEEZZNS1_14partition_implILS5_8ELb0ES3_jPKsPS6_PKS6_NS0_5tupleIJPsS6_EEENSE_IJSB_SB_EEENS0_18inequality_wrapperIN6hipcub16HIPCUB_304000_NS8EqualityEEEPlJS6_EEE10hipError_tPvRmT3_T4_T5_T6_T7_T9_mT8_P12ihipStream_tbDpT10_ENKUlT_T0_E_clISt17integral_constantIbLb1EES16_IbLb0EEEEDaS12_S13_EUlS12_E_NS1_11comp_targetILNS1_3genE0ELNS1_11target_archE4294967295ELNS1_3gpuE0ELNS1_3repE0EEENS1_30default_config_static_selectorELNS0_4arch9wavefront6targetE0EEEvT1_
	.globl	_ZN7rocprim17ROCPRIM_400000_NS6detail17trampoline_kernelINS0_14default_configENS1_25partition_config_selectorILNS1_17partition_subalgoE8EsNS0_10empty_typeEbEEZZNS1_14partition_implILS5_8ELb0ES3_jPKsPS6_PKS6_NS0_5tupleIJPsS6_EEENSE_IJSB_SB_EEENS0_18inequality_wrapperIN6hipcub16HIPCUB_304000_NS8EqualityEEEPlJS6_EEE10hipError_tPvRmT3_T4_T5_T6_T7_T9_mT8_P12ihipStream_tbDpT10_ENKUlT_T0_E_clISt17integral_constantIbLb1EES16_IbLb0EEEEDaS12_S13_EUlS12_E_NS1_11comp_targetILNS1_3genE0ELNS1_11target_archE4294967295ELNS1_3gpuE0ELNS1_3repE0EEENS1_30default_config_static_selectorELNS0_4arch9wavefront6targetE0EEEvT1_
	.p2align	8
	.type	_ZN7rocprim17ROCPRIM_400000_NS6detail17trampoline_kernelINS0_14default_configENS1_25partition_config_selectorILNS1_17partition_subalgoE8EsNS0_10empty_typeEbEEZZNS1_14partition_implILS5_8ELb0ES3_jPKsPS6_PKS6_NS0_5tupleIJPsS6_EEENSE_IJSB_SB_EEENS0_18inequality_wrapperIN6hipcub16HIPCUB_304000_NS8EqualityEEEPlJS6_EEE10hipError_tPvRmT3_T4_T5_T6_T7_T9_mT8_P12ihipStream_tbDpT10_ENKUlT_T0_E_clISt17integral_constantIbLb1EES16_IbLb0EEEEDaS12_S13_EUlS12_E_NS1_11comp_targetILNS1_3genE0ELNS1_11target_archE4294967295ELNS1_3gpuE0ELNS1_3repE0EEENS1_30default_config_static_selectorELNS0_4arch9wavefront6targetE0EEEvT1_,@function
_ZN7rocprim17ROCPRIM_400000_NS6detail17trampoline_kernelINS0_14default_configENS1_25partition_config_selectorILNS1_17partition_subalgoE8EsNS0_10empty_typeEbEEZZNS1_14partition_implILS5_8ELb0ES3_jPKsPS6_PKS6_NS0_5tupleIJPsS6_EEENSE_IJSB_SB_EEENS0_18inequality_wrapperIN6hipcub16HIPCUB_304000_NS8EqualityEEEPlJS6_EEE10hipError_tPvRmT3_T4_T5_T6_T7_T9_mT8_P12ihipStream_tbDpT10_ENKUlT_T0_E_clISt17integral_constantIbLb1EES16_IbLb0EEEEDaS12_S13_EUlS12_E_NS1_11comp_targetILNS1_3genE0ELNS1_11target_archE4294967295ELNS1_3gpuE0ELNS1_3repE0EEENS1_30default_config_static_selectorELNS0_4arch9wavefront6targetE0EEEvT1_: ; @_ZN7rocprim17ROCPRIM_400000_NS6detail17trampoline_kernelINS0_14default_configENS1_25partition_config_selectorILNS1_17partition_subalgoE8EsNS0_10empty_typeEbEEZZNS1_14partition_implILS5_8ELb0ES3_jPKsPS6_PKS6_NS0_5tupleIJPsS6_EEENSE_IJSB_SB_EEENS0_18inequality_wrapperIN6hipcub16HIPCUB_304000_NS8EqualityEEEPlJS6_EEE10hipError_tPvRmT3_T4_T5_T6_T7_T9_mT8_P12ihipStream_tbDpT10_ENKUlT_T0_E_clISt17integral_constantIbLb1EES16_IbLb0EEEEDaS12_S13_EUlS12_E_NS1_11comp_targetILNS1_3genE0ELNS1_11target_archE4294967295ELNS1_3gpuE0ELNS1_3repE0EEENS1_30default_config_static_selectorELNS0_4arch9wavefront6targetE0EEEvT1_
; %bb.0:
	s_endpgm
	.section	.rodata,"a",@progbits
	.p2align	6, 0x0
	.amdhsa_kernel _ZN7rocprim17ROCPRIM_400000_NS6detail17trampoline_kernelINS0_14default_configENS1_25partition_config_selectorILNS1_17partition_subalgoE8EsNS0_10empty_typeEbEEZZNS1_14partition_implILS5_8ELb0ES3_jPKsPS6_PKS6_NS0_5tupleIJPsS6_EEENSE_IJSB_SB_EEENS0_18inequality_wrapperIN6hipcub16HIPCUB_304000_NS8EqualityEEEPlJS6_EEE10hipError_tPvRmT3_T4_T5_T6_T7_T9_mT8_P12ihipStream_tbDpT10_ENKUlT_T0_E_clISt17integral_constantIbLb1EES16_IbLb0EEEEDaS12_S13_EUlS12_E_NS1_11comp_targetILNS1_3genE0ELNS1_11target_archE4294967295ELNS1_3gpuE0ELNS1_3repE0EEENS1_30default_config_static_selectorELNS0_4arch9wavefront6targetE0EEEvT1_
		.amdhsa_group_segment_fixed_size 0
		.amdhsa_private_segment_fixed_size 0
		.amdhsa_kernarg_size 112
		.amdhsa_user_sgpr_count 2
		.amdhsa_user_sgpr_dispatch_ptr 0
		.amdhsa_user_sgpr_queue_ptr 0
		.amdhsa_user_sgpr_kernarg_segment_ptr 1
		.amdhsa_user_sgpr_dispatch_id 0
		.amdhsa_user_sgpr_kernarg_preload_length 0
		.amdhsa_user_sgpr_kernarg_preload_offset 0
		.amdhsa_user_sgpr_private_segment_size 0
		.amdhsa_wavefront_size32 1
		.amdhsa_uses_dynamic_stack 0
		.amdhsa_enable_private_segment 0
		.amdhsa_system_sgpr_workgroup_id_x 1
		.amdhsa_system_sgpr_workgroup_id_y 0
		.amdhsa_system_sgpr_workgroup_id_z 0
		.amdhsa_system_sgpr_workgroup_info 0
		.amdhsa_system_vgpr_workitem_id 0
		.amdhsa_next_free_vgpr 1
		.amdhsa_next_free_sgpr 1
		.amdhsa_named_barrier_count 0
		.amdhsa_reserve_vcc 0
		.amdhsa_float_round_mode_32 0
		.amdhsa_float_round_mode_16_64 0
		.amdhsa_float_denorm_mode_32 3
		.amdhsa_float_denorm_mode_16_64 3
		.amdhsa_fp16_overflow 0
		.amdhsa_memory_ordered 1
		.amdhsa_forward_progress 1
		.amdhsa_inst_pref_size 1
		.amdhsa_round_robin_scheduling 0
		.amdhsa_exception_fp_ieee_invalid_op 0
		.amdhsa_exception_fp_denorm_src 0
		.amdhsa_exception_fp_ieee_div_zero 0
		.amdhsa_exception_fp_ieee_overflow 0
		.amdhsa_exception_fp_ieee_underflow 0
		.amdhsa_exception_fp_ieee_inexact 0
		.amdhsa_exception_int_div_zero 0
	.end_amdhsa_kernel
	.section	.text._ZN7rocprim17ROCPRIM_400000_NS6detail17trampoline_kernelINS0_14default_configENS1_25partition_config_selectorILNS1_17partition_subalgoE8EsNS0_10empty_typeEbEEZZNS1_14partition_implILS5_8ELb0ES3_jPKsPS6_PKS6_NS0_5tupleIJPsS6_EEENSE_IJSB_SB_EEENS0_18inequality_wrapperIN6hipcub16HIPCUB_304000_NS8EqualityEEEPlJS6_EEE10hipError_tPvRmT3_T4_T5_T6_T7_T9_mT8_P12ihipStream_tbDpT10_ENKUlT_T0_E_clISt17integral_constantIbLb1EES16_IbLb0EEEEDaS12_S13_EUlS12_E_NS1_11comp_targetILNS1_3genE0ELNS1_11target_archE4294967295ELNS1_3gpuE0ELNS1_3repE0EEENS1_30default_config_static_selectorELNS0_4arch9wavefront6targetE0EEEvT1_,"axG",@progbits,_ZN7rocprim17ROCPRIM_400000_NS6detail17trampoline_kernelINS0_14default_configENS1_25partition_config_selectorILNS1_17partition_subalgoE8EsNS0_10empty_typeEbEEZZNS1_14partition_implILS5_8ELb0ES3_jPKsPS6_PKS6_NS0_5tupleIJPsS6_EEENSE_IJSB_SB_EEENS0_18inequality_wrapperIN6hipcub16HIPCUB_304000_NS8EqualityEEEPlJS6_EEE10hipError_tPvRmT3_T4_T5_T6_T7_T9_mT8_P12ihipStream_tbDpT10_ENKUlT_T0_E_clISt17integral_constantIbLb1EES16_IbLb0EEEEDaS12_S13_EUlS12_E_NS1_11comp_targetILNS1_3genE0ELNS1_11target_archE4294967295ELNS1_3gpuE0ELNS1_3repE0EEENS1_30default_config_static_selectorELNS0_4arch9wavefront6targetE0EEEvT1_,comdat
.Lfunc_end564:
	.size	_ZN7rocprim17ROCPRIM_400000_NS6detail17trampoline_kernelINS0_14default_configENS1_25partition_config_selectorILNS1_17partition_subalgoE8EsNS0_10empty_typeEbEEZZNS1_14partition_implILS5_8ELb0ES3_jPKsPS6_PKS6_NS0_5tupleIJPsS6_EEENSE_IJSB_SB_EEENS0_18inequality_wrapperIN6hipcub16HIPCUB_304000_NS8EqualityEEEPlJS6_EEE10hipError_tPvRmT3_T4_T5_T6_T7_T9_mT8_P12ihipStream_tbDpT10_ENKUlT_T0_E_clISt17integral_constantIbLb1EES16_IbLb0EEEEDaS12_S13_EUlS12_E_NS1_11comp_targetILNS1_3genE0ELNS1_11target_archE4294967295ELNS1_3gpuE0ELNS1_3repE0EEENS1_30default_config_static_selectorELNS0_4arch9wavefront6targetE0EEEvT1_, .Lfunc_end564-_ZN7rocprim17ROCPRIM_400000_NS6detail17trampoline_kernelINS0_14default_configENS1_25partition_config_selectorILNS1_17partition_subalgoE8EsNS0_10empty_typeEbEEZZNS1_14partition_implILS5_8ELb0ES3_jPKsPS6_PKS6_NS0_5tupleIJPsS6_EEENSE_IJSB_SB_EEENS0_18inequality_wrapperIN6hipcub16HIPCUB_304000_NS8EqualityEEEPlJS6_EEE10hipError_tPvRmT3_T4_T5_T6_T7_T9_mT8_P12ihipStream_tbDpT10_ENKUlT_T0_E_clISt17integral_constantIbLb1EES16_IbLb0EEEEDaS12_S13_EUlS12_E_NS1_11comp_targetILNS1_3genE0ELNS1_11target_archE4294967295ELNS1_3gpuE0ELNS1_3repE0EEENS1_30default_config_static_selectorELNS0_4arch9wavefront6targetE0EEEvT1_
                                        ; -- End function
	.set _ZN7rocprim17ROCPRIM_400000_NS6detail17trampoline_kernelINS0_14default_configENS1_25partition_config_selectorILNS1_17partition_subalgoE8EsNS0_10empty_typeEbEEZZNS1_14partition_implILS5_8ELb0ES3_jPKsPS6_PKS6_NS0_5tupleIJPsS6_EEENSE_IJSB_SB_EEENS0_18inequality_wrapperIN6hipcub16HIPCUB_304000_NS8EqualityEEEPlJS6_EEE10hipError_tPvRmT3_T4_T5_T6_T7_T9_mT8_P12ihipStream_tbDpT10_ENKUlT_T0_E_clISt17integral_constantIbLb1EES16_IbLb0EEEEDaS12_S13_EUlS12_E_NS1_11comp_targetILNS1_3genE0ELNS1_11target_archE4294967295ELNS1_3gpuE0ELNS1_3repE0EEENS1_30default_config_static_selectorELNS0_4arch9wavefront6targetE0EEEvT1_.num_vgpr, 0
	.set _ZN7rocprim17ROCPRIM_400000_NS6detail17trampoline_kernelINS0_14default_configENS1_25partition_config_selectorILNS1_17partition_subalgoE8EsNS0_10empty_typeEbEEZZNS1_14partition_implILS5_8ELb0ES3_jPKsPS6_PKS6_NS0_5tupleIJPsS6_EEENSE_IJSB_SB_EEENS0_18inequality_wrapperIN6hipcub16HIPCUB_304000_NS8EqualityEEEPlJS6_EEE10hipError_tPvRmT3_T4_T5_T6_T7_T9_mT8_P12ihipStream_tbDpT10_ENKUlT_T0_E_clISt17integral_constantIbLb1EES16_IbLb0EEEEDaS12_S13_EUlS12_E_NS1_11comp_targetILNS1_3genE0ELNS1_11target_archE4294967295ELNS1_3gpuE0ELNS1_3repE0EEENS1_30default_config_static_selectorELNS0_4arch9wavefront6targetE0EEEvT1_.num_agpr, 0
	.set _ZN7rocprim17ROCPRIM_400000_NS6detail17trampoline_kernelINS0_14default_configENS1_25partition_config_selectorILNS1_17partition_subalgoE8EsNS0_10empty_typeEbEEZZNS1_14partition_implILS5_8ELb0ES3_jPKsPS6_PKS6_NS0_5tupleIJPsS6_EEENSE_IJSB_SB_EEENS0_18inequality_wrapperIN6hipcub16HIPCUB_304000_NS8EqualityEEEPlJS6_EEE10hipError_tPvRmT3_T4_T5_T6_T7_T9_mT8_P12ihipStream_tbDpT10_ENKUlT_T0_E_clISt17integral_constantIbLb1EES16_IbLb0EEEEDaS12_S13_EUlS12_E_NS1_11comp_targetILNS1_3genE0ELNS1_11target_archE4294967295ELNS1_3gpuE0ELNS1_3repE0EEENS1_30default_config_static_selectorELNS0_4arch9wavefront6targetE0EEEvT1_.numbered_sgpr, 0
	.set _ZN7rocprim17ROCPRIM_400000_NS6detail17trampoline_kernelINS0_14default_configENS1_25partition_config_selectorILNS1_17partition_subalgoE8EsNS0_10empty_typeEbEEZZNS1_14partition_implILS5_8ELb0ES3_jPKsPS6_PKS6_NS0_5tupleIJPsS6_EEENSE_IJSB_SB_EEENS0_18inequality_wrapperIN6hipcub16HIPCUB_304000_NS8EqualityEEEPlJS6_EEE10hipError_tPvRmT3_T4_T5_T6_T7_T9_mT8_P12ihipStream_tbDpT10_ENKUlT_T0_E_clISt17integral_constantIbLb1EES16_IbLb0EEEEDaS12_S13_EUlS12_E_NS1_11comp_targetILNS1_3genE0ELNS1_11target_archE4294967295ELNS1_3gpuE0ELNS1_3repE0EEENS1_30default_config_static_selectorELNS0_4arch9wavefront6targetE0EEEvT1_.num_named_barrier, 0
	.set _ZN7rocprim17ROCPRIM_400000_NS6detail17trampoline_kernelINS0_14default_configENS1_25partition_config_selectorILNS1_17partition_subalgoE8EsNS0_10empty_typeEbEEZZNS1_14partition_implILS5_8ELb0ES3_jPKsPS6_PKS6_NS0_5tupleIJPsS6_EEENSE_IJSB_SB_EEENS0_18inequality_wrapperIN6hipcub16HIPCUB_304000_NS8EqualityEEEPlJS6_EEE10hipError_tPvRmT3_T4_T5_T6_T7_T9_mT8_P12ihipStream_tbDpT10_ENKUlT_T0_E_clISt17integral_constantIbLb1EES16_IbLb0EEEEDaS12_S13_EUlS12_E_NS1_11comp_targetILNS1_3genE0ELNS1_11target_archE4294967295ELNS1_3gpuE0ELNS1_3repE0EEENS1_30default_config_static_selectorELNS0_4arch9wavefront6targetE0EEEvT1_.private_seg_size, 0
	.set _ZN7rocprim17ROCPRIM_400000_NS6detail17trampoline_kernelINS0_14default_configENS1_25partition_config_selectorILNS1_17partition_subalgoE8EsNS0_10empty_typeEbEEZZNS1_14partition_implILS5_8ELb0ES3_jPKsPS6_PKS6_NS0_5tupleIJPsS6_EEENSE_IJSB_SB_EEENS0_18inequality_wrapperIN6hipcub16HIPCUB_304000_NS8EqualityEEEPlJS6_EEE10hipError_tPvRmT3_T4_T5_T6_T7_T9_mT8_P12ihipStream_tbDpT10_ENKUlT_T0_E_clISt17integral_constantIbLb1EES16_IbLb0EEEEDaS12_S13_EUlS12_E_NS1_11comp_targetILNS1_3genE0ELNS1_11target_archE4294967295ELNS1_3gpuE0ELNS1_3repE0EEENS1_30default_config_static_selectorELNS0_4arch9wavefront6targetE0EEEvT1_.uses_vcc, 0
	.set _ZN7rocprim17ROCPRIM_400000_NS6detail17trampoline_kernelINS0_14default_configENS1_25partition_config_selectorILNS1_17partition_subalgoE8EsNS0_10empty_typeEbEEZZNS1_14partition_implILS5_8ELb0ES3_jPKsPS6_PKS6_NS0_5tupleIJPsS6_EEENSE_IJSB_SB_EEENS0_18inequality_wrapperIN6hipcub16HIPCUB_304000_NS8EqualityEEEPlJS6_EEE10hipError_tPvRmT3_T4_T5_T6_T7_T9_mT8_P12ihipStream_tbDpT10_ENKUlT_T0_E_clISt17integral_constantIbLb1EES16_IbLb0EEEEDaS12_S13_EUlS12_E_NS1_11comp_targetILNS1_3genE0ELNS1_11target_archE4294967295ELNS1_3gpuE0ELNS1_3repE0EEENS1_30default_config_static_selectorELNS0_4arch9wavefront6targetE0EEEvT1_.uses_flat_scratch, 0
	.set _ZN7rocprim17ROCPRIM_400000_NS6detail17trampoline_kernelINS0_14default_configENS1_25partition_config_selectorILNS1_17partition_subalgoE8EsNS0_10empty_typeEbEEZZNS1_14partition_implILS5_8ELb0ES3_jPKsPS6_PKS6_NS0_5tupleIJPsS6_EEENSE_IJSB_SB_EEENS0_18inequality_wrapperIN6hipcub16HIPCUB_304000_NS8EqualityEEEPlJS6_EEE10hipError_tPvRmT3_T4_T5_T6_T7_T9_mT8_P12ihipStream_tbDpT10_ENKUlT_T0_E_clISt17integral_constantIbLb1EES16_IbLb0EEEEDaS12_S13_EUlS12_E_NS1_11comp_targetILNS1_3genE0ELNS1_11target_archE4294967295ELNS1_3gpuE0ELNS1_3repE0EEENS1_30default_config_static_selectorELNS0_4arch9wavefront6targetE0EEEvT1_.has_dyn_sized_stack, 0
	.set _ZN7rocprim17ROCPRIM_400000_NS6detail17trampoline_kernelINS0_14default_configENS1_25partition_config_selectorILNS1_17partition_subalgoE8EsNS0_10empty_typeEbEEZZNS1_14partition_implILS5_8ELb0ES3_jPKsPS6_PKS6_NS0_5tupleIJPsS6_EEENSE_IJSB_SB_EEENS0_18inequality_wrapperIN6hipcub16HIPCUB_304000_NS8EqualityEEEPlJS6_EEE10hipError_tPvRmT3_T4_T5_T6_T7_T9_mT8_P12ihipStream_tbDpT10_ENKUlT_T0_E_clISt17integral_constantIbLb1EES16_IbLb0EEEEDaS12_S13_EUlS12_E_NS1_11comp_targetILNS1_3genE0ELNS1_11target_archE4294967295ELNS1_3gpuE0ELNS1_3repE0EEENS1_30default_config_static_selectorELNS0_4arch9wavefront6targetE0EEEvT1_.has_recursion, 0
	.set _ZN7rocprim17ROCPRIM_400000_NS6detail17trampoline_kernelINS0_14default_configENS1_25partition_config_selectorILNS1_17partition_subalgoE8EsNS0_10empty_typeEbEEZZNS1_14partition_implILS5_8ELb0ES3_jPKsPS6_PKS6_NS0_5tupleIJPsS6_EEENSE_IJSB_SB_EEENS0_18inequality_wrapperIN6hipcub16HIPCUB_304000_NS8EqualityEEEPlJS6_EEE10hipError_tPvRmT3_T4_T5_T6_T7_T9_mT8_P12ihipStream_tbDpT10_ENKUlT_T0_E_clISt17integral_constantIbLb1EES16_IbLb0EEEEDaS12_S13_EUlS12_E_NS1_11comp_targetILNS1_3genE0ELNS1_11target_archE4294967295ELNS1_3gpuE0ELNS1_3repE0EEENS1_30default_config_static_selectorELNS0_4arch9wavefront6targetE0EEEvT1_.has_indirect_call, 0
	.section	.AMDGPU.csdata,"",@progbits
; Kernel info:
; codeLenInByte = 4
; TotalNumSgprs: 0
; NumVgprs: 0
; ScratchSize: 0
; MemoryBound: 0
; FloatMode: 240
; IeeeMode: 1
; LDSByteSize: 0 bytes/workgroup (compile time only)
; SGPRBlocks: 0
; VGPRBlocks: 0
; NumSGPRsForWavesPerEU: 1
; NumVGPRsForWavesPerEU: 1
; NamedBarCnt: 0
; Occupancy: 16
; WaveLimiterHint : 0
; COMPUTE_PGM_RSRC2:SCRATCH_EN: 0
; COMPUTE_PGM_RSRC2:USER_SGPR: 2
; COMPUTE_PGM_RSRC2:TRAP_HANDLER: 0
; COMPUTE_PGM_RSRC2:TGID_X_EN: 1
; COMPUTE_PGM_RSRC2:TGID_Y_EN: 0
; COMPUTE_PGM_RSRC2:TGID_Z_EN: 0
; COMPUTE_PGM_RSRC2:TIDIG_COMP_CNT: 0
	.section	.text._ZN7rocprim17ROCPRIM_400000_NS6detail17trampoline_kernelINS0_14default_configENS1_25partition_config_selectorILNS1_17partition_subalgoE8EsNS0_10empty_typeEbEEZZNS1_14partition_implILS5_8ELb0ES3_jPKsPS6_PKS6_NS0_5tupleIJPsS6_EEENSE_IJSB_SB_EEENS0_18inequality_wrapperIN6hipcub16HIPCUB_304000_NS8EqualityEEEPlJS6_EEE10hipError_tPvRmT3_T4_T5_T6_T7_T9_mT8_P12ihipStream_tbDpT10_ENKUlT_T0_E_clISt17integral_constantIbLb1EES16_IbLb0EEEEDaS12_S13_EUlS12_E_NS1_11comp_targetILNS1_3genE5ELNS1_11target_archE942ELNS1_3gpuE9ELNS1_3repE0EEENS1_30default_config_static_selectorELNS0_4arch9wavefront6targetE0EEEvT1_,"axG",@progbits,_ZN7rocprim17ROCPRIM_400000_NS6detail17trampoline_kernelINS0_14default_configENS1_25partition_config_selectorILNS1_17partition_subalgoE8EsNS0_10empty_typeEbEEZZNS1_14partition_implILS5_8ELb0ES3_jPKsPS6_PKS6_NS0_5tupleIJPsS6_EEENSE_IJSB_SB_EEENS0_18inequality_wrapperIN6hipcub16HIPCUB_304000_NS8EqualityEEEPlJS6_EEE10hipError_tPvRmT3_T4_T5_T6_T7_T9_mT8_P12ihipStream_tbDpT10_ENKUlT_T0_E_clISt17integral_constantIbLb1EES16_IbLb0EEEEDaS12_S13_EUlS12_E_NS1_11comp_targetILNS1_3genE5ELNS1_11target_archE942ELNS1_3gpuE9ELNS1_3repE0EEENS1_30default_config_static_selectorELNS0_4arch9wavefront6targetE0EEEvT1_,comdat
	.protected	_ZN7rocprim17ROCPRIM_400000_NS6detail17trampoline_kernelINS0_14default_configENS1_25partition_config_selectorILNS1_17partition_subalgoE8EsNS0_10empty_typeEbEEZZNS1_14partition_implILS5_8ELb0ES3_jPKsPS6_PKS6_NS0_5tupleIJPsS6_EEENSE_IJSB_SB_EEENS0_18inequality_wrapperIN6hipcub16HIPCUB_304000_NS8EqualityEEEPlJS6_EEE10hipError_tPvRmT3_T4_T5_T6_T7_T9_mT8_P12ihipStream_tbDpT10_ENKUlT_T0_E_clISt17integral_constantIbLb1EES16_IbLb0EEEEDaS12_S13_EUlS12_E_NS1_11comp_targetILNS1_3genE5ELNS1_11target_archE942ELNS1_3gpuE9ELNS1_3repE0EEENS1_30default_config_static_selectorELNS0_4arch9wavefront6targetE0EEEvT1_ ; -- Begin function _ZN7rocprim17ROCPRIM_400000_NS6detail17trampoline_kernelINS0_14default_configENS1_25partition_config_selectorILNS1_17partition_subalgoE8EsNS0_10empty_typeEbEEZZNS1_14partition_implILS5_8ELb0ES3_jPKsPS6_PKS6_NS0_5tupleIJPsS6_EEENSE_IJSB_SB_EEENS0_18inequality_wrapperIN6hipcub16HIPCUB_304000_NS8EqualityEEEPlJS6_EEE10hipError_tPvRmT3_T4_T5_T6_T7_T9_mT8_P12ihipStream_tbDpT10_ENKUlT_T0_E_clISt17integral_constantIbLb1EES16_IbLb0EEEEDaS12_S13_EUlS12_E_NS1_11comp_targetILNS1_3genE5ELNS1_11target_archE942ELNS1_3gpuE9ELNS1_3repE0EEENS1_30default_config_static_selectorELNS0_4arch9wavefront6targetE0EEEvT1_
	.globl	_ZN7rocprim17ROCPRIM_400000_NS6detail17trampoline_kernelINS0_14default_configENS1_25partition_config_selectorILNS1_17partition_subalgoE8EsNS0_10empty_typeEbEEZZNS1_14partition_implILS5_8ELb0ES3_jPKsPS6_PKS6_NS0_5tupleIJPsS6_EEENSE_IJSB_SB_EEENS0_18inequality_wrapperIN6hipcub16HIPCUB_304000_NS8EqualityEEEPlJS6_EEE10hipError_tPvRmT3_T4_T5_T6_T7_T9_mT8_P12ihipStream_tbDpT10_ENKUlT_T0_E_clISt17integral_constantIbLb1EES16_IbLb0EEEEDaS12_S13_EUlS12_E_NS1_11comp_targetILNS1_3genE5ELNS1_11target_archE942ELNS1_3gpuE9ELNS1_3repE0EEENS1_30default_config_static_selectorELNS0_4arch9wavefront6targetE0EEEvT1_
	.p2align	8
	.type	_ZN7rocprim17ROCPRIM_400000_NS6detail17trampoline_kernelINS0_14default_configENS1_25partition_config_selectorILNS1_17partition_subalgoE8EsNS0_10empty_typeEbEEZZNS1_14partition_implILS5_8ELb0ES3_jPKsPS6_PKS6_NS0_5tupleIJPsS6_EEENSE_IJSB_SB_EEENS0_18inequality_wrapperIN6hipcub16HIPCUB_304000_NS8EqualityEEEPlJS6_EEE10hipError_tPvRmT3_T4_T5_T6_T7_T9_mT8_P12ihipStream_tbDpT10_ENKUlT_T0_E_clISt17integral_constantIbLb1EES16_IbLb0EEEEDaS12_S13_EUlS12_E_NS1_11comp_targetILNS1_3genE5ELNS1_11target_archE942ELNS1_3gpuE9ELNS1_3repE0EEENS1_30default_config_static_selectorELNS0_4arch9wavefront6targetE0EEEvT1_,@function
_ZN7rocprim17ROCPRIM_400000_NS6detail17trampoline_kernelINS0_14default_configENS1_25partition_config_selectorILNS1_17partition_subalgoE8EsNS0_10empty_typeEbEEZZNS1_14partition_implILS5_8ELb0ES3_jPKsPS6_PKS6_NS0_5tupleIJPsS6_EEENSE_IJSB_SB_EEENS0_18inequality_wrapperIN6hipcub16HIPCUB_304000_NS8EqualityEEEPlJS6_EEE10hipError_tPvRmT3_T4_T5_T6_T7_T9_mT8_P12ihipStream_tbDpT10_ENKUlT_T0_E_clISt17integral_constantIbLb1EES16_IbLb0EEEEDaS12_S13_EUlS12_E_NS1_11comp_targetILNS1_3genE5ELNS1_11target_archE942ELNS1_3gpuE9ELNS1_3repE0EEENS1_30default_config_static_selectorELNS0_4arch9wavefront6targetE0EEEvT1_: ; @_ZN7rocprim17ROCPRIM_400000_NS6detail17trampoline_kernelINS0_14default_configENS1_25partition_config_selectorILNS1_17partition_subalgoE8EsNS0_10empty_typeEbEEZZNS1_14partition_implILS5_8ELb0ES3_jPKsPS6_PKS6_NS0_5tupleIJPsS6_EEENSE_IJSB_SB_EEENS0_18inequality_wrapperIN6hipcub16HIPCUB_304000_NS8EqualityEEEPlJS6_EEE10hipError_tPvRmT3_T4_T5_T6_T7_T9_mT8_P12ihipStream_tbDpT10_ENKUlT_T0_E_clISt17integral_constantIbLb1EES16_IbLb0EEEEDaS12_S13_EUlS12_E_NS1_11comp_targetILNS1_3genE5ELNS1_11target_archE942ELNS1_3gpuE9ELNS1_3repE0EEENS1_30default_config_static_selectorELNS0_4arch9wavefront6targetE0EEEvT1_
; %bb.0:
	.section	.rodata,"a",@progbits
	.p2align	6, 0x0
	.amdhsa_kernel _ZN7rocprim17ROCPRIM_400000_NS6detail17trampoline_kernelINS0_14default_configENS1_25partition_config_selectorILNS1_17partition_subalgoE8EsNS0_10empty_typeEbEEZZNS1_14partition_implILS5_8ELb0ES3_jPKsPS6_PKS6_NS0_5tupleIJPsS6_EEENSE_IJSB_SB_EEENS0_18inequality_wrapperIN6hipcub16HIPCUB_304000_NS8EqualityEEEPlJS6_EEE10hipError_tPvRmT3_T4_T5_T6_T7_T9_mT8_P12ihipStream_tbDpT10_ENKUlT_T0_E_clISt17integral_constantIbLb1EES16_IbLb0EEEEDaS12_S13_EUlS12_E_NS1_11comp_targetILNS1_3genE5ELNS1_11target_archE942ELNS1_3gpuE9ELNS1_3repE0EEENS1_30default_config_static_selectorELNS0_4arch9wavefront6targetE0EEEvT1_
		.amdhsa_group_segment_fixed_size 0
		.amdhsa_private_segment_fixed_size 0
		.amdhsa_kernarg_size 112
		.amdhsa_user_sgpr_count 2
		.amdhsa_user_sgpr_dispatch_ptr 0
		.amdhsa_user_sgpr_queue_ptr 0
		.amdhsa_user_sgpr_kernarg_segment_ptr 1
		.amdhsa_user_sgpr_dispatch_id 0
		.amdhsa_user_sgpr_kernarg_preload_length 0
		.amdhsa_user_sgpr_kernarg_preload_offset 0
		.amdhsa_user_sgpr_private_segment_size 0
		.amdhsa_wavefront_size32 1
		.amdhsa_uses_dynamic_stack 0
		.amdhsa_enable_private_segment 0
		.amdhsa_system_sgpr_workgroup_id_x 1
		.amdhsa_system_sgpr_workgroup_id_y 0
		.amdhsa_system_sgpr_workgroup_id_z 0
		.amdhsa_system_sgpr_workgroup_info 0
		.amdhsa_system_vgpr_workitem_id 0
		.amdhsa_next_free_vgpr 1
		.amdhsa_next_free_sgpr 1
		.amdhsa_named_barrier_count 0
		.amdhsa_reserve_vcc 0
		.amdhsa_float_round_mode_32 0
		.amdhsa_float_round_mode_16_64 0
		.amdhsa_float_denorm_mode_32 3
		.amdhsa_float_denorm_mode_16_64 3
		.amdhsa_fp16_overflow 0
		.amdhsa_memory_ordered 1
		.amdhsa_forward_progress 1
		.amdhsa_inst_pref_size 0
		.amdhsa_round_robin_scheduling 0
		.amdhsa_exception_fp_ieee_invalid_op 0
		.amdhsa_exception_fp_denorm_src 0
		.amdhsa_exception_fp_ieee_div_zero 0
		.amdhsa_exception_fp_ieee_overflow 0
		.amdhsa_exception_fp_ieee_underflow 0
		.amdhsa_exception_fp_ieee_inexact 0
		.amdhsa_exception_int_div_zero 0
	.end_amdhsa_kernel
	.section	.text._ZN7rocprim17ROCPRIM_400000_NS6detail17trampoline_kernelINS0_14default_configENS1_25partition_config_selectorILNS1_17partition_subalgoE8EsNS0_10empty_typeEbEEZZNS1_14partition_implILS5_8ELb0ES3_jPKsPS6_PKS6_NS0_5tupleIJPsS6_EEENSE_IJSB_SB_EEENS0_18inequality_wrapperIN6hipcub16HIPCUB_304000_NS8EqualityEEEPlJS6_EEE10hipError_tPvRmT3_T4_T5_T6_T7_T9_mT8_P12ihipStream_tbDpT10_ENKUlT_T0_E_clISt17integral_constantIbLb1EES16_IbLb0EEEEDaS12_S13_EUlS12_E_NS1_11comp_targetILNS1_3genE5ELNS1_11target_archE942ELNS1_3gpuE9ELNS1_3repE0EEENS1_30default_config_static_selectorELNS0_4arch9wavefront6targetE0EEEvT1_,"axG",@progbits,_ZN7rocprim17ROCPRIM_400000_NS6detail17trampoline_kernelINS0_14default_configENS1_25partition_config_selectorILNS1_17partition_subalgoE8EsNS0_10empty_typeEbEEZZNS1_14partition_implILS5_8ELb0ES3_jPKsPS6_PKS6_NS0_5tupleIJPsS6_EEENSE_IJSB_SB_EEENS0_18inequality_wrapperIN6hipcub16HIPCUB_304000_NS8EqualityEEEPlJS6_EEE10hipError_tPvRmT3_T4_T5_T6_T7_T9_mT8_P12ihipStream_tbDpT10_ENKUlT_T0_E_clISt17integral_constantIbLb1EES16_IbLb0EEEEDaS12_S13_EUlS12_E_NS1_11comp_targetILNS1_3genE5ELNS1_11target_archE942ELNS1_3gpuE9ELNS1_3repE0EEENS1_30default_config_static_selectorELNS0_4arch9wavefront6targetE0EEEvT1_,comdat
.Lfunc_end565:
	.size	_ZN7rocprim17ROCPRIM_400000_NS6detail17trampoline_kernelINS0_14default_configENS1_25partition_config_selectorILNS1_17partition_subalgoE8EsNS0_10empty_typeEbEEZZNS1_14partition_implILS5_8ELb0ES3_jPKsPS6_PKS6_NS0_5tupleIJPsS6_EEENSE_IJSB_SB_EEENS0_18inequality_wrapperIN6hipcub16HIPCUB_304000_NS8EqualityEEEPlJS6_EEE10hipError_tPvRmT3_T4_T5_T6_T7_T9_mT8_P12ihipStream_tbDpT10_ENKUlT_T0_E_clISt17integral_constantIbLb1EES16_IbLb0EEEEDaS12_S13_EUlS12_E_NS1_11comp_targetILNS1_3genE5ELNS1_11target_archE942ELNS1_3gpuE9ELNS1_3repE0EEENS1_30default_config_static_selectorELNS0_4arch9wavefront6targetE0EEEvT1_, .Lfunc_end565-_ZN7rocprim17ROCPRIM_400000_NS6detail17trampoline_kernelINS0_14default_configENS1_25partition_config_selectorILNS1_17partition_subalgoE8EsNS0_10empty_typeEbEEZZNS1_14partition_implILS5_8ELb0ES3_jPKsPS6_PKS6_NS0_5tupleIJPsS6_EEENSE_IJSB_SB_EEENS0_18inequality_wrapperIN6hipcub16HIPCUB_304000_NS8EqualityEEEPlJS6_EEE10hipError_tPvRmT3_T4_T5_T6_T7_T9_mT8_P12ihipStream_tbDpT10_ENKUlT_T0_E_clISt17integral_constantIbLb1EES16_IbLb0EEEEDaS12_S13_EUlS12_E_NS1_11comp_targetILNS1_3genE5ELNS1_11target_archE942ELNS1_3gpuE9ELNS1_3repE0EEENS1_30default_config_static_selectorELNS0_4arch9wavefront6targetE0EEEvT1_
                                        ; -- End function
	.set _ZN7rocprim17ROCPRIM_400000_NS6detail17trampoline_kernelINS0_14default_configENS1_25partition_config_selectorILNS1_17partition_subalgoE8EsNS0_10empty_typeEbEEZZNS1_14partition_implILS5_8ELb0ES3_jPKsPS6_PKS6_NS0_5tupleIJPsS6_EEENSE_IJSB_SB_EEENS0_18inequality_wrapperIN6hipcub16HIPCUB_304000_NS8EqualityEEEPlJS6_EEE10hipError_tPvRmT3_T4_T5_T6_T7_T9_mT8_P12ihipStream_tbDpT10_ENKUlT_T0_E_clISt17integral_constantIbLb1EES16_IbLb0EEEEDaS12_S13_EUlS12_E_NS1_11comp_targetILNS1_3genE5ELNS1_11target_archE942ELNS1_3gpuE9ELNS1_3repE0EEENS1_30default_config_static_selectorELNS0_4arch9wavefront6targetE0EEEvT1_.num_vgpr, 0
	.set _ZN7rocprim17ROCPRIM_400000_NS6detail17trampoline_kernelINS0_14default_configENS1_25partition_config_selectorILNS1_17partition_subalgoE8EsNS0_10empty_typeEbEEZZNS1_14partition_implILS5_8ELb0ES3_jPKsPS6_PKS6_NS0_5tupleIJPsS6_EEENSE_IJSB_SB_EEENS0_18inequality_wrapperIN6hipcub16HIPCUB_304000_NS8EqualityEEEPlJS6_EEE10hipError_tPvRmT3_T4_T5_T6_T7_T9_mT8_P12ihipStream_tbDpT10_ENKUlT_T0_E_clISt17integral_constantIbLb1EES16_IbLb0EEEEDaS12_S13_EUlS12_E_NS1_11comp_targetILNS1_3genE5ELNS1_11target_archE942ELNS1_3gpuE9ELNS1_3repE0EEENS1_30default_config_static_selectorELNS0_4arch9wavefront6targetE0EEEvT1_.num_agpr, 0
	.set _ZN7rocprim17ROCPRIM_400000_NS6detail17trampoline_kernelINS0_14default_configENS1_25partition_config_selectorILNS1_17partition_subalgoE8EsNS0_10empty_typeEbEEZZNS1_14partition_implILS5_8ELb0ES3_jPKsPS6_PKS6_NS0_5tupleIJPsS6_EEENSE_IJSB_SB_EEENS0_18inequality_wrapperIN6hipcub16HIPCUB_304000_NS8EqualityEEEPlJS6_EEE10hipError_tPvRmT3_T4_T5_T6_T7_T9_mT8_P12ihipStream_tbDpT10_ENKUlT_T0_E_clISt17integral_constantIbLb1EES16_IbLb0EEEEDaS12_S13_EUlS12_E_NS1_11comp_targetILNS1_3genE5ELNS1_11target_archE942ELNS1_3gpuE9ELNS1_3repE0EEENS1_30default_config_static_selectorELNS0_4arch9wavefront6targetE0EEEvT1_.numbered_sgpr, 0
	.set _ZN7rocprim17ROCPRIM_400000_NS6detail17trampoline_kernelINS0_14default_configENS1_25partition_config_selectorILNS1_17partition_subalgoE8EsNS0_10empty_typeEbEEZZNS1_14partition_implILS5_8ELb0ES3_jPKsPS6_PKS6_NS0_5tupleIJPsS6_EEENSE_IJSB_SB_EEENS0_18inequality_wrapperIN6hipcub16HIPCUB_304000_NS8EqualityEEEPlJS6_EEE10hipError_tPvRmT3_T4_T5_T6_T7_T9_mT8_P12ihipStream_tbDpT10_ENKUlT_T0_E_clISt17integral_constantIbLb1EES16_IbLb0EEEEDaS12_S13_EUlS12_E_NS1_11comp_targetILNS1_3genE5ELNS1_11target_archE942ELNS1_3gpuE9ELNS1_3repE0EEENS1_30default_config_static_selectorELNS0_4arch9wavefront6targetE0EEEvT1_.num_named_barrier, 0
	.set _ZN7rocprim17ROCPRIM_400000_NS6detail17trampoline_kernelINS0_14default_configENS1_25partition_config_selectorILNS1_17partition_subalgoE8EsNS0_10empty_typeEbEEZZNS1_14partition_implILS5_8ELb0ES3_jPKsPS6_PKS6_NS0_5tupleIJPsS6_EEENSE_IJSB_SB_EEENS0_18inequality_wrapperIN6hipcub16HIPCUB_304000_NS8EqualityEEEPlJS6_EEE10hipError_tPvRmT3_T4_T5_T6_T7_T9_mT8_P12ihipStream_tbDpT10_ENKUlT_T0_E_clISt17integral_constantIbLb1EES16_IbLb0EEEEDaS12_S13_EUlS12_E_NS1_11comp_targetILNS1_3genE5ELNS1_11target_archE942ELNS1_3gpuE9ELNS1_3repE0EEENS1_30default_config_static_selectorELNS0_4arch9wavefront6targetE0EEEvT1_.private_seg_size, 0
	.set _ZN7rocprim17ROCPRIM_400000_NS6detail17trampoline_kernelINS0_14default_configENS1_25partition_config_selectorILNS1_17partition_subalgoE8EsNS0_10empty_typeEbEEZZNS1_14partition_implILS5_8ELb0ES3_jPKsPS6_PKS6_NS0_5tupleIJPsS6_EEENSE_IJSB_SB_EEENS0_18inequality_wrapperIN6hipcub16HIPCUB_304000_NS8EqualityEEEPlJS6_EEE10hipError_tPvRmT3_T4_T5_T6_T7_T9_mT8_P12ihipStream_tbDpT10_ENKUlT_T0_E_clISt17integral_constantIbLb1EES16_IbLb0EEEEDaS12_S13_EUlS12_E_NS1_11comp_targetILNS1_3genE5ELNS1_11target_archE942ELNS1_3gpuE9ELNS1_3repE0EEENS1_30default_config_static_selectorELNS0_4arch9wavefront6targetE0EEEvT1_.uses_vcc, 0
	.set _ZN7rocprim17ROCPRIM_400000_NS6detail17trampoline_kernelINS0_14default_configENS1_25partition_config_selectorILNS1_17partition_subalgoE8EsNS0_10empty_typeEbEEZZNS1_14partition_implILS5_8ELb0ES3_jPKsPS6_PKS6_NS0_5tupleIJPsS6_EEENSE_IJSB_SB_EEENS0_18inequality_wrapperIN6hipcub16HIPCUB_304000_NS8EqualityEEEPlJS6_EEE10hipError_tPvRmT3_T4_T5_T6_T7_T9_mT8_P12ihipStream_tbDpT10_ENKUlT_T0_E_clISt17integral_constantIbLb1EES16_IbLb0EEEEDaS12_S13_EUlS12_E_NS1_11comp_targetILNS1_3genE5ELNS1_11target_archE942ELNS1_3gpuE9ELNS1_3repE0EEENS1_30default_config_static_selectorELNS0_4arch9wavefront6targetE0EEEvT1_.uses_flat_scratch, 0
	.set _ZN7rocprim17ROCPRIM_400000_NS6detail17trampoline_kernelINS0_14default_configENS1_25partition_config_selectorILNS1_17partition_subalgoE8EsNS0_10empty_typeEbEEZZNS1_14partition_implILS5_8ELb0ES3_jPKsPS6_PKS6_NS0_5tupleIJPsS6_EEENSE_IJSB_SB_EEENS0_18inequality_wrapperIN6hipcub16HIPCUB_304000_NS8EqualityEEEPlJS6_EEE10hipError_tPvRmT3_T4_T5_T6_T7_T9_mT8_P12ihipStream_tbDpT10_ENKUlT_T0_E_clISt17integral_constantIbLb1EES16_IbLb0EEEEDaS12_S13_EUlS12_E_NS1_11comp_targetILNS1_3genE5ELNS1_11target_archE942ELNS1_3gpuE9ELNS1_3repE0EEENS1_30default_config_static_selectorELNS0_4arch9wavefront6targetE0EEEvT1_.has_dyn_sized_stack, 0
	.set _ZN7rocprim17ROCPRIM_400000_NS6detail17trampoline_kernelINS0_14default_configENS1_25partition_config_selectorILNS1_17partition_subalgoE8EsNS0_10empty_typeEbEEZZNS1_14partition_implILS5_8ELb0ES3_jPKsPS6_PKS6_NS0_5tupleIJPsS6_EEENSE_IJSB_SB_EEENS0_18inequality_wrapperIN6hipcub16HIPCUB_304000_NS8EqualityEEEPlJS6_EEE10hipError_tPvRmT3_T4_T5_T6_T7_T9_mT8_P12ihipStream_tbDpT10_ENKUlT_T0_E_clISt17integral_constantIbLb1EES16_IbLb0EEEEDaS12_S13_EUlS12_E_NS1_11comp_targetILNS1_3genE5ELNS1_11target_archE942ELNS1_3gpuE9ELNS1_3repE0EEENS1_30default_config_static_selectorELNS0_4arch9wavefront6targetE0EEEvT1_.has_recursion, 0
	.set _ZN7rocprim17ROCPRIM_400000_NS6detail17trampoline_kernelINS0_14default_configENS1_25partition_config_selectorILNS1_17partition_subalgoE8EsNS0_10empty_typeEbEEZZNS1_14partition_implILS5_8ELb0ES3_jPKsPS6_PKS6_NS0_5tupleIJPsS6_EEENSE_IJSB_SB_EEENS0_18inequality_wrapperIN6hipcub16HIPCUB_304000_NS8EqualityEEEPlJS6_EEE10hipError_tPvRmT3_T4_T5_T6_T7_T9_mT8_P12ihipStream_tbDpT10_ENKUlT_T0_E_clISt17integral_constantIbLb1EES16_IbLb0EEEEDaS12_S13_EUlS12_E_NS1_11comp_targetILNS1_3genE5ELNS1_11target_archE942ELNS1_3gpuE9ELNS1_3repE0EEENS1_30default_config_static_selectorELNS0_4arch9wavefront6targetE0EEEvT1_.has_indirect_call, 0
	.section	.AMDGPU.csdata,"",@progbits
; Kernel info:
; codeLenInByte = 0
; TotalNumSgprs: 0
; NumVgprs: 0
; ScratchSize: 0
; MemoryBound: 0
; FloatMode: 240
; IeeeMode: 1
; LDSByteSize: 0 bytes/workgroup (compile time only)
; SGPRBlocks: 0
; VGPRBlocks: 0
; NumSGPRsForWavesPerEU: 1
; NumVGPRsForWavesPerEU: 1
; NamedBarCnt: 0
; Occupancy: 16
; WaveLimiterHint : 0
; COMPUTE_PGM_RSRC2:SCRATCH_EN: 0
; COMPUTE_PGM_RSRC2:USER_SGPR: 2
; COMPUTE_PGM_RSRC2:TRAP_HANDLER: 0
; COMPUTE_PGM_RSRC2:TGID_X_EN: 1
; COMPUTE_PGM_RSRC2:TGID_Y_EN: 0
; COMPUTE_PGM_RSRC2:TGID_Z_EN: 0
; COMPUTE_PGM_RSRC2:TIDIG_COMP_CNT: 0
	.section	.text._ZN7rocprim17ROCPRIM_400000_NS6detail17trampoline_kernelINS0_14default_configENS1_25partition_config_selectorILNS1_17partition_subalgoE8EsNS0_10empty_typeEbEEZZNS1_14partition_implILS5_8ELb0ES3_jPKsPS6_PKS6_NS0_5tupleIJPsS6_EEENSE_IJSB_SB_EEENS0_18inequality_wrapperIN6hipcub16HIPCUB_304000_NS8EqualityEEEPlJS6_EEE10hipError_tPvRmT3_T4_T5_T6_T7_T9_mT8_P12ihipStream_tbDpT10_ENKUlT_T0_E_clISt17integral_constantIbLb1EES16_IbLb0EEEEDaS12_S13_EUlS12_E_NS1_11comp_targetILNS1_3genE4ELNS1_11target_archE910ELNS1_3gpuE8ELNS1_3repE0EEENS1_30default_config_static_selectorELNS0_4arch9wavefront6targetE0EEEvT1_,"axG",@progbits,_ZN7rocprim17ROCPRIM_400000_NS6detail17trampoline_kernelINS0_14default_configENS1_25partition_config_selectorILNS1_17partition_subalgoE8EsNS0_10empty_typeEbEEZZNS1_14partition_implILS5_8ELb0ES3_jPKsPS6_PKS6_NS0_5tupleIJPsS6_EEENSE_IJSB_SB_EEENS0_18inequality_wrapperIN6hipcub16HIPCUB_304000_NS8EqualityEEEPlJS6_EEE10hipError_tPvRmT3_T4_T5_T6_T7_T9_mT8_P12ihipStream_tbDpT10_ENKUlT_T0_E_clISt17integral_constantIbLb1EES16_IbLb0EEEEDaS12_S13_EUlS12_E_NS1_11comp_targetILNS1_3genE4ELNS1_11target_archE910ELNS1_3gpuE8ELNS1_3repE0EEENS1_30default_config_static_selectorELNS0_4arch9wavefront6targetE0EEEvT1_,comdat
	.protected	_ZN7rocprim17ROCPRIM_400000_NS6detail17trampoline_kernelINS0_14default_configENS1_25partition_config_selectorILNS1_17partition_subalgoE8EsNS0_10empty_typeEbEEZZNS1_14partition_implILS5_8ELb0ES3_jPKsPS6_PKS6_NS0_5tupleIJPsS6_EEENSE_IJSB_SB_EEENS0_18inequality_wrapperIN6hipcub16HIPCUB_304000_NS8EqualityEEEPlJS6_EEE10hipError_tPvRmT3_T4_T5_T6_T7_T9_mT8_P12ihipStream_tbDpT10_ENKUlT_T0_E_clISt17integral_constantIbLb1EES16_IbLb0EEEEDaS12_S13_EUlS12_E_NS1_11comp_targetILNS1_3genE4ELNS1_11target_archE910ELNS1_3gpuE8ELNS1_3repE0EEENS1_30default_config_static_selectorELNS0_4arch9wavefront6targetE0EEEvT1_ ; -- Begin function _ZN7rocprim17ROCPRIM_400000_NS6detail17trampoline_kernelINS0_14default_configENS1_25partition_config_selectorILNS1_17partition_subalgoE8EsNS0_10empty_typeEbEEZZNS1_14partition_implILS5_8ELb0ES3_jPKsPS6_PKS6_NS0_5tupleIJPsS6_EEENSE_IJSB_SB_EEENS0_18inequality_wrapperIN6hipcub16HIPCUB_304000_NS8EqualityEEEPlJS6_EEE10hipError_tPvRmT3_T4_T5_T6_T7_T9_mT8_P12ihipStream_tbDpT10_ENKUlT_T0_E_clISt17integral_constantIbLb1EES16_IbLb0EEEEDaS12_S13_EUlS12_E_NS1_11comp_targetILNS1_3genE4ELNS1_11target_archE910ELNS1_3gpuE8ELNS1_3repE0EEENS1_30default_config_static_selectorELNS0_4arch9wavefront6targetE0EEEvT1_
	.globl	_ZN7rocprim17ROCPRIM_400000_NS6detail17trampoline_kernelINS0_14default_configENS1_25partition_config_selectorILNS1_17partition_subalgoE8EsNS0_10empty_typeEbEEZZNS1_14partition_implILS5_8ELb0ES3_jPKsPS6_PKS6_NS0_5tupleIJPsS6_EEENSE_IJSB_SB_EEENS0_18inequality_wrapperIN6hipcub16HIPCUB_304000_NS8EqualityEEEPlJS6_EEE10hipError_tPvRmT3_T4_T5_T6_T7_T9_mT8_P12ihipStream_tbDpT10_ENKUlT_T0_E_clISt17integral_constantIbLb1EES16_IbLb0EEEEDaS12_S13_EUlS12_E_NS1_11comp_targetILNS1_3genE4ELNS1_11target_archE910ELNS1_3gpuE8ELNS1_3repE0EEENS1_30default_config_static_selectorELNS0_4arch9wavefront6targetE0EEEvT1_
	.p2align	8
	.type	_ZN7rocprim17ROCPRIM_400000_NS6detail17trampoline_kernelINS0_14default_configENS1_25partition_config_selectorILNS1_17partition_subalgoE8EsNS0_10empty_typeEbEEZZNS1_14partition_implILS5_8ELb0ES3_jPKsPS6_PKS6_NS0_5tupleIJPsS6_EEENSE_IJSB_SB_EEENS0_18inequality_wrapperIN6hipcub16HIPCUB_304000_NS8EqualityEEEPlJS6_EEE10hipError_tPvRmT3_T4_T5_T6_T7_T9_mT8_P12ihipStream_tbDpT10_ENKUlT_T0_E_clISt17integral_constantIbLb1EES16_IbLb0EEEEDaS12_S13_EUlS12_E_NS1_11comp_targetILNS1_3genE4ELNS1_11target_archE910ELNS1_3gpuE8ELNS1_3repE0EEENS1_30default_config_static_selectorELNS0_4arch9wavefront6targetE0EEEvT1_,@function
_ZN7rocprim17ROCPRIM_400000_NS6detail17trampoline_kernelINS0_14default_configENS1_25partition_config_selectorILNS1_17partition_subalgoE8EsNS0_10empty_typeEbEEZZNS1_14partition_implILS5_8ELb0ES3_jPKsPS6_PKS6_NS0_5tupleIJPsS6_EEENSE_IJSB_SB_EEENS0_18inequality_wrapperIN6hipcub16HIPCUB_304000_NS8EqualityEEEPlJS6_EEE10hipError_tPvRmT3_T4_T5_T6_T7_T9_mT8_P12ihipStream_tbDpT10_ENKUlT_T0_E_clISt17integral_constantIbLb1EES16_IbLb0EEEEDaS12_S13_EUlS12_E_NS1_11comp_targetILNS1_3genE4ELNS1_11target_archE910ELNS1_3gpuE8ELNS1_3repE0EEENS1_30default_config_static_selectorELNS0_4arch9wavefront6targetE0EEEvT1_: ; @_ZN7rocprim17ROCPRIM_400000_NS6detail17trampoline_kernelINS0_14default_configENS1_25partition_config_selectorILNS1_17partition_subalgoE8EsNS0_10empty_typeEbEEZZNS1_14partition_implILS5_8ELb0ES3_jPKsPS6_PKS6_NS0_5tupleIJPsS6_EEENSE_IJSB_SB_EEENS0_18inequality_wrapperIN6hipcub16HIPCUB_304000_NS8EqualityEEEPlJS6_EEE10hipError_tPvRmT3_T4_T5_T6_T7_T9_mT8_P12ihipStream_tbDpT10_ENKUlT_T0_E_clISt17integral_constantIbLb1EES16_IbLb0EEEEDaS12_S13_EUlS12_E_NS1_11comp_targetILNS1_3genE4ELNS1_11target_archE910ELNS1_3gpuE8ELNS1_3repE0EEENS1_30default_config_static_selectorELNS0_4arch9wavefront6targetE0EEEvT1_
; %bb.0:
	.section	.rodata,"a",@progbits
	.p2align	6, 0x0
	.amdhsa_kernel _ZN7rocprim17ROCPRIM_400000_NS6detail17trampoline_kernelINS0_14default_configENS1_25partition_config_selectorILNS1_17partition_subalgoE8EsNS0_10empty_typeEbEEZZNS1_14partition_implILS5_8ELb0ES3_jPKsPS6_PKS6_NS0_5tupleIJPsS6_EEENSE_IJSB_SB_EEENS0_18inequality_wrapperIN6hipcub16HIPCUB_304000_NS8EqualityEEEPlJS6_EEE10hipError_tPvRmT3_T4_T5_T6_T7_T9_mT8_P12ihipStream_tbDpT10_ENKUlT_T0_E_clISt17integral_constantIbLb1EES16_IbLb0EEEEDaS12_S13_EUlS12_E_NS1_11comp_targetILNS1_3genE4ELNS1_11target_archE910ELNS1_3gpuE8ELNS1_3repE0EEENS1_30default_config_static_selectorELNS0_4arch9wavefront6targetE0EEEvT1_
		.amdhsa_group_segment_fixed_size 0
		.amdhsa_private_segment_fixed_size 0
		.amdhsa_kernarg_size 112
		.amdhsa_user_sgpr_count 2
		.amdhsa_user_sgpr_dispatch_ptr 0
		.amdhsa_user_sgpr_queue_ptr 0
		.amdhsa_user_sgpr_kernarg_segment_ptr 1
		.amdhsa_user_sgpr_dispatch_id 0
		.amdhsa_user_sgpr_kernarg_preload_length 0
		.amdhsa_user_sgpr_kernarg_preload_offset 0
		.amdhsa_user_sgpr_private_segment_size 0
		.amdhsa_wavefront_size32 1
		.amdhsa_uses_dynamic_stack 0
		.amdhsa_enable_private_segment 0
		.amdhsa_system_sgpr_workgroup_id_x 1
		.amdhsa_system_sgpr_workgroup_id_y 0
		.amdhsa_system_sgpr_workgroup_id_z 0
		.amdhsa_system_sgpr_workgroup_info 0
		.amdhsa_system_vgpr_workitem_id 0
		.amdhsa_next_free_vgpr 1
		.amdhsa_next_free_sgpr 1
		.amdhsa_named_barrier_count 0
		.amdhsa_reserve_vcc 0
		.amdhsa_float_round_mode_32 0
		.amdhsa_float_round_mode_16_64 0
		.amdhsa_float_denorm_mode_32 3
		.amdhsa_float_denorm_mode_16_64 3
		.amdhsa_fp16_overflow 0
		.amdhsa_memory_ordered 1
		.amdhsa_forward_progress 1
		.amdhsa_inst_pref_size 0
		.amdhsa_round_robin_scheduling 0
		.amdhsa_exception_fp_ieee_invalid_op 0
		.amdhsa_exception_fp_denorm_src 0
		.amdhsa_exception_fp_ieee_div_zero 0
		.amdhsa_exception_fp_ieee_overflow 0
		.amdhsa_exception_fp_ieee_underflow 0
		.amdhsa_exception_fp_ieee_inexact 0
		.amdhsa_exception_int_div_zero 0
	.end_amdhsa_kernel
	.section	.text._ZN7rocprim17ROCPRIM_400000_NS6detail17trampoline_kernelINS0_14default_configENS1_25partition_config_selectorILNS1_17partition_subalgoE8EsNS0_10empty_typeEbEEZZNS1_14partition_implILS5_8ELb0ES3_jPKsPS6_PKS6_NS0_5tupleIJPsS6_EEENSE_IJSB_SB_EEENS0_18inequality_wrapperIN6hipcub16HIPCUB_304000_NS8EqualityEEEPlJS6_EEE10hipError_tPvRmT3_T4_T5_T6_T7_T9_mT8_P12ihipStream_tbDpT10_ENKUlT_T0_E_clISt17integral_constantIbLb1EES16_IbLb0EEEEDaS12_S13_EUlS12_E_NS1_11comp_targetILNS1_3genE4ELNS1_11target_archE910ELNS1_3gpuE8ELNS1_3repE0EEENS1_30default_config_static_selectorELNS0_4arch9wavefront6targetE0EEEvT1_,"axG",@progbits,_ZN7rocprim17ROCPRIM_400000_NS6detail17trampoline_kernelINS0_14default_configENS1_25partition_config_selectorILNS1_17partition_subalgoE8EsNS0_10empty_typeEbEEZZNS1_14partition_implILS5_8ELb0ES3_jPKsPS6_PKS6_NS0_5tupleIJPsS6_EEENSE_IJSB_SB_EEENS0_18inequality_wrapperIN6hipcub16HIPCUB_304000_NS8EqualityEEEPlJS6_EEE10hipError_tPvRmT3_T4_T5_T6_T7_T9_mT8_P12ihipStream_tbDpT10_ENKUlT_T0_E_clISt17integral_constantIbLb1EES16_IbLb0EEEEDaS12_S13_EUlS12_E_NS1_11comp_targetILNS1_3genE4ELNS1_11target_archE910ELNS1_3gpuE8ELNS1_3repE0EEENS1_30default_config_static_selectorELNS0_4arch9wavefront6targetE0EEEvT1_,comdat
.Lfunc_end566:
	.size	_ZN7rocprim17ROCPRIM_400000_NS6detail17trampoline_kernelINS0_14default_configENS1_25partition_config_selectorILNS1_17partition_subalgoE8EsNS0_10empty_typeEbEEZZNS1_14partition_implILS5_8ELb0ES3_jPKsPS6_PKS6_NS0_5tupleIJPsS6_EEENSE_IJSB_SB_EEENS0_18inequality_wrapperIN6hipcub16HIPCUB_304000_NS8EqualityEEEPlJS6_EEE10hipError_tPvRmT3_T4_T5_T6_T7_T9_mT8_P12ihipStream_tbDpT10_ENKUlT_T0_E_clISt17integral_constantIbLb1EES16_IbLb0EEEEDaS12_S13_EUlS12_E_NS1_11comp_targetILNS1_3genE4ELNS1_11target_archE910ELNS1_3gpuE8ELNS1_3repE0EEENS1_30default_config_static_selectorELNS0_4arch9wavefront6targetE0EEEvT1_, .Lfunc_end566-_ZN7rocprim17ROCPRIM_400000_NS6detail17trampoline_kernelINS0_14default_configENS1_25partition_config_selectorILNS1_17partition_subalgoE8EsNS0_10empty_typeEbEEZZNS1_14partition_implILS5_8ELb0ES3_jPKsPS6_PKS6_NS0_5tupleIJPsS6_EEENSE_IJSB_SB_EEENS0_18inequality_wrapperIN6hipcub16HIPCUB_304000_NS8EqualityEEEPlJS6_EEE10hipError_tPvRmT3_T4_T5_T6_T7_T9_mT8_P12ihipStream_tbDpT10_ENKUlT_T0_E_clISt17integral_constantIbLb1EES16_IbLb0EEEEDaS12_S13_EUlS12_E_NS1_11comp_targetILNS1_3genE4ELNS1_11target_archE910ELNS1_3gpuE8ELNS1_3repE0EEENS1_30default_config_static_selectorELNS0_4arch9wavefront6targetE0EEEvT1_
                                        ; -- End function
	.set _ZN7rocprim17ROCPRIM_400000_NS6detail17trampoline_kernelINS0_14default_configENS1_25partition_config_selectorILNS1_17partition_subalgoE8EsNS0_10empty_typeEbEEZZNS1_14partition_implILS5_8ELb0ES3_jPKsPS6_PKS6_NS0_5tupleIJPsS6_EEENSE_IJSB_SB_EEENS0_18inequality_wrapperIN6hipcub16HIPCUB_304000_NS8EqualityEEEPlJS6_EEE10hipError_tPvRmT3_T4_T5_T6_T7_T9_mT8_P12ihipStream_tbDpT10_ENKUlT_T0_E_clISt17integral_constantIbLb1EES16_IbLb0EEEEDaS12_S13_EUlS12_E_NS1_11comp_targetILNS1_3genE4ELNS1_11target_archE910ELNS1_3gpuE8ELNS1_3repE0EEENS1_30default_config_static_selectorELNS0_4arch9wavefront6targetE0EEEvT1_.num_vgpr, 0
	.set _ZN7rocprim17ROCPRIM_400000_NS6detail17trampoline_kernelINS0_14default_configENS1_25partition_config_selectorILNS1_17partition_subalgoE8EsNS0_10empty_typeEbEEZZNS1_14partition_implILS5_8ELb0ES3_jPKsPS6_PKS6_NS0_5tupleIJPsS6_EEENSE_IJSB_SB_EEENS0_18inequality_wrapperIN6hipcub16HIPCUB_304000_NS8EqualityEEEPlJS6_EEE10hipError_tPvRmT3_T4_T5_T6_T7_T9_mT8_P12ihipStream_tbDpT10_ENKUlT_T0_E_clISt17integral_constantIbLb1EES16_IbLb0EEEEDaS12_S13_EUlS12_E_NS1_11comp_targetILNS1_3genE4ELNS1_11target_archE910ELNS1_3gpuE8ELNS1_3repE0EEENS1_30default_config_static_selectorELNS0_4arch9wavefront6targetE0EEEvT1_.num_agpr, 0
	.set _ZN7rocprim17ROCPRIM_400000_NS6detail17trampoline_kernelINS0_14default_configENS1_25partition_config_selectorILNS1_17partition_subalgoE8EsNS0_10empty_typeEbEEZZNS1_14partition_implILS5_8ELb0ES3_jPKsPS6_PKS6_NS0_5tupleIJPsS6_EEENSE_IJSB_SB_EEENS0_18inequality_wrapperIN6hipcub16HIPCUB_304000_NS8EqualityEEEPlJS6_EEE10hipError_tPvRmT3_T4_T5_T6_T7_T9_mT8_P12ihipStream_tbDpT10_ENKUlT_T0_E_clISt17integral_constantIbLb1EES16_IbLb0EEEEDaS12_S13_EUlS12_E_NS1_11comp_targetILNS1_3genE4ELNS1_11target_archE910ELNS1_3gpuE8ELNS1_3repE0EEENS1_30default_config_static_selectorELNS0_4arch9wavefront6targetE0EEEvT1_.numbered_sgpr, 0
	.set _ZN7rocprim17ROCPRIM_400000_NS6detail17trampoline_kernelINS0_14default_configENS1_25partition_config_selectorILNS1_17partition_subalgoE8EsNS0_10empty_typeEbEEZZNS1_14partition_implILS5_8ELb0ES3_jPKsPS6_PKS6_NS0_5tupleIJPsS6_EEENSE_IJSB_SB_EEENS0_18inequality_wrapperIN6hipcub16HIPCUB_304000_NS8EqualityEEEPlJS6_EEE10hipError_tPvRmT3_T4_T5_T6_T7_T9_mT8_P12ihipStream_tbDpT10_ENKUlT_T0_E_clISt17integral_constantIbLb1EES16_IbLb0EEEEDaS12_S13_EUlS12_E_NS1_11comp_targetILNS1_3genE4ELNS1_11target_archE910ELNS1_3gpuE8ELNS1_3repE0EEENS1_30default_config_static_selectorELNS0_4arch9wavefront6targetE0EEEvT1_.num_named_barrier, 0
	.set _ZN7rocprim17ROCPRIM_400000_NS6detail17trampoline_kernelINS0_14default_configENS1_25partition_config_selectorILNS1_17partition_subalgoE8EsNS0_10empty_typeEbEEZZNS1_14partition_implILS5_8ELb0ES3_jPKsPS6_PKS6_NS0_5tupleIJPsS6_EEENSE_IJSB_SB_EEENS0_18inequality_wrapperIN6hipcub16HIPCUB_304000_NS8EqualityEEEPlJS6_EEE10hipError_tPvRmT3_T4_T5_T6_T7_T9_mT8_P12ihipStream_tbDpT10_ENKUlT_T0_E_clISt17integral_constantIbLb1EES16_IbLb0EEEEDaS12_S13_EUlS12_E_NS1_11comp_targetILNS1_3genE4ELNS1_11target_archE910ELNS1_3gpuE8ELNS1_3repE0EEENS1_30default_config_static_selectorELNS0_4arch9wavefront6targetE0EEEvT1_.private_seg_size, 0
	.set _ZN7rocprim17ROCPRIM_400000_NS6detail17trampoline_kernelINS0_14default_configENS1_25partition_config_selectorILNS1_17partition_subalgoE8EsNS0_10empty_typeEbEEZZNS1_14partition_implILS5_8ELb0ES3_jPKsPS6_PKS6_NS0_5tupleIJPsS6_EEENSE_IJSB_SB_EEENS0_18inequality_wrapperIN6hipcub16HIPCUB_304000_NS8EqualityEEEPlJS6_EEE10hipError_tPvRmT3_T4_T5_T6_T7_T9_mT8_P12ihipStream_tbDpT10_ENKUlT_T0_E_clISt17integral_constantIbLb1EES16_IbLb0EEEEDaS12_S13_EUlS12_E_NS1_11comp_targetILNS1_3genE4ELNS1_11target_archE910ELNS1_3gpuE8ELNS1_3repE0EEENS1_30default_config_static_selectorELNS0_4arch9wavefront6targetE0EEEvT1_.uses_vcc, 0
	.set _ZN7rocprim17ROCPRIM_400000_NS6detail17trampoline_kernelINS0_14default_configENS1_25partition_config_selectorILNS1_17partition_subalgoE8EsNS0_10empty_typeEbEEZZNS1_14partition_implILS5_8ELb0ES3_jPKsPS6_PKS6_NS0_5tupleIJPsS6_EEENSE_IJSB_SB_EEENS0_18inequality_wrapperIN6hipcub16HIPCUB_304000_NS8EqualityEEEPlJS6_EEE10hipError_tPvRmT3_T4_T5_T6_T7_T9_mT8_P12ihipStream_tbDpT10_ENKUlT_T0_E_clISt17integral_constantIbLb1EES16_IbLb0EEEEDaS12_S13_EUlS12_E_NS1_11comp_targetILNS1_3genE4ELNS1_11target_archE910ELNS1_3gpuE8ELNS1_3repE0EEENS1_30default_config_static_selectorELNS0_4arch9wavefront6targetE0EEEvT1_.uses_flat_scratch, 0
	.set _ZN7rocprim17ROCPRIM_400000_NS6detail17trampoline_kernelINS0_14default_configENS1_25partition_config_selectorILNS1_17partition_subalgoE8EsNS0_10empty_typeEbEEZZNS1_14partition_implILS5_8ELb0ES3_jPKsPS6_PKS6_NS0_5tupleIJPsS6_EEENSE_IJSB_SB_EEENS0_18inequality_wrapperIN6hipcub16HIPCUB_304000_NS8EqualityEEEPlJS6_EEE10hipError_tPvRmT3_T4_T5_T6_T7_T9_mT8_P12ihipStream_tbDpT10_ENKUlT_T0_E_clISt17integral_constantIbLb1EES16_IbLb0EEEEDaS12_S13_EUlS12_E_NS1_11comp_targetILNS1_3genE4ELNS1_11target_archE910ELNS1_3gpuE8ELNS1_3repE0EEENS1_30default_config_static_selectorELNS0_4arch9wavefront6targetE0EEEvT1_.has_dyn_sized_stack, 0
	.set _ZN7rocprim17ROCPRIM_400000_NS6detail17trampoline_kernelINS0_14default_configENS1_25partition_config_selectorILNS1_17partition_subalgoE8EsNS0_10empty_typeEbEEZZNS1_14partition_implILS5_8ELb0ES3_jPKsPS6_PKS6_NS0_5tupleIJPsS6_EEENSE_IJSB_SB_EEENS0_18inequality_wrapperIN6hipcub16HIPCUB_304000_NS8EqualityEEEPlJS6_EEE10hipError_tPvRmT3_T4_T5_T6_T7_T9_mT8_P12ihipStream_tbDpT10_ENKUlT_T0_E_clISt17integral_constantIbLb1EES16_IbLb0EEEEDaS12_S13_EUlS12_E_NS1_11comp_targetILNS1_3genE4ELNS1_11target_archE910ELNS1_3gpuE8ELNS1_3repE0EEENS1_30default_config_static_selectorELNS0_4arch9wavefront6targetE0EEEvT1_.has_recursion, 0
	.set _ZN7rocprim17ROCPRIM_400000_NS6detail17trampoline_kernelINS0_14default_configENS1_25partition_config_selectorILNS1_17partition_subalgoE8EsNS0_10empty_typeEbEEZZNS1_14partition_implILS5_8ELb0ES3_jPKsPS6_PKS6_NS0_5tupleIJPsS6_EEENSE_IJSB_SB_EEENS0_18inequality_wrapperIN6hipcub16HIPCUB_304000_NS8EqualityEEEPlJS6_EEE10hipError_tPvRmT3_T4_T5_T6_T7_T9_mT8_P12ihipStream_tbDpT10_ENKUlT_T0_E_clISt17integral_constantIbLb1EES16_IbLb0EEEEDaS12_S13_EUlS12_E_NS1_11comp_targetILNS1_3genE4ELNS1_11target_archE910ELNS1_3gpuE8ELNS1_3repE0EEENS1_30default_config_static_selectorELNS0_4arch9wavefront6targetE0EEEvT1_.has_indirect_call, 0
	.section	.AMDGPU.csdata,"",@progbits
; Kernel info:
; codeLenInByte = 0
; TotalNumSgprs: 0
; NumVgprs: 0
; ScratchSize: 0
; MemoryBound: 0
; FloatMode: 240
; IeeeMode: 1
; LDSByteSize: 0 bytes/workgroup (compile time only)
; SGPRBlocks: 0
; VGPRBlocks: 0
; NumSGPRsForWavesPerEU: 1
; NumVGPRsForWavesPerEU: 1
; NamedBarCnt: 0
; Occupancy: 16
; WaveLimiterHint : 0
; COMPUTE_PGM_RSRC2:SCRATCH_EN: 0
; COMPUTE_PGM_RSRC2:USER_SGPR: 2
; COMPUTE_PGM_RSRC2:TRAP_HANDLER: 0
; COMPUTE_PGM_RSRC2:TGID_X_EN: 1
; COMPUTE_PGM_RSRC2:TGID_Y_EN: 0
; COMPUTE_PGM_RSRC2:TGID_Z_EN: 0
; COMPUTE_PGM_RSRC2:TIDIG_COMP_CNT: 0
	.section	.text._ZN7rocprim17ROCPRIM_400000_NS6detail17trampoline_kernelINS0_14default_configENS1_25partition_config_selectorILNS1_17partition_subalgoE8EsNS0_10empty_typeEbEEZZNS1_14partition_implILS5_8ELb0ES3_jPKsPS6_PKS6_NS0_5tupleIJPsS6_EEENSE_IJSB_SB_EEENS0_18inequality_wrapperIN6hipcub16HIPCUB_304000_NS8EqualityEEEPlJS6_EEE10hipError_tPvRmT3_T4_T5_T6_T7_T9_mT8_P12ihipStream_tbDpT10_ENKUlT_T0_E_clISt17integral_constantIbLb1EES16_IbLb0EEEEDaS12_S13_EUlS12_E_NS1_11comp_targetILNS1_3genE3ELNS1_11target_archE908ELNS1_3gpuE7ELNS1_3repE0EEENS1_30default_config_static_selectorELNS0_4arch9wavefront6targetE0EEEvT1_,"axG",@progbits,_ZN7rocprim17ROCPRIM_400000_NS6detail17trampoline_kernelINS0_14default_configENS1_25partition_config_selectorILNS1_17partition_subalgoE8EsNS0_10empty_typeEbEEZZNS1_14partition_implILS5_8ELb0ES3_jPKsPS6_PKS6_NS0_5tupleIJPsS6_EEENSE_IJSB_SB_EEENS0_18inequality_wrapperIN6hipcub16HIPCUB_304000_NS8EqualityEEEPlJS6_EEE10hipError_tPvRmT3_T4_T5_T6_T7_T9_mT8_P12ihipStream_tbDpT10_ENKUlT_T0_E_clISt17integral_constantIbLb1EES16_IbLb0EEEEDaS12_S13_EUlS12_E_NS1_11comp_targetILNS1_3genE3ELNS1_11target_archE908ELNS1_3gpuE7ELNS1_3repE0EEENS1_30default_config_static_selectorELNS0_4arch9wavefront6targetE0EEEvT1_,comdat
	.protected	_ZN7rocprim17ROCPRIM_400000_NS6detail17trampoline_kernelINS0_14default_configENS1_25partition_config_selectorILNS1_17partition_subalgoE8EsNS0_10empty_typeEbEEZZNS1_14partition_implILS5_8ELb0ES3_jPKsPS6_PKS6_NS0_5tupleIJPsS6_EEENSE_IJSB_SB_EEENS0_18inequality_wrapperIN6hipcub16HIPCUB_304000_NS8EqualityEEEPlJS6_EEE10hipError_tPvRmT3_T4_T5_T6_T7_T9_mT8_P12ihipStream_tbDpT10_ENKUlT_T0_E_clISt17integral_constantIbLb1EES16_IbLb0EEEEDaS12_S13_EUlS12_E_NS1_11comp_targetILNS1_3genE3ELNS1_11target_archE908ELNS1_3gpuE7ELNS1_3repE0EEENS1_30default_config_static_selectorELNS0_4arch9wavefront6targetE0EEEvT1_ ; -- Begin function _ZN7rocprim17ROCPRIM_400000_NS6detail17trampoline_kernelINS0_14default_configENS1_25partition_config_selectorILNS1_17partition_subalgoE8EsNS0_10empty_typeEbEEZZNS1_14partition_implILS5_8ELb0ES3_jPKsPS6_PKS6_NS0_5tupleIJPsS6_EEENSE_IJSB_SB_EEENS0_18inequality_wrapperIN6hipcub16HIPCUB_304000_NS8EqualityEEEPlJS6_EEE10hipError_tPvRmT3_T4_T5_T6_T7_T9_mT8_P12ihipStream_tbDpT10_ENKUlT_T0_E_clISt17integral_constantIbLb1EES16_IbLb0EEEEDaS12_S13_EUlS12_E_NS1_11comp_targetILNS1_3genE3ELNS1_11target_archE908ELNS1_3gpuE7ELNS1_3repE0EEENS1_30default_config_static_selectorELNS0_4arch9wavefront6targetE0EEEvT1_
	.globl	_ZN7rocprim17ROCPRIM_400000_NS6detail17trampoline_kernelINS0_14default_configENS1_25partition_config_selectorILNS1_17partition_subalgoE8EsNS0_10empty_typeEbEEZZNS1_14partition_implILS5_8ELb0ES3_jPKsPS6_PKS6_NS0_5tupleIJPsS6_EEENSE_IJSB_SB_EEENS0_18inequality_wrapperIN6hipcub16HIPCUB_304000_NS8EqualityEEEPlJS6_EEE10hipError_tPvRmT3_T4_T5_T6_T7_T9_mT8_P12ihipStream_tbDpT10_ENKUlT_T0_E_clISt17integral_constantIbLb1EES16_IbLb0EEEEDaS12_S13_EUlS12_E_NS1_11comp_targetILNS1_3genE3ELNS1_11target_archE908ELNS1_3gpuE7ELNS1_3repE0EEENS1_30default_config_static_selectorELNS0_4arch9wavefront6targetE0EEEvT1_
	.p2align	8
	.type	_ZN7rocprim17ROCPRIM_400000_NS6detail17trampoline_kernelINS0_14default_configENS1_25partition_config_selectorILNS1_17partition_subalgoE8EsNS0_10empty_typeEbEEZZNS1_14partition_implILS5_8ELb0ES3_jPKsPS6_PKS6_NS0_5tupleIJPsS6_EEENSE_IJSB_SB_EEENS0_18inequality_wrapperIN6hipcub16HIPCUB_304000_NS8EqualityEEEPlJS6_EEE10hipError_tPvRmT3_T4_T5_T6_T7_T9_mT8_P12ihipStream_tbDpT10_ENKUlT_T0_E_clISt17integral_constantIbLb1EES16_IbLb0EEEEDaS12_S13_EUlS12_E_NS1_11comp_targetILNS1_3genE3ELNS1_11target_archE908ELNS1_3gpuE7ELNS1_3repE0EEENS1_30default_config_static_selectorELNS0_4arch9wavefront6targetE0EEEvT1_,@function
_ZN7rocprim17ROCPRIM_400000_NS6detail17trampoline_kernelINS0_14default_configENS1_25partition_config_selectorILNS1_17partition_subalgoE8EsNS0_10empty_typeEbEEZZNS1_14partition_implILS5_8ELb0ES3_jPKsPS6_PKS6_NS0_5tupleIJPsS6_EEENSE_IJSB_SB_EEENS0_18inequality_wrapperIN6hipcub16HIPCUB_304000_NS8EqualityEEEPlJS6_EEE10hipError_tPvRmT3_T4_T5_T6_T7_T9_mT8_P12ihipStream_tbDpT10_ENKUlT_T0_E_clISt17integral_constantIbLb1EES16_IbLb0EEEEDaS12_S13_EUlS12_E_NS1_11comp_targetILNS1_3genE3ELNS1_11target_archE908ELNS1_3gpuE7ELNS1_3repE0EEENS1_30default_config_static_selectorELNS0_4arch9wavefront6targetE0EEEvT1_: ; @_ZN7rocprim17ROCPRIM_400000_NS6detail17trampoline_kernelINS0_14default_configENS1_25partition_config_selectorILNS1_17partition_subalgoE8EsNS0_10empty_typeEbEEZZNS1_14partition_implILS5_8ELb0ES3_jPKsPS6_PKS6_NS0_5tupleIJPsS6_EEENSE_IJSB_SB_EEENS0_18inequality_wrapperIN6hipcub16HIPCUB_304000_NS8EqualityEEEPlJS6_EEE10hipError_tPvRmT3_T4_T5_T6_T7_T9_mT8_P12ihipStream_tbDpT10_ENKUlT_T0_E_clISt17integral_constantIbLb1EES16_IbLb0EEEEDaS12_S13_EUlS12_E_NS1_11comp_targetILNS1_3genE3ELNS1_11target_archE908ELNS1_3gpuE7ELNS1_3repE0EEENS1_30default_config_static_selectorELNS0_4arch9wavefront6targetE0EEEvT1_
; %bb.0:
	.section	.rodata,"a",@progbits
	.p2align	6, 0x0
	.amdhsa_kernel _ZN7rocprim17ROCPRIM_400000_NS6detail17trampoline_kernelINS0_14default_configENS1_25partition_config_selectorILNS1_17partition_subalgoE8EsNS0_10empty_typeEbEEZZNS1_14partition_implILS5_8ELb0ES3_jPKsPS6_PKS6_NS0_5tupleIJPsS6_EEENSE_IJSB_SB_EEENS0_18inequality_wrapperIN6hipcub16HIPCUB_304000_NS8EqualityEEEPlJS6_EEE10hipError_tPvRmT3_T4_T5_T6_T7_T9_mT8_P12ihipStream_tbDpT10_ENKUlT_T0_E_clISt17integral_constantIbLb1EES16_IbLb0EEEEDaS12_S13_EUlS12_E_NS1_11comp_targetILNS1_3genE3ELNS1_11target_archE908ELNS1_3gpuE7ELNS1_3repE0EEENS1_30default_config_static_selectorELNS0_4arch9wavefront6targetE0EEEvT1_
		.amdhsa_group_segment_fixed_size 0
		.amdhsa_private_segment_fixed_size 0
		.amdhsa_kernarg_size 112
		.amdhsa_user_sgpr_count 2
		.amdhsa_user_sgpr_dispatch_ptr 0
		.amdhsa_user_sgpr_queue_ptr 0
		.amdhsa_user_sgpr_kernarg_segment_ptr 1
		.amdhsa_user_sgpr_dispatch_id 0
		.amdhsa_user_sgpr_kernarg_preload_length 0
		.amdhsa_user_sgpr_kernarg_preload_offset 0
		.amdhsa_user_sgpr_private_segment_size 0
		.amdhsa_wavefront_size32 1
		.amdhsa_uses_dynamic_stack 0
		.amdhsa_enable_private_segment 0
		.amdhsa_system_sgpr_workgroup_id_x 1
		.amdhsa_system_sgpr_workgroup_id_y 0
		.amdhsa_system_sgpr_workgroup_id_z 0
		.amdhsa_system_sgpr_workgroup_info 0
		.amdhsa_system_vgpr_workitem_id 0
		.amdhsa_next_free_vgpr 1
		.amdhsa_next_free_sgpr 1
		.amdhsa_named_barrier_count 0
		.amdhsa_reserve_vcc 0
		.amdhsa_float_round_mode_32 0
		.amdhsa_float_round_mode_16_64 0
		.amdhsa_float_denorm_mode_32 3
		.amdhsa_float_denorm_mode_16_64 3
		.amdhsa_fp16_overflow 0
		.amdhsa_memory_ordered 1
		.amdhsa_forward_progress 1
		.amdhsa_inst_pref_size 0
		.amdhsa_round_robin_scheduling 0
		.amdhsa_exception_fp_ieee_invalid_op 0
		.amdhsa_exception_fp_denorm_src 0
		.amdhsa_exception_fp_ieee_div_zero 0
		.amdhsa_exception_fp_ieee_overflow 0
		.amdhsa_exception_fp_ieee_underflow 0
		.amdhsa_exception_fp_ieee_inexact 0
		.amdhsa_exception_int_div_zero 0
	.end_amdhsa_kernel
	.section	.text._ZN7rocprim17ROCPRIM_400000_NS6detail17trampoline_kernelINS0_14default_configENS1_25partition_config_selectorILNS1_17partition_subalgoE8EsNS0_10empty_typeEbEEZZNS1_14partition_implILS5_8ELb0ES3_jPKsPS6_PKS6_NS0_5tupleIJPsS6_EEENSE_IJSB_SB_EEENS0_18inequality_wrapperIN6hipcub16HIPCUB_304000_NS8EqualityEEEPlJS6_EEE10hipError_tPvRmT3_T4_T5_T6_T7_T9_mT8_P12ihipStream_tbDpT10_ENKUlT_T0_E_clISt17integral_constantIbLb1EES16_IbLb0EEEEDaS12_S13_EUlS12_E_NS1_11comp_targetILNS1_3genE3ELNS1_11target_archE908ELNS1_3gpuE7ELNS1_3repE0EEENS1_30default_config_static_selectorELNS0_4arch9wavefront6targetE0EEEvT1_,"axG",@progbits,_ZN7rocprim17ROCPRIM_400000_NS6detail17trampoline_kernelINS0_14default_configENS1_25partition_config_selectorILNS1_17partition_subalgoE8EsNS0_10empty_typeEbEEZZNS1_14partition_implILS5_8ELb0ES3_jPKsPS6_PKS6_NS0_5tupleIJPsS6_EEENSE_IJSB_SB_EEENS0_18inequality_wrapperIN6hipcub16HIPCUB_304000_NS8EqualityEEEPlJS6_EEE10hipError_tPvRmT3_T4_T5_T6_T7_T9_mT8_P12ihipStream_tbDpT10_ENKUlT_T0_E_clISt17integral_constantIbLb1EES16_IbLb0EEEEDaS12_S13_EUlS12_E_NS1_11comp_targetILNS1_3genE3ELNS1_11target_archE908ELNS1_3gpuE7ELNS1_3repE0EEENS1_30default_config_static_selectorELNS0_4arch9wavefront6targetE0EEEvT1_,comdat
.Lfunc_end567:
	.size	_ZN7rocprim17ROCPRIM_400000_NS6detail17trampoline_kernelINS0_14default_configENS1_25partition_config_selectorILNS1_17partition_subalgoE8EsNS0_10empty_typeEbEEZZNS1_14partition_implILS5_8ELb0ES3_jPKsPS6_PKS6_NS0_5tupleIJPsS6_EEENSE_IJSB_SB_EEENS0_18inequality_wrapperIN6hipcub16HIPCUB_304000_NS8EqualityEEEPlJS6_EEE10hipError_tPvRmT3_T4_T5_T6_T7_T9_mT8_P12ihipStream_tbDpT10_ENKUlT_T0_E_clISt17integral_constantIbLb1EES16_IbLb0EEEEDaS12_S13_EUlS12_E_NS1_11comp_targetILNS1_3genE3ELNS1_11target_archE908ELNS1_3gpuE7ELNS1_3repE0EEENS1_30default_config_static_selectorELNS0_4arch9wavefront6targetE0EEEvT1_, .Lfunc_end567-_ZN7rocprim17ROCPRIM_400000_NS6detail17trampoline_kernelINS0_14default_configENS1_25partition_config_selectorILNS1_17partition_subalgoE8EsNS0_10empty_typeEbEEZZNS1_14partition_implILS5_8ELb0ES3_jPKsPS6_PKS6_NS0_5tupleIJPsS6_EEENSE_IJSB_SB_EEENS0_18inequality_wrapperIN6hipcub16HIPCUB_304000_NS8EqualityEEEPlJS6_EEE10hipError_tPvRmT3_T4_T5_T6_T7_T9_mT8_P12ihipStream_tbDpT10_ENKUlT_T0_E_clISt17integral_constantIbLb1EES16_IbLb0EEEEDaS12_S13_EUlS12_E_NS1_11comp_targetILNS1_3genE3ELNS1_11target_archE908ELNS1_3gpuE7ELNS1_3repE0EEENS1_30default_config_static_selectorELNS0_4arch9wavefront6targetE0EEEvT1_
                                        ; -- End function
	.set _ZN7rocprim17ROCPRIM_400000_NS6detail17trampoline_kernelINS0_14default_configENS1_25partition_config_selectorILNS1_17partition_subalgoE8EsNS0_10empty_typeEbEEZZNS1_14partition_implILS5_8ELb0ES3_jPKsPS6_PKS6_NS0_5tupleIJPsS6_EEENSE_IJSB_SB_EEENS0_18inequality_wrapperIN6hipcub16HIPCUB_304000_NS8EqualityEEEPlJS6_EEE10hipError_tPvRmT3_T4_T5_T6_T7_T9_mT8_P12ihipStream_tbDpT10_ENKUlT_T0_E_clISt17integral_constantIbLb1EES16_IbLb0EEEEDaS12_S13_EUlS12_E_NS1_11comp_targetILNS1_3genE3ELNS1_11target_archE908ELNS1_3gpuE7ELNS1_3repE0EEENS1_30default_config_static_selectorELNS0_4arch9wavefront6targetE0EEEvT1_.num_vgpr, 0
	.set _ZN7rocprim17ROCPRIM_400000_NS6detail17trampoline_kernelINS0_14default_configENS1_25partition_config_selectorILNS1_17partition_subalgoE8EsNS0_10empty_typeEbEEZZNS1_14partition_implILS5_8ELb0ES3_jPKsPS6_PKS6_NS0_5tupleIJPsS6_EEENSE_IJSB_SB_EEENS0_18inequality_wrapperIN6hipcub16HIPCUB_304000_NS8EqualityEEEPlJS6_EEE10hipError_tPvRmT3_T4_T5_T6_T7_T9_mT8_P12ihipStream_tbDpT10_ENKUlT_T0_E_clISt17integral_constantIbLb1EES16_IbLb0EEEEDaS12_S13_EUlS12_E_NS1_11comp_targetILNS1_3genE3ELNS1_11target_archE908ELNS1_3gpuE7ELNS1_3repE0EEENS1_30default_config_static_selectorELNS0_4arch9wavefront6targetE0EEEvT1_.num_agpr, 0
	.set _ZN7rocprim17ROCPRIM_400000_NS6detail17trampoline_kernelINS0_14default_configENS1_25partition_config_selectorILNS1_17partition_subalgoE8EsNS0_10empty_typeEbEEZZNS1_14partition_implILS5_8ELb0ES3_jPKsPS6_PKS6_NS0_5tupleIJPsS6_EEENSE_IJSB_SB_EEENS0_18inequality_wrapperIN6hipcub16HIPCUB_304000_NS8EqualityEEEPlJS6_EEE10hipError_tPvRmT3_T4_T5_T6_T7_T9_mT8_P12ihipStream_tbDpT10_ENKUlT_T0_E_clISt17integral_constantIbLb1EES16_IbLb0EEEEDaS12_S13_EUlS12_E_NS1_11comp_targetILNS1_3genE3ELNS1_11target_archE908ELNS1_3gpuE7ELNS1_3repE0EEENS1_30default_config_static_selectorELNS0_4arch9wavefront6targetE0EEEvT1_.numbered_sgpr, 0
	.set _ZN7rocprim17ROCPRIM_400000_NS6detail17trampoline_kernelINS0_14default_configENS1_25partition_config_selectorILNS1_17partition_subalgoE8EsNS0_10empty_typeEbEEZZNS1_14partition_implILS5_8ELb0ES3_jPKsPS6_PKS6_NS0_5tupleIJPsS6_EEENSE_IJSB_SB_EEENS0_18inequality_wrapperIN6hipcub16HIPCUB_304000_NS8EqualityEEEPlJS6_EEE10hipError_tPvRmT3_T4_T5_T6_T7_T9_mT8_P12ihipStream_tbDpT10_ENKUlT_T0_E_clISt17integral_constantIbLb1EES16_IbLb0EEEEDaS12_S13_EUlS12_E_NS1_11comp_targetILNS1_3genE3ELNS1_11target_archE908ELNS1_3gpuE7ELNS1_3repE0EEENS1_30default_config_static_selectorELNS0_4arch9wavefront6targetE0EEEvT1_.num_named_barrier, 0
	.set _ZN7rocprim17ROCPRIM_400000_NS6detail17trampoline_kernelINS0_14default_configENS1_25partition_config_selectorILNS1_17partition_subalgoE8EsNS0_10empty_typeEbEEZZNS1_14partition_implILS5_8ELb0ES3_jPKsPS6_PKS6_NS0_5tupleIJPsS6_EEENSE_IJSB_SB_EEENS0_18inequality_wrapperIN6hipcub16HIPCUB_304000_NS8EqualityEEEPlJS6_EEE10hipError_tPvRmT3_T4_T5_T6_T7_T9_mT8_P12ihipStream_tbDpT10_ENKUlT_T0_E_clISt17integral_constantIbLb1EES16_IbLb0EEEEDaS12_S13_EUlS12_E_NS1_11comp_targetILNS1_3genE3ELNS1_11target_archE908ELNS1_3gpuE7ELNS1_3repE0EEENS1_30default_config_static_selectorELNS0_4arch9wavefront6targetE0EEEvT1_.private_seg_size, 0
	.set _ZN7rocprim17ROCPRIM_400000_NS6detail17trampoline_kernelINS0_14default_configENS1_25partition_config_selectorILNS1_17partition_subalgoE8EsNS0_10empty_typeEbEEZZNS1_14partition_implILS5_8ELb0ES3_jPKsPS6_PKS6_NS0_5tupleIJPsS6_EEENSE_IJSB_SB_EEENS0_18inequality_wrapperIN6hipcub16HIPCUB_304000_NS8EqualityEEEPlJS6_EEE10hipError_tPvRmT3_T4_T5_T6_T7_T9_mT8_P12ihipStream_tbDpT10_ENKUlT_T0_E_clISt17integral_constantIbLb1EES16_IbLb0EEEEDaS12_S13_EUlS12_E_NS1_11comp_targetILNS1_3genE3ELNS1_11target_archE908ELNS1_3gpuE7ELNS1_3repE0EEENS1_30default_config_static_selectorELNS0_4arch9wavefront6targetE0EEEvT1_.uses_vcc, 0
	.set _ZN7rocprim17ROCPRIM_400000_NS6detail17trampoline_kernelINS0_14default_configENS1_25partition_config_selectorILNS1_17partition_subalgoE8EsNS0_10empty_typeEbEEZZNS1_14partition_implILS5_8ELb0ES3_jPKsPS6_PKS6_NS0_5tupleIJPsS6_EEENSE_IJSB_SB_EEENS0_18inequality_wrapperIN6hipcub16HIPCUB_304000_NS8EqualityEEEPlJS6_EEE10hipError_tPvRmT3_T4_T5_T6_T7_T9_mT8_P12ihipStream_tbDpT10_ENKUlT_T0_E_clISt17integral_constantIbLb1EES16_IbLb0EEEEDaS12_S13_EUlS12_E_NS1_11comp_targetILNS1_3genE3ELNS1_11target_archE908ELNS1_3gpuE7ELNS1_3repE0EEENS1_30default_config_static_selectorELNS0_4arch9wavefront6targetE0EEEvT1_.uses_flat_scratch, 0
	.set _ZN7rocprim17ROCPRIM_400000_NS6detail17trampoline_kernelINS0_14default_configENS1_25partition_config_selectorILNS1_17partition_subalgoE8EsNS0_10empty_typeEbEEZZNS1_14partition_implILS5_8ELb0ES3_jPKsPS6_PKS6_NS0_5tupleIJPsS6_EEENSE_IJSB_SB_EEENS0_18inequality_wrapperIN6hipcub16HIPCUB_304000_NS8EqualityEEEPlJS6_EEE10hipError_tPvRmT3_T4_T5_T6_T7_T9_mT8_P12ihipStream_tbDpT10_ENKUlT_T0_E_clISt17integral_constantIbLb1EES16_IbLb0EEEEDaS12_S13_EUlS12_E_NS1_11comp_targetILNS1_3genE3ELNS1_11target_archE908ELNS1_3gpuE7ELNS1_3repE0EEENS1_30default_config_static_selectorELNS0_4arch9wavefront6targetE0EEEvT1_.has_dyn_sized_stack, 0
	.set _ZN7rocprim17ROCPRIM_400000_NS6detail17trampoline_kernelINS0_14default_configENS1_25partition_config_selectorILNS1_17partition_subalgoE8EsNS0_10empty_typeEbEEZZNS1_14partition_implILS5_8ELb0ES3_jPKsPS6_PKS6_NS0_5tupleIJPsS6_EEENSE_IJSB_SB_EEENS0_18inequality_wrapperIN6hipcub16HIPCUB_304000_NS8EqualityEEEPlJS6_EEE10hipError_tPvRmT3_T4_T5_T6_T7_T9_mT8_P12ihipStream_tbDpT10_ENKUlT_T0_E_clISt17integral_constantIbLb1EES16_IbLb0EEEEDaS12_S13_EUlS12_E_NS1_11comp_targetILNS1_3genE3ELNS1_11target_archE908ELNS1_3gpuE7ELNS1_3repE0EEENS1_30default_config_static_selectorELNS0_4arch9wavefront6targetE0EEEvT1_.has_recursion, 0
	.set _ZN7rocprim17ROCPRIM_400000_NS6detail17trampoline_kernelINS0_14default_configENS1_25partition_config_selectorILNS1_17partition_subalgoE8EsNS0_10empty_typeEbEEZZNS1_14partition_implILS5_8ELb0ES3_jPKsPS6_PKS6_NS0_5tupleIJPsS6_EEENSE_IJSB_SB_EEENS0_18inequality_wrapperIN6hipcub16HIPCUB_304000_NS8EqualityEEEPlJS6_EEE10hipError_tPvRmT3_T4_T5_T6_T7_T9_mT8_P12ihipStream_tbDpT10_ENKUlT_T0_E_clISt17integral_constantIbLb1EES16_IbLb0EEEEDaS12_S13_EUlS12_E_NS1_11comp_targetILNS1_3genE3ELNS1_11target_archE908ELNS1_3gpuE7ELNS1_3repE0EEENS1_30default_config_static_selectorELNS0_4arch9wavefront6targetE0EEEvT1_.has_indirect_call, 0
	.section	.AMDGPU.csdata,"",@progbits
; Kernel info:
; codeLenInByte = 0
; TotalNumSgprs: 0
; NumVgprs: 0
; ScratchSize: 0
; MemoryBound: 0
; FloatMode: 240
; IeeeMode: 1
; LDSByteSize: 0 bytes/workgroup (compile time only)
; SGPRBlocks: 0
; VGPRBlocks: 0
; NumSGPRsForWavesPerEU: 1
; NumVGPRsForWavesPerEU: 1
; NamedBarCnt: 0
; Occupancy: 16
; WaveLimiterHint : 0
; COMPUTE_PGM_RSRC2:SCRATCH_EN: 0
; COMPUTE_PGM_RSRC2:USER_SGPR: 2
; COMPUTE_PGM_RSRC2:TRAP_HANDLER: 0
; COMPUTE_PGM_RSRC2:TGID_X_EN: 1
; COMPUTE_PGM_RSRC2:TGID_Y_EN: 0
; COMPUTE_PGM_RSRC2:TGID_Z_EN: 0
; COMPUTE_PGM_RSRC2:TIDIG_COMP_CNT: 0
	.section	.text._ZN7rocprim17ROCPRIM_400000_NS6detail17trampoline_kernelINS0_14default_configENS1_25partition_config_selectorILNS1_17partition_subalgoE8EsNS0_10empty_typeEbEEZZNS1_14partition_implILS5_8ELb0ES3_jPKsPS6_PKS6_NS0_5tupleIJPsS6_EEENSE_IJSB_SB_EEENS0_18inequality_wrapperIN6hipcub16HIPCUB_304000_NS8EqualityEEEPlJS6_EEE10hipError_tPvRmT3_T4_T5_T6_T7_T9_mT8_P12ihipStream_tbDpT10_ENKUlT_T0_E_clISt17integral_constantIbLb1EES16_IbLb0EEEEDaS12_S13_EUlS12_E_NS1_11comp_targetILNS1_3genE2ELNS1_11target_archE906ELNS1_3gpuE6ELNS1_3repE0EEENS1_30default_config_static_selectorELNS0_4arch9wavefront6targetE0EEEvT1_,"axG",@progbits,_ZN7rocprim17ROCPRIM_400000_NS6detail17trampoline_kernelINS0_14default_configENS1_25partition_config_selectorILNS1_17partition_subalgoE8EsNS0_10empty_typeEbEEZZNS1_14partition_implILS5_8ELb0ES3_jPKsPS6_PKS6_NS0_5tupleIJPsS6_EEENSE_IJSB_SB_EEENS0_18inequality_wrapperIN6hipcub16HIPCUB_304000_NS8EqualityEEEPlJS6_EEE10hipError_tPvRmT3_T4_T5_T6_T7_T9_mT8_P12ihipStream_tbDpT10_ENKUlT_T0_E_clISt17integral_constantIbLb1EES16_IbLb0EEEEDaS12_S13_EUlS12_E_NS1_11comp_targetILNS1_3genE2ELNS1_11target_archE906ELNS1_3gpuE6ELNS1_3repE0EEENS1_30default_config_static_selectorELNS0_4arch9wavefront6targetE0EEEvT1_,comdat
	.protected	_ZN7rocprim17ROCPRIM_400000_NS6detail17trampoline_kernelINS0_14default_configENS1_25partition_config_selectorILNS1_17partition_subalgoE8EsNS0_10empty_typeEbEEZZNS1_14partition_implILS5_8ELb0ES3_jPKsPS6_PKS6_NS0_5tupleIJPsS6_EEENSE_IJSB_SB_EEENS0_18inequality_wrapperIN6hipcub16HIPCUB_304000_NS8EqualityEEEPlJS6_EEE10hipError_tPvRmT3_T4_T5_T6_T7_T9_mT8_P12ihipStream_tbDpT10_ENKUlT_T0_E_clISt17integral_constantIbLb1EES16_IbLb0EEEEDaS12_S13_EUlS12_E_NS1_11comp_targetILNS1_3genE2ELNS1_11target_archE906ELNS1_3gpuE6ELNS1_3repE0EEENS1_30default_config_static_selectorELNS0_4arch9wavefront6targetE0EEEvT1_ ; -- Begin function _ZN7rocprim17ROCPRIM_400000_NS6detail17trampoline_kernelINS0_14default_configENS1_25partition_config_selectorILNS1_17partition_subalgoE8EsNS0_10empty_typeEbEEZZNS1_14partition_implILS5_8ELb0ES3_jPKsPS6_PKS6_NS0_5tupleIJPsS6_EEENSE_IJSB_SB_EEENS0_18inequality_wrapperIN6hipcub16HIPCUB_304000_NS8EqualityEEEPlJS6_EEE10hipError_tPvRmT3_T4_T5_T6_T7_T9_mT8_P12ihipStream_tbDpT10_ENKUlT_T0_E_clISt17integral_constantIbLb1EES16_IbLb0EEEEDaS12_S13_EUlS12_E_NS1_11comp_targetILNS1_3genE2ELNS1_11target_archE906ELNS1_3gpuE6ELNS1_3repE0EEENS1_30default_config_static_selectorELNS0_4arch9wavefront6targetE0EEEvT1_
	.globl	_ZN7rocprim17ROCPRIM_400000_NS6detail17trampoline_kernelINS0_14default_configENS1_25partition_config_selectorILNS1_17partition_subalgoE8EsNS0_10empty_typeEbEEZZNS1_14partition_implILS5_8ELb0ES3_jPKsPS6_PKS6_NS0_5tupleIJPsS6_EEENSE_IJSB_SB_EEENS0_18inequality_wrapperIN6hipcub16HIPCUB_304000_NS8EqualityEEEPlJS6_EEE10hipError_tPvRmT3_T4_T5_T6_T7_T9_mT8_P12ihipStream_tbDpT10_ENKUlT_T0_E_clISt17integral_constantIbLb1EES16_IbLb0EEEEDaS12_S13_EUlS12_E_NS1_11comp_targetILNS1_3genE2ELNS1_11target_archE906ELNS1_3gpuE6ELNS1_3repE0EEENS1_30default_config_static_selectorELNS0_4arch9wavefront6targetE0EEEvT1_
	.p2align	8
	.type	_ZN7rocprim17ROCPRIM_400000_NS6detail17trampoline_kernelINS0_14default_configENS1_25partition_config_selectorILNS1_17partition_subalgoE8EsNS0_10empty_typeEbEEZZNS1_14partition_implILS5_8ELb0ES3_jPKsPS6_PKS6_NS0_5tupleIJPsS6_EEENSE_IJSB_SB_EEENS0_18inequality_wrapperIN6hipcub16HIPCUB_304000_NS8EqualityEEEPlJS6_EEE10hipError_tPvRmT3_T4_T5_T6_T7_T9_mT8_P12ihipStream_tbDpT10_ENKUlT_T0_E_clISt17integral_constantIbLb1EES16_IbLb0EEEEDaS12_S13_EUlS12_E_NS1_11comp_targetILNS1_3genE2ELNS1_11target_archE906ELNS1_3gpuE6ELNS1_3repE0EEENS1_30default_config_static_selectorELNS0_4arch9wavefront6targetE0EEEvT1_,@function
_ZN7rocprim17ROCPRIM_400000_NS6detail17trampoline_kernelINS0_14default_configENS1_25partition_config_selectorILNS1_17partition_subalgoE8EsNS0_10empty_typeEbEEZZNS1_14partition_implILS5_8ELb0ES3_jPKsPS6_PKS6_NS0_5tupleIJPsS6_EEENSE_IJSB_SB_EEENS0_18inequality_wrapperIN6hipcub16HIPCUB_304000_NS8EqualityEEEPlJS6_EEE10hipError_tPvRmT3_T4_T5_T6_T7_T9_mT8_P12ihipStream_tbDpT10_ENKUlT_T0_E_clISt17integral_constantIbLb1EES16_IbLb0EEEEDaS12_S13_EUlS12_E_NS1_11comp_targetILNS1_3genE2ELNS1_11target_archE906ELNS1_3gpuE6ELNS1_3repE0EEENS1_30default_config_static_selectorELNS0_4arch9wavefront6targetE0EEEvT1_: ; @_ZN7rocprim17ROCPRIM_400000_NS6detail17trampoline_kernelINS0_14default_configENS1_25partition_config_selectorILNS1_17partition_subalgoE8EsNS0_10empty_typeEbEEZZNS1_14partition_implILS5_8ELb0ES3_jPKsPS6_PKS6_NS0_5tupleIJPsS6_EEENSE_IJSB_SB_EEENS0_18inequality_wrapperIN6hipcub16HIPCUB_304000_NS8EqualityEEEPlJS6_EEE10hipError_tPvRmT3_T4_T5_T6_T7_T9_mT8_P12ihipStream_tbDpT10_ENKUlT_T0_E_clISt17integral_constantIbLb1EES16_IbLb0EEEEDaS12_S13_EUlS12_E_NS1_11comp_targetILNS1_3genE2ELNS1_11target_archE906ELNS1_3gpuE6ELNS1_3repE0EEENS1_30default_config_static_selectorELNS0_4arch9wavefront6targetE0EEEvT1_
; %bb.0:
	.section	.rodata,"a",@progbits
	.p2align	6, 0x0
	.amdhsa_kernel _ZN7rocprim17ROCPRIM_400000_NS6detail17trampoline_kernelINS0_14default_configENS1_25partition_config_selectorILNS1_17partition_subalgoE8EsNS0_10empty_typeEbEEZZNS1_14partition_implILS5_8ELb0ES3_jPKsPS6_PKS6_NS0_5tupleIJPsS6_EEENSE_IJSB_SB_EEENS0_18inequality_wrapperIN6hipcub16HIPCUB_304000_NS8EqualityEEEPlJS6_EEE10hipError_tPvRmT3_T4_T5_T6_T7_T9_mT8_P12ihipStream_tbDpT10_ENKUlT_T0_E_clISt17integral_constantIbLb1EES16_IbLb0EEEEDaS12_S13_EUlS12_E_NS1_11comp_targetILNS1_3genE2ELNS1_11target_archE906ELNS1_3gpuE6ELNS1_3repE0EEENS1_30default_config_static_selectorELNS0_4arch9wavefront6targetE0EEEvT1_
		.amdhsa_group_segment_fixed_size 0
		.amdhsa_private_segment_fixed_size 0
		.amdhsa_kernarg_size 112
		.amdhsa_user_sgpr_count 2
		.amdhsa_user_sgpr_dispatch_ptr 0
		.amdhsa_user_sgpr_queue_ptr 0
		.amdhsa_user_sgpr_kernarg_segment_ptr 1
		.amdhsa_user_sgpr_dispatch_id 0
		.amdhsa_user_sgpr_kernarg_preload_length 0
		.amdhsa_user_sgpr_kernarg_preload_offset 0
		.amdhsa_user_sgpr_private_segment_size 0
		.amdhsa_wavefront_size32 1
		.amdhsa_uses_dynamic_stack 0
		.amdhsa_enable_private_segment 0
		.amdhsa_system_sgpr_workgroup_id_x 1
		.amdhsa_system_sgpr_workgroup_id_y 0
		.amdhsa_system_sgpr_workgroup_id_z 0
		.amdhsa_system_sgpr_workgroup_info 0
		.amdhsa_system_vgpr_workitem_id 0
		.amdhsa_next_free_vgpr 1
		.amdhsa_next_free_sgpr 1
		.amdhsa_named_barrier_count 0
		.amdhsa_reserve_vcc 0
		.amdhsa_float_round_mode_32 0
		.amdhsa_float_round_mode_16_64 0
		.amdhsa_float_denorm_mode_32 3
		.amdhsa_float_denorm_mode_16_64 3
		.amdhsa_fp16_overflow 0
		.amdhsa_memory_ordered 1
		.amdhsa_forward_progress 1
		.amdhsa_inst_pref_size 0
		.amdhsa_round_robin_scheduling 0
		.amdhsa_exception_fp_ieee_invalid_op 0
		.amdhsa_exception_fp_denorm_src 0
		.amdhsa_exception_fp_ieee_div_zero 0
		.amdhsa_exception_fp_ieee_overflow 0
		.amdhsa_exception_fp_ieee_underflow 0
		.amdhsa_exception_fp_ieee_inexact 0
		.amdhsa_exception_int_div_zero 0
	.end_amdhsa_kernel
	.section	.text._ZN7rocprim17ROCPRIM_400000_NS6detail17trampoline_kernelINS0_14default_configENS1_25partition_config_selectorILNS1_17partition_subalgoE8EsNS0_10empty_typeEbEEZZNS1_14partition_implILS5_8ELb0ES3_jPKsPS6_PKS6_NS0_5tupleIJPsS6_EEENSE_IJSB_SB_EEENS0_18inequality_wrapperIN6hipcub16HIPCUB_304000_NS8EqualityEEEPlJS6_EEE10hipError_tPvRmT3_T4_T5_T6_T7_T9_mT8_P12ihipStream_tbDpT10_ENKUlT_T0_E_clISt17integral_constantIbLb1EES16_IbLb0EEEEDaS12_S13_EUlS12_E_NS1_11comp_targetILNS1_3genE2ELNS1_11target_archE906ELNS1_3gpuE6ELNS1_3repE0EEENS1_30default_config_static_selectorELNS0_4arch9wavefront6targetE0EEEvT1_,"axG",@progbits,_ZN7rocprim17ROCPRIM_400000_NS6detail17trampoline_kernelINS0_14default_configENS1_25partition_config_selectorILNS1_17partition_subalgoE8EsNS0_10empty_typeEbEEZZNS1_14partition_implILS5_8ELb0ES3_jPKsPS6_PKS6_NS0_5tupleIJPsS6_EEENSE_IJSB_SB_EEENS0_18inequality_wrapperIN6hipcub16HIPCUB_304000_NS8EqualityEEEPlJS6_EEE10hipError_tPvRmT3_T4_T5_T6_T7_T9_mT8_P12ihipStream_tbDpT10_ENKUlT_T0_E_clISt17integral_constantIbLb1EES16_IbLb0EEEEDaS12_S13_EUlS12_E_NS1_11comp_targetILNS1_3genE2ELNS1_11target_archE906ELNS1_3gpuE6ELNS1_3repE0EEENS1_30default_config_static_selectorELNS0_4arch9wavefront6targetE0EEEvT1_,comdat
.Lfunc_end568:
	.size	_ZN7rocprim17ROCPRIM_400000_NS6detail17trampoline_kernelINS0_14default_configENS1_25partition_config_selectorILNS1_17partition_subalgoE8EsNS0_10empty_typeEbEEZZNS1_14partition_implILS5_8ELb0ES3_jPKsPS6_PKS6_NS0_5tupleIJPsS6_EEENSE_IJSB_SB_EEENS0_18inequality_wrapperIN6hipcub16HIPCUB_304000_NS8EqualityEEEPlJS6_EEE10hipError_tPvRmT3_T4_T5_T6_T7_T9_mT8_P12ihipStream_tbDpT10_ENKUlT_T0_E_clISt17integral_constantIbLb1EES16_IbLb0EEEEDaS12_S13_EUlS12_E_NS1_11comp_targetILNS1_3genE2ELNS1_11target_archE906ELNS1_3gpuE6ELNS1_3repE0EEENS1_30default_config_static_selectorELNS0_4arch9wavefront6targetE0EEEvT1_, .Lfunc_end568-_ZN7rocprim17ROCPRIM_400000_NS6detail17trampoline_kernelINS0_14default_configENS1_25partition_config_selectorILNS1_17partition_subalgoE8EsNS0_10empty_typeEbEEZZNS1_14partition_implILS5_8ELb0ES3_jPKsPS6_PKS6_NS0_5tupleIJPsS6_EEENSE_IJSB_SB_EEENS0_18inequality_wrapperIN6hipcub16HIPCUB_304000_NS8EqualityEEEPlJS6_EEE10hipError_tPvRmT3_T4_T5_T6_T7_T9_mT8_P12ihipStream_tbDpT10_ENKUlT_T0_E_clISt17integral_constantIbLb1EES16_IbLb0EEEEDaS12_S13_EUlS12_E_NS1_11comp_targetILNS1_3genE2ELNS1_11target_archE906ELNS1_3gpuE6ELNS1_3repE0EEENS1_30default_config_static_selectorELNS0_4arch9wavefront6targetE0EEEvT1_
                                        ; -- End function
	.set _ZN7rocprim17ROCPRIM_400000_NS6detail17trampoline_kernelINS0_14default_configENS1_25partition_config_selectorILNS1_17partition_subalgoE8EsNS0_10empty_typeEbEEZZNS1_14partition_implILS5_8ELb0ES3_jPKsPS6_PKS6_NS0_5tupleIJPsS6_EEENSE_IJSB_SB_EEENS0_18inequality_wrapperIN6hipcub16HIPCUB_304000_NS8EqualityEEEPlJS6_EEE10hipError_tPvRmT3_T4_T5_T6_T7_T9_mT8_P12ihipStream_tbDpT10_ENKUlT_T0_E_clISt17integral_constantIbLb1EES16_IbLb0EEEEDaS12_S13_EUlS12_E_NS1_11comp_targetILNS1_3genE2ELNS1_11target_archE906ELNS1_3gpuE6ELNS1_3repE0EEENS1_30default_config_static_selectorELNS0_4arch9wavefront6targetE0EEEvT1_.num_vgpr, 0
	.set _ZN7rocprim17ROCPRIM_400000_NS6detail17trampoline_kernelINS0_14default_configENS1_25partition_config_selectorILNS1_17partition_subalgoE8EsNS0_10empty_typeEbEEZZNS1_14partition_implILS5_8ELb0ES3_jPKsPS6_PKS6_NS0_5tupleIJPsS6_EEENSE_IJSB_SB_EEENS0_18inequality_wrapperIN6hipcub16HIPCUB_304000_NS8EqualityEEEPlJS6_EEE10hipError_tPvRmT3_T4_T5_T6_T7_T9_mT8_P12ihipStream_tbDpT10_ENKUlT_T0_E_clISt17integral_constantIbLb1EES16_IbLb0EEEEDaS12_S13_EUlS12_E_NS1_11comp_targetILNS1_3genE2ELNS1_11target_archE906ELNS1_3gpuE6ELNS1_3repE0EEENS1_30default_config_static_selectorELNS0_4arch9wavefront6targetE0EEEvT1_.num_agpr, 0
	.set _ZN7rocprim17ROCPRIM_400000_NS6detail17trampoline_kernelINS0_14default_configENS1_25partition_config_selectorILNS1_17partition_subalgoE8EsNS0_10empty_typeEbEEZZNS1_14partition_implILS5_8ELb0ES3_jPKsPS6_PKS6_NS0_5tupleIJPsS6_EEENSE_IJSB_SB_EEENS0_18inequality_wrapperIN6hipcub16HIPCUB_304000_NS8EqualityEEEPlJS6_EEE10hipError_tPvRmT3_T4_T5_T6_T7_T9_mT8_P12ihipStream_tbDpT10_ENKUlT_T0_E_clISt17integral_constantIbLb1EES16_IbLb0EEEEDaS12_S13_EUlS12_E_NS1_11comp_targetILNS1_3genE2ELNS1_11target_archE906ELNS1_3gpuE6ELNS1_3repE0EEENS1_30default_config_static_selectorELNS0_4arch9wavefront6targetE0EEEvT1_.numbered_sgpr, 0
	.set _ZN7rocprim17ROCPRIM_400000_NS6detail17trampoline_kernelINS0_14default_configENS1_25partition_config_selectorILNS1_17partition_subalgoE8EsNS0_10empty_typeEbEEZZNS1_14partition_implILS5_8ELb0ES3_jPKsPS6_PKS6_NS0_5tupleIJPsS6_EEENSE_IJSB_SB_EEENS0_18inequality_wrapperIN6hipcub16HIPCUB_304000_NS8EqualityEEEPlJS6_EEE10hipError_tPvRmT3_T4_T5_T6_T7_T9_mT8_P12ihipStream_tbDpT10_ENKUlT_T0_E_clISt17integral_constantIbLb1EES16_IbLb0EEEEDaS12_S13_EUlS12_E_NS1_11comp_targetILNS1_3genE2ELNS1_11target_archE906ELNS1_3gpuE6ELNS1_3repE0EEENS1_30default_config_static_selectorELNS0_4arch9wavefront6targetE0EEEvT1_.num_named_barrier, 0
	.set _ZN7rocprim17ROCPRIM_400000_NS6detail17trampoline_kernelINS0_14default_configENS1_25partition_config_selectorILNS1_17partition_subalgoE8EsNS0_10empty_typeEbEEZZNS1_14partition_implILS5_8ELb0ES3_jPKsPS6_PKS6_NS0_5tupleIJPsS6_EEENSE_IJSB_SB_EEENS0_18inequality_wrapperIN6hipcub16HIPCUB_304000_NS8EqualityEEEPlJS6_EEE10hipError_tPvRmT3_T4_T5_T6_T7_T9_mT8_P12ihipStream_tbDpT10_ENKUlT_T0_E_clISt17integral_constantIbLb1EES16_IbLb0EEEEDaS12_S13_EUlS12_E_NS1_11comp_targetILNS1_3genE2ELNS1_11target_archE906ELNS1_3gpuE6ELNS1_3repE0EEENS1_30default_config_static_selectorELNS0_4arch9wavefront6targetE0EEEvT1_.private_seg_size, 0
	.set _ZN7rocprim17ROCPRIM_400000_NS6detail17trampoline_kernelINS0_14default_configENS1_25partition_config_selectorILNS1_17partition_subalgoE8EsNS0_10empty_typeEbEEZZNS1_14partition_implILS5_8ELb0ES3_jPKsPS6_PKS6_NS0_5tupleIJPsS6_EEENSE_IJSB_SB_EEENS0_18inequality_wrapperIN6hipcub16HIPCUB_304000_NS8EqualityEEEPlJS6_EEE10hipError_tPvRmT3_T4_T5_T6_T7_T9_mT8_P12ihipStream_tbDpT10_ENKUlT_T0_E_clISt17integral_constantIbLb1EES16_IbLb0EEEEDaS12_S13_EUlS12_E_NS1_11comp_targetILNS1_3genE2ELNS1_11target_archE906ELNS1_3gpuE6ELNS1_3repE0EEENS1_30default_config_static_selectorELNS0_4arch9wavefront6targetE0EEEvT1_.uses_vcc, 0
	.set _ZN7rocprim17ROCPRIM_400000_NS6detail17trampoline_kernelINS0_14default_configENS1_25partition_config_selectorILNS1_17partition_subalgoE8EsNS0_10empty_typeEbEEZZNS1_14partition_implILS5_8ELb0ES3_jPKsPS6_PKS6_NS0_5tupleIJPsS6_EEENSE_IJSB_SB_EEENS0_18inequality_wrapperIN6hipcub16HIPCUB_304000_NS8EqualityEEEPlJS6_EEE10hipError_tPvRmT3_T4_T5_T6_T7_T9_mT8_P12ihipStream_tbDpT10_ENKUlT_T0_E_clISt17integral_constantIbLb1EES16_IbLb0EEEEDaS12_S13_EUlS12_E_NS1_11comp_targetILNS1_3genE2ELNS1_11target_archE906ELNS1_3gpuE6ELNS1_3repE0EEENS1_30default_config_static_selectorELNS0_4arch9wavefront6targetE0EEEvT1_.uses_flat_scratch, 0
	.set _ZN7rocprim17ROCPRIM_400000_NS6detail17trampoline_kernelINS0_14default_configENS1_25partition_config_selectorILNS1_17partition_subalgoE8EsNS0_10empty_typeEbEEZZNS1_14partition_implILS5_8ELb0ES3_jPKsPS6_PKS6_NS0_5tupleIJPsS6_EEENSE_IJSB_SB_EEENS0_18inequality_wrapperIN6hipcub16HIPCUB_304000_NS8EqualityEEEPlJS6_EEE10hipError_tPvRmT3_T4_T5_T6_T7_T9_mT8_P12ihipStream_tbDpT10_ENKUlT_T0_E_clISt17integral_constantIbLb1EES16_IbLb0EEEEDaS12_S13_EUlS12_E_NS1_11comp_targetILNS1_3genE2ELNS1_11target_archE906ELNS1_3gpuE6ELNS1_3repE0EEENS1_30default_config_static_selectorELNS0_4arch9wavefront6targetE0EEEvT1_.has_dyn_sized_stack, 0
	.set _ZN7rocprim17ROCPRIM_400000_NS6detail17trampoline_kernelINS0_14default_configENS1_25partition_config_selectorILNS1_17partition_subalgoE8EsNS0_10empty_typeEbEEZZNS1_14partition_implILS5_8ELb0ES3_jPKsPS6_PKS6_NS0_5tupleIJPsS6_EEENSE_IJSB_SB_EEENS0_18inequality_wrapperIN6hipcub16HIPCUB_304000_NS8EqualityEEEPlJS6_EEE10hipError_tPvRmT3_T4_T5_T6_T7_T9_mT8_P12ihipStream_tbDpT10_ENKUlT_T0_E_clISt17integral_constantIbLb1EES16_IbLb0EEEEDaS12_S13_EUlS12_E_NS1_11comp_targetILNS1_3genE2ELNS1_11target_archE906ELNS1_3gpuE6ELNS1_3repE0EEENS1_30default_config_static_selectorELNS0_4arch9wavefront6targetE0EEEvT1_.has_recursion, 0
	.set _ZN7rocprim17ROCPRIM_400000_NS6detail17trampoline_kernelINS0_14default_configENS1_25partition_config_selectorILNS1_17partition_subalgoE8EsNS0_10empty_typeEbEEZZNS1_14partition_implILS5_8ELb0ES3_jPKsPS6_PKS6_NS0_5tupleIJPsS6_EEENSE_IJSB_SB_EEENS0_18inequality_wrapperIN6hipcub16HIPCUB_304000_NS8EqualityEEEPlJS6_EEE10hipError_tPvRmT3_T4_T5_T6_T7_T9_mT8_P12ihipStream_tbDpT10_ENKUlT_T0_E_clISt17integral_constantIbLb1EES16_IbLb0EEEEDaS12_S13_EUlS12_E_NS1_11comp_targetILNS1_3genE2ELNS1_11target_archE906ELNS1_3gpuE6ELNS1_3repE0EEENS1_30default_config_static_selectorELNS0_4arch9wavefront6targetE0EEEvT1_.has_indirect_call, 0
	.section	.AMDGPU.csdata,"",@progbits
; Kernel info:
; codeLenInByte = 0
; TotalNumSgprs: 0
; NumVgprs: 0
; ScratchSize: 0
; MemoryBound: 0
; FloatMode: 240
; IeeeMode: 1
; LDSByteSize: 0 bytes/workgroup (compile time only)
; SGPRBlocks: 0
; VGPRBlocks: 0
; NumSGPRsForWavesPerEU: 1
; NumVGPRsForWavesPerEU: 1
; NamedBarCnt: 0
; Occupancy: 16
; WaveLimiterHint : 0
; COMPUTE_PGM_RSRC2:SCRATCH_EN: 0
; COMPUTE_PGM_RSRC2:USER_SGPR: 2
; COMPUTE_PGM_RSRC2:TRAP_HANDLER: 0
; COMPUTE_PGM_RSRC2:TGID_X_EN: 1
; COMPUTE_PGM_RSRC2:TGID_Y_EN: 0
; COMPUTE_PGM_RSRC2:TGID_Z_EN: 0
; COMPUTE_PGM_RSRC2:TIDIG_COMP_CNT: 0
	.section	.text._ZN7rocprim17ROCPRIM_400000_NS6detail17trampoline_kernelINS0_14default_configENS1_25partition_config_selectorILNS1_17partition_subalgoE8EsNS0_10empty_typeEbEEZZNS1_14partition_implILS5_8ELb0ES3_jPKsPS6_PKS6_NS0_5tupleIJPsS6_EEENSE_IJSB_SB_EEENS0_18inequality_wrapperIN6hipcub16HIPCUB_304000_NS8EqualityEEEPlJS6_EEE10hipError_tPvRmT3_T4_T5_T6_T7_T9_mT8_P12ihipStream_tbDpT10_ENKUlT_T0_E_clISt17integral_constantIbLb1EES16_IbLb0EEEEDaS12_S13_EUlS12_E_NS1_11comp_targetILNS1_3genE10ELNS1_11target_archE1200ELNS1_3gpuE4ELNS1_3repE0EEENS1_30default_config_static_selectorELNS0_4arch9wavefront6targetE0EEEvT1_,"axG",@progbits,_ZN7rocprim17ROCPRIM_400000_NS6detail17trampoline_kernelINS0_14default_configENS1_25partition_config_selectorILNS1_17partition_subalgoE8EsNS0_10empty_typeEbEEZZNS1_14partition_implILS5_8ELb0ES3_jPKsPS6_PKS6_NS0_5tupleIJPsS6_EEENSE_IJSB_SB_EEENS0_18inequality_wrapperIN6hipcub16HIPCUB_304000_NS8EqualityEEEPlJS6_EEE10hipError_tPvRmT3_T4_T5_T6_T7_T9_mT8_P12ihipStream_tbDpT10_ENKUlT_T0_E_clISt17integral_constantIbLb1EES16_IbLb0EEEEDaS12_S13_EUlS12_E_NS1_11comp_targetILNS1_3genE10ELNS1_11target_archE1200ELNS1_3gpuE4ELNS1_3repE0EEENS1_30default_config_static_selectorELNS0_4arch9wavefront6targetE0EEEvT1_,comdat
	.protected	_ZN7rocprim17ROCPRIM_400000_NS6detail17trampoline_kernelINS0_14default_configENS1_25partition_config_selectorILNS1_17partition_subalgoE8EsNS0_10empty_typeEbEEZZNS1_14partition_implILS5_8ELb0ES3_jPKsPS6_PKS6_NS0_5tupleIJPsS6_EEENSE_IJSB_SB_EEENS0_18inequality_wrapperIN6hipcub16HIPCUB_304000_NS8EqualityEEEPlJS6_EEE10hipError_tPvRmT3_T4_T5_T6_T7_T9_mT8_P12ihipStream_tbDpT10_ENKUlT_T0_E_clISt17integral_constantIbLb1EES16_IbLb0EEEEDaS12_S13_EUlS12_E_NS1_11comp_targetILNS1_3genE10ELNS1_11target_archE1200ELNS1_3gpuE4ELNS1_3repE0EEENS1_30default_config_static_selectorELNS0_4arch9wavefront6targetE0EEEvT1_ ; -- Begin function _ZN7rocprim17ROCPRIM_400000_NS6detail17trampoline_kernelINS0_14default_configENS1_25partition_config_selectorILNS1_17partition_subalgoE8EsNS0_10empty_typeEbEEZZNS1_14partition_implILS5_8ELb0ES3_jPKsPS6_PKS6_NS0_5tupleIJPsS6_EEENSE_IJSB_SB_EEENS0_18inequality_wrapperIN6hipcub16HIPCUB_304000_NS8EqualityEEEPlJS6_EEE10hipError_tPvRmT3_T4_T5_T6_T7_T9_mT8_P12ihipStream_tbDpT10_ENKUlT_T0_E_clISt17integral_constantIbLb1EES16_IbLb0EEEEDaS12_S13_EUlS12_E_NS1_11comp_targetILNS1_3genE10ELNS1_11target_archE1200ELNS1_3gpuE4ELNS1_3repE0EEENS1_30default_config_static_selectorELNS0_4arch9wavefront6targetE0EEEvT1_
	.globl	_ZN7rocprim17ROCPRIM_400000_NS6detail17trampoline_kernelINS0_14default_configENS1_25partition_config_selectorILNS1_17partition_subalgoE8EsNS0_10empty_typeEbEEZZNS1_14partition_implILS5_8ELb0ES3_jPKsPS6_PKS6_NS0_5tupleIJPsS6_EEENSE_IJSB_SB_EEENS0_18inequality_wrapperIN6hipcub16HIPCUB_304000_NS8EqualityEEEPlJS6_EEE10hipError_tPvRmT3_T4_T5_T6_T7_T9_mT8_P12ihipStream_tbDpT10_ENKUlT_T0_E_clISt17integral_constantIbLb1EES16_IbLb0EEEEDaS12_S13_EUlS12_E_NS1_11comp_targetILNS1_3genE10ELNS1_11target_archE1200ELNS1_3gpuE4ELNS1_3repE0EEENS1_30default_config_static_selectorELNS0_4arch9wavefront6targetE0EEEvT1_
	.p2align	8
	.type	_ZN7rocprim17ROCPRIM_400000_NS6detail17trampoline_kernelINS0_14default_configENS1_25partition_config_selectorILNS1_17partition_subalgoE8EsNS0_10empty_typeEbEEZZNS1_14partition_implILS5_8ELb0ES3_jPKsPS6_PKS6_NS0_5tupleIJPsS6_EEENSE_IJSB_SB_EEENS0_18inequality_wrapperIN6hipcub16HIPCUB_304000_NS8EqualityEEEPlJS6_EEE10hipError_tPvRmT3_T4_T5_T6_T7_T9_mT8_P12ihipStream_tbDpT10_ENKUlT_T0_E_clISt17integral_constantIbLb1EES16_IbLb0EEEEDaS12_S13_EUlS12_E_NS1_11comp_targetILNS1_3genE10ELNS1_11target_archE1200ELNS1_3gpuE4ELNS1_3repE0EEENS1_30default_config_static_selectorELNS0_4arch9wavefront6targetE0EEEvT1_,@function
_ZN7rocprim17ROCPRIM_400000_NS6detail17trampoline_kernelINS0_14default_configENS1_25partition_config_selectorILNS1_17partition_subalgoE8EsNS0_10empty_typeEbEEZZNS1_14partition_implILS5_8ELb0ES3_jPKsPS6_PKS6_NS0_5tupleIJPsS6_EEENSE_IJSB_SB_EEENS0_18inequality_wrapperIN6hipcub16HIPCUB_304000_NS8EqualityEEEPlJS6_EEE10hipError_tPvRmT3_T4_T5_T6_T7_T9_mT8_P12ihipStream_tbDpT10_ENKUlT_T0_E_clISt17integral_constantIbLb1EES16_IbLb0EEEEDaS12_S13_EUlS12_E_NS1_11comp_targetILNS1_3genE10ELNS1_11target_archE1200ELNS1_3gpuE4ELNS1_3repE0EEENS1_30default_config_static_selectorELNS0_4arch9wavefront6targetE0EEEvT1_: ; @_ZN7rocprim17ROCPRIM_400000_NS6detail17trampoline_kernelINS0_14default_configENS1_25partition_config_selectorILNS1_17partition_subalgoE8EsNS0_10empty_typeEbEEZZNS1_14partition_implILS5_8ELb0ES3_jPKsPS6_PKS6_NS0_5tupleIJPsS6_EEENSE_IJSB_SB_EEENS0_18inequality_wrapperIN6hipcub16HIPCUB_304000_NS8EqualityEEEPlJS6_EEE10hipError_tPvRmT3_T4_T5_T6_T7_T9_mT8_P12ihipStream_tbDpT10_ENKUlT_T0_E_clISt17integral_constantIbLb1EES16_IbLb0EEEEDaS12_S13_EUlS12_E_NS1_11comp_targetILNS1_3genE10ELNS1_11target_archE1200ELNS1_3gpuE4ELNS1_3repE0EEENS1_30default_config_static_selectorELNS0_4arch9wavefront6targetE0EEEvT1_
; %bb.0:
	.section	.rodata,"a",@progbits
	.p2align	6, 0x0
	.amdhsa_kernel _ZN7rocprim17ROCPRIM_400000_NS6detail17trampoline_kernelINS0_14default_configENS1_25partition_config_selectorILNS1_17partition_subalgoE8EsNS0_10empty_typeEbEEZZNS1_14partition_implILS5_8ELb0ES3_jPKsPS6_PKS6_NS0_5tupleIJPsS6_EEENSE_IJSB_SB_EEENS0_18inequality_wrapperIN6hipcub16HIPCUB_304000_NS8EqualityEEEPlJS6_EEE10hipError_tPvRmT3_T4_T5_T6_T7_T9_mT8_P12ihipStream_tbDpT10_ENKUlT_T0_E_clISt17integral_constantIbLb1EES16_IbLb0EEEEDaS12_S13_EUlS12_E_NS1_11comp_targetILNS1_3genE10ELNS1_11target_archE1200ELNS1_3gpuE4ELNS1_3repE0EEENS1_30default_config_static_selectorELNS0_4arch9wavefront6targetE0EEEvT1_
		.amdhsa_group_segment_fixed_size 0
		.amdhsa_private_segment_fixed_size 0
		.amdhsa_kernarg_size 112
		.amdhsa_user_sgpr_count 2
		.amdhsa_user_sgpr_dispatch_ptr 0
		.amdhsa_user_sgpr_queue_ptr 0
		.amdhsa_user_sgpr_kernarg_segment_ptr 1
		.amdhsa_user_sgpr_dispatch_id 0
		.amdhsa_user_sgpr_kernarg_preload_length 0
		.amdhsa_user_sgpr_kernarg_preload_offset 0
		.amdhsa_user_sgpr_private_segment_size 0
		.amdhsa_wavefront_size32 1
		.amdhsa_uses_dynamic_stack 0
		.amdhsa_enable_private_segment 0
		.amdhsa_system_sgpr_workgroup_id_x 1
		.amdhsa_system_sgpr_workgroup_id_y 0
		.amdhsa_system_sgpr_workgroup_id_z 0
		.amdhsa_system_sgpr_workgroup_info 0
		.amdhsa_system_vgpr_workitem_id 0
		.amdhsa_next_free_vgpr 1
		.amdhsa_next_free_sgpr 1
		.amdhsa_named_barrier_count 0
		.amdhsa_reserve_vcc 0
		.amdhsa_float_round_mode_32 0
		.amdhsa_float_round_mode_16_64 0
		.amdhsa_float_denorm_mode_32 3
		.amdhsa_float_denorm_mode_16_64 3
		.amdhsa_fp16_overflow 0
		.amdhsa_memory_ordered 1
		.amdhsa_forward_progress 1
		.amdhsa_inst_pref_size 0
		.amdhsa_round_robin_scheduling 0
		.amdhsa_exception_fp_ieee_invalid_op 0
		.amdhsa_exception_fp_denorm_src 0
		.amdhsa_exception_fp_ieee_div_zero 0
		.amdhsa_exception_fp_ieee_overflow 0
		.amdhsa_exception_fp_ieee_underflow 0
		.amdhsa_exception_fp_ieee_inexact 0
		.amdhsa_exception_int_div_zero 0
	.end_amdhsa_kernel
	.section	.text._ZN7rocprim17ROCPRIM_400000_NS6detail17trampoline_kernelINS0_14default_configENS1_25partition_config_selectorILNS1_17partition_subalgoE8EsNS0_10empty_typeEbEEZZNS1_14partition_implILS5_8ELb0ES3_jPKsPS6_PKS6_NS0_5tupleIJPsS6_EEENSE_IJSB_SB_EEENS0_18inequality_wrapperIN6hipcub16HIPCUB_304000_NS8EqualityEEEPlJS6_EEE10hipError_tPvRmT3_T4_T5_T6_T7_T9_mT8_P12ihipStream_tbDpT10_ENKUlT_T0_E_clISt17integral_constantIbLb1EES16_IbLb0EEEEDaS12_S13_EUlS12_E_NS1_11comp_targetILNS1_3genE10ELNS1_11target_archE1200ELNS1_3gpuE4ELNS1_3repE0EEENS1_30default_config_static_selectorELNS0_4arch9wavefront6targetE0EEEvT1_,"axG",@progbits,_ZN7rocprim17ROCPRIM_400000_NS6detail17trampoline_kernelINS0_14default_configENS1_25partition_config_selectorILNS1_17partition_subalgoE8EsNS0_10empty_typeEbEEZZNS1_14partition_implILS5_8ELb0ES3_jPKsPS6_PKS6_NS0_5tupleIJPsS6_EEENSE_IJSB_SB_EEENS0_18inequality_wrapperIN6hipcub16HIPCUB_304000_NS8EqualityEEEPlJS6_EEE10hipError_tPvRmT3_T4_T5_T6_T7_T9_mT8_P12ihipStream_tbDpT10_ENKUlT_T0_E_clISt17integral_constantIbLb1EES16_IbLb0EEEEDaS12_S13_EUlS12_E_NS1_11comp_targetILNS1_3genE10ELNS1_11target_archE1200ELNS1_3gpuE4ELNS1_3repE0EEENS1_30default_config_static_selectorELNS0_4arch9wavefront6targetE0EEEvT1_,comdat
.Lfunc_end569:
	.size	_ZN7rocprim17ROCPRIM_400000_NS6detail17trampoline_kernelINS0_14default_configENS1_25partition_config_selectorILNS1_17partition_subalgoE8EsNS0_10empty_typeEbEEZZNS1_14partition_implILS5_8ELb0ES3_jPKsPS6_PKS6_NS0_5tupleIJPsS6_EEENSE_IJSB_SB_EEENS0_18inequality_wrapperIN6hipcub16HIPCUB_304000_NS8EqualityEEEPlJS6_EEE10hipError_tPvRmT3_T4_T5_T6_T7_T9_mT8_P12ihipStream_tbDpT10_ENKUlT_T0_E_clISt17integral_constantIbLb1EES16_IbLb0EEEEDaS12_S13_EUlS12_E_NS1_11comp_targetILNS1_3genE10ELNS1_11target_archE1200ELNS1_3gpuE4ELNS1_3repE0EEENS1_30default_config_static_selectorELNS0_4arch9wavefront6targetE0EEEvT1_, .Lfunc_end569-_ZN7rocprim17ROCPRIM_400000_NS6detail17trampoline_kernelINS0_14default_configENS1_25partition_config_selectorILNS1_17partition_subalgoE8EsNS0_10empty_typeEbEEZZNS1_14partition_implILS5_8ELb0ES3_jPKsPS6_PKS6_NS0_5tupleIJPsS6_EEENSE_IJSB_SB_EEENS0_18inequality_wrapperIN6hipcub16HIPCUB_304000_NS8EqualityEEEPlJS6_EEE10hipError_tPvRmT3_T4_T5_T6_T7_T9_mT8_P12ihipStream_tbDpT10_ENKUlT_T0_E_clISt17integral_constantIbLb1EES16_IbLb0EEEEDaS12_S13_EUlS12_E_NS1_11comp_targetILNS1_3genE10ELNS1_11target_archE1200ELNS1_3gpuE4ELNS1_3repE0EEENS1_30default_config_static_selectorELNS0_4arch9wavefront6targetE0EEEvT1_
                                        ; -- End function
	.set _ZN7rocprim17ROCPRIM_400000_NS6detail17trampoline_kernelINS0_14default_configENS1_25partition_config_selectorILNS1_17partition_subalgoE8EsNS0_10empty_typeEbEEZZNS1_14partition_implILS5_8ELb0ES3_jPKsPS6_PKS6_NS0_5tupleIJPsS6_EEENSE_IJSB_SB_EEENS0_18inequality_wrapperIN6hipcub16HIPCUB_304000_NS8EqualityEEEPlJS6_EEE10hipError_tPvRmT3_T4_T5_T6_T7_T9_mT8_P12ihipStream_tbDpT10_ENKUlT_T0_E_clISt17integral_constantIbLb1EES16_IbLb0EEEEDaS12_S13_EUlS12_E_NS1_11comp_targetILNS1_3genE10ELNS1_11target_archE1200ELNS1_3gpuE4ELNS1_3repE0EEENS1_30default_config_static_selectorELNS0_4arch9wavefront6targetE0EEEvT1_.num_vgpr, 0
	.set _ZN7rocprim17ROCPRIM_400000_NS6detail17trampoline_kernelINS0_14default_configENS1_25partition_config_selectorILNS1_17partition_subalgoE8EsNS0_10empty_typeEbEEZZNS1_14partition_implILS5_8ELb0ES3_jPKsPS6_PKS6_NS0_5tupleIJPsS6_EEENSE_IJSB_SB_EEENS0_18inequality_wrapperIN6hipcub16HIPCUB_304000_NS8EqualityEEEPlJS6_EEE10hipError_tPvRmT3_T4_T5_T6_T7_T9_mT8_P12ihipStream_tbDpT10_ENKUlT_T0_E_clISt17integral_constantIbLb1EES16_IbLb0EEEEDaS12_S13_EUlS12_E_NS1_11comp_targetILNS1_3genE10ELNS1_11target_archE1200ELNS1_3gpuE4ELNS1_3repE0EEENS1_30default_config_static_selectorELNS0_4arch9wavefront6targetE0EEEvT1_.num_agpr, 0
	.set _ZN7rocprim17ROCPRIM_400000_NS6detail17trampoline_kernelINS0_14default_configENS1_25partition_config_selectorILNS1_17partition_subalgoE8EsNS0_10empty_typeEbEEZZNS1_14partition_implILS5_8ELb0ES3_jPKsPS6_PKS6_NS0_5tupleIJPsS6_EEENSE_IJSB_SB_EEENS0_18inequality_wrapperIN6hipcub16HIPCUB_304000_NS8EqualityEEEPlJS6_EEE10hipError_tPvRmT3_T4_T5_T6_T7_T9_mT8_P12ihipStream_tbDpT10_ENKUlT_T0_E_clISt17integral_constantIbLb1EES16_IbLb0EEEEDaS12_S13_EUlS12_E_NS1_11comp_targetILNS1_3genE10ELNS1_11target_archE1200ELNS1_3gpuE4ELNS1_3repE0EEENS1_30default_config_static_selectorELNS0_4arch9wavefront6targetE0EEEvT1_.numbered_sgpr, 0
	.set _ZN7rocprim17ROCPRIM_400000_NS6detail17trampoline_kernelINS0_14default_configENS1_25partition_config_selectorILNS1_17partition_subalgoE8EsNS0_10empty_typeEbEEZZNS1_14partition_implILS5_8ELb0ES3_jPKsPS6_PKS6_NS0_5tupleIJPsS6_EEENSE_IJSB_SB_EEENS0_18inequality_wrapperIN6hipcub16HIPCUB_304000_NS8EqualityEEEPlJS6_EEE10hipError_tPvRmT3_T4_T5_T6_T7_T9_mT8_P12ihipStream_tbDpT10_ENKUlT_T0_E_clISt17integral_constantIbLb1EES16_IbLb0EEEEDaS12_S13_EUlS12_E_NS1_11comp_targetILNS1_3genE10ELNS1_11target_archE1200ELNS1_3gpuE4ELNS1_3repE0EEENS1_30default_config_static_selectorELNS0_4arch9wavefront6targetE0EEEvT1_.num_named_barrier, 0
	.set _ZN7rocprim17ROCPRIM_400000_NS6detail17trampoline_kernelINS0_14default_configENS1_25partition_config_selectorILNS1_17partition_subalgoE8EsNS0_10empty_typeEbEEZZNS1_14partition_implILS5_8ELb0ES3_jPKsPS6_PKS6_NS0_5tupleIJPsS6_EEENSE_IJSB_SB_EEENS0_18inequality_wrapperIN6hipcub16HIPCUB_304000_NS8EqualityEEEPlJS6_EEE10hipError_tPvRmT3_T4_T5_T6_T7_T9_mT8_P12ihipStream_tbDpT10_ENKUlT_T0_E_clISt17integral_constantIbLb1EES16_IbLb0EEEEDaS12_S13_EUlS12_E_NS1_11comp_targetILNS1_3genE10ELNS1_11target_archE1200ELNS1_3gpuE4ELNS1_3repE0EEENS1_30default_config_static_selectorELNS0_4arch9wavefront6targetE0EEEvT1_.private_seg_size, 0
	.set _ZN7rocprim17ROCPRIM_400000_NS6detail17trampoline_kernelINS0_14default_configENS1_25partition_config_selectorILNS1_17partition_subalgoE8EsNS0_10empty_typeEbEEZZNS1_14partition_implILS5_8ELb0ES3_jPKsPS6_PKS6_NS0_5tupleIJPsS6_EEENSE_IJSB_SB_EEENS0_18inequality_wrapperIN6hipcub16HIPCUB_304000_NS8EqualityEEEPlJS6_EEE10hipError_tPvRmT3_T4_T5_T6_T7_T9_mT8_P12ihipStream_tbDpT10_ENKUlT_T0_E_clISt17integral_constantIbLb1EES16_IbLb0EEEEDaS12_S13_EUlS12_E_NS1_11comp_targetILNS1_3genE10ELNS1_11target_archE1200ELNS1_3gpuE4ELNS1_3repE0EEENS1_30default_config_static_selectorELNS0_4arch9wavefront6targetE0EEEvT1_.uses_vcc, 0
	.set _ZN7rocprim17ROCPRIM_400000_NS6detail17trampoline_kernelINS0_14default_configENS1_25partition_config_selectorILNS1_17partition_subalgoE8EsNS0_10empty_typeEbEEZZNS1_14partition_implILS5_8ELb0ES3_jPKsPS6_PKS6_NS0_5tupleIJPsS6_EEENSE_IJSB_SB_EEENS0_18inequality_wrapperIN6hipcub16HIPCUB_304000_NS8EqualityEEEPlJS6_EEE10hipError_tPvRmT3_T4_T5_T6_T7_T9_mT8_P12ihipStream_tbDpT10_ENKUlT_T0_E_clISt17integral_constantIbLb1EES16_IbLb0EEEEDaS12_S13_EUlS12_E_NS1_11comp_targetILNS1_3genE10ELNS1_11target_archE1200ELNS1_3gpuE4ELNS1_3repE0EEENS1_30default_config_static_selectorELNS0_4arch9wavefront6targetE0EEEvT1_.uses_flat_scratch, 0
	.set _ZN7rocprim17ROCPRIM_400000_NS6detail17trampoline_kernelINS0_14default_configENS1_25partition_config_selectorILNS1_17partition_subalgoE8EsNS0_10empty_typeEbEEZZNS1_14partition_implILS5_8ELb0ES3_jPKsPS6_PKS6_NS0_5tupleIJPsS6_EEENSE_IJSB_SB_EEENS0_18inequality_wrapperIN6hipcub16HIPCUB_304000_NS8EqualityEEEPlJS6_EEE10hipError_tPvRmT3_T4_T5_T6_T7_T9_mT8_P12ihipStream_tbDpT10_ENKUlT_T0_E_clISt17integral_constantIbLb1EES16_IbLb0EEEEDaS12_S13_EUlS12_E_NS1_11comp_targetILNS1_3genE10ELNS1_11target_archE1200ELNS1_3gpuE4ELNS1_3repE0EEENS1_30default_config_static_selectorELNS0_4arch9wavefront6targetE0EEEvT1_.has_dyn_sized_stack, 0
	.set _ZN7rocprim17ROCPRIM_400000_NS6detail17trampoline_kernelINS0_14default_configENS1_25partition_config_selectorILNS1_17partition_subalgoE8EsNS0_10empty_typeEbEEZZNS1_14partition_implILS5_8ELb0ES3_jPKsPS6_PKS6_NS0_5tupleIJPsS6_EEENSE_IJSB_SB_EEENS0_18inequality_wrapperIN6hipcub16HIPCUB_304000_NS8EqualityEEEPlJS6_EEE10hipError_tPvRmT3_T4_T5_T6_T7_T9_mT8_P12ihipStream_tbDpT10_ENKUlT_T0_E_clISt17integral_constantIbLb1EES16_IbLb0EEEEDaS12_S13_EUlS12_E_NS1_11comp_targetILNS1_3genE10ELNS1_11target_archE1200ELNS1_3gpuE4ELNS1_3repE0EEENS1_30default_config_static_selectorELNS0_4arch9wavefront6targetE0EEEvT1_.has_recursion, 0
	.set _ZN7rocprim17ROCPRIM_400000_NS6detail17trampoline_kernelINS0_14default_configENS1_25partition_config_selectorILNS1_17partition_subalgoE8EsNS0_10empty_typeEbEEZZNS1_14partition_implILS5_8ELb0ES3_jPKsPS6_PKS6_NS0_5tupleIJPsS6_EEENSE_IJSB_SB_EEENS0_18inequality_wrapperIN6hipcub16HIPCUB_304000_NS8EqualityEEEPlJS6_EEE10hipError_tPvRmT3_T4_T5_T6_T7_T9_mT8_P12ihipStream_tbDpT10_ENKUlT_T0_E_clISt17integral_constantIbLb1EES16_IbLb0EEEEDaS12_S13_EUlS12_E_NS1_11comp_targetILNS1_3genE10ELNS1_11target_archE1200ELNS1_3gpuE4ELNS1_3repE0EEENS1_30default_config_static_selectorELNS0_4arch9wavefront6targetE0EEEvT1_.has_indirect_call, 0
	.section	.AMDGPU.csdata,"",@progbits
; Kernel info:
; codeLenInByte = 0
; TotalNumSgprs: 0
; NumVgprs: 0
; ScratchSize: 0
; MemoryBound: 0
; FloatMode: 240
; IeeeMode: 1
; LDSByteSize: 0 bytes/workgroup (compile time only)
; SGPRBlocks: 0
; VGPRBlocks: 0
; NumSGPRsForWavesPerEU: 1
; NumVGPRsForWavesPerEU: 1
; NamedBarCnt: 0
; Occupancy: 16
; WaveLimiterHint : 0
; COMPUTE_PGM_RSRC2:SCRATCH_EN: 0
; COMPUTE_PGM_RSRC2:USER_SGPR: 2
; COMPUTE_PGM_RSRC2:TRAP_HANDLER: 0
; COMPUTE_PGM_RSRC2:TGID_X_EN: 1
; COMPUTE_PGM_RSRC2:TGID_Y_EN: 0
; COMPUTE_PGM_RSRC2:TGID_Z_EN: 0
; COMPUTE_PGM_RSRC2:TIDIG_COMP_CNT: 0
	.section	.text._ZN7rocprim17ROCPRIM_400000_NS6detail17trampoline_kernelINS0_14default_configENS1_25partition_config_selectorILNS1_17partition_subalgoE8EsNS0_10empty_typeEbEEZZNS1_14partition_implILS5_8ELb0ES3_jPKsPS6_PKS6_NS0_5tupleIJPsS6_EEENSE_IJSB_SB_EEENS0_18inequality_wrapperIN6hipcub16HIPCUB_304000_NS8EqualityEEEPlJS6_EEE10hipError_tPvRmT3_T4_T5_T6_T7_T9_mT8_P12ihipStream_tbDpT10_ENKUlT_T0_E_clISt17integral_constantIbLb1EES16_IbLb0EEEEDaS12_S13_EUlS12_E_NS1_11comp_targetILNS1_3genE9ELNS1_11target_archE1100ELNS1_3gpuE3ELNS1_3repE0EEENS1_30default_config_static_selectorELNS0_4arch9wavefront6targetE0EEEvT1_,"axG",@progbits,_ZN7rocprim17ROCPRIM_400000_NS6detail17trampoline_kernelINS0_14default_configENS1_25partition_config_selectorILNS1_17partition_subalgoE8EsNS0_10empty_typeEbEEZZNS1_14partition_implILS5_8ELb0ES3_jPKsPS6_PKS6_NS0_5tupleIJPsS6_EEENSE_IJSB_SB_EEENS0_18inequality_wrapperIN6hipcub16HIPCUB_304000_NS8EqualityEEEPlJS6_EEE10hipError_tPvRmT3_T4_T5_T6_T7_T9_mT8_P12ihipStream_tbDpT10_ENKUlT_T0_E_clISt17integral_constantIbLb1EES16_IbLb0EEEEDaS12_S13_EUlS12_E_NS1_11comp_targetILNS1_3genE9ELNS1_11target_archE1100ELNS1_3gpuE3ELNS1_3repE0EEENS1_30default_config_static_selectorELNS0_4arch9wavefront6targetE0EEEvT1_,comdat
	.protected	_ZN7rocprim17ROCPRIM_400000_NS6detail17trampoline_kernelINS0_14default_configENS1_25partition_config_selectorILNS1_17partition_subalgoE8EsNS0_10empty_typeEbEEZZNS1_14partition_implILS5_8ELb0ES3_jPKsPS6_PKS6_NS0_5tupleIJPsS6_EEENSE_IJSB_SB_EEENS0_18inequality_wrapperIN6hipcub16HIPCUB_304000_NS8EqualityEEEPlJS6_EEE10hipError_tPvRmT3_T4_T5_T6_T7_T9_mT8_P12ihipStream_tbDpT10_ENKUlT_T0_E_clISt17integral_constantIbLb1EES16_IbLb0EEEEDaS12_S13_EUlS12_E_NS1_11comp_targetILNS1_3genE9ELNS1_11target_archE1100ELNS1_3gpuE3ELNS1_3repE0EEENS1_30default_config_static_selectorELNS0_4arch9wavefront6targetE0EEEvT1_ ; -- Begin function _ZN7rocprim17ROCPRIM_400000_NS6detail17trampoline_kernelINS0_14default_configENS1_25partition_config_selectorILNS1_17partition_subalgoE8EsNS0_10empty_typeEbEEZZNS1_14partition_implILS5_8ELb0ES3_jPKsPS6_PKS6_NS0_5tupleIJPsS6_EEENSE_IJSB_SB_EEENS0_18inequality_wrapperIN6hipcub16HIPCUB_304000_NS8EqualityEEEPlJS6_EEE10hipError_tPvRmT3_T4_T5_T6_T7_T9_mT8_P12ihipStream_tbDpT10_ENKUlT_T0_E_clISt17integral_constantIbLb1EES16_IbLb0EEEEDaS12_S13_EUlS12_E_NS1_11comp_targetILNS1_3genE9ELNS1_11target_archE1100ELNS1_3gpuE3ELNS1_3repE0EEENS1_30default_config_static_selectorELNS0_4arch9wavefront6targetE0EEEvT1_
	.globl	_ZN7rocprim17ROCPRIM_400000_NS6detail17trampoline_kernelINS0_14default_configENS1_25partition_config_selectorILNS1_17partition_subalgoE8EsNS0_10empty_typeEbEEZZNS1_14partition_implILS5_8ELb0ES3_jPKsPS6_PKS6_NS0_5tupleIJPsS6_EEENSE_IJSB_SB_EEENS0_18inequality_wrapperIN6hipcub16HIPCUB_304000_NS8EqualityEEEPlJS6_EEE10hipError_tPvRmT3_T4_T5_T6_T7_T9_mT8_P12ihipStream_tbDpT10_ENKUlT_T0_E_clISt17integral_constantIbLb1EES16_IbLb0EEEEDaS12_S13_EUlS12_E_NS1_11comp_targetILNS1_3genE9ELNS1_11target_archE1100ELNS1_3gpuE3ELNS1_3repE0EEENS1_30default_config_static_selectorELNS0_4arch9wavefront6targetE0EEEvT1_
	.p2align	8
	.type	_ZN7rocprim17ROCPRIM_400000_NS6detail17trampoline_kernelINS0_14default_configENS1_25partition_config_selectorILNS1_17partition_subalgoE8EsNS0_10empty_typeEbEEZZNS1_14partition_implILS5_8ELb0ES3_jPKsPS6_PKS6_NS0_5tupleIJPsS6_EEENSE_IJSB_SB_EEENS0_18inequality_wrapperIN6hipcub16HIPCUB_304000_NS8EqualityEEEPlJS6_EEE10hipError_tPvRmT3_T4_T5_T6_T7_T9_mT8_P12ihipStream_tbDpT10_ENKUlT_T0_E_clISt17integral_constantIbLb1EES16_IbLb0EEEEDaS12_S13_EUlS12_E_NS1_11comp_targetILNS1_3genE9ELNS1_11target_archE1100ELNS1_3gpuE3ELNS1_3repE0EEENS1_30default_config_static_selectorELNS0_4arch9wavefront6targetE0EEEvT1_,@function
_ZN7rocprim17ROCPRIM_400000_NS6detail17trampoline_kernelINS0_14default_configENS1_25partition_config_selectorILNS1_17partition_subalgoE8EsNS0_10empty_typeEbEEZZNS1_14partition_implILS5_8ELb0ES3_jPKsPS6_PKS6_NS0_5tupleIJPsS6_EEENSE_IJSB_SB_EEENS0_18inequality_wrapperIN6hipcub16HIPCUB_304000_NS8EqualityEEEPlJS6_EEE10hipError_tPvRmT3_T4_T5_T6_T7_T9_mT8_P12ihipStream_tbDpT10_ENKUlT_T0_E_clISt17integral_constantIbLb1EES16_IbLb0EEEEDaS12_S13_EUlS12_E_NS1_11comp_targetILNS1_3genE9ELNS1_11target_archE1100ELNS1_3gpuE3ELNS1_3repE0EEENS1_30default_config_static_selectorELNS0_4arch9wavefront6targetE0EEEvT1_: ; @_ZN7rocprim17ROCPRIM_400000_NS6detail17trampoline_kernelINS0_14default_configENS1_25partition_config_selectorILNS1_17partition_subalgoE8EsNS0_10empty_typeEbEEZZNS1_14partition_implILS5_8ELb0ES3_jPKsPS6_PKS6_NS0_5tupleIJPsS6_EEENSE_IJSB_SB_EEENS0_18inequality_wrapperIN6hipcub16HIPCUB_304000_NS8EqualityEEEPlJS6_EEE10hipError_tPvRmT3_T4_T5_T6_T7_T9_mT8_P12ihipStream_tbDpT10_ENKUlT_T0_E_clISt17integral_constantIbLb1EES16_IbLb0EEEEDaS12_S13_EUlS12_E_NS1_11comp_targetILNS1_3genE9ELNS1_11target_archE1100ELNS1_3gpuE3ELNS1_3repE0EEENS1_30default_config_static_selectorELNS0_4arch9wavefront6targetE0EEEvT1_
; %bb.0:
	.section	.rodata,"a",@progbits
	.p2align	6, 0x0
	.amdhsa_kernel _ZN7rocprim17ROCPRIM_400000_NS6detail17trampoline_kernelINS0_14default_configENS1_25partition_config_selectorILNS1_17partition_subalgoE8EsNS0_10empty_typeEbEEZZNS1_14partition_implILS5_8ELb0ES3_jPKsPS6_PKS6_NS0_5tupleIJPsS6_EEENSE_IJSB_SB_EEENS0_18inequality_wrapperIN6hipcub16HIPCUB_304000_NS8EqualityEEEPlJS6_EEE10hipError_tPvRmT3_T4_T5_T6_T7_T9_mT8_P12ihipStream_tbDpT10_ENKUlT_T0_E_clISt17integral_constantIbLb1EES16_IbLb0EEEEDaS12_S13_EUlS12_E_NS1_11comp_targetILNS1_3genE9ELNS1_11target_archE1100ELNS1_3gpuE3ELNS1_3repE0EEENS1_30default_config_static_selectorELNS0_4arch9wavefront6targetE0EEEvT1_
		.amdhsa_group_segment_fixed_size 0
		.amdhsa_private_segment_fixed_size 0
		.amdhsa_kernarg_size 112
		.amdhsa_user_sgpr_count 2
		.amdhsa_user_sgpr_dispatch_ptr 0
		.amdhsa_user_sgpr_queue_ptr 0
		.amdhsa_user_sgpr_kernarg_segment_ptr 1
		.amdhsa_user_sgpr_dispatch_id 0
		.amdhsa_user_sgpr_kernarg_preload_length 0
		.amdhsa_user_sgpr_kernarg_preload_offset 0
		.amdhsa_user_sgpr_private_segment_size 0
		.amdhsa_wavefront_size32 1
		.amdhsa_uses_dynamic_stack 0
		.amdhsa_enable_private_segment 0
		.amdhsa_system_sgpr_workgroup_id_x 1
		.amdhsa_system_sgpr_workgroup_id_y 0
		.amdhsa_system_sgpr_workgroup_id_z 0
		.amdhsa_system_sgpr_workgroup_info 0
		.amdhsa_system_vgpr_workitem_id 0
		.amdhsa_next_free_vgpr 1
		.amdhsa_next_free_sgpr 1
		.amdhsa_named_barrier_count 0
		.amdhsa_reserve_vcc 0
		.amdhsa_float_round_mode_32 0
		.amdhsa_float_round_mode_16_64 0
		.amdhsa_float_denorm_mode_32 3
		.amdhsa_float_denorm_mode_16_64 3
		.amdhsa_fp16_overflow 0
		.amdhsa_memory_ordered 1
		.amdhsa_forward_progress 1
		.amdhsa_inst_pref_size 0
		.amdhsa_round_robin_scheduling 0
		.amdhsa_exception_fp_ieee_invalid_op 0
		.amdhsa_exception_fp_denorm_src 0
		.amdhsa_exception_fp_ieee_div_zero 0
		.amdhsa_exception_fp_ieee_overflow 0
		.amdhsa_exception_fp_ieee_underflow 0
		.amdhsa_exception_fp_ieee_inexact 0
		.amdhsa_exception_int_div_zero 0
	.end_amdhsa_kernel
	.section	.text._ZN7rocprim17ROCPRIM_400000_NS6detail17trampoline_kernelINS0_14default_configENS1_25partition_config_selectorILNS1_17partition_subalgoE8EsNS0_10empty_typeEbEEZZNS1_14partition_implILS5_8ELb0ES3_jPKsPS6_PKS6_NS0_5tupleIJPsS6_EEENSE_IJSB_SB_EEENS0_18inequality_wrapperIN6hipcub16HIPCUB_304000_NS8EqualityEEEPlJS6_EEE10hipError_tPvRmT3_T4_T5_T6_T7_T9_mT8_P12ihipStream_tbDpT10_ENKUlT_T0_E_clISt17integral_constantIbLb1EES16_IbLb0EEEEDaS12_S13_EUlS12_E_NS1_11comp_targetILNS1_3genE9ELNS1_11target_archE1100ELNS1_3gpuE3ELNS1_3repE0EEENS1_30default_config_static_selectorELNS0_4arch9wavefront6targetE0EEEvT1_,"axG",@progbits,_ZN7rocprim17ROCPRIM_400000_NS6detail17trampoline_kernelINS0_14default_configENS1_25partition_config_selectorILNS1_17partition_subalgoE8EsNS0_10empty_typeEbEEZZNS1_14partition_implILS5_8ELb0ES3_jPKsPS6_PKS6_NS0_5tupleIJPsS6_EEENSE_IJSB_SB_EEENS0_18inequality_wrapperIN6hipcub16HIPCUB_304000_NS8EqualityEEEPlJS6_EEE10hipError_tPvRmT3_T4_T5_T6_T7_T9_mT8_P12ihipStream_tbDpT10_ENKUlT_T0_E_clISt17integral_constantIbLb1EES16_IbLb0EEEEDaS12_S13_EUlS12_E_NS1_11comp_targetILNS1_3genE9ELNS1_11target_archE1100ELNS1_3gpuE3ELNS1_3repE0EEENS1_30default_config_static_selectorELNS0_4arch9wavefront6targetE0EEEvT1_,comdat
.Lfunc_end570:
	.size	_ZN7rocprim17ROCPRIM_400000_NS6detail17trampoline_kernelINS0_14default_configENS1_25partition_config_selectorILNS1_17partition_subalgoE8EsNS0_10empty_typeEbEEZZNS1_14partition_implILS5_8ELb0ES3_jPKsPS6_PKS6_NS0_5tupleIJPsS6_EEENSE_IJSB_SB_EEENS0_18inequality_wrapperIN6hipcub16HIPCUB_304000_NS8EqualityEEEPlJS6_EEE10hipError_tPvRmT3_T4_T5_T6_T7_T9_mT8_P12ihipStream_tbDpT10_ENKUlT_T0_E_clISt17integral_constantIbLb1EES16_IbLb0EEEEDaS12_S13_EUlS12_E_NS1_11comp_targetILNS1_3genE9ELNS1_11target_archE1100ELNS1_3gpuE3ELNS1_3repE0EEENS1_30default_config_static_selectorELNS0_4arch9wavefront6targetE0EEEvT1_, .Lfunc_end570-_ZN7rocprim17ROCPRIM_400000_NS6detail17trampoline_kernelINS0_14default_configENS1_25partition_config_selectorILNS1_17partition_subalgoE8EsNS0_10empty_typeEbEEZZNS1_14partition_implILS5_8ELb0ES3_jPKsPS6_PKS6_NS0_5tupleIJPsS6_EEENSE_IJSB_SB_EEENS0_18inequality_wrapperIN6hipcub16HIPCUB_304000_NS8EqualityEEEPlJS6_EEE10hipError_tPvRmT3_T4_T5_T6_T7_T9_mT8_P12ihipStream_tbDpT10_ENKUlT_T0_E_clISt17integral_constantIbLb1EES16_IbLb0EEEEDaS12_S13_EUlS12_E_NS1_11comp_targetILNS1_3genE9ELNS1_11target_archE1100ELNS1_3gpuE3ELNS1_3repE0EEENS1_30default_config_static_selectorELNS0_4arch9wavefront6targetE0EEEvT1_
                                        ; -- End function
	.set _ZN7rocprim17ROCPRIM_400000_NS6detail17trampoline_kernelINS0_14default_configENS1_25partition_config_selectorILNS1_17partition_subalgoE8EsNS0_10empty_typeEbEEZZNS1_14partition_implILS5_8ELb0ES3_jPKsPS6_PKS6_NS0_5tupleIJPsS6_EEENSE_IJSB_SB_EEENS0_18inequality_wrapperIN6hipcub16HIPCUB_304000_NS8EqualityEEEPlJS6_EEE10hipError_tPvRmT3_T4_T5_T6_T7_T9_mT8_P12ihipStream_tbDpT10_ENKUlT_T0_E_clISt17integral_constantIbLb1EES16_IbLb0EEEEDaS12_S13_EUlS12_E_NS1_11comp_targetILNS1_3genE9ELNS1_11target_archE1100ELNS1_3gpuE3ELNS1_3repE0EEENS1_30default_config_static_selectorELNS0_4arch9wavefront6targetE0EEEvT1_.num_vgpr, 0
	.set _ZN7rocprim17ROCPRIM_400000_NS6detail17trampoline_kernelINS0_14default_configENS1_25partition_config_selectorILNS1_17partition_subalgoE8EsNS0_10empty_typeEbEEZZNS1_14partition_implILS5_8ELb0ES3_jPKsPS6_PKS6_NS0_5tupleIJPsS6_EEENSE_IJSB_SB_EEENS0_18inequality_wrapperIN6hipcub16HIPCUB_304000_NS8EqualityEEEPlJS6_EEE10hipError_tPvRmT3_T4_T5_T6_T7_T9_mT8_P12ihipStream_tbDpT10_ENKUlT_T0_E_clISt17integral_constantIbLb1EES16_IbLb0EEEEDaS12_S13_EUlS12_E_NS1_11comp_targetILNS1_3genE9ELNS1_11target_archE1100ELNS1_3gpuE3ELNS1_3repE0EEENS1_30default_config_static_selectorELNS0_4arch9wavefront6targetE0EEEvT1_.num_agpr, 0
	.set _ZN7rocprim17ROCPRIM_400000_NS6detail17trampoline_kernelINS0_14default_configENS1_25partition_config_selectorILNS1_17partition_subalgoE8EsNS0_10empty_typeEbEEZZNS1_14partition_implILS5_8ELb0ES3_jPKsPS6_PKS6_NS0_5tupleIJPsS6_EEENSE_IJSB_SB_EEENS0_18inequality_wrapperIN6hipcub16HIPCUB_304000_NS8EqualityEEEPlJS6_EEE10hipError_tPvRmT3_T4_T5_T6_T7_T9_mT8_P12ihipStream_tbDpT10_ENKUlT_T0_E_clISt17integral_constantIbLb1EES16_IbLb0EEEEDaS12_S13_EUlS12_E_NS1_11comp_targetILNS1_3genE9ELNS1_11target_archE1100ELNS1_3gpuE3ELNS1_3repE0EEENS1_30default_config_static_selectorELNS0_4arch9wavefront6targetE0EEEvT1_.numbered_sgpr, 0
	.set _ZN7rocprim17ROCPRIM_400000_NS6detail17trampoline_kernelINS0_14default_configENS1_25partition_config_selectorILNS1_17partition_subalgoE8EsNS0_10empty_typeEbEEZZNS1_14partition_implILS5_8ELb0ES3_jPKsPS6_PKS6_NS0_5tupleIJPsS6_EEENSE_IJSB_SB_EEENS0_18inequality_wrapperIN6hipcub16HIPCUB_304000_NS8EqualityEEEPlJS6_EEE10hipError_tPvRmT3_T4_T5_T6_T7_T9_mT8_P12ihipStream_tbDpT10_ENKUlT_T0_E_clISt17integral_constantIbLb1EES16_IbLb0EEEEDaS12_S13_EUlS12_E_NS1_11comp_targetILNS1_3genE9ELNS1_11target_archE1100ELNS1_3gpuE3ELNS1_3repE0EEENS1_30default_config_static_selectorELNS0_4arch9wavefront6targetE0EEEvT1_.num_named_barrier, 0
	.set _ZN7rocprim17ROCPRIM_400000_NS6detail17trampoline_kernelINS0_14default_configENS1_25partition_config_selectorILNS1_17partition_subalgoE8EsNS0_10empty_typeEbEEZZNS1_14partition_implILS5_8ELb0ES3_jPKsPS6_PKS6_NS0_5tupleIJPsS6_EEENSE_IJSB_SB_EEENS0_18inequality_wrapperIN6hipcub16HIPCUB_304000_NS8EqualityEEEPlJS6_EEE10hipError_tPvRmT3_T4_T5_T6_T7_T9_mT8_P12ihipStream_tbDpT10_ENKUlT_T0_E_clISt17integral_constantIbLb1EES16_IbLb0EEEEDaS12_S13_EUlS12_E_NS1_11comp_targetILNS1_3genE9ELNS1_11target_archE1100ELNS1_3gpuE3ELNS1_3repE0EEENS1_30default_config_static_selectorELNS0_4arch9wavefront6targetE0EEEvT1_.private_seg_size, 0
	.set _ZN7rocprim17ROCPRIM_400000_NS6detail17trampoline_kernelINS0_14default_configENS1_25partition_config_selectorILNS1_17partition_subalgoE8EsNS0_10empty_typeEbEEZZNS1_14partition_implILS5_8ELb0ES3_jPKsPS6_PKS6_NS0_5tupleIJPsS6_EEENSE_IJSB_SB_EEENS0_18inequality_wrapperIN6hipcub16HIPCUB_304000_NS8EqualityEEEPlJS6_EEE10hipError_tPvRmT3_T4_T5_T6_T7_T9_mT8_P12ihipStream_tbDpT10_ENKUlT_T0_E_clISt17integral_constantIbLb1EES16_IbLb0EEEEDaS12_S13_EUlS12_E_NS1_11comp_targetILNS1_3genE9ELNS1_11target_archE1100ELNS1_3gpuE3ELNS1_3repE0EEENS1_30default_config_static_selectorELNS0_4arch9wavefront6targetE0EEEvT1_.uses_vcc, 0
	.set _ZN7rocprim17ROCPRIM_400000_NS6detail17trampoline_kernelINS0_14default_configENS1_25partition_config_selectorILNS1_17partition_subalgoE8EsNS0_10empty_typeEbEEZZNS1_14partition_implILS5_8ELb0ES3_jPKsPS6_PKS6_NS0_5tupleIJPsS6_EEENSE_IJSB_SB_EEENS0_18inequality_wrapperIN6hipcub16HIPCUB_304000_NS8EqualityEEEPlJS6_EEE10hipError_tPvRmT3_T4_T5_T6_T7_T9_mT8_P12ihipStream_tbDpT10_ENKUlT_T0_E_clISt17integral_constantIbLb1EES16_IbLb0EEEEDaS12_S13_EUlS12_E_NS1_11comp_targetILNS1_3genE9ELNS1_11target_archE1100ELNS1_3gpuE3ELNS1_3repE0EEENS1_30default_config_static_selectorELNS0_4arch9wavefront6targetE0EEEvT1_.uses_flat_scratch, 0
	.set _ZN7rocprim17ROCPRIM_400000_NS6detail17trampoline_kernelINS0_14default_configENS1_25partition_config_selectorILNS1_17partition_subalgoE8EsNS0_10empty_typeEbEEZZNS1_14partition_implILS5_8ELb0ES3_jPKsPS6_PKS6_NS0_5tupleIJPsS6_EEENSE_IJSB_SB_EEENS0_18inequality_wrapperIN6hipcub16HIPCUB_304000_NS8EqualityEEEPlJS6_EEE10hipError_tPvRmT3_T4_T5_T6_T7_T9_mT8_P12ihipStream_tbDpT10_ENKUlT_T0_E_clISt17integral_constantIbLb1EES16_IbLb0EEEEDaS12_S13_EUlS12_E_NS1_11comp_targetILNS1_3genE9ELNS1_11target_archE1100ELNS1_3gpuE3ELNS1_3repE0EEENS1_30default_config_static_selectorELNS0_4arch9wavefront6targetE0EEEvT1_.has_dyn_sized_stack, 0
	.set _ZN7rocprim17ROCPRIM_400000_NS6detail17trampoline_kernelINS0_14default_configENS1_25partition_config_selectorILNS1_17partition_subalgoE8EsNS0_10empty_typeEbEEZZNS1_14partition_implILS5_8ELb0ES3_jPKsPS6_PKS6_NS0_5tupleIJPsS6_EEENSE_IJSB_SB_EEENS0_18inequality_wrapperIN6hipcub16HIPCUB_304000_NS8EqualityEEEPlJS6_EEE10hipError_tPvRmT3_T4_T5_T6_T7_T9_mT8_P12ihipStream_tbDpT10_ENKUlT_T0_E_clISt17integral_constantIbLb1EES16_IbLb0EEEEDaS12_S13_EUlS12_E_NS1_11comp_targetILNS1_3genE9ELNS1_11target_archE1100ELNS1_3gpuE3ELNS1_3repE0EEENS1_30default_config_static_selectorELNS0_4arch9wavefront6targetE0EEEvT1_.has_recursion, 0
	.set _ZN7rocprim17ROCPRIM_400000_NS6detail17trampoline_kernelINS0_14default_configENS1_25partition_config_selectorILNS1_17partition_subalgoE8EsNS0_10empty_typeEbEEZZNS1_14partition_implILS5_8ELb0ES3_jPKsPS6_PKS6_NS0_5tupleIJPsS6_EEENSE_IJSB_SB_EEENS0_18inequality_wrapperIN6hipcub16HIPCUB_304000_NS8EqualityEEEPlJS6_EEE10hipError_tPvRmT3_T4_T5_T6_T7_T9_mT8_P12ihipStream_tbDpT10_ENKUlT_T0_E_clISt17integral_constantIbLb1EES16_IbLb0EEEEDaS12_S13_EUlS12_E_NS1_11comp_targetILNS1_3genE9ELNS1_11target_archE1100ELNS1_3gpuE3ELNS1_3repE0EEENS1_30default_config_static_selectorELNS0_4arch9wavefront6targetE0EEEvT1_.has_indirect_call, 0
	.section	.AMDGPU.csdata,"",@progbits
; Kernel info:
; codeLenInByte = 0
; TotalNumSgprs: 0
; NumVgprs: 0
; ScratchSize: 0
; MemoryBound: 0
; FloatMode: 240
; IeeeMode: 1
; LDSByteSize: 0 bytes/workgroup (compile time only)
; SGPRBlocks: 0
; VGPRBlocks: 0
; NumSGPRsForWavesPerEU: 1
; NumVGPRsForWavesPerEU: 1
; NamedBarCnt: 0
; Occupancy: 16
; WaveLimiterHint : 0
; COMPUTE_PGM_RSRC2:SCRATCH_EN: 0
; COMPUTE_PGM_RSRC2:USER_SGPR: 2
; COMPUTE_PGM_RSRC2:TRAP_HANDLER: 0
; COMPUTE_PGM_RSRC2:TGID_X_EN: 1
; COMPUTE_PGM_RSRC2:TGID_Y_EN: 0
; COMPUTE_PGM_RSRC2:TGID_Z_EN: 0
; COMPUTE_PGM_RSRC2:TIDIG_COMP_CNT: 0
	.section	.text._ZN7rocprim17ROCPRIM_400000_NS6detail17trampoline_kernelINS0_14default_configENS1_25partition_config_selectorILNS1_17partition_subalgoE8EsNS0_10empty_typeEbEEZZNS1_14partition_implILS5_8ELb0ES3_jPKsPS6_PKS6_NS0_5tupleIJPsS6_EEENSE_IJSB_SB_EEENS0_18inequality_wrapperIN6hipcub16HIPCUB_304000_NS8EqualityEEEPlJS6_EEE10hipError_tPvRmT3_T4_T5_T6_T7_T9_mT8_P12ihipStream_tbDpT10_ENKUlT_T0_E_clISt17integral_constantIbLb1EES16_IbLb0EEEEDaS12_S13_EUlS12_E_NS1_11comp_targetILNS1_3genE8ELNS1_11target_archE1030ELNS1_3gpuE2ELNS1_3repE0EEENS1_30default_config_static_selectorELNS0_4arch9wavefront6targetE0EEEvT1_,"axG",@progbits,_ZN7rocprim17ROCPRIM_400000_NS6detail17trampoline_kernelINS0_14default_configENS1_25partition_config_selectorILNS1_17partition_subalgoE8EsNS0_10empty_typeEbEEZZNS1_14partition_implILS5_8ELb0ES3_jPKsPS6_PKS6_NS0_5tupleIJPsS6_EEENSE_IJSB_SB_EEENS0_18inequality_wrapperIN6hipcub16HIPCUB_304000_NS8EqualityEEEPlJS6_EEE10hipError_tPvRmT3_T4_T5_T6_T7_T9_mT8_P12ihipStream_tbDpT10_ENKUlT_T0_E_clISt17integral_constantIbLb1EES16_IbLb0EEEEDaS12_S13_EUlS12_E_NS1_11comp_targetILNS1_3genE8ELNS1_11target_archE1030ELNS1_3gpuE2ELNS1_3repE0EEENS1_30default_config_static_selectorELNS0_4arch9wavefront6targetE0EEEvT1_,comdat
	.protected	_ZN7rocprim17ROCPRIM_400000_NS6detail17trampoline_kernelINS0_14default_configENS1_25partition_config_selectorILNS1_17partition_subalgoE8EsNS0_10empty_typeEbEEZZNS1_14partition_implILS5_8ELb0ES3_jPKsPS6_PKS6_NS0_5tupleIJPsS6_EEENSE_IJSB_SB_EEENS0_18inequality_wrapperIN6hipcub16HIPCUB_304000_NS8EqualityEEEPlJS6_EEE10hipError_tPvRmT3_T4_T5_T6_T7_T9_mT8_P12ihipStream_tbDpT10_ENKUlT_T0_E_clISt17integral_constantIbLb1EES16_IbLb0EEEEDaS12_S13_EUlS12_E_NS1_11comp_targetILNS1_3genE8ELNS1_11target_archE1030ELNS1_3gpuE2ELNS1_3repE0EEENS1_30default_config_static_selectorELNS0_4arch9wavefront6targetE0EEEvT1_ ; -- Begin function _ZN7rocprim17ROCPRIM_400000_NS6detail17trampoline_kernelINS0_14default_configENS1_25partition_config_selectorILNS1_17partition_subalgoE8EsNS0_10empty_typeEbEEZZNS1_14partition_implILS5_8ELb0ES3_jPKsPS6_PKS6_NS0_5tupleIJPsS6_EEENSE_IJSB_SB_EEENS0_18inequality_wrapperIN6hipcub16HIPCUB_304000_NS8EqualityEEEPlJS6_EEE10hipError_tPvRmT3_T4_T5_T6_T7_T9_mT8_P12ihipStream_tbDpT10_ENKUlT_T0_E_clISt17integral_constantIbLb1EES16_IbLb0EEEEDaS12_S13_EUlS12_E_NS1_11comp_targetILNS1_3genE8ELNS1_11target_archE1030ELNS1_3gpuE2ELNS1_3repE0EEENS1_30default_config_static_selectorELNS0_4arch9wavefront6targetE0EEEvT1_
	.globl	_ZN7rocprim17ROCPRIM_400000_NS6detail17trampoline_kernelINS0_14default_configENS1_25partition_config_selectorILNS1_17partition_subalgoE8EsNS0_10empty_typeEbEEZZNS1_14partition_implILS5_8ELb0ES3_jPKsPS6_PKS6_NS0_5tupleIJPsS6_EEENSE_IJSB_SB_EEENS0_18inequality_wrapperIN6hipcub16HIPCUB_304000_NS8EqualityEEEPlJS6_EEE10hipError_tPvRmT3_T4_T5_T6_T7_T9_mT8_P12ihipStream_tbDpT10_ENKUlT_T0_E_clISt17integral_constantIbLb1EES16_IbLb0EEEEDaS12_S13_EUlS12_E_NS1_11comp_targetILNS1_3genE8ELNS1_11target_archE1030ELNS1_3gpuE2ELNS1_3repE0EEENS1_30default_config_static_selectorELNS0_4arch9wavefront6targetE0EEEvT1_
	.p2align	8
	.type	_ZN7rocprim17ROCPRIM_400000_NS6detail17trampoline_kernelINS0_14default_configENS1_25partition_config_selectorILNS1_17partition_subalgoE8EsNS0_10empty_typeEbEEZZNS1_14partition_implILS5_8ELb0ES3_jPKsPS6_PKS6_NS0_5tupleIJPsS6_EEENSE_IJSB_SB_EEENS0_18inequality_wrapperIN6hipcub16HIPCUB_304000_NS8EqualityEEEPlJS6_EEE10hipError_tPvRmT3_T4_T5_T6_T7_T9_mT8_P12ihipStream_tbDpT10_ENKUlT_T0_E_clISt17integral_constantIbLb1EES16_IbLb0EEEEDaS12_S13_EUlS12_E_NS1_11comp_targetILNS1_3genE8ELNS1_11target_archE1030ELNS1_3gpuE2ELNS1_3repE0EEENS1_30default_config_static_selectorELNS0_4arch9wavefront6targetE0EEEvT1_,@function
_ZN7rocprim17ROCPRIM_400000_NS6detail17trampoline_kernelINS0_14default_configENS1_25partition_config_selectorILNS1_17partition_subalgoE8EsNS0_10empty_typeEbEEZZNS1_14partition_implILS5_8ELb0ES3_jPKsPS6_PKS6_NS0_5tupleIJPsS6_EEENSE_IJSB_SB_EEENS0_18inequality_wrapperIN6hipcub16HIPCUB_304000_NS8EqualityEEEPlJS6_EEE10hipError_tPvRmT3_T4_T5_T6_T7_T9_mT8_P12ihipStream_tbDpT10_ENKUlT_T0_E_clISt17integral_constantIbLb1EES16_IbLb0EEEEDaS12_S13_EUlS12_E_NS1_11comp_targetILNS1_3genE8ELNS1_11target_archE1030ELNS1_3gpuE2ELNS1_3repE0EEENS1_30default_config_static_selectorELNS0_4arch9wavefront6targetE0EEEvT1_: ; @_ZN7rocprim17ROCPRIM_400000_NS6detail17trampoline_kernelINS0_14default_configENS1_25partition_config_selectorILNS1_17partition_subalgoE8EsNS0_10empty_typeEbEEZZNS1_14partition_implILS5_8ELb0ES3_jPKsPS6_PKS6_NS0_5tupleIJPsS6_EEENSE_IJSB_SB_EEENS0_18inequality_wrapperIN6hipcub16HIPCUB_304000_NS8EqualityEEEPlJS6_EEE10hipError_tPvRmT3_T4_T5_T6_T7_T9_mT8_P12ihipStream_tbDpT10_ENKUlT_T0_E_clISt17integral_constantIbLb1EES16_IbLb0EEEEDaS12_S13_EUlS12_E_NS1_11comp_targetILNS1_3genE8ELNS1_11target_archE1030ELNS1_3gpuE2ELNS1_3repE0EEENS1_30default_config_static_selectorELNS0_4arch9wavefront6targetE0EEEvT1_
; %bb.0:
	.section	.rodata,"a",@progbits
	.p2align	6, 0x0
	.amdhsa_kernel _ZN7rocprim17ROCPRIM_400000_NS6detail17trampoline_kernelINS0_14default_configENS1_25partition_config_selectorILNS1_17partition_subalgoE8EsNS0_10empty_typeEbEEZZNS1_14partition_implILS5_8ELb0ES3_jPKsPS6_PKS6_NS0_5tupleIJPsS6_EEENSE_IJSB_SB_EEENS0_18inequality_wrapperIN6hipcub16HIPCUB_304000_NS8EqualityEEEPlJS6_EEE10hipError_tPvRmT3_T4_T5_T6_T7_T9_mT8_P12ihipStream_tbDpT10_ENKUlT_T0_E_clISt17integral_constantIbLb1EES16_IbLb0EEEEDaS12_S13_EUlS12_E_NS1_11comp_targetILNS1_3genE8ELNS1_11target_archE1030ELNS1_3gpuE2ELNS1_3repE0EEENS1_30default_config_static_selectorELNS0_4arch9wavefront6targetE0EEEvT1_
		.amdhsa_group_segment_fixed_size 0
		.amdhsa_private_segment_fixed_size 0
		.amdhsa_kernarg_size 112
		.amdhsa_user_sgpr_count 2
		.amdhsa_user_sgpr_dispatch_ptr 0
		.amdhsa_user_sgpr_queue_ptr 0
		.amdhsa_user_sgpr_kernarg_segment_ptr 1
		.amdhsa_user_sgpr_dispatch_id 0
		.amdhsa_user_sgpr_kernarg_preload_length 0
		.amdhsa_user_sgpr_kernarg_preload_offset 0
		.amdhsa_user_sgpr_private_segment_size 0
		.amdhsa_wavefront_size32 1
		.amdhsa_uses_dynamic_stack 0
		.amdhsa_enable_private_segment 0
		.amdhsa_system_sgpr_workgroup_id_x 1
		.amdhsa_system_sgpr_workgroup_id_y 0
		.amdhsa_system_sgpr_workgroup_id_z 0
		.amdhsa_system_sgpr_workgroup_info 0
		.amdhsa_system_vgpr_workitem_id 0
		.amdhsa_next_free_vgpr 1
		.amdhsa_next_free_sgpr 1
		.amdhsa_named_barrier_count 0
		.amdhsa_reserve_vcc 0
		.amdhsa_float_round_mode_32 0
		.amdhsa_float_round_mode_16_64 0
		.amdhsa_float_denorm_mode_32 3
		.amdhsa_float_denorm_mode_16_64 3
		.amdhsa_fp16_overflow 0
		.amdhsa_memory_ordered 1
		.amdhsa_forward_progress 1
		.amdhsa_inst_pref_size 0
		.amdhsa_round_robin_scheduling 0
		.amdhsa_exception_fp_ieee_invalid_op 0
		.amdhsa_exception_fp_denorm_src 0
		.amdhsa_exception_fp_ieee_div_zero 0
		.amdhsa_exception_fp_ieee_overflow 0
		.amdhsa_exception_fp_ieee_underflow 0
		.amdhsa_exception_fp_ieee_inexact 0
		.amdhsa_exception_int_div_zero 0
	.end_amdhsa_kernel
	.section	.text._ZN7rocprim17ROCPRIM_400000_NS6detail17trampoline_kernelINS0_14default_configENS1_25partition_config_selectorILNS1_17partition_subalgoE8EsNS0_10empty_typeEbEEZZNS1_14partition_implILS5_8ELb0ES3_jPKsPS6_PKS6_NS0_5tupleIJPsS6_EEENSE_IJSB_SB_EEENS0_18inequality_wrapperIN6hipcub16HIPCUB_304000_NS8EqualityEEEPlJS6_EEE10hipError_tPvRmT3_T4_T5_T6_T7_T9_mT8_P12ihipStream_tbDpT10_ENKUlT_T0_E_clISt17integral_constantIbLb1EES16_IbLb0EEEEDaS12_S13_EUlS12_E_NS1_11comp_targetILNS1_3genE8ELNS1_11target_archE1030ELNS1_3gpuE2ELNS1_3repE0EEENS1_30default_config_static_selectorELNS0_4arch9wavefront6targetE0EEEvT1_,"axG",@progbits,_ZN7rocprim17ROCPRIM_400000_NS6detail17trampoline_kernelINS0_14default_configENS1_25partition_config_selectorILNS1_17partition_subalgoE8EsNS0_10empty_typeEbEEZZNS1_14partition_implILS5_8ELb0ES3_jPKsPS6_PKS6_NS0_5tupleIJPsS6_EEENSE_IJSB_SB_EEENS0_18inequality_wrapperIN6hipcub16HIPCUB_304000_NS8EqualityEEEPlJS6_EEE10hipError_tPvRmT3_T4_T5_T6_T7_T9_mT8_P12ihipStream_tbDpT10_ENKUlT_T0_E_clISt17integral_constantIbLb1EES16_IbLb0EEEEDaS12_S13_EUlS12_E_NS1_11comp_targetILNS1_3genE8ELNS1_11target_archE1030ELNS1_3gpuE2ELNS1_3repE0EEENS1_30default_config_static_selectorELNS0_4arch9wavefront6targetE0EEEvT1_,comdat
.Lfunc_end571:
	.size	_ZN7rocprim17ROCPRIM_400000_NS6detail17trampoline_kernelINS0_14default_configENS1_25partition_config_selectorILNS1_17partition_subalgoE8EsNS0_10empty_typeEbEEZZNS1_14partition_implILS5_8ELb0ES3_jPKsPS6_PKS6_NS0_5tupleIJPsS6_EEENSE_IJSB_SB_EEENS0_18inequality_wrapperIN6hipcub16HIPCUB_304000_NS8EqualityEEEPlJS6_EEE10hipError_tPvRmT3_T4_T5_T6_T7_T9_mT8_P12ihipStream_tbDpT10_ENKUlT_T0_E_clISt17integral_constantIbLb1EES16_IbLb0EEEEDaS12_S13_EUlS12_E_NS1_11comp_targetILNS1_3genE8ELNS1_11target_archE1030ELNS1_3gpuE2ELNS1_3repE0EEENS1_30default_config_static_selectorELNS0_4arch9wavefront6targetE0EEEvT1_, .Lfunc_end571-_ZN7rocprim17ROCPRIM_400000_NS6detail17trampoline_kernelINS0_14default_configENS1_25partition_config_selectorILNS1_17partition_subalgoE8EsNS0_10empty_typeEbEEZZNS1_14partition_implILS5_8ELb0ES3_jPKsPS6_PKS6_NS0_5tupleIJPsS6_EEENSE_IJSB_SB_EEENS0_18inequality_wrapperIN6hipcub16HIPCUB_304000_NS8EqualityEEEPlJS6_EEE10hipError_tPvRmT3_T4_T5_T6_T7_T9_mT8_P12ihipStream_tbDpT10_ENKUlT_T0_E_clISt17integral_constantIbLb1EES16_IbLb0EEEEDaS12_S13_EUlS12_E_NS1_11comp_targetILNS1_3genE8ELNS1_11target_archE1030ELNS1_3gpuE2ELNS1_3repE0EEENS1_30default_config_static_selectorELNS0_4arch9wavefront6targetE0EEEvT1_
                                        ; -- End function
	.set _ZN7rocprim17ROCPRIM_400000_NS6detail17trampoline_kernelINS0_14default_configENS1_25partition_config_selectorILNS1_17partition_subalgoE8EsNS0_10empty_typeEbEEZZNS1_14partition_implILS5_8ELb0ES3_jPKsPS6_PKS6_NS0_5tupleIJPsS6_EEENSE_IJSB_SB_EEENS0_18inequality_wrapperIN6hipcub16HIPCUB_304000_NS8EqualityEEEPlJS6_EEE10hipError_tPvRmT3_T4_T5_T6_T7_T9_mT8_P12ihipStream_tbDpT10_ENKUlT_T0_E_clISt17integral_constantIbLb1EES16_IbLb0EEEEDaS12_S13_EUlS12_E_NS1_11comp_targetILNS1_3genE8ELNS1_11target_archE1030ELNS1_3gpuE2ELNS1_3repE0EEENS1_30default_config_static_selectorELNS0_4arch9wavefront6targetE0EEEvT1_.num_vgpr, 0
	.set _ZN7rocprim17ROCPRIM_400000_NS6detail17trampoline_kernelINS0_14default_configENS1_25partition_config_selectorILNS1_17partition_subalgoE8EsNS0_10empty_typeEbEEZZNS1_14partition_implILS5_8ELb0ES3_jPKsPS6_PKS6_NS0_5tupleIJPsS6_EEENSE_IJSB_SB_EEENS0_18inequality_wrapperIN6hipcub16HIPCUB_304000_NS8EqualityEEEPlJS6_EEE10hipError_tPvRmT3_T4_T5_T6_T7_T9_mT8_P12ihipStream_tbDpT10_ENKUlT_T0_E_clISt17integral_constantIbLb1EES16_IbLb0EEEEDaS12_S13_EUlS12_E_NS1_11comp_targetILNS1_3genE8ELNS1_11target_archE1030ELNS1_3gpuE2ELNS1_3repE0EEENS1_30default_config_static_selectorELNS0_4arch9wavefront6targetE0EEEvT1_.num_agpr, 0
	.set _ZN7rocprim17ROCPRIM_400000_NS6detail17trampoline_kernelINS0_14default_configENS1_25partition_config_selectorILNS1_17partition_subalgoE8EsNS0_10empty_typeEbEEZZNS1_14partition_implILS5_8ELb0ES3_jPKsPS6_PKS6_NS0_5tupleIJPsS6_EEENSE_IJSB_SB_EEENS0_18inequality_wrapperIN6hipcub16HIPCUB_304000_NS8EqualityEEEPlJS6_EEE10hipError_tPvRmT3_T4_T5_T6_T7_T9_mT8_P12ihipStream_tbDpT10_ENKUlT_T0_E_clISt17integral_constantIbLb1EES16_IbLb0EEEEDaS12_S13_EUlS12_E_NS1_11comp_targetILNS1_3genE8ELNS1_11target_archE1030ELNS1_3gpuE2ELNS1_3repE0EEENS1_30default_config_static_selectorELNS0_4arch9wavefront6targetE0EEEvT1_.numbered_sgpr, 0
	.set _ZN7rocprim17ROCPRIM_400000_NS6detail17trampoline_kernelINS0_14default_configENS1_25partition_config_selectorILNS1_17partition_subalgoE8EsNS0_10empty_typeEbEEZZNS1_14partition_implILS5_8ELb0ES3_jPKsPS6_PKS6_NS0_5tupleIJPsS6_EEENSE_IJSB_SB_EEENS0_18inequality_wrapperIN6hipcub16HIPCUB_304000_NS8EqualityEEEPlJS6_EEE10hipError_tPvRmT3_T4_T5_T6_T7_T9_mT8_P12ihipStream_tbDpT10_ENKUlT_T0_E_clISt17integral_constantIbLb1EES16_IbLb0EEEEDaS12_S13_EUlS12_E_NS1_11comp_targetILNS1_3genE8ELNS1_11target_archE1030ELNS1_3gpuE2ELNS1_3repE0EEENS1_30default_config_static_selectorELNS0_4arch9wavefront6targetE0EEEvT1_.num_named_barrier, 0
	.set _ZN7rocprim17ROCPRIM_400000_NS6detail17trampoline_kernelINS0_14default_configENS1_25partition_config_selectorILNS1_17partition_subalgoE8EsNS0_10empty_typeEbEEZZNS1_14partition_implILS5_8ELb0ES3_jPKsPS6_PKS6_NS0_5tupleIJPsS6_EEENSE_IJSB_SB_EEENS0_18inequality_wrapperIN6hipcub16HIPCUB_304000_NS8EqualityEEEPlJS6_EEE10hipError_tPvRmT3_T4_T5_T6_T7_T9_mT8_P12ihipStream_tbDpT10_ENKUlT_T0_E_clISt17integral_constantIbLb1EES16_IbLb0EEEEDaS12_S13_EUlS12_E_NS1_11comp_targetILNS1_3genE8ELNS1_11target_archE1030ELNS1_3gpuE2ELNS1_3repE0EEENS1_30default_config_static_selectorELNS0_4arch9wavefront6targetE0EEEvT1_.private_seg_size, 0
	.set _ZN7rocprim17ROCPRIM_400000_NS6detail17trampoline_kernelINS0_14default_configENS1_25partition_config_selectorILNS1_17partition_subalgoE8EsNS0_10empty_typeEbEEZZNS1_14partition_implILS5_8ELb0ES3_jPKsPS6_PKS6_NS0_5tupleIJPsS6_EEENSE_IJSB_SB_EEENS0_18inequality_wrapperIN6hipcub16HIPCUB_304000_NS8EqualityEEEPlJS6_EEE10hipError_tPvRmT3_T4_T5_T6_T7_T9_mT8_P12ihipStream_tbDpT10_ENKUlT_T0_E_clISt17integral_constantIbLb1EES16_IbLb0EEEEDaS12_S13_EUlS12_E_NS1_11comp_targetILNS1_3genE8ELNS1_11target_archE1030ELNS1_3gpuE2ELNS1_3repE0EEENS1_30default_config_static_selectorELNS0_4arch9wavefront6targetE0EEEvT1_.uses_vcc, 0
	.set _ZN7rocprim17ROCPRIM_400000_NS6detail17trampoline_kernelINS0_14default_configENS1_25partition_config_selectorILNS1_17partition_subalgoE8EsNS0_10empty_typeEbEEZZNS1_14partition_implILS5_8ELb0ES3_jPKsPS6_PKS6_NS0_5tupleIJPsS6_EEENSE_IJSB_SB_EEENS0_18inequality_wrapperIN6hipcub16HIPCUB_304000_NS8EqualityEEEPlJS6_EEE10hipError_tPvRmT3_T4_T5_T6_T7_T9_mT8_P12ihipStream_tbDpT10_ENKUlT_T0_E_clISt17integral_constantIbLb1EES16_IbLb0EEEEDaS12_S13_EUlS12_E_NS1_11comp_targetILNS1_3genE8ELNS1_11target_archE1030ELNS1_3gpuE2ELNS1_3repE0EEENS1_30default_config_static_selectorELNS0_4arch9wavefront6targetE0EEEvT1_.uses_flat_scratch, 0
	.set _ZN7rocprim17ROCPRIM_400000_NS6detail17trampoline_kernelINS0_14default_configENS1_25partition_config_selectorILNS1_17partition_subalgoE8EsNS0_10empty_typeEbEEZZNS1_14partition_implILS5_8ELb0ES3_jPKsPS6_PKS6_NS0_5tupleIJPsS6_EEENSE_IJSB_SB_EEENS0_18inequality_wrapperIN6hipcub16HIPCUB_304000_NS8EqualityEEEPlJS6_EEE10hipError_tPvRmT3_T4_T5_T6_T7_T9_mT8_P12ihipStream_tbDpT10_ENKUlT_T0_E_clISt17integral_constantIbLb1EES16_IbLb0EEEEDaS12_S13_EUlS12_E_NS1_11comp_targetILNS1_3genE8ELNS1_11target_archE1030ELNS1_3gpuE2ELNS1_3repE0EEENS1_30default_config_static_selectorELNS0_4arch9wavefront6targetE0EEEvT1_.has_dyn_sized_stack, 0
	.set _ZN7rocprim17ROCPRIM_400000_NS6detail17trampoline_kernelINS0_14default_configENS1_25partition_config_selectorILNS1_17partition_subalgoE8EsNS0_10empty_typeEbEEZZNS1_14partition_implILS5_8ELb0ES3_jPKsPS6_PKS6_NS0_5tupleIJPsS6_EEENSE_IJSB_SB_EEENS0_18inequality_wrapperIN6hipcub16HIPCUB_304000_NS8EqualityEEEPlJS6_EEE10hipError_tPvRmT3_T4_T5_T6_T7_T9_mT8_P12ihipStream_tbDpT10_ENKUlT_T0_E_clISt17integral_constantIbLb1EES16_IbLb0EEEEDaS12_S13_EUlS12_E_NS1_11comp_targetILNS1_3genE8ELNS1_11target_archE1030ELNS1_3gpuE2ELNS1_3repE0EEENS1_30default_config_static_selectorELNS0_4arch9wavefront6targetE0EEEvT1_.has_recursion, 0
	.set _ZN7rocprim17ROCPRIM_400000_NS6detail17trampoline_kernelINS0_14default_configENS1_25partition_config_selectorILNS1_17partition_subalgoE8EsNS0_10empty_typeEbEEZZNS1_14partition_implILS5_8ELb0ES3_jPKsPS6_PKS6_NS0_5tupleIJPsS6_EEENSE_IJSB_SB_EEENS0_18inequality_wrapperIN6hipcub16HIPCUB_304000_NS8EqualityEEEPlJS6_EEE10hipError_tPvRmT3_T4_T5_T6_T7_T9_mT8_P12ihipStream_tbDpT10_ENKUlT_T0_E_clISt17integral_constantIbLb1EES16_IbLb0EEEEDaS12_S13_EUlS12_E_NS1_11comp_targetILNS1_3genE8ELNS1_11target_archE1030ELNS1_3gpuE2ELNS1_3repE0EEENS1_30default_config_static_selectorELNS0_4arch9wavefront6targetE0EEEvT1_.has_indirect_call, 0
	.section	.AMDGPU.csdata,"",@progbits
; Kernel info:
; codeLenInByte = 0
; TotalNumSgprs: 0
; NumVgprs: 0
; ScratchSize: 0
; MemoryBound: 0
; FloatMode: 240
; IeeeMode: 1
; LDSByteSize: 0 bytes/workgroup (compile time only)
; SGPRBlocks: 0
; VGPRBlocks: 0
; NumSGPRsForWavesPerEU: 1
; NumVGPRsForWavesPerEU: 1
; NamedBarCnt: 0
; Occupancy: 16
; WaveLimiterHint : 0
; COMPUTE_PGM_RSRC2:SCRATCH_EN: 0
; COMPUTE_PGM_RSRC2:USER_SGPR: 2
; COMPUTE_PGM_RSRC2:TRAP_HANDLER: 0
; COMPUTE_PGM_RSRC2:TGID_X_EN: 1
; COMPUTE_PGM_RSRC2:TGID_Y_EN: 0
; COMPUTE_PGM_RSRC2:TGID_Z_EN: 0
; COMPUTE_PGM_RSRC2:TIDIG_COMP_CNT: 0
	.section	.text._ZN7rocprim17ROCPRIM_400000_NS6detail17trampoline_kernelINS0_14default_configENS1_25partition_config_selectorILNS1_17partition_subalgoE8EsNS0_10empty_typeEbEEZZNS1_14partition_implILS5_8ELb0ES3_jPKsPS6_PKS6_NS0_5tupleIJPsS6_EEENSE_IJSB_SB_EEENS0_18inequality_wrapperIN6hipcub16HIPCUB_304000_NS8EqualityEEEPlJS6_EEE10hipError_tPvRmT3_T4_T5_T6_T7_T9_mT8_P12ihipStream_tbDpT10_ENKUlT_T0_E_clISt17integral_constantIbLb0EES16_IbLb1EEEEDaS12_S13_EUlS12_E_NS1_11comp_targetILNS1_3genE0ELNS1_11target_archE4294967295ELNS1_3gpuE0ELNS1_3repE0EEENS1_30default_config_static_selectorELNS0_4arch9wavefront6targetE0EEEvT1_,"axG",@progbits,_ZN7rocprim17ROCPRIM_400000_NS6detail17trampoline_kernelINS0_14default_configENS1_25partition_config_selectorILNS1_17partition_subalgoE8EsNS0_10empty_typeEbEEZZNS1_14partition_implILS5_8ELb0ES3_jPKsPS6_PKS6_NS0_5tupleIJPsS6_EEENSE_IJSB_SB_EEENS0_18inequality_wrapperIN6hipcub16HIPCUB_304000_NS8EqualityEEEPlJS6_EEE10hipError_tPvRmT3_T4_T5_T6_T7_T9_mT8_P12ihipStream_tbDpT10_ENKUlT_T0_E_clISt17integral_constantIbLb0EES16_IbLb1EEEEDaS12_S13_EUlS12_E_NS1_11comp_targetILNS1_3genE0ELNS1_11target_archE4294967295ELNS1_3gpuE0ELNS1_3repE0EEENS1_30default_config_static_selectorELNS0_4arch9wavefront6targetE0EEEvT1_,comdat
	.protected	_ZN7rocprim17ROCPRIM_400000_NS6detail17trampoline_kernelINS0_14default_configENS1_25partition_config_selectorILNS1_17partition_subalgoE8EsNS0_10empty_typeEbEEZZNS1_14partition_implILS5_8ELb0ES3_jPKsPS6_PKS6_NS0_5tupleIJPsS6_EEENSE_IJSB_SB_EEENS0_18inequality_wrapperIN6hipcub16HIPCUB_304000_NS8EqualityEEEPlJS6_EEE10hipError_tPvRmT3_T4_T5_T6_T7_T9_mT8_P12ihipStream_tbDpT10_ENKUlT_T0_E_clISt17integral_constantIbLb0EES16_IbLb1EEEEDaS12_S13_EUlS12_E_NS1_11comp_targetILNS1_3genE0ELNS1_11target_archE4294967295ELNS1_3gpuE0ELNS1_3repE0EEENS1_30default_config_static_selectorELNS0_4arch9wavefront6targetE0EEEvT1_ ; -- Begin function _ZN7rocprim17ROCPRIM_400000_NS6detail17trampoline_kernelINS0_14default_configENS1_25partition_config_selectorILNS1_17partition_subalgoE8EsNS0_10empty_typeEbEEZZNS1_14partition_implILS5_8ELb0ES3_jPKsPS6_PKS6_NS0_5tupleIJPsS6_EEENSE_IJSB_SB_EEENS0_18inequality_wrapperIN6hipcub16HIPCUB_304000_NS8EqualityEEEPlJS6_EEE10hipError_tPvRmT3_T4_T5_T6_T7_T9_mT8_P12ihipStream_tbDpT10_ENKUlT_T0_E_clISt17integral_constantIbLb0EES16_IbLb1EEEEDaS12_S13_EUlS12_E_NS1_11comp_targetILNS1_3genE0ELNS1_11target_archE4294967295ELNS1_3gpuE0ELNS1_3repE0EEENS1_30default_config_static_selectorELNS0_4arch9wavefront6targetE0EEEvT1_
	.globl	_ZN7rocprim17ROCPRIM_400000_NS6detail17trampoline_kernelINS0_14default_configENS1_25partition_config_selectorILNS1_17partition_subalgoE8EsNS0_10empty_typeEbEEZZNS1_14partition_implILS5_8ELb0ES3_jPKsPS6_PKS6_NS0_5tupleIJPsS6_EEENSE_IJSB_SB_EEENS0_18inequality_wrapperIN6hipcub16HIPCUB_304000_NS8EqualityEEEPlJS6_EEE10hipError_tPvRmT3_T4_T5_T6_T7_T9_mT8_P12ihipStream_tbDpT10_ENKUlT_T0_E_clISt17integral_constantIbLb0EES16_IbLb1EEEEDaS12_S13_EUlS12_E_NS1_11comp_targetILNS1_3genE0ELNS1_11target_archE4294967295ELNS1_3gpuE0ELNS1_3repE0EEENS1_30default_config_static_selectorELNS0_4arch9wavefront6targetE0EEEvT1_
	.p2align	8
	.type	_ZN7rocprim17ROCPRIM_400000_NS6detail17trampoline_kernelINS0_14default_configENS1_25partition_config_selectorILNS1_17partition_subalgoE8EsNS0_10empty_typeEbEEZZNS1_14partition_implILS5_8ELb0ES3_jPKsPS6_PKS6_NS0_5tupleIJPsS6_EEENSE_IJSB_SB_EEENS0_18inequality_wrapperIN6hipcub16HIPCUB_304000_NS8EqualityEEEPlJS6_EEE10hipError_tPvRmT3_T4_T5_T6_T7_T9_mT8_P12ihipStream_tbDpT10_ENKUlT_T0_E_clISt17integral_constantIbLb0EES16_IbLb1EEEEDaS12_S13_EUlS12_E_NS1_11comp_targetILNS1_3genE0ELNS1_11target_archE4294967295ELNS1_3gpuE0ELNS1_3repE0EEENS1_30default_config_static_selectorELNS0_4arch9wavefront6targetE0EEEvT1_,@function
_ZN7rocprim17ROCPRIM_400000_NS6detail17trampoline_kernelINS0_14default_configENS1_25partition_config_selectorILNS1_17partition_subalgoE8EsNS0_10empty_typeEbEEZZNS1_14partition_implILS5_8ELb0ES3_jPKsPS6_PKS6_NS0_5tupleIJPsS6_EEENSE_IJSB_SB_EEENS0_18inequality_wrapperIN6hipcub16HIPCUB_304000_NS8EqualityEEEPlJS6_EEE10hipError_tPvRmT3_T4_T5_T6_T7_T9_mT8_P12ihipStream_tbDpT10_ENKUlT_T0_E_clISt17integral_constantIbLb0EES16_IbLb1EEEEDaS12_S13_EUlS12_E_NS1_11comp_targetILNS1_3genE0ELNS1_11target_archE4294967295ELNS1_3gpuE0ELNS1_3repE0EEENS1_30default_config_static_selectorELNS0_4arch9wavefront6targetE0EEEvT1_: ; @_ZN7rocprim17ROCPRIM_400000_NS6detail17trampoline_kernelINS0_14default_configENS1_25partition_config_selectorILNS1_17partition_subalgoE8EsNS0_10empty_typeEbEEZZNS1_14partition_implILS5_8ELb0ES3_jPKsPS6_PKS6_NS0_5tupleIJPsS6_EEENSE_IJSB_SB_EEENS0_18inequality_wrapperIN6hipcub16HIPCUB_304000_NS8EqualityEEEPlJS6_EEE10hipError_tPvRmT3_T4_T5_T6_T7_T9_mT8_P12ihipStream_tbDpT10_ENKUlT_T0_E_clISt17integral_constantIbLb0EES16_IbLb1EEEEDaS12_S13_EUlS12_E_NS1_11comp_targetILNS1_3genE0ELNS1_11target_archE4294967295ELNS1_3gpuE0ELNS1_3repE0EEENS1_30default_config_static_selectorELNS0_4arch9wavefront6targetE0EEEvT1_
; %bb.0:
	s_clause 0x2
	s_load_b128 s[36:39], s[0:1], 0x40
	s_load_b64 s[8:9], s[0:1], 0x50
	s_load_b64 s[40:41], s[0:1], 0x60
	v_cmp_ne_u32_e64 s3, 0, v0
	v_cmp_eq_u32_e64 s2, 0, v0
	s_and_saveexec_b32 s4, s2
	s_cbranch_execz .LBB572_4
; %bb.1:
	s_mov_b32 s6, exec_lo
	s_mov_b32 s5, exec_lo
	v_mbcnt_lo_u32_b32 v1, s6, 0
                                        ; implicit-def: $vgpr2
	s_delay_alu instid0(VALU_DEP_1)
	v_cmpx_eq_u32_e32 0, v1
	s_cbranch_execz .LBB572_3
; %bb.2:
	s_load_b64 s[10:11], s[0:1], 0x70
	s_bcnt1_i32_b32 s6, s6
	s_delay_alu instid0(SALU_CYCLE_1)
	v_dual_mov_b32 v2, 0 :: v_dual_mov_b32 v3, s6
	s_wait_xcnt 0x0
	s_wait_kmcnt 0x0
	global_atomic_add_u32 v2, v2, v3, s[10:11] th:TH_ATOMIC_RETURN scope:SCOPE_DEV
.LBB572_3:
	s_wait_xcnt 0x0
	s_or_b32 exec_lo, exec_lo, s5
	s_wait_loadcnt 0x0
	v_readfirstlane_b32 s5, v2
	s_delay_alu instid0(VALU_DEP_1)
	v_dual_mov_b32 v2, 0 :: v_dual_add_nc_u32 v1, s5, v1
	ds_store_b32 v2, v1
.LBB572_4:
	s_or_b32 exec_lo, exec_lo, s4
	v_mov_b32_e32 v3, 0
	s_clause 0x2
	s_load_b128 s[4:7], s[0:1], 0x8
	s_load_b64 s[34:35], s[0:1], 0x28
	s_load_b32 s10, s[0:1], 0x68
	s_wait_dscnt 0x0
	s_barrier_signal -1
	s_barrier_wait -1
	ds_load_b32 v1, v3
	s_wait_dscnt 0x0
	s_barrier_signal -1
	s_barrier_wait -1
	s_wait_kmcnt 0x0
	global_load_b64 v[20:21], v3, s[38:39]
	s_mov_b32 s13, 0
	s_lshl_b64 s[0:1], s[6:7], 1
	s_mul_i32 s12, s10, 0x1e00
	s_add_co_i32 s14, s10, -1
	s_add_nc_u64 s[10:11], s[6:7], s[12:13]
	s_add_co_i32 s12, s12, s6
	v_cmp_le_u64_e64 s9, s[8:9], s[10:11]
	v_mul_lo_u32 v2, 0x1e00, v1
	s_wait_xcnt 0x0
	v_readfirstlane_b32 s38, v1
	s_sub_co_i32 s39, s8, s12
	s_add_nc_u64 s[0:1], s[4:5], s[0:1]
	s_cmp_eq_u32 s38, s14
	s_cselect_b32 s31, -1, 0
	s_delay_alu instid0(SALU_CYCLE_1) | instskip(SKIP_2) | instid1(SALU_CYCLE_1)
	s_and_b32 s42, s9, s31
	v_lshlrev_b64_e32 v[2:3], 1, v[2:3]
	s_xor_b32 s33, s42, -1
	s_and_b32 vcc_lo, exec_lo, s33
	s_delay_alu instid0(VALU_DEP_1)
	v_add_nc_u64_e32 v[22:23], s[0:1], v[2:3]
	s_mov_b32 s0, -1
	s_cbranch_vccz .LBB572_6
; %bb.5:
	s_delay_alu instid0(VALU_DEP_1) | instskip(NEXT) | instid1(VALU_DEP_2)
	v_readfirstlane_b32 s0, v22
	v_readfirstlane_b32 s1, v23
	v_lshlrev_b32_e32 v35, 1, v0
	s_clause 0x1d
	global_load_u16 v1, v0, s[0:1] scale_offset
	global_load_u16 v2, v0, s[0:1] offset:512 scale_offset
	global_load_u16 v3, v0, s[0:1] offset:1024 scale_offset
	;; [unrolled: 1-line block ×29, first 2 shown]
	s_wait_xcnt 0x0
	s_mov_b32 s0, 0
	s_wait_loadcnt 0x1d
	ds_store_b16 v35, v1
	s_wait_loadcnt 0x1c
	ds_store_b16 v35, v2 offset:512
	s_wait_loadcnt 0x1b
	ds_store_b16 v35, v3 offset:1024
	;; [unrolled: 2-line block ×29, first 2 shown]
	s_wait_dscnt 0x0
	s_barrier_signal -1
	s_barrier_wait -1
.LBB572_6:
	s_and_not1_b32 vcc_lo, exec_lo, s0
	s_addk_co_i32 s39, 0x1e00
	s_cbranch_vccnz .LBB572_68
; %bb.7:
	v_mov_b32_e32 v2, 0
	s_mov_b32 s0, exec_lo
	s_delay_alu instid0(VALU_DEP_1)
	v_dual_mov_b32 v3, v2 :: v_dual_mov_b32 v4, v2
	v_dual_mov_b32 v5, v2 :: v_dual_mov_b32 v6, v2
	v_dual_mov_b32 v7, v2 :: v_dual_mov_b32 v8, v2
	v_dual_mov_b32 v9, v2 :: v_dual_mov_b32 v10, v2
	v_dual_mov_b32 v11, v2 :: v_dual_mov_b32 v12, v2
	v_dual_mov_b32 v13, v2 :: v_dual_mov_b32 v14, v2
	v_dual_mov_b32 v15, v2 :: v_dual_mov_b32 v16, v2
	v_cmpx_gt_u32_e64 s39, v0
	s_cbranch_execz .LBB572_9
; %bb.8:
	v_readfirstlane_b32 s4, v22
	v_readfirstlane_b32 s5, v23
	v_dual_mov_b32 v5, v2 :: v_dual_mov_b32 v6, v2
	v_dual_mov_b32 v17, v2 :: v_dual_mov_b32 v18, v2
	global_load_u16 v1, v0, s[4:5] scale_offset
	v_dual_mov_b32 v7, v2 :: v_dual_mov_b32 v8, v2
	v_dual_mov_b32 v9, v2 :: v_dual_mov_b32 v10, v2
	;; [unrolled: 1-line block ×5, first 2 shown]
	s_wait_loadcnt 0x0
	v_and_b32_e32 v4, 0xffff, v1
	s_delay_alu instid0(VALU_DEP_1)
	v_mov_b64_e32 v[2:3], v[4:5]
	v_mov_b64_e32 v[4:5], v[6:7]
	;; [unrolled: 1-line block ×8, first 2 shown]
.LBB572_9:
	s_or_b32 exec_lo, exec_lo, s0
	v_or_b32_e32 v1, 0x100, v0
	s_mov_b32 s0, exec_lo
	s_delay_alu instid0(VALU_DEP_1)
	v_cmpx_gt_u32_e64 s39, v1
	s_cbranch_execz .LBB572_11
; %bb.10:
	v_readfirstlane_b32 s4, v22
	v_readfirstlane_b32 s5, v23
	global_load_u16 v1, v0, s[4:5] offset:512 scale_offset
	s_wait_loadcnt 0x0
	v_perm_b32 v2, v1, v2, 0x5040100
.LBB572_11:
	s_or_b32 exec_lo, exec_lo, s0
	v_or_b32_e32 v1, 0x200, v0
	s_mov_b32 s0, exec_lo
	s_delay_alu instid0(VALU_DEP_1)
	v_cmpx_gt_u32_e64 s39, v1
	s_cbranch_execz .LBB572_13
; %bb.12:
	v_readfirstlane_b32 s4, v22
	v_readfirstlane_b32 s5, v23
	global_load_u16 v1, v0, s[4:5] offset:1024 scale_offset
	s_wait_loadcnt 0x0
	v_bfi_b32 v3, 0xffff, v1, v3
.LBB572_13:
	s_or_b32 exec_lo, exec_lo, s0
	v_or_b32_e32 v1, 0x300, v0
	s_mov_b32 s0, exec_lo
	s_delay_alu instid0(VALU_DEP_1)
	v_cmpx_gt_u32_e64 s39, v1
	s_cbranch_execz .LBB572_15
; %bb.14:
	v_readfirstlane_b32 s4, v22
	v_readfirstlane_b32 s5, v23
	global_load_u16 v1, v0, s[4:5] offset:1536 scale_offset
	s_wait_loadcnt 0x0
	v_perm_b32 v3, v1, v3, 0x5040100
.LBB572_15:
	s_or_b32 exec_lo, exec_lo, s0
	v_or_b32_e32 v1, 0x400, v0
	s_mov_b32 s0, exec_lo
	s_delay_alu instid0(VALU_DEP_1)
	v_cmpx_gt_u32_e64 s39, v1
	s_cbranch_execz .LBB572_17
; %bb.16:
	v_readfirstlane_b32 s4, v22
	v_readfirstlane_b32 s5, v23
	global_load_u16 v1, v0, s[4:5] offset:2048 scale_offset
	s_wait_loadcnt 0x0
	v_bfi_b32 v4, 0xffff, v1, v4
.LBB572_17:
	;; [unrolled: 26-line block ×14, first 2 shown]
	s_or_b32 exec_lo, exec_lo, s0
	v_or_b32_e32 v1, 0x1d00, v0
	s_mov_b32 s0, exec_lo
	s_delay_alu instid0(VALU_DEP_1)
	v_cmpx_gt_u32_e64 s39, v1
	s_cbranch_execz .LBB572_67
; %bb.66:
	v_readfirstlane_b32 s4, v22
	v_readfirstlane_b32 s5, v23
	global_load_u16 v1, v0, s[4:5] offset:14848 scale_offset
	s_wait_loadcnt 0x0
	v_perm_b32 v16, v1, v16, 0x5040100
.LBB572_67:
	s_or_b32 exec_lo, exec_lo, s0
	v_lshlrev_b32_e32 v1, 1, v0
	ds_store_b16 v1, v2
	ds_store_b16_d16_hi v1, v2 offset:512
	ds_store_b16 v1, v3 offset:1024
	ds_store_b16_d16_hi v1, v3 offset:1536
	ds_store_b16 v1, v4 offset:2048
	;; [unrolled: 2-line block ×14, first 2 shown]
	ds_store_b16_d16_hi v1, v16 offset:14848
	s_wait_loadcnt_dscnt 0x0
	s_barrier_signal -1
	s_barrier_wait -1
.LBB572_68:
	v_mul_u32_u24_e32 v16, 30, v0
	s_wait_loadcnt 0x0
	s_cmp_lg_u32 s38, 0
	s_mov_b32 s44, 0
	s_cselect_b32 s43, -1, 0
	v_lshlrev_b32_e32 v17, 1, v16
	s_cmp_lg_u64 s[6:7], 0
	ds_load_2addr_b32 v[14:15], v17 offset1:1
	ds_load_2addr_b32 v[12:13], v17 offset0:2 offset1:3
	ds_load_2addr_b32 v[10:11], v17 offset0:4 offset1:5
	;; [unrolled: 1-line block ×6, first 2 shown]
	s_cselect_b32 s0, -1, 0
	s_delay_alu instid0(SALU_CYCLE_1) | instskip(NEXT) | instid1(SALU_CYCLE_1)
	s_or_b32 s0, s0, s43
	s_and_b32 vcc_lo, exec_lo, s0
	s_wait_dscnt 0x6
	v_lshrrev_b32_e32 v40, 16, v14
	ds_load_b32 v1, v17 offset:56
	s_wait_dscnt 0x6
	v_dual_lshrrev_b32 v39, 16, v15 :: v_dual_lshrrev_b32 v38, 16, v12
	s_wait_dscnt 0x5
	v_dual_lshrrev_b32 v37, 16, v13 :: v_dual_lshrrev_b32 v36, 16, v10
	;; [unrolled: 2-line block ×6, first 2 shown]
	v_lshrrev_b32_e32 v27, 16, v3
	s_wait_dscnt 0x0
	s_barrier_signal -1
	s_barrier_wait -1
	v_lshrrev_b32_e32 v26, 16, v1
	s_cbranch_vccz .LBB572_73
; %bb.69:
	global_load_u16 v18, v[22:23], off offset:-2
	v_lshlrev_b32_e32 v19, 1, v0
	s_and_b32 vcc_lo, exec_lo, s33
	ds_store_b16 v19, v26
	s_cbranch_vccz .LBB572_74
; %bb.70:
	s_wait_loadcnt 0x0
	v_mov_b32_e32 v22, v18
	s_wait_dscnt 0x0
	s_barrier_signal -1
	s_barrier_wait -1
	s_and_saveexec_b32 s0, s3
; %bb.71:
	v_add_nc_u32_e32 v22, -2, v19
	ds_load_u16 v22, v22
; %bb.72:
	s_or_b32 exec_lo, exec_lo, s0
	v_cmp_ne_u16_e32 vcc_lo, v1, v26
	s_wait_dscnt 0x0
	v_cmp_ne_u16_e64 s45, v22, v14
	v_cndmask_b32_e64 v41, 0, 1, vcc_lo
	v_cmp_ne_u16_e32 vcc_lo, v27, v1
	v_cndmask_b32_e64 v42, 0, 1, vcc_lo
	v_cmp_ne_u16_e32 vcc_lo, v3, v27
	;; [unrolled: 2-line block ×28, first 2 shown]
	v_cndmask_b32_e64 v69, 0, 1, vcc_lo
	s_branch .LBB572_78
.LBB572_73:
                                        ; implicit-def: $sgpr45
                                        ; implicit-def: $vgpr41
                                        ; implicit-def: $vgpr42
                                        ; implicit-def: $vgpr43
                                        ; implicit-def: $vgpr44
                                        ; implicit-def: $vgpr45
                                        ; implicit-def: $vgpr46
                                        ; implicit-def: $vgpr47
                                        ; implicit-def: $vgpr48
                                        ; implicit-def: $vgpr69
                                        ; implicit-def: $vgpr68
                                        ; implicit-def: $vgpr67
                                        ; implicit-def: $vgpr66
                                        ; implicit-def: $vgpr65
                                        ; implicit-def: $vgpr64
                                        ; implicit-def: $vgpr63
                                        ; implicit-def: $vgpr62
                                        ; implicit-def: $vgpr61
                                        ; implicit-def: $vgpr60
                                        ; implicit-def: $vgpr59
                                        ; implicit-def: $vgpr58
                                        ; implicit-def: $vgpr57
                                        ; implicit-def: $vgpr56
                                        ; implicit-def: $vgpr55
                                        ; implicit-def: $vgpr54
                                        ; implicit-def: $vgpr53
                                        ; implicit-def: $vgpr52
                                        ; implicit-def: $vgpr51
                                        ; implicit-def: $vgpr50
                                        ; implicit-def: $vgpr49
	s_branch .LBB572_79
.LBB572_74:
                                        ; implicit-def: $sgpr45
                                        ; implicit-def: $vgpr41
                                        ; implicit-def: $vgpr42
                                        ; implicit-def: $vgpr43
                                        ; implicit-def: $vgpr44
                                        ; implicit-def: $vgpr45
                                        ; implicit-def: $vgpr46
                                        ; implicit-def: $vgpr47
                                        ; implicit-def: $vgpr48
                                        ; implicit-def: $vgpr69
                                        ; implicit-def: $vgpr68
                                        ; implicit-def: $vgpr67
                                        ; implicit-def: $vgpr66
                                        ; implicit-def: $vgpr65
                                        ; implicit-def: $vgpr64
                                        ; implicit-def: $vgpr63
                                        ; implicit-def: $vgpr62
                                        ; implicit-def: $vgpr61
                                        ; implicit-def: $vgpr60
                                        ; implicit-def: $vgpr59
                                        ; implicit-def: $vgpr58
                                        ; implicit-def: $vgpr57
                                        ; implicit-def: $vgpr56
                                        ; implicit-def: $vgpr55
                                        ; implicit-def: $vgpr54
                                        ; implicit-def: $vgpr53
                                        ; implicit-def: $vgpr52
                                        ; implicit-def: $vgpr51
                                        ; implicit-def: $vgpr50
                                        ; implicit-def: $vgpr49
	s_cbranch_execz .LBB572_78
; %bb.75:
	s_wait_loadcnt_dscnt 0x0
	s_barrier_signal -1
	s_barrier_wait -1
	s_and_saveexec_b32 s0, s3
; %bb.76:
	v_add_nc_u32_e32 v18, -2, v19
	ds_load_u16 v18, v18
; %bb.77:
	s_or_b32 exec_lo, exec_lo, s0
	v_dual_add_nc_u32 v19, 29, v16 :: v_dual_add_nc_u32 v22, 28, v16
	v_cmp_ne_u16_e32 vcc_lo, v1, v26
	v_add_nc_u32_e32 v23, 27, v16
	v_cmp_ne_u16_e64 s1, v27, v1
	s_delay_alu instid0(VALU_DEP_4)
	v_cmp_gt_u32_e64 s0, s39, v19
	v_cmp_gt_u32_e64 s4, s39, v22
	v_add_nc_u32_e32 v19, 26, v16
	v_cmp_gt_u32_e64 s5, s39, v23
	v_add_nc_u32_e32 v22, 25, v16
	s_and_b32 s0, s0, vcc_lo
	v_cmp_ne_u16_e32 vcc_lo, v3, v27
	v_cndmask_b32_e64 v41, 0, 1, s0
	s_and_b32 s0, s4, s1
	v_cmp_ne_u16_e64 s1, v28, v3
	v_cndmask_b32_e64 v42, 0, 1, s0
	v_cmp_gt_u32_e64 s0, s39, v19
	s_and_b32 s4, s5, vcc_lo
	v_add_nc_u32_e32 v19, 24, v16
	v_cndmask_b32_e64 v43, 0, 1, s4
	v_cmp_gt_u32_e32 vcc_lo, s39, v22
	v_cmp_ne_u16_e64 s4, v2, v28
	v_add_nc_u32_e32 v22, 23, v16
	s_and_b32 s0, s0, s1
	v_cmp_ne_u16_e64 s1, v29, v2
	v_cndmask_b32_e64 v44, 0, 1, s0
	v_cmp_gt_u32_e64 s0, s39, v19
	s_and_b32 s4, vcc_lo, s4
	v_add_nc_u32_e32 v19, 22, v16
	v_cndmask_b32_e64 v45, 0, 1, s4
	v_cmp_gt_u32_e32 vcc_lo, s39, v22
	v_cmp_ne_u16_e64 s4, v5, v29
	v_add_nc_u32_e32 v22, 21, v16
	s_and_b32 s0, s0, s1
	v_cmp_ne_u16_e64 s1, v30, v5
	v_cndmask_b32_e64 v46, 0, 1, s0
	v_cmp_gt_u32_e64 s0, s39, v19
	s_and_b32 s4, vcc_lo, s4
	;; [unrolled: 10-line block ×11, first 2 shown]
	v_add_nc_u32_e32 v19, 2, v16
	v_cndmask_b32_e64 v65, 0, 1, s4
	v_cmp_gt_u32_e32 vcc_lo, s39, v22
	v_cmp_ne_u16_e64 s4, v15, v39
	v_or_b32_e32 v22, 1, v16
	s_and_b32 s0, s0, s1
	v_cmp_ne_u16_e64 s1, v40, v15
	v_cndmask_b32_e64 v66, 0, 1, s0
	v_cmp_gt_u32_e64 s0, s39, v19
	s_and_b32 s4, vcc_lo, s4
	v_cmp_gt_u32_e32 vcc_lo, s39, v22
	v_cndmask_b32_e64 v67, 0, 1, s4
	v_cmp_ne_u16_e64 s4, v14, v40
	s_and_b32 s0, s0, s1
	s_wait_dscnt 0x0
	v_cmp_ne_u16_e64 s1, v18, v14
	v_cndmask_b32_e64 v68, 0, 1, s0
	v_cmp_gt_u32_e64 s0, s39, v16
	s_and_b32 s4, vcc_lo, s4
	s_delay_alu instid0(SALU_CYCLE_1)
	v_cndmask_b32_e64 v69, 0, 1, s4
	s_and_b32 s45, s0, s1
.LBB572_78:
	s_mov_b32 s44, -1
	s_cbranch_execnz .LBB572_87
.LBB572_79:
	v_mad_i32_i24 v17, 0xffffffc6, v0, v17
	s_delay_alu instid0(VALU_DEP_2)
	v_cmp_ne_u16_e64 s0, v1, v26
	v_cmp_ne_u16_e64 s1, v27, v1
	;; [unrolled: 1-line block ×29, first 2 shown]
	s_and_b32 vcc_lo, exec_lo, s33
	ds_store_b16 v17, v26
	s_cbranch_vccz .LBB572_83
; %bb.80:
	s_wait_loadcnt_dscnt 0x0
	s_barrier_signal -1
	s_barrier_wait -1
                                        ; implicit-def: $sgpr45
	s_and_saveexec_b32 s46, s3
	s_delay_alu instid0(SALU_CYCLE_1)
	s_xor_b32 s46, exec_lo, s46
	s_cbranch_execz .LBB572_82
; %bb.81:
	v_add_nc_u32_e32 v18, -2, v17
	s_or_b32 s44, s44, exec_lo
	ds_load_u16 v18, v18
	s_wait_dscnt 0x0
	v_cmp_ne_u16_e64 s45, v18, v14
.LBB572_82:
	s_or_b32 exec_lo, exec_lo, s46
	v_cndmask_b32_e64 v41, 0, 1, s0
	v_cndmask_b32_e64 v42, 0, 1, s1
	;; [unrolled: 1-line block ×29, first 2 shown]
	s_branch .LBB572_87
.LBB572_83:
                                        ; implicit-def: $sgpr45
                                        ; implicit-def: $vgpr41
                                        ; implicit-def: $vgpr42
                                        ; implicit-def: $vgpr43
                                        ; implicit-def: $vgpr44
                                        ; implicit-def: $vgpr45
                                        ; implicit-def: $vgpr46
                                        ; implicit-def: $vgpr47
                                        ; implicit-def: $vgpr48
                                        ; implicit-def: $vgpr69
                                        ; implicit-def: $vgpr68
                                        ; implicit-def: $vgpr67
                                        ; implicit-def: $vgpr66
                                        ; implicit-def: $vgpr65
                                        ; implicit-def: $vgpr64
                                        ; implicit-def: $vgpr63
                                        ; implicit-def: $vgpr62
                                        ; implicit-def: $vgpr61
                                        ; implicit-def: $vgpr60
                                        ; implicit-def: $vgpr59
                                        ; implicit-def: $vgpr58
                                        ; implicit-def: $vgpr57
                                        ; implicit-def: $vgpr56
                                        ; implicit-def: $vgpr55
                                        ; implicit-def: $vgpr54
                                        ; implicit-def: $vgpr53
                                        ; implicit-def: $vgpr52
                                        ; implicit-def: $vgpr51
                                        ; implicit-def: $vgpr50
                                        ; implicit-def: $vgpr49
	s_cbranch_execz .LBB572_87
; %bb.84:
	s_wait_loadcnt 0x0
	v_dual_add_nc_u32 v18, 29, v16 :: v_dual_add_nc_u32 v19, 28, v16
	v_cmp_ne_u16_e32 vcc_lo, v1, v26
	v_add_nc_u32_e32 v22, 27, v16
	v_cmp_ne_u16_e64 s0, v27, v1
	s_delay_alu instid0(VALU_DEP_4)
	v_cmp_gt_u32_e64 s1, s39, v18
	v_cmp_gt_u32_e64 s4, s39, v19
	v_dual_add_nc_u32 v18, 26, v16 :: v_dual_add_nc_u32 v19, 25, v16
	v_cmp_ne_u16_e64 s5, v3, v27
	v_cmp_gt_u32_e64 s6, s39, v22
	s_and_b32 s11, s1, vcc_lo
	s_and_b32 s12, s4, s0
	v_add_nc_u32_e32 v22, 24, v16
	v_cmp_gt_u32_e32 vcc_lo, s39, v18
	v_cmp_ne_u16_e64 s0, v28, v3
	v_cmp_gt_u32_e64 s1, s39, v19
	v_cmp_ne_u16_e64 s4, v2, v28
	v_dual_add_nc_u32 v18, 23, v16 :: v_dual_add_nc_u32 v19, 22, v16
	s_and_b32 s13, s6, s5
	v_cmp_gt_u32_e64 s5, s39, v22
	v_cmp_ne_u16_e64 s6, v29, v2
	s_and_b32 s14, vcc_lo, s0
	s_and_b32 s15, s1, s4
	v_add_nc_u32_e32 v22, 21, v16
	v_cmp_gt_u32_e32 vcc_lo, s39, v18
	v_cmp_ne_u16_e64 s0, v5, v29
	v_cmp_gt_u32_e64 s1, s39, v19
	v_cmp_ne_u16_e64 s4, v30, v5
	v_dual_add_nc_u32 v18, 20, v16 :: v_dual_add_nc_u32 v19, 19, v16
	s_and_b32 s16, s5, s6
	v_cmp_gt_u32_e64 s5, s39, v22
	v_cmp_ne_u16_e64 s6, v4, v30
	s_and_b32 s17, vcc_lo, s0
	;; [unrolled: 11-line block ×7, first 2 shown]
	s_and_b32 s48, s1, s4
	v_cmp_gt_u32_e32 vcc_lo, s39, v18
	v_add_nc_u32_e32 v18, 3, v16
	v_cmp_gt_u32_e64 s1, s39, v19
	v_dual_add_nc_u32 v19, 2, v16 :: v_dual_bitop2_b32 v22, 1, v16 bitop3:0x54
	s_and_b32 s49, s5, s6
	v_cmp_ne_u16_e64 s0, v12, v38
	v_cmp_ne_u16_e64 s4, v39, v12
	v_cmp_gt_u32_e64 s5, s39, v18
	v_cmp_ne_u16_e64 s6, v15, v39
	v_cmp_gt_u32_e64 s7, s39, v19
	;; [unrolled: 2-line block ×3, first 2 shown]
	v_cmp_ne_u16_e64 s10, v14, v40
	s_and_b32 s50, vcc_lo, s0
	s_and_b32 s1, s1, s4
	s_and_b32 s4, s5, s6
	;; [unrolled: 1-line block ×4, first 2 shown]
	s_wait_dscnt 0x0
	s_barrier_signal -1
	s_barrier_wait -1
                                        ; implicit-def: $sgpr45
	s_and_saveexec_b32 s7, s3
	s_cbranch_execz .LBB572_86
; %bb.85:
	v_add_nc_u32_e32 v17, -2, v17
	v_cmp_gt_u32_e32 vcc_lo, s39, v16
	s_or_b32 s44, s44, exec_lo
	ds_load_u16 v17, v17
	s_wait_dscnt 0x0
	v_cmp_ne_u16_e64 s0, v17, v14
	s_and_b32 s45, vcc_lo, s0
.LBB572_86:
	s_or_b32 exec_lo, exec_lo, s7
	v_cndmask_b32_e64 v41, 0, 1, s11
	v_cndmask_b32_e64 v42, 0, 1, s12
	;; [unrolled: 1-line block ×29, first 2 shown]
.LBB572_87:
	v_mov_b32_e32 v70, 1
	s_wait_xcnt 0x0
	s_and_saveexec_b32 s0, s44
; %bb.88:
	v_cndmask_b32_e64 v70, 0, 1, s45
; %bb.89:
	s_or_b32 exec_lo, exec_lo, s0
	s_delay_alu instid0(SALU_CYCLE_1)
	s_and_not1_b32 vcc_lo, exec_lo, s42
	s_cbranch_vccnz .LBB572_91
; %bb.90:
	v_cmp_gt_u32_e32 vcc_lo, s39, v16
	v_dual_add_nc_u32 v19, 4, v16 :: v_dual_bitop2_b32 v17, 1, v16 bitop3:0x54
	v_cndmask_b32_e32 v70, 0, v70, vcc_lo
	s_delay_alu instid0(VALU_DEP_2) | instskip(SKIP_3) | instid1(VALU_DEP_2)
	v_cmp_gt_u32_e32 vcc_lo, s39, v17
	s_wait_loadcnt 0x0
	v_dual_add_nc_u32 v18, 2, v16 :: v_dual_add_nc_u32 v17, 3, v16
	v_cndmask_b32_e32 v69, 0, v69, vcc_lo
	v_cmp_gt_u32_e32 vcc_lo, s39, v18
	v_cndmask_b32_e32 v68, 0, v68, vcc_lo
	s_delay_alu instid0(VALU_DEP_4) | instskip(SKIP_4) | instid1(VALU_DEP_2)
	v_cmp_gt_u32_e32 vcc_lo, s39, v17
	v_cndmask_b32_e32 v67, 0, v67, vcc_lo
	v_cmp_gt_u32_e32 vcc_lo, s39, v19
	v_dual_add_nc_u32 v18, 5, v16 :: v_dual_add_nc_u32 v19, 8, v16
	v_cndmask_b32_e32 v66, 0, v66, vcc_lo
	v_cmp_gt_u32_e32 vcc_lo, s39, v18
	v_dual_add_nc_u32 v17, 6, v16 :: v_dual_add_nc_u32 v18, 7, v16
	v_cndmask_b32_e32 v65, 0, v65, vcc_lo
	s_delay_alu instid0(VALU_DEP_2) | instskip(SKIP_1) | instid1(VALU_DEP_4)
	v_cmp_gt_u32_e32 vcc_lo, s39, v17
	v_cndmask_b32_e32 v64, 0, v64, vcc_lo
	v_cmp_gt_u32_e32 vcc_lo, s39, v18
	v_cndmask_b32_e32 v63, 0, v63, vcc_lo
	v_cmp_gt_u32_e32 vcc_lo, s39, v19
	v_dual_add_nc_u32 v17, 9, v16 :: v_dual_add_nc_u32 v19, 12, v16
	v_cndmask_b32_e32 v62, 0, v62, vcc_lo
	s_delay_alu instid0(VALU_DEP_2) | instskip(SKIP_2) | instid1(VALU_DEP_2)
	v_cmp_gt_u32_e32 vcc_lo, s39, v17
	v_dual_add_nc_u32 v18, 10, v16 :: v_dual_add_nc_u32 v17, 11, v16
	v_cndmask_b32_e32 v61, 0, v61, vcc_lo
	v_cmp_gt_u32_e32 vcc_lo, s39, v18
	v_cndmask_b32_e32 v60, 0, v60, vcc_lo
	s_delay_alu instid0(VALU_DEP_4) | instskip(SKIP_4) | instid1(VALU_DEP_2)
	v_cmp_gt_u32_e32 vcc_lo, s39, v17
	v_cndmask_b32_e32 v59, 0, v59, vcc_lo
	v_cmp_gt_u32_e32 vcc_lo, s39, v19
	v_dual_add_nc_u32 v18, 13, v16 :: v_dual_add_nc_u32 v19, 16, v16
	v_cndmask_b32_e32 v58, 0, v58, vcc_lo
	v_cmp_gt_u32_e32 vcc_lo, s39, v18
	v_dual_add_nc_u32 v17, 14, v16 :: v_dual_add_nc_u32 v18, 15, v16
	v_cndmask_b32_e32 v57, 0, v57, vcc_lo
	s_delay_alu instid0(VALU_DEP_2) | instskip(SKIP_1) | instid1(VALU_DEP_4)
	v_cmp_gt_u32_e32 vcc_lo, s39, v17
	v_cndmask_b32_e32 v56, 0, v56, vcc_lo
	v_cmp_gt_u32_e32 vcc_lo, s39, v18
	v_cndmask_b32_e32 v55, 0, v55, vcc_lo
	v_cmp_gt_u32_e32 vcc_lo, s39, v19
	v_dual_add_nc_u32 v17, 17, v16 :: v_dual_add_nc_u32 v19, 20, v16
	v_cndmask_b32_e32 v54, 0, v54, vcc_lo
	s_delay_alu instid0(VALU_DEP_2) | instskip(SKIP_2) | instid1(VALU_DEP_2)
	v_cmp_gt_u32_e32 vcc_lo, s39, v17
	;; [unrolled: 23-line block ×3, first 2 shown]
	v_dual_add_nc_u32 v18, 26, v16 :: v_dual_add_nc_u32 v17, 27, v16
	v_cndmask_b32_e32 v45, 0, v45, vcc_lo
	v_cmp_gt_u32_e32 vcc_lo, s39, v18
	v_cndmask_b32_e32 v44, 0, v44, vcc_lo
	s_delay_alu instid0(VALU_DEP_4) | instskip(SKIP_3) | instid1(VALU_DEP_1)
	v_cmp_gt_u32_e32 vcc_lo, s39, v17
	v_cndmask_b32_e32 v43, 0, v43, vcc_lo
	v_cmp_gt_u32_e32 vcc_lo, s39, v19
	v_dual_add_nc_u32 v16, 29, v16 :: v_dual_cndmask_b32 v42, 0, v42, vcc_lo
	v_cmp_gt_u32_e32 vcc_lo, s39, v16
	v_cndmask_b32_e32 v41, 0, v41, vcc_lo
.LBB572_91:
	v_and_b32_e32 v71, 0xff, v50
	v_and_b32_e32 v72, 0xff, v49
	;; [unrolled: 1-line block ×4, first 2 shown]
	v_mbcnt_lo_u32_b32 v93, -1, 0
	v_and_b32_e32 v75, 0xff, v54
	v_add_nc_u32_e32 v16, v71, v72
	v_and_b32_e32 v76, 0xff, v53
	v_and_b32_e32 v77, 0xff, v56
	v_and_b32_e32 v19, 15, v93
	v_and_b32_e32 v78, 0xff, v55
	v_add3_u32 v16, v16, v74, v73
	v_and_b32_e32 v79, 0xff, v58
	v_and_b32_e32 v80, 0xff, v57
	v_and_b32_e32 v81, 0xff, v60
	v_and_b32_e32 v82, 0xff, v59
	v_add3_u32 v16, v16, v76, v75
	v_and_b32_e32 v83, 0xff, v62
	v_and_b32_e32 v84, 0xff, v61
	v_and_b32_e32 v85, 0xff, v64
	v_and_b32_e32 v86, 0xff, v63
	v_add3_u32 v16, v16, v78, v77
	v_and_b32_e32 v87, 0xff, v66
	v_and_b32_e32 v88, 0xff, v65
	v_and_b32_e32 v89, 0xff, v68
	v_and_b32_e32 v90, 0xff, v67
	v_add3_u32 v16, v16, v80, v79
	v_and_b32_e32 v91, 0xffff, v70
	v_and_b32_e32 v92, 0xff, v69
	v_and_b32_e32 v99, 0xff, v48
	v_and_b32_e32 v100, 0xff, v47
	v_add3_u32 v16, v16, v82, v81
	v_and_b32_e32 v101, 0xff, v46
	v_and_b32_e32 v102, 0xff, v45
	v_and_b32_e32 v103, 0xff, v44
	v_and_b32_e32 v104, 0xff, v43
	v_add3_u32 v16, v16, v84, v83
	v_and_b32_e32 v105, 0xff, v42
	v_and_b32_e32 v17, 0xff, v41
	s_wait_loadcnt 0x0
	v_dual_lshrrev_b32 v94, 5, v0 :: v_dual_bitop2_b32 v18, 31, v0 bitop3:0x54
	v_add3_u32 v16, v16, v86, v85
	v_and_b32_e32 v22, 16, v93
	v_cmp_eq_u32_e64 s6, 0, v19
	s_delay_alu instid0(VALU_DEP_4)
	v_cmp_eq_u32_e64 s0, v0, v18
	v_cmp_lt_u32_e64 s5, 1, v19
	v_add3_u32 v16, v16, v88, v87
	v_cmp_lt_u32_e64 s4, 3, v19
	v_cmp_lt_u32_e64 s3, 7, v19
	v_cmp_eq_u32_e64 s1, 0, v22
	s_and_b32 vcc_lo, exec_lo, s43
	v_add3_u32 v16, v16, v90, v89
	s_mov_b32 s7, -1
	s_wait_dscnt 0x0
	s_barrier_signal -1
	s_barrier_wait -1
	v_add3_u32 v16, v16, v92, v91
	s_delay_alu instid0(VALU_DEP_1) | instskip(NEXT) | instid1(VALU_DEP_1)
	v_add3_u32 v16, v16, v99, v100
	v_add3_u32 v16, v16, v101, v102
	s_delay_alu instid0(VALU_DEP_1) | instskip(NEXT) | instid1(VALU_DEP_1)
	v_add3_u32 v16, v16, v103, v104
	v_add3_u32 v96, v16, v105, v17
	s_cbranch_vccz .LBB572_113
; %bb.92:
	s_delay_alu instid0(VALU_DEP_1) | instskip(NEXT) | instid1(VALU_DEP_1)
	v_mov_b32_dpp v16, v96 row_shr:1 row_mask:0xf bank_mask:0xf
	v_cndmask_b32_e64 v16, v16, 0, s6
	s_delay_alu instid0(VALU_DEP_1) | instskip(NEXT) | instid1(VALU_DEP_1)
	v_add_nc_u32_e32 v16, v16, v96
	v_mov_b32_dpp v17, v16 row_shr:2 row_mask:0xf bank_mask:0xf
	s_delay_alu instid0(VALU_DEP_1) | instskip(NEXT) | instid1(VALU_DEP_1)
	v_cndmask_b32_e64 v17, 0, v17, s5
	v_add_nc_u32_e32 v16, v16, v17
	s_delay_alu instid0(VALU_DEP_1) | instskip(NEXT) | instid1(VALU_DEP_1)
	v_mov_b32_dpp v17, v16 row_shr:4 row_mask:0xf bank_mask:0xf
	v_cndmask_b32_e64 v17, 0, v17, s4
	s_delay_alu instid0(VALU_DEP_1) | instskip(NEXT) | instid1(VALU_DEP_1)
	v_add_nc_u32_e32 v16, v16, v17
	v_mov_b32_dpp v17, v16 row_shr:8 row_mask:0xf bank_mask:0xf
	s_delay_alu instid0(VALU_DEP_1) | instskip(NEXT) | instid1(VALU_DEP_1)
	v_cndmask_b32_e64 v17, 0, v17, s3
	v_add_nc_u32_e32 v16, v16, v17
	ds_swizzle_b32 v17, v16 offset:swizzle(BROADCAST,32,15)
	s_wait_dscnt 0x0
	v_cndmask_b32_e64 v17, v17, 0, s1
	s_delay_alu instid0(VALU_DEP_1)
	v_add_nc_u32_e32 v16, v16, v17
	s_and_saveexec_b32 s7, s0
; %bb.93:
	v_lshlrev_b32_e32 v17, 2, v94
	ds_store_b32 v17, v16
; %bb.94:
	s_or_b32 exec_lo, exec_lo, s7
	s_delay_alu instid0(SALU_CYCLE_1)
	s_mov_b32 s7, exec_lo
	s_wait_dscnt 0x0
	s_barrier_signal -1
	s_barrier_wait -1
	v_cmpx_gt_u32_e32 8, v0
	s_cbranch_execz .LBB572_96
; %bb.95:
	v_dual_lshlrev_b32 v17, 2, v0 :: v_dual_bitop2_b32 v19, 7, v93 bitop3:0x40
	ds_load_b32 v18, v17
	v_cmp_ne_u32_e32 vcc_lo, 0, v19
	s_wait_dscnt 0x0
	v_mov_b32_dpp v22, v18 row_shr:1 row_mask:0xf bank_mask:0xf
	s_delay_alu instid0(VALU_DEP_1) | instskip(SKIP_1) | instid1(VALU_DEP_2)
	v_cndmask_b32_e32 v22, 0, v22, vcc_lo
	v_cmp_lt_u32_e32 vcc_lo, 1, v19
	v_add_nc_u32_e32 v18, v22, v18
	s_delay_alu instid0(VALU_DEP_1) | instskip(NEXT) | instid1(VALU_DEP_1)
	v_mov_b32_dpp v22, v18 row_shr:2 row_mask:0xf bank_mask:0xf
	v_cndmask_b32_e32 v22, 0, v22, vcc_lo
	v_cmp_lt_u32_e32 vcc_lo, 3, v19
	s_delay_alu instid0(VALU_DEP_2) | instskip(NEXT) | instid1(VALU_DEP_1)
	v_add_nc_u32_e32 v18, v18, v22
	v_mov_b32_dpp v22, v18 row_shr:4 row_mask:0xf bank_mask:0xf
	s_delay_alu instid0(VALU_DEP_1) | instskip(NEXT) | instid1(VALU_DEP_1)
	v_cndmask_b32_e32 v19, 0, v22, vcc_lo
	v_add_nc_u32_e32 v18, v18, v19
	ds_store_b32 v17, v18
.LBB572_96:
	s_or_b32 exec_lo, exec_lo, s7
	s_delay_alu instid0(SALU_CYCLE_1)
	s_mov_b32 s8, exec_lo
	v_cmp_gt_u32_e32 vcc_lo, 32, v0
	s_wait_dscnt 0x0
	s_barrier_signal -1
	s_barrier_wait -1
                                        ; implicit-def: $vgpr95
	v_cmpx_lt_u32_e32 31, v0
	s_cbranch_execz .LBB572_98
; %bb.97:
	v_lshl_add_u32 v17, v94, 2, -4
	ds_load_b32 v95, v17
	s_wait_dscnt 0x0
	v_add_nc_u32_e32 v16, v95, v16
.LBB572_98:
	s_or_b32 exec_lo, exec_lo, s8
	v_sub_co_u32 v17, s7, v93, 1
	s_delay_alu instid0(VALU_DEP_1) | instskip(NEXT) | instid1(VALU_DEP_1)
	v_cmp_gt_i32_e64 s8, 0, v17
	v_cndmask_b32_e64 v17, v17, v93, s8
	s_delay_alu instid0(VALU_DEP_1)
	v_lshlrev_b32_e32 v17, 2, v17
	ds_bpermute_b32 v97, v17, v16
	s_and_saveexec_b32 s8, vcc_lo
	s_cbranch_execz .LBB572_118
; %bb.99:
	v_mov_b32_e32 v25, 0
	ds_load_b32 v16, v25 offset:28
	s_and_saveexec_b32 s9, s7
	s_cbranch_execz .LBB572_101
; %bb.100:
	s_add_co_i32 s10, s38, 32
	s_delay_alu instid0(SALU_CYCLE_1)
	v_dual_mov_b32 v17, 1 :: v_dual_mov_b32 v18, s10
	s_wait_dscnt 0x0
	global_store_b64 v18, v[16:17], s[40:41] scale_offset scope:SCOPE_DEV
.LBB572_101:
	s_wait_xcnt 0x0
	s_or_b32 exec_lo, exec_lo, s9
	v_xad_u32 v18, v93, -1, s38
	s_mov_b32 s10, 0
	s_mov_b32 s9, exec_lo
	s_delay_alu instid0(VALU_DEP_1) | instskip(SKIP_4) | instid1(VALU_DEP_1)
	v_add_nc_u32_e32 v24, 32, v18
	global_load_b64 v[22:23], v24, s[40:41] scale_offset scope:SCOPE_DEV
	s_wait_loadcnt 0x0
	v_and_b32_e32 v17, 0xff, v23
	s_wait_xcnt 0x0
	v_cmpx_eq_u16_e32 0, v17
	s_cbranch_execz .LBB572_105
; %bb.102:
	v_lshl_add_u64 v[24:25], v[24:25], 3, s[40:41]
.LBB572_103:                            ; =>This Inner Loop Header: Depth=1
	global_load_b64 v[22:23], v[24:25], off scope:SCOPE_DEV
	s_wait_loadcnt 0x0
	v_and_b32_e32 v17, 0xff, v23
	s_delay_alu instid0(VALU_DEP_1)
	v_cmp_ne_u16_e32 vcc_lo, 0, v17
	s_or_b32 s10, vcc_lo, s10
	s_wait_xcnt 0x0
	s_and_not1_b32 exec_lo, exec_lo, s10
	s_cbranch_execnz .LBB572_103
; %bb.104:
	s_or_b32 exec_lo, exec_lo, s10
.LBB572_105:
	s_delay_alu instid0(SALU_CYCLE_1)
	s_or_b32 exec_lo, exec_lo, s9
	v_cmp_ne_u32_e32 vcc_lo, 31, v93
	v_lshlrev_b32_e64 v106, v93, -1
	v_lshl_or_b32 v113, v93, 2, 64
	v_dual_add_nc_u32 v108, 2, v93 :: v_dual_add_nc_u32 v110, 4, v93
	v_add_co_ci_u32_e64 v17, null, 0, v93, vcc_lo
	v_dual_add_nc_u32 v112, 8, v93 :: v_dual_add_nc_u32 v114, 16, v93
	s_delay_alu instid0(VALU_DEP_2)
	v_lshlrev_b32_e32 v98, 2, v17
	v_and_b32_e32 v17, 0xff, v23
	ds_bpermute_b32 v19, v98, v22
	v_cmp_eq_u16_e32 vcc_lo, 2, v17
	v_and_or_b32 v17, vcc_lo, v106, 0x80000000
	v_cmp_gt_u32_e32 vcc_lo, 30, v93
	s_delay_alu instid0(VALU_DEP_2) | instskip(SKIP_1) | instid1(VALU_DEP_2)
	v_ctz_i32_b32_e32 v17, v17
	v_cndmask_b32_e64 v24, 0, 2, vcc_lo
	v_cmp_lt_u32_e32 vcc_lo, v93, v17
	s_delay_alu instid0(VALU_DEP_2) | instskip(SKIP_3) | instid1(VALU_DEP_2)
	v_add_lshl_u32 v107, v24, v93, 2
	s_wait_dscnt 0x0
	v_cndmask_b32_e32 v19, 0, v19, vcc_lo
	v_cmp_gt_u32_e32 vcc_lo, 28, v93
	v_add_nc_u32_e32 v19, v19, v22
	v_cndmask_b32_e64 v24, 0, 4, vcc_lo
	v_cmp_le_u32_e32 vcc_lo, v108, v17
	ds_bpermute_b32 v22, v107, v19
	v_add_lshl_u32 v109, v24, v93, 2
	s_wait_dscnt 0x0
	v_cndmask_b32_e32 v22, 0, v22, vcc_lo
	v_cmp_gt_u32_e32 vcc_lo, 24, v93
	v_cndmask_b32_e64 v24, 0, 8, vcc_lo
	v_cmp_le_u32_e32 vcc_lo, v110, v17
	s_delay_alu instid0(VALU_DEP_4) | instskip(NEXT) | instid1(VALU_DEP_3)
	v_add_nc_u32_e32 v19, v19, v22
	v_add_lshl_u32 v111, v24, v93, 2
	ds_bpermute_b32 v22, v109, v19
	s_wait_dscnt 0x0
	v_cndmask_b32_e32 v22, 0, v22, vcc_lo
	v_cmp_le_u32_e32 vcc_lo, v112, v17
	s_delay_alu instid0(VALU_DEP_2) | instskip(SKIP_4) | instid1(VALU_DEP_2)
	v_add_nc_u32_e32 v19, v19, v22
	ds_bpermute_b32 v22, v111, v19
	s_wait_dscnt 0x0
	v_cndmask_b32_e32 v22, 0, v22, vcc_lo
	v_cmp_le_u32_e32 vcc_lo, v114, v17
	v_add_nc_u32_e32 v19, v19, v22
	ds_bpermute_b32 v22, v113, v19
	s_wait_dscnt 0x0
	v_cndmask_b32_e32 v17, 0, v22, vcc_lo
	s_delay_alu instid0(VALU_DEP_1)
	v_dual_mov_b32 v19, 0 :: v_dual_add_nc_u32 v22, v19, v17
	s_branch .LBB572_108
.LBB572_106:                            ;   in Loop: Header=BB572_108 Depth=1
	s_or_b32 exec_lo, exec_lo, s9
	v_and_b32_e32 v24, 0xff, v23
	ds_bpermute_b32 v25, v98, v22
	v_subrev_nc_u32_e32 v18, 32, v18
	s_mov_b32 s9, 0
	v_cmp_eq_u16_e32 vcc_lo, 2, v24
	v_and_or_b32 v24, vcc_lo, v106, 0x80000000
	s_delay_alu instid0(VALU_DEP_1) | instskip(NEXT) | instid1(VALU_DEP_1)
	v_ctz_i32_b32_e32 v24, v24
	v_cmp_lt_u32_e32 vcc_lo, v93, v24
	s_wait_dscnt 0x0
	v_cndmask_b32_e32 v25, 0, v25, vcc_lo
	v_cmp_le_u32_e32 vcc_lo, v108, v24
	s_delay_alu instid0(VALU_DEP_2) | instskip(SKIP_4) | instid1(VALU_DEP_2)
	v_add_nc_u32_e32 v22, v25, v22
	ds_bpermute_b32 v25, v107, v22
	s_wait_dscnt 0x0
	v_cndmask_b32_e32 v25, 0, v25, vcc_lo
	v_cmp_le_u32_e32 vcc_lo, v110, v24
	v_add_nc_u32_e32 v22, v22, v25
	ds_bpermute_b32 v25, v109, v22
	s_wait_dscnt 0x0
	v_cndmask_b32_e32 v25, 0, v25, vcc_lo
	v_cmp_le_u32_e32 vcc_lo, v112, v24
	s_delay_alu instid0(VALU_DEP_2) | instskip(SKIP_4) | instid1(VALU_DEP_2)
	v_add_nc_u32_e32 v22, v22, v25
	ds_bpermute_b32 v25, v111, v22
	s_wait_dscnt 0x0
	v_cndmask_b32_e32 v25, 0, v25, vcc_lo
	v_cmp_le_u32_e32 vcc_lo, v114, v24
	v_add_nc_u32_e32 v22, v22, v25
	ds_bpermute_b32 v25, v113, v22
	s_wait_dscnt 0x0
	v_cndmask_b32_e32 v24, 0, v25, vcc_lo
	s_delay_alu instid0(VALU_DEP_1)
	v_add3_u32 v22, v24, v17, v22
.LBB572_107:                            ;   in Loop: Header=BB572_108 Depth=1
	s_and_b32 vcc_lo, exec_lo, s9
	s_cbranch_vccnz .LBB572_114
.LBB572_108:                            ; =>This Loop Header: Depth=1
                                        ;     Child Loop BB572_111 Depth 2
	v_and_b32_e32 v17, 0xff, v23
	s_mov_b32 s9, -1
                                        ; implicit-def: $vgpr23
	s_delay_alu instid0(VALU_DEP_1)
	v_cmp_ne_u16_e32 vcc_lo, 2, v17
	v_mov_b32_e32 v17, v22
                                        ; implicit-def: $vgpr22
	s_cmp_lg_u32 vcc_lo, exec_lo
	s_cbranch_scc1 .LBB572_107
; %bb.109:                              ;   in Loop: Header=BB572_108 Depth=1
	global_load_b64 v[22:23], v18, s[40:41] scale_offset scope:SCOPE_DEV
	s_mov_b32 s9, exec_lo
	s_wait_loadcnt 0x0
	v_and_b32_e32 v24, 0xff, v23
	s_wait_xcnt 0x0
	s_delay_alu instid0(VALU_DEP_1)
	v_cmpx_eq_u16_e32 0, v24
	s_cbranch_execz .LBB572_106
; %bb.110:                              ;   in Loop: Header=BB572_108 Depth=1
	v_lshl_add_u64 v[24:25], v[18:19], 3, s[40:41]
	s_mov_b32 s10, 0
.LBB572_111:                            ;   Parent Loop BB572_108 Depth=1
                                        ; =>  This Inner Loop Header: Depth=2
	global_load_b64 v[22:23], v[24:25], off scope:SCOPE_DEV
	s_wait_loadcnt 0x0
	v_and_b32_e32 v115, 0xff, v23
	s_delay_alu instid0(VALU_DEP_1)
	v_cmp_ne_u16_e32 vcc_lo, 0, v115
	s_or_b32 s10, vcc_lo, s10
	s_wait_xcnt 0x0
	s_and_not1_b32 exec_lo, exec_lo, s10
	s_cbranch_execnz .LBB572_111
; %bb.112:                              ;   in Loop: Header=BB572_108 Depth=1
	s_or_b32 exec_lo, exec_lo, s10
	s_branch .LBB572_106
.LBB572_113:
                                        ; implicit-def: $vgpr18
                                        ; implicit-def: $vgpr16
                                        ; implicit-def: $vgpr95
	s_and_b32 vcc_lo, exec_lo, s7
	s_cbranch_vccnz .LBB572_119
	s_branch .LBB572_128
.LBB572_114:
	s_and_saveexec_b32 s9, s7
	s_cbranch_execz .LBB572_116
; %bb.115:
	s_add_co_i32 s10, s38, 32
	v_dual_mov_b32 v19, 2 :: v_dual_add_nc_u32 v18, v17, v16
	v_dual_mov_b32 v22, s10 :: v_dual_mov_b32 v23, 0
	global_store_b64 v22, v[18:19], s[40:41] scale_offset scope:SCOPE_DEV
	ds_store_b64 v23, v[16:17] offset:15360
.LBB572_116:
	s_wait_xcnt 0x0
	s_or_b32 exec_lo, exec_lo, s9
	s_delay_alu instid0(SALU_CYCLE_1)
	s_and_b32 exec_lo, exec_lo, s2
; %bb.117:
	v_mov_b32_e32 v16, 0
	ds_store_b32 v16, v17 offset:28
.LBB572_118:
	s_or_b32 exec_lo, exec_lo, s8
	s_wait_dscnt 0x0
	v_dual_mov_b32 v16, 0 :: v_dual_cndmask_b32 v19, v97, v95, s7
	s_wait_storecnt 0x0
	s_barrier_signal -1
	s_barrier_wait -1
	ds_load_b32 v18, v16 offset:28
	s_wait_dscnt 0x0
	s_barrier_signal -1
	s_barrier_wait -1
	ds_load_b64 v[16:17], v16 offset:15360
	v_cndmask_b32_e64 v19, v19, 0, s2
	s_wait_dscnt 0x0
	s_delay_alu instid0(VALU_DEP_1)
	v_dual_mov_b32 v18, v17 :: v_dual_add_nc_u32 v95, v18, v19
	s_branch .LBB572_128
.LBB572_119:
	v_mov_b32_dpp v16, v96 row_shr:1 row_mask:0xf bank_mask:0xf
	s_delay_alu instid0(VALU_DEP_1) | instskip(NEXT) | instid1(VALU_DEP_1)
	v_cndmask_b32_e64 v16, v16, 0, s6
	v_add_nc_u32_e32 v16, v16, v96
	s_delay_alu instid0(VALU_DEP_1) | instskip(NEXT) | instid1(VALU_DEP_1)
	v_mov_b32_dpp v17, v16 row_shr:2 row_mask:0xf bank_mask:0xf
	v_cndmask_b32_e64 v17, 0, v17, s5
	s_delay_alu instid0(VALU_DEP_1) | instskip(NEXT) | instid1(VALU_DEP_1)
	v_add_nc_u32_e32 v16, v16, v17
	v_mov_b32_dpp v17, v16 row_shr:4 row_mask:0xf bank_mask:0xf
	s_delay_alu instid0(VALU_DEP_1) | instskip(NEXT) | instid1(VALU_DEP_1)
	v_cndmask_b32_e64 v17, 0, v17, s4
	v_add_nc_u32_e32 v16, v16, v17
	s_delay_alu instid0(VALU_DEP_1) | instskip(NEXT) | instid1(VALU_DEP_1)
	v_mov_b32_dpp v17, v16 row_shr:8 row_mask:0xf bank_mask:0xf
	v_cndmask_b32_e64 v17, 0, v17, s3
	s_delay_alu instid0(VALU_DEP_1) | instskip(SKIP_3) | instid1(VALU_DEP_1)
	v_add_nc_u32_e32 v16, v16, v17
	ds_swizzle_b32 v17, v16 offset:swizzle(BROADCAST,32,15)
	s_wait_dscnt 0x0
	v_cndmask_b32_e64 v17, v17, 0, s1
	v_add_nc_u32_e32 v16, v16, v17
	s_and_saveexec_b32 s1, s0
; %bb.120:
	v_lshlrev_b32_e32 v17, 2, v94
	ds_store_b32 v17, v16
; %bb.121:
	s_or_b32 exec_lo, exec_lo, s1
	s_delay_alu instid0(SALU_CYCLE_1)
	s_mov_b32 s0, exec_lo
	s_wait_dscnt 0x0
	s_barrier_signal -1
	s_barrier_wait -1
	v_cmpx_gt_u32_e32 8, v0
	s_cbranch_execz .LBB572_123
; %bb.122:
	v_dual_lshlrev_b32 v17, 2, v0 :: v_dual_bitop2_b32 v19, 7, v93 bitop3:0x40
	ds_load_b32 v18, v17
	v_cmp_ne_u32_e32 vcc_lo, 0, v19
	s_wait_dscnt 0x0
	v_mov_b32_dpp v22, v18 row_shr:1 row_mask:0xf bank_mask:0xf
	s_delay_alu instid0(VALU_DEP_1) | instskip(SKIP_1) | instid1(VALU_DEP_2)
	v_cndmask_b32_e32 v22, 0, v22, vcc_lo
	v_cmp_lt_u32_e32 vcc_lo, 1, v19
	v_add_nc_u32_e32 v18, v22, v18
	s_delay_alu instid0(VALU_DEP_1) | instskip(NEXT) | instid1(VALU_DEP_1)
	v_mov_b32_dpp v22, v18 row_shr:2 row_mask:0xf bank_mask:0xf
	v_cndmask_b32_e32 v22, 0, v22, vcc_lo
	v_cmp_lt_u32_e32 vcc_lo, 3, v19
	s_delay_alu instid0(VALU_DEP_2) | instskip(NEXT) | instid1(VALU_DEP_1)
	v_add_nc_u32_e32 v18, v18, v22
	v_mov_b32_dpp v22, v18 row_shr:4 row_mask:0xf bank_mask:0xf
	s_delay_alu instid0(VALU_DEP_1) | instskip(NEXT) | instid1(VALU_DEP_1)
	v_cndmask_b32_e32 v19, 0, v22, vcc_lo
	v_add_nc_u32_e32 v18, v18, v19
	ds_store_b32 v17, v18
.LBB572_123:
	s_or_b32 exec_lo, exec_lo, s0
	v_dual_mov_b32 v17, 0 :: v_dual_mov_b32 v18, 0
	s_mov_b32 s0, exec_lo
	s_wait_dscnt 0x0
	s_barrier_signal -1
	s_barrier_wait -1
	v_cmpx_lt_u32_e32 31, v0
; %bb.124:
	v_lshl_add_u32 v18, v94, 2, -4
	ds_load_b32 v18, v18
; %bb.125:
	s_or_b32 exec_lo, exec_lo, s0
	v_sub_co_u32 v19, vcc_lo, v93, 1
	s_wait_dscnt 0x0
	v_add_nc_u32_e32 v16, v18, v16
	s_delay_alu instid0(VALU_DEP_2) | instskip(NEXT) | instid1(VALU_DEP_1)
	v_cmp_gt_i32_e64 s0, 0, v19
	v_cndmask_b32_e64 v19, v19, v93, s0
	s_delay_alu instid0(VALU_DEP_1)
	v_lshlrev_b32_e32 v19, 2, v19
	ds_bpermute_b32 v19, v19, v16
	ds_load_b32 v16, v17 offset:28
	s_and_saveexec_b32 s0, s2
	s_cbranch_execz .LBB572_127
; %bb.126:
	v_dual_mov_b32 v22, 0 :: v_dual_mov_b32 v17, 2
	s_wait_dscnt 0x0
	global_store_b64 v22, v[16:17], s[40:41] offset:256 scope:SCOPE_DEV
.LBB572_127:
	s_wait_xcnt 0x0
	s_or_b32 exec_lo, exec_lo, s0
	s_wait_dscnt 0x1
	v_dual_cndmask_b32 v17, v19, v18 :: v_dual_mov_b32 v18, 0
	s_wait_storecnt_dscnt 0x0
	s_barrier_signal -1
	s_barrier_wait -1
	s_delay_alu instid0(VALU_DEP_1)
	v_cndmask_b32_e64 v95, v17, 0, s2
.LBB572_128:
	s_delay_alu instid0(VALU_DEP_1) | instskip(SKIP_3) | instid1(VALU_DEP_3)
	v_add_nc_u32_e32 v98, v95, v91
	v_cmp_gt_u32_e32 vcc_lo, 0x101, v16
	v_lshlrev_b64_e32 v[22:23], 1, v[20:21]
	s_mov_b32 s0, -1
	v_dual_add_nc_u32 v97, v98, v92 :: v_dual_bitop2_b32 v70, 1, v70 bitop3:0x40
	s_and_b32 vcc_lo, exec_lo, vcc_lo
	s_delay_alu instid0(VALU_DEP_1) | instskip(NEXT) | instid1(VALU_DEP_1)
	v_add_nc_u32_e32 v96, v97, v89
	v_add_nc_u32_e32 v94, v96, v90
	s_delay_alu instid0(VALU_DEP_1) | instskip(NEXT) | instid1(VALU_DEP_1)
	v_add_nc_u32_e32 v93, v94, v87
	v_add_nc_u32_e32 v92, v93, v88
	s_delay_alu instid0(VALU_DEP_1) | instskip(NEXT) | instid1(VALU_DEP_1)
	v_add_nc_u32_e32 v91, v92, v85
	v_add_nc_u32_e32 v90, v91, v86
	s_delay_alu instid0(VALU_DEP_1) | instskip(NEXT) | instid1(VALU_DEP_1)
	v_add_nc_u32_e32 v89, v90, v83
	v_add_nc_u32_e32 v88, v89, v84
	s_delay_alu instid0(VALU_DEP_1) | instskip(NEXT) | instid1(VALU_DEP_1)
	v_add_nc_u32_e32 v87, v88, v81
	v_add_nc_u32_e32 v86, v87, v82
	s_delay_alu instid0(VALU_DEP_1) | instskip(NEXT) | instid1(VALU_DEP_1)
	v_add_nc_u32_e32 v85, v86, v79
	v_add_nc_u32_e32 v84, v85, v80
	s_delay_alu instid0(VALU_DEP_1) | instskip(NEXT) | instid1(VALU_DEP_1)
	v_add_nc_u32_e32 v83, v84, v77
	v_add_nc_u32_e32 v82, v83, v78
	s_delay_alu instid0(VALU_DEP_1) | instskip(NEXT) | instid1(VALU_DEP_1)
	v_add_nc_u32_e32 v81, v82, v75
	v_add_nc_u32_e32 v80, v81, v76
	s_delay_alu instid0(VALU_DEP_1) | instskip(NEXT) | instid1(VALU_DEP_1)
	v_add_nc_u32_e32 v79, v80, v73
	v_add_nc_u32_e32 v78, v79, v74
	s_delay_alu instid0(VALU_DEP_1) | instskip(NEXT) | instid1(VALU_DEP_1)
	v_add_nc_u32_e32 v77, v78, v71
	v_add_nc_u32_e32 v76, v77, v72
	s_delay_alu instid0(VALU_DEP_1) | instskip(NEXT) | instid1(VALU_DEP_1)
	v_add_nc_u32_e32 v75, v76, v99
	v_add_nc_u32_e32 v74, v75, v100
	s_delay_alu instid0(VALU_DEP_1) | instskip(NEXT) | instid1(VALU_DEP_1)
	v_add_nc_u32_e32 v73, v74, v101
	v_add_nc_u32_e32 v72, v73, v102
	s_delay_alu instid0(VALU_DEP_1) | instskip(NEXT) | instid1(VALU_DEP_1)
	v_add_nc_u32_e32 v71, v72, v103
	v_add_nc_u32_e32 v19, v71, v104
	s_delay_alu instid0(VALU_DEP_1)
	v_add_nc_u32_e32 v17, v19, v105
	s_cbranch_vccnz .LBB572_132
; %bb.129:
	s_and_b32 vcc_lo, exec_lo, s0
	s_cbranch_vccnz .LBB572_193
.LBB572_130:
	s_and_b32 s0, s2, s31
	s_delay_alu instid0(SALU_CYCLE_1)
	s_and_saveexec_b32 s1, s0
	s_cbranch_execnz .LBB572_268
.LBB572_131:
	s_sendmsg sendmsg(MSG_DEALLOC_VGPRS)
	s_endpgm
.LBB572_132:
	v_add_nc_u32_e32 v99, v18, v16
	v_add_nc_u64_e32 v[24:25], s[34:35], v[22:23]
	v_cmp_eq_u32_e64 s0, 1, v70
	s_delay_alu instid0(VALU_DEP_3) | instskip(SKIP_1) | instid1(SALU_CYCLE_1)
	v_cmp_lt_u32_e32 vcc_lo, v95, v99
	s_or_b32 s1, s33, vcc_lo
	s_and_b32 s1, s1, s0
	s_delay_alu instid0(SALU_CYCLE_1)
	s_and_saveexec_b32 s0, s1
	s_cbranch_execz .LBB572_134
; %bb.133:
	v_readfirstlane_b32 s4, v24
	v_readfirstlane_b32 s5, v25
	global_store_b16 v95, v14, s[4:5] scale_offset
.LBB572_134:
	s_wait_xcnt 0x0
	s_or_b32 exec_lo, exec_lo, s0
	v_and_b32_e32 v100, 1, v69
	v_cmp_lt_u32_e32 vcc_lo, v98, v99
	s_delay_alu instid0(VALU_DEP_2) | instskip(SKIP_1) | instid1(SALU_CYCLE_1)
	v_cmp_eq_u32_e64 s0, 1, v100
	s_or_b32 s1, s33, vcc_lo
	s_and_b32 s1, s1, s0
	s_delay_alu instid0(SALU_CYCLE_1)
	s_and_saveexec_b32 s0, s1
	s_cbranch_execz .LBB572_136
; %bb.135:
	v_readfirstlane_b32 s4, v24
	v_readfirstlane_b32 s5, v25
	global_store_b16 v98, v40, s[4:5] scale_offset
.LBB572_136:
	s_wait_xcnt 0x0
	s_or_b32 exec_lo, exec_lo, s0
	v_and_b32_e32 v100, 1, v68
	v_cmp_lt_u32_e32 vcc_lo, v97, v99
	s_delay_alu instid0(VALU_DEP_2) | instskip(SKIP_1) | instid1(SALU_CYCLE_1)
	v_cmp_eq_u32_e64 s0, 1, v100
	;; [unrolled: 16-line block ×29, first 2 shown]
	s_or_b32 s1, s33, vcc_lo
	s_and_b32 s1, s1, s0
	s_delay_alu instid0(SALU_CYCLE_1)
	s_and_saveexec_b32 s0, s1
	s_cbranch_execz .LBB572_192
; %bb.191:
	v_readfirstlane_b32 s4, v24
	v_readfirstlane_b32 s5, v25
	global_store_b16 v17, v26, s[4:5] scale_offset
.LBB572_192:
	s_wait_xcnt 0x0
	s_or_b32 exec_lo, exec_lo, s0
	s_branch .LBB572_130
.LBB572_193:
	s_mov_b32 s0, exec_lo
	v_cmpx_eq_u32_e32 1, v70
; %bb.194:
	v_sub_nc_u32_e32 v24, v95, v18
	s_delay_alu instid0(VALU_DEP_1)
	v_lshlrev_b32_e32 v24, 1, v24
	ds_store_b16 v24, v14
; %bb.195:
	s_or_b32 exec_lo, exec_lo, s0
	v_and_b32_e32 v14, 1, v69
	s_mov_b32 s0, exec_lo
	s_delay_alu instid0(VALU_DEP_1)
	v_cmpx_eq_u32_e32 1, v14
; %bb.196:
	v_sub_nc_u32_e32 v14, v98, v18
	s_delay_alu instid0(VALU_DEP_1)
	v_lshlrev_b32_e32 v14, 1, v14
	ds_store_b16 v14, v40
; %bb.197:
	s_or_b32 exec_lo, exec_lo, s0
	v_and_b32_e32 v14, 1, v68
	s_mov_b32 s0, exec_lo
	s_delay_alu instid0(VALU_DEP_1)
	;; [unrolled: 11-line block ×29, first 2 shown]
	v_cmpx_eq_u32_e32 1, v1
; %bb.252:
	v_sub_nc_u32_e32 v1, v17, v18
	s_delay_alu instid0(VALU_DEP_1)
	v_lshlrev_b32_e32 v1, 1, v1
	ds_store_b16 v1, v26
; %bb.253:
	s_or_b32 exec_lo, exec_lo, s0
	v_or_b32_e32 v1, 0x100, v0
	v_mov_b32_e32 v19, 0
	v_add_nc_u64_e32 v[4:5], s[34:35], v[22:23]
	s_mov_b32 s4, -1
	s_mov_b32 s1, exec_lo
	v_max_u32_e32 v3, v16, v1
	v_lshlrev_b64_e32 v[6:7], 1, v[18:19]
	s_wait_storecnt_dscnt 0x0
	s_barrier_signal -1
	s_barrier_wait -1
	v_xad_u32 v2, v0, -1, v3
	s_delay_alu instid0(VALU_DEP_2) | instskip(NEXT) | instid1(VALU_DEP_2)
	v_add_nc_u64_e32 v[8:9], v[4:5], v[6:7]
	v_cmp_gt_u32_e64 s0, 0x1b00, v2
	v_cmpx_lt_u32_e32 0x1aff, v2
	s_cbranch_execz .LBB572_264
; %bb.254:
	v_sub_nc_u32_e32 v3, v0, v3
	s_mov_b32 s3, exec_lo
	s_delay_alu instid0(VALU_DEP_1) | instskip(NEXT) | instid1(VALU_DEP_1)
	v_or_b32_e32 v3, 0xff, v3
	v_cmpx_ge_u32_e64 v3, v0
	s_cbranch_execz .LBB572_263
; %bb.255:
	v_lshrrev_b32_e32 v12, 8, v2
	v_or_b32_e32 v3, 0x300, v0
	v_or_b32_e32 v2, 0x200, v0
	s_delay_alu instid0(VALU_DEP_3) | instskip(NEXT) | instid1(VALU_DEP_1)
	v_dual_mov_b32 v19, 0 :: v_dual_add_nc_u32 v4, -3, v12
	v_lshrrev_b32_e32 v5, 2, v4
	v_lshlrev_b32_e32 v13, 1, v0
	v_cmp_lt_u32_e32 vcc_lo, 11, v4
	s_delay_alu instid0(VALU_DEP_3)
	v_add_nc_u32_e32 v14, 1, v5
	v_mov_b64_e32 v[6:7], v[2:3]
	v_mov_b64_e32 v[4:5], v[0:1]
	s_and_saveexec_b32 s4, vcc_lo
	s_cbranch_execz .LBB572_259
; %bb.256:
	v_mov_b64_e32 v[6:7], v[2:3]
	v_mov_b64_e32 v[4:5], v[0:1]
	v_and_b32_e32 v15, 0x7ffffffc, v14
	v_dual_mov_b32 v11, 0 :: v_dual_mov_b32 v17, v13
	s_mov_b32 s5, 0
	s_mov_b32 s6, 0
.LBB572_257:                            ; =>This Inner Loop Header: Depth=1
	s_delay_alu instid0(VALU_DEP_1)
	v_dual_mov_b32 v10, v4 :: v_dual_mov_b32 v25, v11
	ds_load_u16 v1, v17
	ds_load_u16 v46, v17 offset:512
	ds_load_u16 v47, v17 offset:1024
	;; [unrolled: 1-line block ×15, first 2 shown]
	v_add_nc_u32_e32 v17, 0x2000, v17
	v_lshl_add_u64 v[38:39], v[10:11], 1, v[8:9]
	v_dual_mov_b32 v10, v5 :: v_dual_add_nc_u32 v15, -4, v15
	v_dual_mov_b32 v31, v11 :: v_dual_add_nc_u32 v24, 0x400, v5
	v_dual_mov_b32 v37, v11 :: v_dual_add_nc_u32 v30, 0x800, v5
	s_delay_alu instid0(VALU_DEP_3) | instskip(SKIP_2) | instid1(SALU_CYCLE_1)
	v_lshl_add_u64 v[40:41], v[10:11], 1, v[8:9]
	v_mov_b32_e32 v10, v6
	s_add_co_i32 s6, s6, 16
	v_dual_mov_b32 v19, s6 :: v_dual_add_nc_u32 v36, 0xc00, v5
	v_add_nc_u32_e32 v5, 0x1000, v5
	s_delay_alu instid0(VALU_DEP_3)
	v_lshl_add_u64 v[42:43], v[10:11], 1, v[8:9]
	v_mov_b32_e32 v10, v7
	s_wait_dscnt 0xf
	global_store_b16 v[38:39], v1, off
	s_wait_dscnt 0xe
	global_store_b16 v[40:41], v46, off
	;; [unrolled: 2-line block ×3, first 2 shown]
	v_dual_mov_b32 v23, v11 :: v_dual_add_nc_u32 v2, 0x400, v7
	v_lshl_add_u64 v[44:45], v[10:11], 1, v[8:9]
	v_add_nc_u32_e32 v10, 0x400, v4
	v_dual_mov_b32 v3, v11 :: v_dual_add_nc_u32 v22, 0x400, v6
	v_dual_mov_b32 v29, v11 :: v_dual_add_nc_u32 v26, 0x800, v7
	s_wait_xcnt 0x2
	s_delay_alu instid0(VALU_DEP_3)
	v_lshl_add_u64 v[38:39], v[10:11], 1, v[8:9]
	v_add_nc_u32_e32 v10, 0x800, v4
	v_dual_mov_b32 v27, v11 :: v_dual_add_nc_u32 v28, 0x800, v6
	v_cmp_eq_u32_e32 vcc_lo, 0, v15
	v_lshl_add_u64 v[24:25], v[24:25], 1, v[8:9]
	s_wait_dscnt 0xc
	global_store_b16 v[44:45], v48, off
	s_wait_dscnt 0xb
	global_store_b16 v[38:39], v49, off
	s_wait_xcnt 0x0
	v_lshl_add_u64 v[38:39], v[10:11], 1, v[8:9]
	v_add_nc_u32_e32 v10, 0xc00, v4
	v_dual_mov_b32 v35, v11 :: v_dual_add_nc_u32 v32, 0xc00, v7
	v_dual_mov_b32 v33, v11 :: v_dual_add_nc_u32 v34, 0xc00, v6
	v_lshl_add_u64 v[22:23], v[22:23], 1, v[8:9]
	v_add_nc_u32_e32 v6, 0x1000, v6
	v_add_nc_u32_e32 v7, 0x1000, v7
	;; [unrolled: 1-line block ×3, first 2 shown]
	v_lshl_add_u64 v[2:3], v[2:3], 1, v[8:9]
	v_lshl_add_u64 v[30:31], v[30:31], 1, v[8:9]
	;; [unrolled: 1-line block ×4, first 2 shown]
	s_or_b32 s5, vcc_lo, s5
	s_wait_dscnt 0xa
	global_store_b16 v[24:25], v50, off
	s_wait_dscnt 0x9
	global_store_b16 v[22:23], v51, off
	;; [unrolled: 2-line block ×3, first 2 shown]
	s_wait_xcnt 0x0
	v_lshl_add_u64 v[2:3], v[10:11], 1, v[8:9]
	v_lshl_add_u64 v[36:37], v[36:37], 1, v[8:9]
	;; [unrolled: 1-line block ×4, first 2 shown]
	s_wait_dscnt 0x7
	global_store_b16 v[38:39], v53, off
	s_wait_dscnt 0x6
	global_store_b16 v[30:31], v54, off
	;; [unrolled: 2-line block ×8, first 2 shown]
	s_wait_xcnt 0x0
	s_and_not1_b32 exec_lo, exec_lo, s5
	s_cbranch_execnz .LBB572_257
; %bb.258:
	s_or_b32 exec_lo, exec_lo, s5
.LBB572_259:
	s_delay_alu instid0(SALU_CYCLE_1) | instskip(SKIP_3) | instid1(VALU_DEP_1)
	s_or_b32 exec_lo, exec_lo, s4
	v_and_b32_e32 v1, 3, v14
	s_mov_b32 s5, 0
	s_mov_b32 s4, exec_lo
	v_cmpx_ne_u32_e32 0, v1
	s_cbranch_execz .LBB572_262
; %bb.260:
	v_lshl_or_b32 v10, v19, 9, v13
	v_mov_b32_e32 v3, 0
.LBB572_261:                            ; =>This Inner Loop Header: Depth=1
	v_dual_mov_b32 v2, v4 :: v_dual_add_nc_u32 v1, -1, v1
	ds_load_u16 v11, v10
	ds_load_u16 v13, v10 offset:512
	ds_load_u16 v17, v10 offset:1024
	;; [unrolled: 1-line block ×3, first 2 shown]
	v_add_nc_u32_e32 v4, 0x400, v4
	v_add_nc_u32_e32 v10, 0x800, v10
	v_lshl_add_u64 v[14:15], v[2:3], 1, v[8:9]
	v_dual_mov_b32 v2, v5 :: v_dual_add_nc_u32 v5, 0x400, v5
	v_cmp_eq_u32_e32 vcc_lo, 0, v1
	s_delay_alu instid0(VALU_DEP_2) | instskip(SKIP_3) | instid1(VALU_DEP_2)
	v_lshl_add_u64 v[22:23], v[2:3], 1, v[8:9]
	v_mov_b32_e32 v2, v6
	v_add_nc_u32_e32 v6, 0x400, v6
	s_or_b32 s5, vcc_lo, s5
	v_lshl_add_u64 v[24:25], v[2:3], 1, v[8:9]
	v_dual_mov_b32 v2, v7 :: v_dual_add_nc_u32 v7, 0x400, v7
	s_delay_alu instid0(VALU_DEP_1)
	v_lshl_add_u64 v[26:27], v[2:3], 1, v[8:9]
	s_wait_dscnt 0x3
	global_store_b16 v[14:15], v11, off
	s_wait_dscnt 0x2
	global_store_b16 v[22:23], v13, off
	;; [unrolled: 2-line block ×4, first 2 shown]
	s_wait_xcnt 0x0
	s_and_not1_b32 exec_lo, exec_lo, s5
	s_cbranch_execnz .LBB572_261
.LBB572_262:
	s_or_b32 exec_lo, exec_lo, s4
	v_add_nc_u32_e32 v1, 1, v12
	s_delay_alu instid0(VALU_DEP_1) | instskip(NEXT) | instid1(VALU_DEP_1)
	v_and_b32_e32 v2, 0x1fffffc, v1
	v_cmp_ne_u32_e32 vcc_lo, v1, v2
	v_lshl_or_b32 v0, v2, 8, v0
	s_or_not1_b32 s4, vcc_lo, exec_lo
.LBB572_263:
	s_or_b32 exec_lo, exec_lo, s3
	s_delay_alu instid0(SALU_CYCLE_1) | instskip(SKIP_1) | instid1(SALU_CYCLE_1)
	s_and_not1_b32 s0, s0, exec_lo
	s_and_b32 s3, s4, exec_lo
	s_or_b32 s0, s0, s3
.LBB572_264:
	s_or_b32 exec_lo, exec_lo, s1
	s_and_saveexec_b32 s1, s0
	s_cbranch_execz .LBB572_267
; %bb.265:
	v_lshlrev_b32_e32 v1, 1, v0
	s_mov_b32 s0, 0
.LBB572_266:                            ; =>This Inner Loop Header: Depth=1
	ds_load_u16 v2, v1
	v_readfirstlane_b32 s4, v8
	v_readfirstlane_b32 s5, v9
	v_add_nc_u32_e32 v1, 0x200, v1
	s_wait_dscnt 0x0
	global_store_b16 v0, v2, s[4:5] scale_offset
	s_wait_xcnt 0x0
	v_add_nc_u32_e32 v0, 0x100, v0
	s_delay_alu instid0(VALU_DEP_1) | instskip(SKIP_1) | instid1(SALU_CYCLE_1)
	v_cmp_ge_u32_e32 vcc_lo, v0, v16
	s_or_b32 s0, vcc_lo, s0
	s_and_not1_b32 exec_lo, exec_lo, s0
	s_cbranch_execnz .LBB572_266
.LBB572_267:
	s_or_b32 exec_lo, exec_lo, s1
	s_and_b32 s0, s2, s31
	s_delay_alu instid0(SALU_CYCLE_1)
	s_and_saveexec_b32 s1, s0
	s_cbranch_execz .LBB572_131
.LBB572_268:
	v_mov_b32_e32 v17, 0
	s_delay_alu instid0(VALU_DEP_1) | instskip(SKIP_1) | instid1(VALU_DEP_1)
	v_add_nc_u64_e32 v[0:1], v[20:21], v[16:17]
	v_mov_b32_e32 v19, v17
	v_add_nc_u64_e32 v[0:1], v[0:1], v[18:19]
	global_store_b64 v17, v[0:1], s[36:37]
	s_sendmsg sendmsg(MSG_DEALLOC_VGPRS)
	s_endpgm
	.section	.rodata,"a",@progbits
	.p2align	6, 0x0
	.amdhsa_kernel _ZN7rocprim17ROCPRIM_400000_NS6detail17trampoline_kernelINS0_14default_configENS1_25partition_config_selectorILNS1_17partition_subalgoE8EsNS0_10empty_typeEbEEZZNS1_14partition_implILS5_8ELb0ES3_jPKsPS6_PKS6_NS0_5tupleIJPsS6_EEENSE_IJSB_SB_EEENS0_18inequality_wrapperIN6hipcub16HIPCUB_304000_NS8EqualityEEEPlJS6_EEE10hipError_tPvRmT3_T4_T5_T6_T7_T9_mT8_P12ihipStream_tbDpT10_ENKUlT_T0_E_clISt17integral_constantIbLb0EES16_IbLb1EEEEDaS12_S13_EUlS12_E_NS1_11comp_targetILNS1_3genE0ELNS1_11target_archE4294967295ELNS1_3gpuE0ELNS1_3repE0EEENS1_30default_config_static_selectorELNS0_4arch9wavefront6targetE0EEEvT1_
		.amdhsa_group_segment_fixed_size 15368
		.amdhsa_private_segment_fixed_size 0
		.amdhsa_kernarg_size 128
		.amdhsa_user_sgpr_count 2
		.amdhsa_user_sgpr_dispatch_ptr 0
		.amdhsa_user_sgpr_queue_ptr 0
		.amdhsa_user_sgpr_kernarg_segment_ptr 1
		.amdhsa_user_sgpr_dispatch_id 0
		.amdhsa_user_sgpr_kernarg_preload_length 0
		.amdhsa_user_sgpr_kernarg_preload_offset 0
		.amdhsa_user_sgpr_private_segment_size 0
		.amdhsa_wavefront_size32 1
		.amdhsa_uses_dynamic_stack 0
		.amdhsa_enable_private_segment 0
		.amdhsa_system_sgpr_workgroup_id_x 1
		.amdhsa_system_sgpr_workgroup_id_y 0
		.amdhsa_system_sgpr_workgroup_id_z 0
		.amdhsa_system_sgpr_workgroup_info 0
		.amdhsa_system_vgpr_workitem_id 0
		.amdhsa_next_free_vgpr 116
		.amdhsa_next_free_sgpr 51
		.amdhsa_named_barrier_count 0
		.amdhsa_reserve_vcc 1
		.amdhsa_float_round_mode_32 0
		.amdhsa_float_round_mode_16_64 0
		.amdhsa_float_denorm_mode_32 3
		.amdhsa_float_denorm_mode_16_64 3
		.amdhsa_fp16_overflow 0
		.amdhsa_memory_ordered 1
		.amdhsa_forward_progress 1
		.amdhsa_inst_pref_size 114
		.amdhsa_round_robin_scheduling 0
		.amdhsa_exception_fp_ieee_invalid_op 0
		.amdhsa_exception_fp_denorm_src 0
		.amdhsa_exception_fp_ieee_div_zero 0
		.amdhsa_exception_fp_ieee_overflow 0
		.amdhsa_exception_fp_ieee_underflow 0
		.amdhsa_exception_fp_ieee_inexact 0
		.amdhsa_exception_int_div_zero 0
	.end_amdhsa_kernel
	.section	.text._ZN7rocprim17ROCPRIM_400000_NS6detail17trampoline_kernelINS0_14default_configENS1_25partition_config_selectorILNS1_17partition_subalgoE8EsNS0_10empty_typeEbEEZZNS1_14partition_implILS5_8ELb0ES3_jPKsPS6_PKS6_NS0_5tupleIJPsS6_EEENSE_IJSB_SB_EEENS0_18inequality_wrapperIN6hipcub16HIPCUB_304000_NS8EqualityEEEPlJS6_EEE10hipError_tPvRmT3_T4_T5_T6_T7_T9_mT8_P12ihipStream_tbDpT10_ENKUlT_T0_E_clISt17integral_constantIbLb0EES16_IbLb1EEEEDaS12_S13_EUlS12_E_NS1_11comp_targetILNS1_3genE0ELNS1_11target_archE4294967295ELNS1_3gpuE0ELNS1_3repE0EEENS1_30default_config_static_selectorELNS0_4arch9wavefront6targetE0EEEvT1_,"axG",@progbits,_ZN7rocprim17ROCPRIM_400000_NS6detail17trampoline_kernelINS0_14default_configENS1_25partition_config_selectorILNS1_17partition_subalgoE8EsNS0_10empty_typeEbEEZZNS1_14partition_implILS5_8ELb0ES3_jPKsPS6_PKS6_NS0_5tupleIJPsS6_EEENSE_IJSB_SB_EEENS0_18inequality_wrapperIN6hipcub16HIPCUB_304000_NS8EqualityEEEPlJS6_EEE10hipError_tPvRmT3_T4_T5_T6_T7_T9_mT8_P12ihipStream_tbDpT10_ENKUlT_T0_E_clISt17integral_constantIbLb0EES16_IbLb1EEEEDaS12_S13_EUlS12_E_NS1_11comp_targetILNS1_3genE0ELNS1_11target_archE4294967295ELNS1_3gpuE0ELNS1_3repE0EEENS1_30default_config_static_selectorELNS0_4arch9wavefront6targetE0EEEvT1_,comdat
.Lfunc_end572:
	.size	_ZN7rocprim17ROCPRIM_400000_NS6detail17trampoline_kernelINS0_14default_configENS1_25partition_config_selectorILNS1_17partition_subalgoE8EsNS0_10empty_typeEbEEZZNS1_14partition_implILS5_8ELb0ES3_jPKsPS6_PKS6_NS0_5tupleIJPsS6_EEENSE_IJSB_SB_EEENS0_18inequality_wrapperIN6hipcub16HIPCUB_304000_NS8EqualityEEEPlJS6_EEE10hipError_tPvRmT3_T4_T5_T6_T7_T9_mT8_P12ihipStream_tbDpT10_ENKUlT_T0_E_clISt17integral_constantIbLb0EES16_IbLb1EEEEDaS12_S13_EUlS12_E_NS1_11comp_targetILNS1_3genE0ELNS1_11target_archE4294967295ELNS1_3gpuE0ELNS1_3repE0EEENS1_30default_config_static_selectorELNS0_4arch9wavefront6targetE0EEEvT1_, .Lfunc_end572-_ZN7rocprim17ROCPRIM_400000_NS6detail17trampoline_kernelINS0_14default_configENS1_25partition_config_selectorILNS1_17partition_subalgoE8EsNS0_10empty_typeEbEEZZNS1_14partition_implILS5_8ELb0ES3_jPKsPS6_PKS6_NS0_5tupleIJPsS6_EEENSE_IJSB_SB_EEENS0_18inequality_wrapperIN6hipcub16HIPCUB_304000_NS8EqualityEEEPlJS6_EEE10hipError_tPvRmT3_T4_T5_T6_T7_T9_mT8_P12ihipStream_tbDpT10_ENKUlT_T0_E_clISt17integral_constantIbLb0EES16_IbLb1EEEEDaS12_S13_EUlS12_E_NS1_11comp_targetILNS1_3genE0ELNS1_11target_archE4294967295ELNS1_3gpuE0ELNS1_3repE0EEENS1_30default_config_static_selectorELNS0_4arch9wavefront6targetE0EEEvT1_
                                        ; -- End function
	.set _ZN7rocprim17ROCPRIM_400000_NS6detail17trampoline_kernelINS0_14default_configENS1_25partition_config_selectorILNS1_17partition_subalgoE8EsNS0_10empty_typeEbEEZZNS1_14partition_implILS5_8ELb0ES3_jPKsPS6_PKS6_NS0_5tupleIJPsS6_EEENSE_IJSB_SB_EEENS0_18inequality_wrapperIN6hipcub16HIPCUB_304000_NS8EqualityEEEPlJS6_EEE10hipError_tPvRmT3_T4_T5_T6_T7_T9_mT8_P12ihipStream_tbDpT10_ENKUlT_T0_E_clISt17integral_constantIbLb0EES16_IbLb1EEEEDaS12_S13_EUlS12_E_NS1_11comp_targetILNS1_3genE0ELNS1_11target_archE4294967295ELNS1_3gpuE0ELNS1_3repE0EEENS1_30default_config_static_selectorELNS0_4arch9wavefront6targetE0EEEvT1_.num_vgpr, 116
	.set _ZN7rocprim17ROCPRIM_400000_NS6detail17trampoline_kernelINS0_14default_configENS1_25partition_config_selectorILNS1_17partition_subalgoE8EsNS0_10empty_typeEbEEZZNS1_14partition_implILS5_8ELb0ES3_jPKsPS6_PKS6_NS0_5tupleIJPsS6_EEENSE_IJSB_SB_EEENS0_18inequality_wrapperIN6hipcub16HIPCUB_304000_NS8EqualityEEEPlJS6_EEE10hipError_tPvRmT3_T4_T5_T6_T7_T9_mT8_P12ihipStream_tbDpT10_ENKUlT_T0_E_clISt17integral_constantIbLb0EES16_IbLb1EEEEDaS12_S13_EUlS12_E_NS1_11comp_targetILNS1_3genE0ELNS1_11target_archE4294967295ELNS1_3gpuE0ELNS1_3repE0EEENS1_30default_config_static_selectorELNS0_4arch9wavefront6targetE0EEEvT1_.num_agpr, 0
	.set _ZN7rocprim17ROCPRIM_400000_NS6detail17trampoline_kernelINS0_14default_configENS1_25partition_config_selectorILNS1_17partition_subalgoE8EsNS0_10empty_typeEbEEZZNS1_14partition_implILS5_8ELb0ES3_jPKsPS6_PKS6_NS0_5tupleIJPsS6_EEENSE_IJSB_SB_EEENS0_18inequality_wrapperIN6hipcub16HIPCUB_304000_NS8EqualityEEEPlJS6_EEE10hipError_tPvRmT3_T4_T5_T6_T7_T9_mT8_P12ihipStream_tbDpT10_ENKUlT_T0_E_clISt17integral_constantIbLb0EES16_IbLb1EEEEDaS12_S13_EUlS12_E_NS1_11comp_targetILNS1_3genE0ELNS1_11target_archE4294967295ELNS1_3gpuE0ELNS1_3repE0EEENS1_30default_config_static_selectorELNS0_4arch9wavefront6targetE0EEEvT1_.numbered_sgpr, 51
	.set _ZN7rocprim17ROCPRIM_400000_NS6detail17trampoline_kernelINS0_14default_configENS1_25partition_config_selectorILNS1_17partition_subalgoE8EsNS0_10empty_typeEbEEZZNS1_14partition_implILS5_8ELb0ES3_jPKsPS6_PKS6_NS0_5tupleIJPsS6_EEENSE_IJSB_SB_EEENS0_18inequality_wrapperIN6hipcub16HIPCUB_304000_NS8EqualityEEEPlJS6_EEE10hipError_tPvRmT3_T4_T5_T6_T7_T9_mT8_P12ihipStream_tbDpT10_ENKUlT_T0_E_clISt17integral_constantIbLb0EES16_IbLb1EEEEDaS12_S13_EUlS12_E_NS1_11comp_targetILNS1_3genE0ELNS1_11target_archE4294967295ELNS1_3gpuE0ELNS1_3repE0EEENS1_30default_config_static_selectorELNS0_4arch9wavefront6targetE0EEEvT1_.num_named_barrier, 0
	.set _ZN7rocprim17ROCPRIM_400000_NS6detail17trampoline_kernelINS0_14default_configENS1_25partition_config_selectorILNS1_17partition_subalgoE8EsNS0_10empty_typeEbEEZZNS1_14partition_implILS5_8ELb0ES3_jPKsPS6_PKS6_NS0_5tupleIJPsS6_EEENSE_IJSB_SB_EEENS0_18inequality_wrapperIN6hipcub16HIPCUB_304000_NS8EqualityEEEPlJS6_EEE10hipError_tPvRmT3_T4_T5_T6_T7_T9_mT8_P12ihipStream_tbDpT10_ENKUlT_T0_E_clISt17integral_constantIbLb0EES16_IbLb1EEEEDaS12_S13_EUlS12_E_NS1_11comp_targetILNS1_3genE0ELNS1_11target_archE4294967295ELNS1_3gpuE0ELNS1_3repE0EEENS1_30default_config_static_selectorELNS0_4arch9wavefront6targetE0EEEvT1_.private_seg_size, 0
	.set _ZN7rocprim17ROCPRIM_400000_NS6detail17trampoline_kernelINS0_14default_configENS1_25partition_config_selectorILNS1_17partition_subalgoE8EsNS0_10empty_typeEbEEZZNS1_14partition_implILS5_8ELb0ES3_jPKsPS6_PKS6_NS0_5tupleIJPsS6_EEENSE_IJSB_SB_EEENS0_18inequality_wrapperIN6hipcub16HIPCUB_304000_NS8EqualityEEEPlJS6_EEE10hipError_tPvRmT3_T4_T5_T6_T7_T9_mT8_P12ihipStream_tbDpT10_ENKUlT_T0_E_clISt17integral_constantIbLb0EES16_IbLb1EEEEDaS12_S13_EUlS12_E_NS1_11comp_targetILNS1_3genE0ELNS1_11target_archE4294967295ELNS1_3gpuE0ELNS1_3repE0EEENS1_30default_config_static_selectorELNS0_4arch9wavefront6targetE0EEEvT1_.uses_vcc, 1
	.set _ZN7rocprim17ROCPRIM_400000_NS6detail17trampoline_kernelINS0_14default_configENS1_25partition_config_selectorILNS1_17partition_subalgoE8EsNS0_10empty_typeEbEEZZNS1_14partition_implILS5_8ELb0ES3_jPKsPS6_PKS6_NS0_5tupleIJPsS6_EEENSE_IJSB_SB_EEENS0_18inequality_wrapperIN6hipcub16HIPCUB_304000_NS8EqualityEEEPlJS6_EEE10hipError_tPvRmT3_T4_T5_T6_T7_T9_mT8_P12ihipStream_tbDpT10_ENKUlT_T0_E_clISt17integral_constantIbLb0EES16_IbLb1EEEEDaS12_S13_EUlS12_E_NS1_11comp_targetILNS1_3genE0ELNS1_11target_archE4294967295ELNS1_3gpuE0ELNS1_3repE0EEENS1_30default_config_static_selectorELNS0_4arch9wavefront6targetE0EEEvT1_.uses_flat_scratch, 0
	.set _ZN7rocprim17ROCPRIM_400000_NS6detail17trampoline_kernelINS0_14default_configENS1_25partition_config_selectorILNS1_17partition_subalgoE8EsNS0_10empty_typeEbEEZZNS1_14partition_implILS5_8ELb0ES3_jPKsPS6_PKS6_NS0_5tupleIJPsS6_EEENSE_IJSB_SB_EEENS0_18inequality_wrapperIN6hipcub16HIPCUB_304000_NS8EqualityEEEPlJS6_EEE10hipError_tPvRmT3_T4_T5_T6_T7_T9_mT8_P12ihipStream_tbDpT10_ENKUlT_T0_E_clISt17integral_constantIbLb0EES16_IbLb1EEEEDaS12_S13_EUlS12_E_NS1_11comp_targetILNS1_3genE0ELNS1_11target_archE4294967295ELNS1_3gpuE0ELNS1_3repE0EEENS1_30default_config_static_selectorELNS0_4arch9wavefront6targetE0EEEvT1_.has_dyn_sized_stack, 0
	.set _ZN7rocprim17ROCPRIM_400000_NS6detail17trampoline_kernelINS0_14default_configENS1_25partition_config_selectorILNS1_17partition_subalgoE8EsNS0_10empty_typeEbEEZZNS1_14partition_implILS5_8ELb0ES3_jPKsPS6_PKS6_NS0_5tupleIJPsS6_EEENSE_IJSB_SB_EEENS0_18inequality_wrapperIN6hipcub16HIPCUB_304000_NS8EqualityEEEPlJS6_EEE10hipError_tPvRmT3_T4_T5_T6_T7_T9_mT8_P12ihipStream_tbDpT10_ENKUlT_T0_E_clISt17integral_constantIbLb0EES16_IbLb1EEEEDaS12_S13_EUlS12_E_NS1_11comp_targetILNS1_3genE0ELNS1_11target_archE4294967295ELNS1_3gpuE0ELNS1_3repE0EEENS1_30default_config_static_selectorELNS0_4arch9wavefront6targetE0EEEvT1_.has_recursion, 0
	.set _ZN7rocprim17ROCPRIM_400000_NS6detail17trampoline_kernelINS0_14default_configENS1_25partition_config_selectorILNS1_17partition_subalgoE8EsNS0_10empty_typeEbEEZZNS1_14partition_implILS5_8ELb0ES3_jPKsPS6_PKS6_NS0_5tupleIJPsS6_EEENSE_IJSB_SB_EEENS0_18inequality_wrapperIN6hipcub16HIPCUB_304000_NS8EqualityEEEPlJS6_EEE10hipError_tPvRmT3_T4_T5_T6_T7_T9_mT8_P12ihipStream_tbDpT10_ENKUlT_T0_E_clISt17integral_constantIbLb0EES16_IbLb1EEEEDaS12_S13_EUlS12_E_NS1_11comp_targetILNS1_3genE0ELNS1_11target_archE4294967295ELNS1_3gpuE0ELNS1_3repE0EEENS1_30default_config_static_selectorELNS0_4arch9wavefront6targetE0EEEvT1_.has_indirect_call, 0
	.section	.AMDGPU.csdata,"",@progbits
; Kernel info:
; codeLenInByte = 14516
; TotalNumSgprs: 53
; NumVgprs: 116
; ScratchSize: 0
; MemoryBound: 0
; FloatMode: 240
; IeeeMode: 1
; LDSByteSize: 15368 bytes/workgroup (compile time only)
; SGPRBlocks: 0
; VGPRBlocks: 7
; NumSGPRsForWavesPerEU: 53
; NumVGPRsForWavesPerEU: 116
; NamedBarCnt: 0
; Occupancy: 8
; WaveLimiterHint : 1
; COMPUTE_PGM_RSRC2:SCRATCH_EN: 0
; COMPUTE_PGM_RSRC2:USER_SGPR: 2
; COMPUTE_PGM_RSRC2:TRAP_HANDLER: 0
; COMPUTE_PGM_RSRC2:TGID_X_EN: 1
; COMPUTE_PGM_RSRC2:TGID_Y_EN: 0
; COMPUTE_PGM_RSRC2:TGID_Z_EN: 0
; COMPUTE_PGM_RSRC2:TIDIG_COMP_CNT: 0
	.section	.text._ZN7rocprim17ROCPRIM_400000_NS6detail17trampoline_kernelINS0_14default_configENS1_25partition_config_selectorILNS1_17partition_subalgoE8EsNS0_10empty_typeEbEEZZNS1_14partition_implILS5_8ELb0ES3_jPKsPS6_PKS6_NS0_5tupleIJPsS6_EEENSE_IJSB_SB_EEENS0_18inequality_wrapperIN6hipcub16HIPCUB_304000_NS8EqualityEEEPlJS6_EEE10hipError_tPvRmT3_T4_T5_T6_T7_T9_mT8_P12ihipStream_tbDpT10_ENKUlT_T0_E_clISt17integral_constantIbLb0EES16_IbLb1EEEEDaS12_S13_EUlS12_E_NS1_11comp_targetILNS1_3genE5ELNS1_11target_archE942ELNS1_3gpuE9ELNS1_3repE0EEENS1_30default_config_static_selectorELNS0_4arch9wavefront6targetE0EEEvT1_,"axG",@progbits,_ZN7rocprim17ROCPRIM_400000_NS6detail17trampoline_kernelINS0_14default_configENS1_25partition_config_selectorILNS1_17partition_subalgoE8EsNS0_10empty_typeEbEEZZNS1_14partition_implILS5_8ELb0ES3_jPKsPS6_PKS6_NS0_5tupleIJPsS6_EEENSE_IJSB_SB_EEENS0_18inequality_wrapperIN6hipcub16HIPCUB_304000_NS8EqualityEEEPlJS6_EEE10hipError_tPvRmT3_T4_T5_T6_T7_T9_mT8_P12ihipStream_tbDpT10_ENKUlT_T0_E_clISt17integral_constantIbLb0EES16_IbLb1EEEEDaS12_S13_EUlS12_E_NS1_11comp_targetILNS1_3genE5ELNS1_11target_archE942ELNS1_3gpuE9ELNS1_3repE0EEENS1_30default_config_static_selectorELNS0_4arch9wavefront6targetE0EEEvT1_,comdat
	.protected	_ZN7rocprim17ROCPRIM_400000_NS6detail17trampoline_kernelINS0_14default_configENS1_25partition_config_selectorILNS1_17partition_subalgoE8EsNS0_10empty_typeEbEEZZNS1_14partition_implILS5_8ELb0ES3_jPKsPS6_PKS6_NS0_5tupleIJPsS6_EEENSE_IJSB_SB_EEENS0_18inequality_wrapperIN6hipcub16HIPCUB_304000_NS8EqualityEEEPlJS6_EEE10hipError_tPvRmT3_T4_T5_T6_T7_T9_mT8_P12ihipStream_tbDpT10_ENKUlT_T0_E_clISt17integral_constantIbLb0EES16_IbLb1EEEEDaS12_S13_EUlS12_E_NS1_11comp_targetILNS1_3genE5ELNS1_11target_archE942ELNS1_3gpuE9ELNS1_3repE0EEENS1_30default_config_static_selectorELNS0_4arch9wavefront6targetE0EEEvT1_ ; -- Begin function _ZN7rocprim17ROCPRIM_400000_NS6detail17trampoline_kernelINS0_14default_configENS1_25partition_config_selectorILNS1_17partition_subalgoE8EsNS0_10empty_typeEbEEZZNS1_14partition_implILS5_8ELb0ES3_jPKsPS6_PKS6_NS0_5tupleIJPsS6_EEENSE_IJSB_SB_EEENS0_18inequality_wrapperIN6hipcub16HIPCUB_304000_NS8EqualityEEEPlJS6_EEE10hipError_tPvRmT3_T4_T5_T6_T7_T9_mT8_P12ihipStream_tbDpT10_ENKUlT_T0_E_clISt17integral_constantIbLb0EES16_IbLb1EEEEDaS12_S13_EUlS12_E_NS1_11comp_targetILNS1_3genE5ELNS1_11target_archE942ELNS1_3gpuE9ELNS1_3repE0EEENS1_30default_config_static_selectorELNS0_4arch9wavefront6targetE0EEEvT1_
	.globl	_ZN7rocprim17ROCPRIM_400000_NS6detail17trampoline_kernelINS0_14default_configENS1_25partition_config_selectorILNS1_17partition_subalgoE8EsNS0_10empty_typeEbEEZZNS1_14partition_implILS5_8ELb0ES3_jPKsPS6_PKS6_NS0_5tupleIJPsS6_EEENSE_IJSB_SB_EEENS0_18inequality_wrapperIN6hipcub16HIPCUB_304000_NS8EqualityEEEPlJS6_EEE10hipError_tPvRmT3_T4_T5_T6_T7_T9_mT8_P12ihipStream_tbDpT10_ENKUlT_T0_E_clISt17integral_constantIbLb0EES16_IbLb1EEEEDaS12_S13_EUlS12_E_NS1_11comp_targetILNS1_3genE5ELNS1_11target_archE942ELNS1_3gpuE9ELNS1_3repE0EEENS1_30default_config_static_selectorELNS0_4arch9wavefront6targetE0EEEvT1_
	.p2align	8
	.type	_ZN7rocprim17ROCPRIM_400000_NS6detail17trampoline_kernelINS0_14default_configENS1_25partition_config_selectorILNS1_17partition_subalgoE8EsNS0_10empty_typeEbEEZZNS1_14partition_implILS5_8ELb0ES3_jPKsPS6_PKS6_NS0_5tupleIJPsS6_EEENSE_IJSB_SB_EEENS0_18inequality_wrapperIN6hipcub16HIPCUB_304000_NS8EqualityEEEPlJS6_EEE10hipError_tPvRmT3_T4_T5_T6_T7_T9_mT8_P12ihipStream_tbDpT10_ENKUlT_T0_E_clISt17integral_constantIbLb0EES16_IbLb1EEEEDaS12_S13_EUlS12_E_NS1_11comp_targetILNS1_3genE5ELNS1_11target_archE942ELNS1_3gpuE9ELNS1_3repE0EEENS1_30default_config_static_selectorELNS0_4arch9wavefront6targetE0EEEvT1_,@function
_ZN7rocprim17ROCPRIM_400000_NS6detail17trampoline_kernelINS0_14default_configENS1_25partition_config_selectorILNS1_17partition_subalgoE8EsNS0_10empty_typeEbEEZZNS1_14partition_implILS5_8ELb0ES3_jPKsPS6_PKS6_NS0_5tupleIJPsS6_EEENSE_IJSB_SB_EEENS0_18inequality_wrapperIN6hipcub16HIPCUB_304000_NS8EqualityEEEPlJS6_EEE10hipError_tPvRmT3_T4_T5_T6_T7_T9_mT8_P12ihipStream_tbDpT10_ENKUlT_T0_E_clISt17integral_constantIbLb0EES16_IbLb1EEEEDaS12_S13_EUlS12_E_NS1_11comp_targetILNS1_3genE5ELNS1_11target_archE942ELNS1_3gpuE9ELNS1_3repE0EEENS1_30default_config_static_selectorELNS0_4arch9wavefront6targetE0EEEvT1_: ; @_ZN7rocprim17ROCPRIM_400000_NS6detail17trampoline_kernelINS0_14default_configENS1_25partition_config_selectorILNS1_17partition_subalgoE8EsNS0_10empty_typeEbEEZZNS1_14partition_implILS5_8ELb0ES3_jPKsPS6_PKS6_NS0_5tupleIJPsS6_EEENSE_IJSB_SB_EEENS0_18inequality_wrapperIN6hipcub16HIPCUB_304000_NS8EqualityEEEPlJS6_EEE10hipError_tPvRmT3_T4_T5_T6_T7_T9_mT8_P12ihipStream_tbDpT10_ENKUlT_T0_E_clISt17integral_constantIbLb0EES16_IbLb1EEEEDaS12_S13_EUlS12_E_NS1_11comp_targetILNS1_3genE5ELNS1_11target_archE942ELNS1_3gpuE9ELNS1_3repE0EEENS1_30default_config_static_selectorELNS0_4arch9wavefront6targetE0EEEvT1_
; %bb.0:
	.section	.rodata,"a",@progbits
	.p2align	6, 0x0
	.amdhsa_kernel _ZN7rocprim17ROCPRIM_400000_NS6detail17trampoline_kernelINS0_14default_configENS1_25partition_config_selectorILNS1_17partition_subalgoE8EsNS0_10empty_typeEbEEZZNS1_14partition_implILS5_8ELb0ES3_jPKsPS6_PKS6_NS0_5tupleIJPsS6_EEENSE_IJSB_SB_EEENS0_18inequality_wrapperIN6hipcub16HIPCUB_304000_NS8EqualityEEEPlJS6_EEE10hipError_tPvRmT3_T4_T5_T6_T7_T9_mT8_P12ihipStream_tbDpT10_ENKUlT_T0_E_clISt17integral_constantIbLb0EES16_IbLb1EEEEDaS12_S13_EUlS12_E_NS1_11comp_targetILNS1_3genE5ELNS1_11target_archE942ELNS1_3gpuE9ELNS1_3repE0EEENS1_30default_config_static_selectorELNS0_4arch9wavefront6targetE0EEEvT1_
		.amdhsa_group_segment_fixed_size 0
		.amdhsa_private_segment_fixed_size 0
		.amdhsa_kernarg_size 128
		.amdhsa_user_sgpr_count 2
		.amdhsa_user_sgpr_dispatch_ptr 0
		.amdhsa_user_sgpr_queue_ptr 0
		.amdhsa_user_sgpr_kernarg_segment_ptr 1
		.amdhsa_user_sgpr_dispatch_id 0
		.amdhsa_user_sgpr_kernarg_preload_length 0
		.amdhsa_user_sgpr_kernarg_preload_offset 0
		.amdhsa_user_sgpr_private_segment_size 0
		.amdhsa_wavefront_size32 1
		.amdhsa_uses_dynamic_stack 0
		.amdhsa_enable_private_segment 0
		.amdhsa_system_sgpr_workgroup_id_x 1
		.amdhsa_system_sgpr_workgroup_id_y 0
		.amdhsa_system_sgpr_workgroup_id_z 0
		.amdhsa_system_sgpr_workgroup_info 0
		.amdhsa_system_vgpr_workitem_id 0
		.amdhsa_next_free_vgpr 1
		.amdhsa_next_free_sgpr 1
		.amdhsa_named_barrier_count 0
		.amdhsa_reserve_vcc 0
		.amdhsa_float_round_mode_32 0
		.amdhsa_float_round_mode_16_64 0
		.amdhsa_float_denorm_mode_32 3
		.amdhsa_float_denorm_mode_16_64 3
		.amdhsa_fp16_overflow 0
		.amdhsa_memory_ordered 1
		.amdhsa_forward_progress 1
		.amdhsa_inst_pref_size 0
		.amdhsa_round_robin_scheduling 0
		.amdhsa_exception_fp_ieee_invalid_op 0
		.amdhsa_exception_fp_denorm_src 0
		.amdhsa_exception_fp_ieee_div_zero 0
		.amdhsa_exception_fp_ieee_overflow 0
		.amdhsa_exception_fp_ieee_underflow 0
		.amdhsa_exception_fp_ieee_inexact 0
		.amdhsa_exception_int_div_zero 0
	.end_amdhsa_kernel
	.section	.text._ZN7rocprim17ROCPRIM_400000_NS6detail17trampoline_kernelINS0_14default_configENS1_25partition_config_selectorILNS1_17partition_subalgoE8EsNS0_10empty_typeEbEEZZNS1_14partition_implILS5_8ELb0ES3_jPKsPS6_PKS6_NS0_5tupleIJPsS6_EEENSE_IJSB_SB_EEENS0_18inequality_wrapperIN6hipcub16HIPCUB_304000_NS8EqualityEEEPlJS6_EEE10hipError_tPvRmT3_T4_T5_T6_T7_T9_mT8_P12ihipStream_tbDpT10_ENKUlT_T0_E_clISt17integral_constantIbLb0EES16_IbLb1EEEEDaS12_S13_EUlS12_E_NS1_11comp_targetILNS1_3genE5ELNS1_11target_archE942ELNS1_3gpuE9ELNS1_3repE0EEENS1_30default_config_static_selectorELNS0_4arch9wavefront6targetE0EEEvT1_,"axG",@progbits,_ZN7rocprim17ROCPRIM_400000_NS6detail17trampoline_kernelINS0_14default_configENS1_25partition_config_selectorILNS1_17partition_subalgoE8EsNS0_10empty_typeEbEEZZNS1_14partition_implILS5_8ELb0ES3_jPKsPS6_PKS6_NS0_5tupleIJPsS6_EEENSE_IJSB_SB_EEENS0_18inequality_wrapperIN6hipcub16HIPCUB_304000_NS8EqualityEEEPlJS6_EEE10hipError_tPvRmT3_T4_T5_T6_T7_T9_mT8_P12ihipStream_tbDpT10_ENKUlT_T0_E_clISt17integral_constantIbLb0EES16_IbLb1EEEEDaS12_S13_EUlS12_E_NS1_11comp_targetILNS1_3genE5ELNS1_11target_archE942ELNS1_3gpuE9ELNS1_3repE0EEENS1_30default_config_static_selectorELNS0_4arch9wavefront6targetE0EEEvT1_,comdat
.Lfunc_end573:
	.size	_ZN7rocprim17ROCPRIM_400000_NS6detail17trampoline_kernelINS0_14default_configENS1_25partition_config_selectorILNS1_17partition_subalgoE8EsNS0_10empty_typeEbEEZZNS1_14partition_implILS5_8ELb0ES3_jPKsPS6_PKS6_NS0_5tupleIJPsS6_EEENSE_IJSB_SB_EEENS0_18inequality_wrapperIN6hipcub16HIPCUB_304000_NS8EqualityEEEPlJS6_EEE10hipError_tPvRmT3_T4_T5_T6_T7_T9_mT8_P12ihipStream_tbDpT10_ENKUlT_T0_E_clISt17integral_constantIbLb0EES16_IbLb1EEEEDaS12_S13_EUlS12_E_NS1_11comp_targetILNS1_3genE5ELNS1_11target_archE942ELNS1_3gpuE9ELNS1_3repE0EEENS1_30default_config_static_selectorELNS0_4arch9wavefront6targetE0EEEvT1_, .Lfunc_end573-_ZN7rocprim17ROCPRIM_400000_NS6detail17trampoline_kernelINS0_14default_configENS1_25partition_config_selectorILNS1_17partition_subalgoE8EsNS0_10empty_typeEbEEZZNS1_14partition_implILS5_8ELb0ES3_jPKsPS6_PKS6_NS0_5tupleIJPsS6_EEENSE_IJSB_SB_EEENS0_18inequality_wrapperIN6hipcub16HIPCUB_304000_NS8EqualityEEEPlJS6_EEE10hipError_tPvRmT3_T4_T5_T6_T7_T9_mT8_P12ihipStream_tbDpT10_ENKUlT_T0_E_clISt17integral_constantIbLb0EES16_IbLb1EEEEDaS12_S13_EUlS12_E_NS1_11comp_targetILNS1_3genE5ELNS1_11target_archE942ELNS1_3gpuE9ELNS1_3repE0EEENS1_30default_config_static_selectorELNS0_4arch9wavefront6targetE0EEEvT1_
                                        ; -- End function
	.set _ZN7rocprim17ROCPRIM_400000_NS6detail17trampoline_kernelINS0_14default_configENS1_25partition_config_selectorILNS1_17partition_subalgoE8EsNS0_10empty_typeEbEEZZNS1_14partition_implILS5_8ELb0ES3_jPKsPS6_PKS6_NS0_5tupleIJPsS6_EEENSE_IJSB_SB_EEENS0_18inequality_wrapperIN6hipcub16HIPCUB_304000_NS8EqualityEEEPlJS6_EEE10hipError_tPvRmT3_T4_T5_T6_T7_T9_mT8_P12ihipStream_tbDpT10_ENKUlT_T0_E_clISt17integral_constantIbLb0EES16_IbLb1EEEEDaS12_S13_EUlS12_E_NS1_11comp_targetILNS1_3genE5ELNS1_11target_archE942ELNS1_3gpuE9ELNS1_3repE0EEENS1_30default_config_static_selectorELNS0_4arch9wavefront6targetE0EEEvT1_.num_vgpr, 0
	.set _ZN7rocprim17ROCPRIM_400000_NS6detail17trampoline_kernelINS0_14default_configENS1_25partition_config_selectorILNS1_17partition_subalgoE8EsNS0_10empty_typeEbEEZZNS1_14partition_implILS5_8ELb0ES3_jPKsPS6_PKS6_NS0_5tupleIJPsS6_EEENSE_IJSB_SB_EEENS0_18inequality_wrapperIN6hipcub16HIPCUB_304000_NS8EqualityEEEPlJS6_EEE10hipError_tPvRmT3_T4_T5_T6_T7_T9_mT8_P12ihipStream_tbDpT10_ENKUlT_T0_E_clISt17integral_constantIbLb0EES16_IbLb1EEEEDaS12_S13_EUlS12_E_NS1_11comp_targetILNS1_3genE5ELNS1_11target_archE942ELNS1_3gpuE9ELNS1_3repE0EEENS1_30default_config_static_selectorELNS0_4arch9wavefront6targetE0EEEvT1_.num_agpr, 0
	.set _ZN7rocprim17ROCPRIM_400000_NS6detail17trampoline_kernelINS0_14default_configENS1_25partition_config_selectorILNS1_17partition_subalgoE8EsNS0_10empty_typeEbEEZZNS1_14partition_implILS5_8ELb0ES3_jPKsPS6_PKS6_NS0_5tupleIJPsS6_EEENSE_IJSB_SB_EEENS0_18inequality_wrapperIN6hipcub16HIPCUB_304000_NS8EqualityEEEPlJS6_EEE10hipError_tPvRmT3_T4_T5_T6_T7_T9_mT8_P12ihipStream_tbDpT10_ENKUlT_T0_E_clISt17integral_constantIbLb0EES16_IbLb1EEEEDaS12_S13_EUlS12_E_NS1_11comp_targetILNS1_3genE5ELNS1_11target_archE942ELNS1_3gpuE9ELNS1_3repE0EEENS1_30default_config_static_selectorELNS0_4arch9wavefront6targetE0EEEvT1_.numbered_sgpr, 0
	.set _ZN7rocprim17ROCPRIM_400000_NS6detail17trampoline_kernelINS0_14default_configENS1_25partition_config_selectorILNS1_17partition_subalgoE8EsNS0_10empty_typeEbEEZZNS1_14partition_implILS5_8ELb0ES3_jPKsPS6_PKS6_NS0_5tupleIJPsS6_EEENSE_IJSB_SB_EEENS0_18inequality_wrapperIN6hipcub16HIPCUB_304000_NS8EqualityEEEPlJS6_EEE10hipError_tPvRmT3_T4_T5_T6_T7_T9_mT8_P12ihipStream_tbDpT10_ENKUlT_T0_E_clISt17integral_constantIbLb0EES16_IbLb1EEEEDaS12_S13_EUlS12_E_NS1_11comp_targetILNS1_3genE5ELNS1_11target_archE942ELNS1_3gpuE9ELNS1_3repE0EEENS1_30default_config_static_selectorELNS0_4arch9wavefront6targetE0EEEvT1_.num_named_barrier, 0
	.set _ZN7rocprim17ROCPRIM_400000_NS6detail17trampoline_kernelINS0_14default_configENS1_25partition_config_selectorILNS1_17partition_subalgoE8EsNS0_10empty_typeEbEEZZNS1_14partition_implILS5_8ELb0ES3_jPKsPS6_PKS6_NS0_5tupleIJPsS6_EEENSE_IJSB_SB_EEENS0_18inequality_wrapperIN6hipcub16HIPCUB_304000_NS8EqualityEEEPlJS6_EEE10hipError_tPvRmT3_T4_T5_T6_T7_T9_mT8_P12ihipStream_tbDpT10_ENKUlT_T0_E_clISt17integral_constantIbLb0EES16_IbLb1EEEEDaS12_S13_EUlS12_E_NS1_11comp_targetILNS1_3genE5ELNS1_11target_archE942ELNS1_3gpuE9ELNS1_3repE0EEENS1_30default_config_static_selectorELNS0_4arch9wavefront6targetE0EEEvT1_.private_seg_size, 0
	.set _ZN7rocprim17ROCPRIM_400000_NS6detail17trampoline_kernelINS0_14default_configENS1_25partition_config_selectorILNS1_17partition_subalgoE8EsNS0_10empty_typeEbEEZZNS1_14partition_implILS5_8ELb0ES3_jPKsPS6_PKS6_NS0_5tupleIJPsS6_EEENSE_IJSB_SB_EEENS0_18inequality_wrapperIN6hipcub16HIPCUB_304000_NS8EqualityEEEPlJS6_EEE10hipError_tPvRmT3_T4_T5_T6_T7_T9_mT8_P12ihipStream_tbDpT10_ENKUlT_T0_E_clISt17integral_constantIbLb0EES16_IbLb1EEEEDaS12_S13_EUlS12_E_NS1_11comp_targetILNS1_3genE5ELNS1_11target_archE942ELNS1_3gpuE9ELNS1_3repE0EEENS1_30default_config_static_selectorELNS0_4arch9wavefront6targetE0EEEvT1_.uses_vcc, 0
	.set _ZN7rocprim17ROCPRIM_400000_NS6detail17trampoline_kernelINS0_14default_configENS1_25partition_config_selectorILNS1_17partition_subalgoE8EsNS0_10empty_typeEbEEZZNS1_14partition_implILS5_8ELb0ES3_jPKsPS6_PKS6_NS0_5tupleIJPsS6_EEENSE_IJSB_SB_EEENS0_18inequality_wrapperIN6hipcub16HIPCUB_304000_NS8EqualityEEEPlJS6_EEE10hipError_tPvRmT3_T4_T5_T6_T7_T9_mT8_P12ihipStream_tbDpT10_ENKUlT_T0_E_clISt17integral_constantIbLb0EES16_IbLb1EEEEDaS12_S13_EUlS12_E_NS1_11comp_targetILNS1_3genE5ELNS1_11target_archE942ELNS1_3gpuE9ELNS1_3repE0EEENS1_30default_config_static_selectorELNS0_4arch9wavefront6targetE0EEEvT1_.uses_flat_scratch, 0
	.set _ZN7rocprim17ROCPRIM_400000_NS6detail17trampoline_kernelINS0_14default_configENS1_25partition_config_selectorILNS1_17partition_subalgoE8EsNS0_10empty_typeEbEEZZNS1_14partition_implILS5_8ELb0ES3_jPKsPS6_PKS6_NS0_5tupleIJPsS6_EEENSE_IJSB_SB_EEENS0_18inequality_wrapperIN6hipcub16HIPCUB_304000_NS8EqualityEEEPlJS6_EEE10hipError_tPvRmT3_T4_T5_T6_T7_T9_mT8_P12ihipStream_tbDpT10_ENKUlT_T0_E_clISt17integral_constantIbLb0EES16_IbLb1EEEEDaS12_S13_EUlS12_E_NS1_11comp_targetILNS1_3genE5ELNS1_11target_archE942ELNS1_3gpuE9ELNS1_3repE0EEENS1_30default_config_static_selectorELNS0_4arch9wavefront6targetE0EEEvT1_.has_dyn_sized_stack, 0
	.set _ZN7rocprim17ROCPRIM_400000_NS6detail17trampoline_kernelINS0_14default_configENS1_25partition_config_selectorILNS1_17partition_subalgoE8EsNS0_10empty_typeEbEEZZNS1_14partition_implILS5_8ELb0ES3_jPKsPS6_PKS6_NS0_5tupleIJPsS6_EEENSE_IJSB_SB_EEENS0_18inequality_wrapperIN6hipcub16HIPCUB_304000_NS8EqualityEEEPlJS6_EEE10hipError_tPvRmT3_T4_T5_T6_T7_T9_mT8_P12ihipStream_tbDpT10_ENKUlT_T0_E_clISt17integral_constantIbLb0EES16_IbLb1EEEEDaS12_S13_EUlS12_E_NS1_11comp_targetILNS1_3genE5ELNS1_11target_archE942ELNS1_3gpuE9ELNS1_3repE0EEENS1_30default_config_static_selectorELNS0_4arch9wavefront6targetE0EEEvT1_.has_recursion, 0
	.set _ZN7rocprim17ROCPRIM_400000_NS6detail17trampoline_kernelINS0_14default_configENS1_25partition_config_selectorILNS1_17partition_subalgoE8EsNS0_10empty_typeEbEEZZNS1_14partition_implILS5_8ELb0ES3_jPKsPS6_PKS6_NS0_5tupleIJPsS6_EEENSE_IJSB_SB_EEENS0_18inequality_wrapperIN6hipcub16HIPCUB_304000_NS8EqualityEEEPlJS6_EEE10hipError_tPvRmT3_T4_T5_T6_T7_T9_mT8_P12ihipStream_tbDpT10_ENKUlT_T0_E_clISt17integral_constantIbLb0EES16_IbLb1EEEEDaS12_S13_EUlS12_E_NS1_11comp_targetILNS1_3genE5ELNS1_11target_archE942ELNS1_3gpuE9ELNS1_3repE0EEENS1_30default_config_static_selectorELNS0_4arch9wavefront6targetE0EEEvT1_.has_indirect_call, 0
	.section	.AMDGPU.csdata,"",@progbits
; Kernel info:
; codeLenInByte = 0
; TotalNumSgprs: 0
; NumVgprs: 0
; ScratchSize: 0
; MemoryBound: 0
; FloatMode: 240
; IeeeMode: 1
; LDSByteSize: 0 bytes/workgroup (compile time only)
; SGPRBlocks: 0
; VGPRBlocks: 0
; NumSGPRsForWavesPerEU: 1
; NumVGPRsForWavesPerEU: 1
; NamedBarCnt: 0
; Occupancy: 16
; WaveLimiterHint : 0
; COMPUTE_PGM_RSRC2:SCRATCH_EN: 0
; COMPUTE_PGM_RSRC2:USER_SGPR: 2
; COMPUTE_PGM_RSRC2:TRAP_HANDLER: 0
; COMPUTE_PGM_RSRC2:TGID_X_EN: 1
; COMPUTE_PGM_RSRC2:TGID_Y_EN: 0
; COMPUTE_PGM_RSRC2:TGID_Z_EN: 0
; COMPUTE_PGM_RSRC2:TIDIG_COMP_CNT: 0
	.section	.text._ZN7rocprim17ROCPRIM_400000_NS6detail17trampoline_kernelINS0_14default_configENS1_25partition_config_selectorILNS1_17partition_subalgoE8EsNS0_10empty_typeEbEEZZNS1_14partition_implILS5_8ELb0ES3_jPKsPS6_PKS6_NS0_5tupleIJPsS6_EEENSE_IJSB_SB_EEENS0_18inequality_wrapperIN6hipcub16HIPCUB_304000_NS8EqualityEEEPlJS6_EEE10hipError_tPvRmT3_T4_T5_T6_T7_T9_mT8_P12ihipStream_tbDpT10_ENKUlT_T0_E_clISt17integral_constantIbLb0EES16_IbLb1EEEEDaS12_S13_EUlS12_E_NS1_11comp_targetILNS1_3genE4ELNS1_11target_archE910ELNS1_3gpuE8ELNS1_3repE0EEENS1_30default_config_static_selectorELNS0_4arch9wavefront6targetE0EEEvT1_,"axG",@progbits,_ZN7rocprim17ROCPRIM_400000_NS6detail17trampoline_kernelINS0_14default_configENS1_25partition_config_selectorILNS1_17partition_subalgoE8EsNS0_10empty_typeEbEEZZNS1_14partition_implILS5_8ELb0ES3_jPKsPS6_PKS6_NS0_5tupleIJPsS6_EEENSE_IJSB_SB_EEENS0_18inequality_wrapperIN6hipcub16HIPCUB_304000_NS8EqualityEEEPlJS6_EEE10hipError_tPvRmT3_T4_T5_T6_T7_T9_mT8_P12ihipStream_tbDpT10_ENKUlT_T0_E_clISt17integral_constantIbLb0EES16_IbLb1EEEEDaS12_S13_EUlS12_E_NS1_11comp_targetILNS1_3genE4ELNS1_11target_archE910ELNS1_3gpuE8ELNS1_3repE0EEENS1_30default_config_static_selectorELNS0_4arch9wavefront6targetE0EEEvT1_,comdat
	.protected	_ZN7rocprim17ROCPRIM_400000_NS6detail17trampoline_kernelINS0_14default_configENS1_25partition_config_selectorILNS1_17partition_subalgoE8EsNS0_10empty_typeEbEEZZNS1_14partition_implILS5_8ELb0ES3_jPKsPS6_PKS6_NS0_5tupleIJPsS6_EEENSE_IJSB_SB_EEENS0_18inequality_wrapperIN6hipcub16HIPCUB_304000_NS8EqualityEEEPlJS6_EEE10hipError_tPvRmT3_T4_T5_T6_T7_T9_mT8_P12ihipStream_tbDpT10_ENKUlT_T0_E_clISt17integral_constantIbLb0EES16_IbLb1EEEEDaS12_S13_EUlS12_E_NS1_11comp_targetILNS1_3genE4ELNS1_11target_archE910ELNS1_3gpuE8ELNS1_3repE0EEENS1_30default_config_static_selectorELNS0_4arch9wavefront6targetE0EEEvT1_ ; -- Begin function _ZN7rocprim17ROCPRIM_400000_NS6detail17trampoline_kernelINS0_14default_configENS1_25partition_config_selectorILNS1_17partition_subalgoE8EsNS0_10empty_typeEbEEZZNS1_14partition_implILS5_8ELb0ES3_jPKsPS6_PKS6_NS0_5tupleIJPsS6_EEENSE_IJSB_SB_EEENS0_18inequality_wrapperIN6hipcub16HIPCUB_304000_NS8EqualityEEEPlJS6_EEE10hipError_tPvRmT3_T4_T5_T6_T7_T9_mT8_P12ihipStream_tbDpT10_ENKUlT_T0_E_clISt17integral_constantIbLb0EES16_IbLb1EEEEDaS12_S13_EUlS12_E_NS1_11comp_targetILNS1_3genE4ELNS1_11target_archE910ELNS1_3gpuE8ELNS1_3repE0EEENS1_30default_config_static_selectorELNS0_4arch9wavefront6targetE0EEEvT1_
	.globl	_ZN7rocprim17ROCPRIM_400000_NS6detail17trampoline_kernelINS0_14default_configENS1_25partition_config_selectorILNS1_17partition_subalgoE8EsNS0_10empty_typeEbEEZZNS1_14partition_implILS5_8ELb0ES3_jPKsPS6_PKS6_NS0_5tupleIJPsS6_EEENSE_IJSB_SB_EEENS0_18inequality_wrapperIN6hipcub16HIPCUB_304000_NS8EqualityEEEPlJS6_EEE10hipError_tPvRmT3_T4_T5_T6_T7_T9_mT8_P12ihipStream_tbDpT10_ENKUlT_T0_E_clISt17integral_constantIbLb0EES16_IbLb1EEEEDaS12_S13_EUlS12_E_NS1_11comp_targetILNS1_3genE4ELNS1_11target_archE910ELNS1_3gpuE8ELNS1_3repE0EEENS1_30default_config_static_selectorELNS0_4arch9wavefront6targetE0EEEvT1_
	.p2align	8
	.type	_ZN7rocprim17ROCPRIM_400000_NS6detail17trampoline_kernelINS0_14default_configENS1_25partition_config_selectorILNS1_17partition_subalgoE8EsNS0_10empty_typeEbEEZZNS1_14partition_implILS5_8ELb0ES3_jPKsPS6_PKS6_NS0_5tupleIJPsS6_EEENSE_IJSB_SB_EEENS0_18inequality_wrapperIN6hipcub16HIPCUB_304000_NS8EqualityEEEPlJS6_EEE10hipError_tPvRmT3_T4_T5_T6_T7_T9_mT8_P12ihipStream_tbDpT10_ENKUlT_T0_E_clISt17integral_constantIbLb0EES16_IbLb1EEEEDaS12_S13_EUlS12_E_NS1_11comp_targetILNS1_3genE4ELNS1_11target_archE910ELNS1_3gpuE8ELNS1_3repE0EEENS1_30default_config_static_selectorELNS0_4arch9wavefront6targetE0EEEvT1_,@function
_ZN7rocprim17ROCPRIM_400000_NS6detail17trampoline_kernelINS0_14default_configENS1_25partition_config_selectorILNS1_17partition_subalgoE8EsNS0_10empty_typeEbEEZZNS1_14partition_implILS5_8ELb0ES3_jPKsPS6_PKS6_NS0_5tupleIJPsS6_EEENSE_IJSB_SB_EEENS0_18inequality_wrapperIN6hipcub16HIPCUB_304000_NS8EqualityEEEPlJS6_EEE10hipError_tPvRmT3_T4_T5_T6_T7_T9_mT8_P12ihipStream_tbDpT10_ENKUlT_T0_E_clISt17integral_constantIbLb0EES16_IbLb1EEEEDaS12_S13_EUlS12_E_NS1_11comp_targetILNS1_3genE4ELNS1_11target_archE910ELNS1_3gpuE8ELNS1_3repE0EEENS1_30default_config_static_selectorELNS0_4arch9wavefront6targetE0EEEvT1_: ; @_ZN7rocprim17ROCPRIM_400000_NS6detail17trampoline_kernelINS0_14default_configENS1_25partition_config_selectorILNS1_17partition_subalgoE8EsNS0_10empty_typeEbEEZZNS1_14partition_implILS5_8ELb0ES3_jPKsPS6_PKS6_NS0_5tupleIJPsS6_EEENSE_IJSB_SB_EEENS0_18inequality_wrapperIN6hipcub16HIPCUB_304000_NS8EqualityEEEPlJS6_EEE10hipError_tPvRmT3_T4_T5_T6_T7_T9_mT8_P12ihipStream_tbDpT10_ENKUlT_T0_E_clISt17integral_constantIbLb0EES16_IbLb1EEEEDaS12_S13_EUlS12_E_NS1_11comp_targetILNS1_3genE4ELNS1_11target_archE910ELNS1_3gpuE8ELNS1_3repE0EEENS1_30default_config_static_selectorELNS0_4arch9wavefront6targetE0EEEvT1_
; %bb.0:
	.section	.rodata,"a",@progbits
	.p2align	6, 0x0
	.amdhsa_kernel _ZN7rocprim17ROCPRIM_400000_NS6detail17trampoline_kernelINS0_14default_configENS1_25partition_config_selectorILNS1_17partition_subalgoE8EsNS0_10empty_typeEbEEZZNS1_14partition_implILS5_8ELb0ES3_jPKsPS6_PKS6_NS0_5tupleIJPsS6_EEENSE_IJSB_SB_EEENS0_18inequality_wrapperIN6hipcub16HIPCUB_304000_NS8EqualityEEEPlJS6_EEE10hipError_tPvRmT3_T4_T5_T6_T7_T9_mT8_P12ihipStream_tbDpT10_ENKUlT_T0_E_clISt17integral_constantIbLb0EES16_IbLb1EEEEDaS12_S13_EUlS12_E_NS1_11comp_targetILNS1_3genE4ELNS1_11target_archE910ELNS1_3gpuE8ELNS1_3repE0EEENS1_30default_config_static_selectorELNS0_4arch9wavefront6targetE0EEEvT1_
		.amdhsa_group_segment_fixed_size 0
		.amdhsa_private_segment_fixed_size 0
		.amdhsa_kernarg_size 128
		.amdhsa_user_sgpr_count 2
		.amdhsa_user_sgpr_dispatch_ptr 0
		.amdhsa_user_sgpr_queue_ptr 0
		.amdhsa_user_sgpr_kernarg_segment_ptr 1
		.amdhsa_user_sgpr_dispatch_id 0
		.amdhsa_user_sgpr_kernarg_preload_length 0
		.amdhsa_user_sgpr_kernarg_preload_offset 0
		.amdhsa_user_sgpr_private_segment_size 0
		.amdhsa_wavefront_size32 1
		.amdhsa_uses_dynamic_stack 0
		.amdhsa_enable_private_segment 0
		.amdhsa_system_sgpr_workgroup_id_x 1
		.amdhsa_system_sgpr_workgroup_id_y 0
		.amdhsa_system_sgpr_workgroup_id_z 0
		.amdhsa_system_sgpr_workgroup_info 0
		.amdhsa_system_vgpr_workitem_id 0
		.amdhsa_next_free_vgpr 1
		.amdhsa_next_free_sgpr 1
		.amdhsa_named_barrier_count 0
		.amdhsa_reserve_vcc 0
		.amdhsa_float_round_mode_32 0
		.amdhsa_float_round_mode_16_64 0
		.amdhsa_float_denorm_mode_32 3
		.amdhsa_float_denorm_mode_16_64 3
		.amdhsa_fp16_overflow 0
		.amdhsa_memory_ordered 1
		.amdhsa_forward_progress 1
		.amdhsa_inst_pref_size 0
		.amdhsa_round_robin_scheduling 0
		.amdhsa_exception_fp_ieee_invalid_op 0
		.amdhsa_exception_fp_denorm_src 0
		.amdhsa_exception_fp_ieee_div_zero 0
		.amdhsa_exception_fp_ieee_overflow 0
		.amdhsa_exception_fp_ieee_underflow 0
		.amdhsa_exception_fp_ieee_inexact 0
		.amdhsa_exception_int_div_zero 0
	.end_amdhsa_kernel
	.section	.text._ZN7rocprim17ROCPRIM_400000_NS6detail17trampoline_kernelINS0_14default_configENS1_25partition_config_selectorILNS1_17partition_subalgoE8EsNS0_10empty_typeEbEEZZNS1_14partition_implILS5_8ELb0ES3_jPKsPS6_PKS6_NS0_5tupleIJPsS6_EEENSE_IJSB_SB_EEENS0_18inequality_wrapperIN6hipcub16HIPCUB_304000_NS8EqualityEEEPlJS6_EEE10hipError_tPvRmT3_T4_T5_T6_T7_T9_mT8_P12ihipStream_tbDpT10_ENKUlT_T0_E_clISt17integral_constantIbLb0EES16_IbLb1EEEEDaS12_S13_EUlS12_E_NS1_11comp_targetILNS1_3genE4ELNS1_11target_archE910ELNS1_3gpuE8ELNS1_3repE0EEENS1_30default_config_static_selectorELNS0_4arch9wavefront6targetE0EEEvT1_,"axG",@progbits,_ZN7rocprim17ROCPRIM_400000_NS6detail17trampoline_kernelINS0_14default_configENS1_25partition_config_selectorILNS1_17partition_subalgoE8EsNS0_10empty_typeEbEEZZNS1_14partition_implILS5_8ELb0ES3_jPKsPS6_PKS6_NS0_5tupleIJPsS6_EEENSE_IJSB_SB_EEENS0_18inequality_wrapperIN6hipcub16HIPCUB_304000_NS8EqualityEEEPlJS6_EEE10hipError_tPvRmT3_T4_T5_T6_T7_T9_mT8_P12ihipStream_tbDpT10_ENKUlT_T0_E_clISt17integral_constantIbLb0EES16_IbLb1EEEEDaS12_S13_EUlS12_E_NS1_11comp_targetILNS1_3genE4ELNS1_11target_archE910ELNS1_3gpuE8ELNS1_3repE0EEENS1_30default_config_static_selectorELNS0_4arch9wavefront6targetE0EEEvT1_,comdat
.Lfunc_end574:
	.size	_ZN7rocprim17ROCPRIM_400000_NS6detail17trampoline_kernelINS0_14default_configENS1_25partition_config_selectorILNS1_17partition_subalgoE8EsNS0_10empty_typeEbEEZZNS1_14partition_implILS5_8ELb0ES3_jPKsPS6_PKS6_NS0_5tupleIJPsS6_EEENSE_IJSB_SB_EEENS0_18inequality_wrapperIN6hipcub16HIPCUB_304000_NS8EqualityEEEPlJS6_EEE10hipError_tPvRmT3_T4_T5_T6_T7_T9_mT8_P12ihipStream_tbDpT10_ENKUlT_T0_E_clISt17integral_constantIbLb0EES16_IbLb1EEEEDaS12_S13_EUlS12_E_NS1_11comp_targetILNS1_3genE4ELNS1_11target_archE910ELNS1_3gpuE8ELNS1_3repE0EEENS1_30default_config_static_selectorELNS0_4arch9wavefront6targetE0EEEvT1_, .Lfunc_end574-_ZN7rocprim17ROCPRIM_400000_NS6detail17trampoline_kernelINS0_14default_configENS1_25partition_config_selectorILNS1_17partition_subalgoE8EsNS0_10empty_typeEbEEZZNS1_14partition_implILS5_8ELb0ES3_jPKsPS6_PKS6_NS0_5tupleIJPsS6_EEENSE_IJSB_SB_EEENS0_18inequality_wrapperIN6hipcub16HIPCUB_304000_NS8EqualityEEEPlJS6_EEE10hipError_tPvRmT3_T4_T5_T6_T7_T9_mT8_P12ihipStream_tbDpT10_ENKUlT_T0_E_clISt17integral_constantIbLb0EES16_IbLb1EEEEDaS12_S13_EUlS12_E_NS1_11comp_targetILNS1_3genE4ELNS1_11target_archE910ELNS1_3gpuE8ELNS1_3repE0EEENS1_30default_config_static_selectorELNS0_4arch9wavefront6targetE0EEEvT1_
                                        ; -- End function
	.set _ZN7rocprim17ROCPRIM_400000_NS6detail17trampoline_kernelINS0_14default_configENS1_25partition_config_selectorILNS1_17partition_subalgoE8EsNS0_10empty_typeEbEEZZNS1_14partition_implILS5_8ELb0ES3_jPKsPS6_PKS6_NS0_5tupleIJPsS6_EEENSE_IJSB_SB_EEENS0_18inequality_wrapperIN6hipcub16HIPCUB_304000_NS8EqualityEEEPlJS6_EEE10hipError_tPvRmT3_T4_T5_T6_T7_T9_mT8_P12ihipStream_tbDpT10_ENKUlT_T0_E_clISt17integral_constantIbLb0EES16_IbLb1EEEEDaS12_S13_EUlS12_E_NS1_11comp_targetILNS1_3genE4ELNS1_11target_archE910ELNS1_3gpuE8ELNS1_3repE0EEENS1_30default_config_static_selectorELNS0_4arch9wavefront6targetE0EEEvT1_.num_vgpr, 0
	.set _ZN7rocprim17ROCPRIM_400000_NS6detail17trampoline_kernelINS0_14default_configENS1_25partition_config_selectorILNS1_17partition_subalgoE8EsNS0_10empty_typeEbEEZZNS1_14partition_implILS5_8ELb0ES3_jPKsPS6_PKS6_NS0_5tupleIJPsS6_EEENSE_IJSB_SB_EEENS0_18inequality_wrapperIN6hipcub16HIPCUB_304000_NS8EqualityEEEPlJS6_EEE10hipError_tPvRmT3_T4_T5_T6_T7_T9_mT8_P12ihipStream_tbDpT10_ENKUlT_T0_E_clISt17integral_constantIbLb0EES16_IbLb1EEEEDaS12_S13_EUlS12_E_NS1_11comp_targetILNS1_3genE4ELNS1_11target_archE910ELNS1_3gpuE8ELNS1_3repE0EEENS1_30default_config_static_selectorELNS0_4arch9wavefront6targetE0EEEvT1_.num_agpr, 0
	.set _ZN7rocprim17ROCPRIM_400000_NS6detail17trampoline_kernelINS0_14default_configENS1_25partition_config_selectorILNS1_17partition_subalgoE8EsNS0_10empty_typeEbEEZZNS1_14partition_implILS5_8ELb0ES3_jPKsPS6_PKS6_NS0_5tupleIJPsS6_EEENSE_IJSB_SB_EEENS0_18inequality_wrapperIN6hipcub16HIPCUB_304000_NS8EqualityEEEPlJS6_EEE10hipError_tPvRmT3_T4_T5_T6_T7_T9_mT8_P12ihipStream_tbDpT10_ENKUlT_T0_E_clISt17integral_constantIbLb0EES16_IbLb1EEEEDaS12_S13_EUlS12_E_NS1_11comp_targetILNS1_3genE4ELNS1_11target_archE910ELNS1_3gpuE8ELNS1_3repE0EEENS1_30default_config_static_selectorELNS0_4arch9wavefront6targetE0EEEvT1_.numbered_sgpr, 0
	.set _ZN7rocprim17ROCPRIM_400000_NS6detail17trampoline_kernelINS0_14default_configENS1_25partition_config_selectorILNS1_17partition_subalgoE8EsNS0_10empty_typeEbEEZZNS1_14partition_implILS5_8ELb0ES3_jPKsPS6_PKS6_NS0_5tupleIJPsS6_EEENSE_IJSB_SB_EEENS0_18inequality_wrapperIN6hipcub16HIPCUB_304000_NS8EqualityEEEPlJS6_EEE10hipError_tPvRmT3_T4_T5_T6_T7_T9_mT8_P12ihipStream_tbDpT10_ENKUlT_T0_E_clISt17integral_constantIbLb0EES16_IbLb1EEEEDaS12_S13_EUlS12_E_NS1_11comp_targetILNS1_3genE4ELNS1_11target_archE910ELNS1_3gpuE8ELNS1_3repE0EEENS1_30default_config_static_selectorELNS0_4arch9wavefront6targetE0EEEvT1_.num_named_barrier, 0
	.set _ZN7rocprim17ROCPRIM_400000_NS6detail17trampoline_kernelINS0_14default_configENS1_25partition_config_selectorILNS1_17partition_subalgoE8EsNS0_10empty_typeEbEEZZNS1_14partition_implILS5_8ELb0ES3_jPKsPS6_PKS6_NS0_5tupleIJPsS6_EEENSE_IJSB_SB_EEENS0_18inequality_wrapperIN6hipcub16HIPCUB_304000_NS8EqualityEEEPlJS6_EEE10hipError_tPvRmT3_T4_T5_T6_T7_T9_mT8_P12ihipStream_tbDpT10_ENKUlT_T0_E_clISt17integral_constantIbLb0EES16_IbLb1EEEEDaS12_S13_EUlS12_E_NS1_11comp_targetILNS1_3genE4ELNS1_11target_archE910ELNS1_3gpuE8ELNS1_3repE0EEENS1_30default_config_static_selectorELNS0_4arch9wavefront6targetE0EEEvT1_.private_seg_size, 0
	.set _ZN7rocprim17ROCPRIM_400000_NS6detail17trampoline_kernelINS0_14default_configENS1_25partition_config_selectorILNS1_17partition_subalgoE8EsNS0_10empty_typeEbEEZZNS1_14partition_implILS5_8ELb0ES3_jPKsPS6_PKS6_NS0_5tupleIJPsS6_EEENSE_IJSB_SB_EEENS0_18inequality_wrapperIN6hipcub16HIPCUB_304000_NS8EqualityEEEPlJS6_EEE10hipError_tPvRmT3_T4_T5_T6_T7_T9_mT8_P12ihipStream_tbDpT10_ENKUlT_T0_E_clISt17integral_constantIbLb0EES16_IbLb1EEEEDaS12_S13_EUlS12_E_NS1_11comp_targetILNS1_3genE4ELNS1_11target_archE910ELNS1_3gpuE8ELNS1_3repE0EEENS1_30default_config_static_selectorELNS0_4arch9wavefront6targetE0EEEvT1_.uses_vcc, 0
	.set _ZN7rocprim17ROCPRIM_400000_NS6detail17trampoline_kernelINS0_14default_configENS1_25partition_config_selectorILNS1_17partition_subalgoE8EsNS0_10empty_typeEbEEZZNS1_14partition_implILS5_8ELb0ES3_jPKsPS6_PKS6_NS0_5tupleIJPsS6_EEENSE_IJSB_SB_EEENS0_18inequality_wrapperIN6hipcub16HIPCUB_304000_NS8EqualityEEEPlJS6_EEE10hipError_tPvRmT3_T4_T5_T6_T7_T9_mT8_P12ihipStream_tbDpT10_ENKUlT_T0_E_clISt17integral_constantIbLb0EES16_IbLb1EEEEDaS12_S13_EUlS12_E_NS1_11comp_targetILNS1_3genE4ELNS1_11target_archE910ELNS1_3gpuE8ELNS1_3repE0EEENS1_30default_config_static_selectorELNS0_4arch9wavefront6targetE0EEEvT1_.uses_flat_scratch, 0
	.set _ZN7rocprim17ROCPRIM_400000_NS6detail17trampoline_kernelINS0_14default_configENS1_25partition_config_selectorILNS1_17partition_subalgoE8EsNS0_10empty_typeEbEEZZNS1_14partition_implILS5_8ELb0ES3_jPKsPS6_PKS6_NS0_5tupleIJPsS6_EEENSE_IJSB_SB_EEENS0_18inequality_wrapperIN6hipcub16HIPCUB_304000_NS8EqualityEEEPlJS6_EEE10hipError_tPvRmT3_T4_T5_T6_T7_T9_mT8_P12ihipStream_tbDpT10_ENKUlT_T0_E_clISt17integral_constantIbLb0EES16_IbLb1EEEEDaS12_S13_EUlS12_E_NS1_11comp_targetILNS1_3genE4ELNS1_11target_archE910ELNS1_3gpuE8ELNS1_3repE0EEENS1_30default_config_static_selectorELNS0_4arch9wavefront6targetE0EEEvT1_.has_dyn_sized_stack, 0
	.set _ZN7rocprim17ROCPRIM_400000_NS6detail17trampoline_kernelINS0_14default_configENS1_25partition_config_selectorILNS1_17partition_subalgoE8EsNS0_10empty_typeEbEEZZNS1_14partition_implILS5_8ELb0ES3_jPKsPS6_PKS6_NS0_5tupleIJPsS6_EEENSE_IJSB_SB_EEENS0_18inequality_wrapperIN6hipcub16HIPCUB_304000_NS8EqualityEEEPlJS6_EEE10hipError_tPvRmT3_T4_T5_T6_T7_T9_mT8_P12ihipStream_tbDpT10_ENKUlT_T0_E_clISt17integral_constantIbLb0EES16_IbLb1EEEEDaS12_S13_EUlS12_E_NS1_11comp_targetILNS1_3genE4ELNS1_11target_archE910ELNS1_3gpuE8ELNS1_3repE0EEENS1_30default_config_static_selectorELNS0_4arch9wavefront6targetE0EEEvT1_.has_recursion, 0
	.set _ZN7rocprim17ROCPRIM_400000_NS6detail17trampoline_kernelINS0_14default_configENS1_25partition_config_selectorILNS1_17partition_subalgoE8EsNS0_10empty_typeEbEEZZNS1_14partition_implILS5_8ELb0ES3_jPKsPS6_PKS6_NS0_5tupleIJPsS6_EEENSE_IJSB_SB_EEENS0_18inequality_wrapperIN6hipcub16HIPCUB_304000_NS8EqualityEEEPlJS6_EEE10hipError_tPvRmT3_T4_T5_T6_T7_T9_mT8_P12ihipStream_tbDpT10_ENKUlT_T0_E_clISt17integral_constantIbLb0EES16_IbLb1EEEEDaS12_S13_EUlS12_E_NS1_11comp_targetILNS1_3genE4ELNS1_11target_archE910ELNS1_3gpuE8ELNS1_3repE0EEENS1_30default_config_static_selectorELNS0_4arch9wavefront6targetE0EEEvT1_.has_indirect_call, 0
	.section	.AMDGPU.csdata,"",@progbits
; Kernel info:
; codeLenInByte = 0
; TotalNumSgprs: 0
; NumVgprs: 0
; ScratchSize: 0
; MemoryBound: 0
; FloatMode: 240
; IeeeMode: 1
; LDSByteSize: 0 bytes/workgroup (compile time only)
; SGPRBlocks: 0
; VGPRBlocks: 0
; NumSGPRsForWavesPerEU: 1
; NumVGPRsForWavesPerEU: 1
; NamedBarCnt: 0
; Occupancy: 16
; WaveLimiterHint : 0
; COMPUTE_PGM_RSRC2:SCRATCH_EN: 0
; COMPUTE_PGM_RSRC2:USER_SGPR: 2
; COMPUTE_PGM_RSRC2:TRAP_HANDLER: 0
; COMPUTE_PGM_RSRC2:TGID_X_EN: 1
; COMPUTE_PGM_RSRC2:TGID_Y_EN: 0
; COMPUTE_PGM_RSRC2:TGID_Z_EN: 0
; COMPUTE_PGM_RSRC2:TIDIG_COMP_CNT: 0
	.section	.text._ZN7rocprim17ROCPRIM_400000_NS6detail17trampoline_kernelINS0_14default_configENS1_25partition_config_selectorILNS1_17partition_subalgoE8EsNS0_10empty_typeEbEEZZNS1_14partition_implILS5_8ELb0ES3_jPKsPS6_PKS6_NS0_5tupleIJPsS6_EEENSE_IJSB_SB_EEENS0_18inequality_wrapperIN6hipcub16HIPCUB_304000_NS8EqualityEEEPlJS6_EEE10hipError_tPvRmT3_T4_T5_T6_T7_T9_mT8_P12ihipStream_tbDpT10_ENKUlT_T0_E_clISt17integral_constantIbLb0EES16_IbLb1EEEEDaS12_S13_EUlS12_E_NS1_11comp_targetILNS1_3genE3ELNS1_11target_archE908ELNS1_3gpuE7ELNS1_3repE0EEENS1_30default_config_static_selectorELNS0_4arch9wavefront6targetE0EEEvT1_,"axG",@progbits,_ZN7rocprim17ROCPRIM_400000_NS6detail17trampoline_kernelINS0_14default_configENS1_25partition_config_selectorILNS1_17partition_subalgoE8EsNS0_10empty_typeEbEEZZNS1_14partition_implILS5_8ELb0ES3_jPKsPS6_PKS6_NS0_5tupleIJPsS6_EEENSE_IJSB_SB_EEENS0_18inequality_wrapperIN6hipcub16HIPCUB_304000_NS8EqualityEEEPlJS6_EEE10hipError_tPvRmT3_T4_T5_T6_T7_T9_mT8_P12ihipStream_tbDpT10_ENKUlT_T0_E_clISt17integral_constantIbLb0EES16_IbLb1EEEEDaS12_S13_EUlS12_E_NS1_11comp_targetILNS1_3genE3ELNS1_11target_archE908ELNS1_3gpuE7ELNS1_3repE0EEENS1_30default_config_static_selectorELNS0_4arch9wavefront6targetE0EEEvT1_,comdat
	.protected	_ZN7rocprim17ROCPRIM_400000_NS6detail17trampoline_kernelINS0_14default_configENS1_25partition_config_selectorILNS1_17partition_subalgoE8EsNS0_10empty_typeEbEEZZNS1_14partition_implILS5_8ELb0ES3_jPKsPS6_PKS6_NS0_5tupleIJPsS6_EEENSE_IJSB_SB_EEENS0_18inequality_wrapperIN6hipcub16HIPCUB_304000_NS8EqualityEEEPlJS6_EEE10hipError_tPvRmT3_T4_T5_T6_T7_T9_mT8_P12ihipStream_tbDpT10_ENKUlT_T0_E_clISt17integral_constantIbLb0EES16_IbLb1EEEEDaS12_S13_EUlS12_E_NS1_11comp_targetILNS1_3genE3ELNS1_11target_archE908ELNS1_3gpuE7ELNS1_3repE0EEENS1_30default_config_static_selectorELNS0_4arch9wavefront6targetE0EEEvT1_ ; -- Begin function _ZN7rocprim17ROCPRIM_400000_NS6detail17trampoline_kernelINS0_14default_configENS1_25partition_config_selectorILNS1_17partition_subalgoE8EsNS0_10empty_typeEbEEZZNS1_14partition_implILS5_8ELb0ES3_jPKsPS6_PKS6_NS0_5tupleIJPsS6_EEENSE_IJSB_SB_EEENS0_18inequality_wrapperIN6hipcub16HIPCUB_304000_NS8EqualityEEEPlJS6_EEE10hipError_tPvRmT3_T4_T5_T6_T7_T9_mT8_P12ihipStream_tbDpT10_ENKUlT_T0_E_clISt17integral_constantIbLb0EES16_IbLb1EEEEDaS12_S13_EUlS12_E_NS1_11comp_targetILNS1_3genE3ELNS1_11target_archE908ELNS1_3gpuE7ELNS1_3repE0EEENS1_30default_config_static_selectorELNS0_4arch9wavefront6targetE0EEEvT1_
	.globl	_ZN7rocprim17ROCPRIM_400000_NS6detail17trampoline_kernelINS0_14default_configENS1_25partition_config_selectorILNS1_17partition_subalgoE8EsNS0_10empty_typeEbEEZZNS1_14partition_implILS5_8ELb0ES3_jPKsPS6_PKS6_NS0_5tupleIJPsS6_EEENSE_IJSB_SB_EEENS0_18inequality_wrapperIN6hipcub16HIPCUB_304000_NS8EqualityEEEPlJS6_EEE10hipError_tPvRmT3_T4_T5_T6_T7_T9_mT8_P12ihipStream_tbDpT10_ENKUlT_T0_E_clISt17integral_constantIbLb0EES16_IbLb1EEEEDaS12_S13_EUlS12_E_NS1_11comp_targetILNS1_3genE3ELNS1_11target_archE908ELNS1_3gpuE7ELNS1_3repE0EEENS1_30default_config_static_selectorELNS0_4arch9wavefront6targetE0EEEvT1_
	.p2align	8
	.type	_ZN7rocprim17ROCPRIM_400000_NS6detail17trampoline_kernelINS0_14default_configENS1_25partition_config_selectorILNS1_17partition_subalgoE8EsNS0_10empty_typeEbEEZZNS1_14partition_implILS5_8ELb0ES3_jPKsPS6_PKS6_NS0_5tupleIJPsS6_EEENSE_IJSB_SB_EEENS0_18inequality_wrapperIN6hipcub16HIPCUB_304000_NS8EqualityEEEPlJS6_EEE10hipError_tPvRmT3_T4_T5_T6_T7_T9_mT8_P12ihipStream_tbDpT10_ENKUlT_T0_E_clISt17integral_constantIbLb0EES16_IbLb1EEEEDaS12_S13_EUlS12_E_NS1_11comp_targetILNS1_3genE3ELNS1_11target_archE908ELNS1_3gpuE7ELNS1_3repE0EEENS1_30default_config_static_selectorELNS0_4arch9wavefront6targetE0EEEvT1_,@function
_ZN7rocprim17ROCPRIM_400000_NS6detail17trampoline_kernelINS0_14default_configENS1_25partition_config_selectorILNS1_17partition_subalgoE8EsNS0_10empty_typeEbEEZZNS1_14partition_implILS5_8ELb0ES3_jPKsPS6_PKS6_NS0_5tupleIJPsS6_EEENSE_IJSB_SB_EEENS0_18inequality_wrapperIN6hipcub16HIPCUB_304000_NS8EqualityEEEPlJS6_EEE10hipError_tPvRmT3_T4_T5_T6_T7_T9_mT8_P12ihipStream_tbDpT10_ENKUlT_T0_E_clISt17integral_constantIbLb0EES16_IbLb1EEEEDaS12_S13_EUlS12_E_NS1_11comp_targetILNS1_3genE3ELNS1_11target_archE908ELNS1_3gpuE7ELNS1_3repE0EEENS1_30default_config_static_selectorELNS0_4arch9wavefront6targetE0EEEvT1_: ; @_ZN7rocprim17ROCPRIM_400000_NS6detail17trampoline_kernelINS0_14default_configENS1_25partition_config_selectorILNS1_17partition_subalgoE8EsNS0_10empty_typeEbEEZZNS1_14partition_implILS5_8ELb0ES3_jPKsPS6_PKS6_NS0_5tupleIJPsS6_EEENSE_IJSB_SB_EEENS0_18inequality_wrapperIN6hipcub16HIPCUB_304000_NS8EqualityEEEPlJS6_EEE10hipError_tPvRmT3_T4_T5_T6_T7_T9_mT8_P12ihipStream_tbDpT10_ENKUlT_T0_E_clISt17integral_constantIbLb0EES16_IbLb1EEEEDaS12_S13_EUlS12_E_NS1_11comp_targetILNS1_3genE3ELNS1_11target_archE908ELNS1_3gpuE7ELNS1_3repE0EEENS1_30default_config_static_selectorELNS0_4arch9wavefront6targetE0EEEvT1_
; %bb.0:
	.section	.rodata,"a",@progbits
	.p2align	6, 0x0
	.amdhsa_kernel _ZN7rocprim17ROCPRIM_400000_NS6detail17trampoline_kernelINS0_14default_configENS1_25partition_config_selectorILNS1_17partition_subalgoE8EsNS0_10empty_typeEbEEZZNS1_14partition_implILS5_8ELb0ES3_jPKsPS6_PKS6_NS0_5tupleIJPsS6_EEENSE_IJSB_SB_EEENS0_18inequality_wrapperIN6hipcub16HIPCUB_304000_NS8EqualityEEEPlJS6_EEE10hipError_tPvRmT3_T4_T5_T6_T7_T9_mT8_P12ihipStream_tbDpT10_ENKUlT_T0_E_clISt17integral_constantIbLb0EES16_IbLb1EEEEDaS12_S13_EUlS12_E_NS1_11comp_targetILNS1_3genE3ELNS1_11target_archE908ELNS1_3gpuE7ELNS1_3repE0EEENS1_30default_config_static_selectorELNS0_4arch9wavefront6targetE0EEEvT1_
		.amdhsa_group_segment_fixed_size 0
		.amdhsa_private_segment_fixed_size 0
		.amdhsa_kernarg_size 128
		.amdhsa_user_sgpr_count 2
		.amdhsa_user_sgpr_dispatch_ptr 0
		.amdhsa_user_sgpr_queue_ptr 0
		.amdhsa_user_sgpr_kernarg_segment_ptr 1
		.amdhsa_user_sgpr_dispatch_id 0
		.amdhsa_user_sgpr_kernarg_preload_length 0
		.amdhsa_user_sgpr_kernarg_preload_offset 0
		.amdhsa_user_sgpr_private_segment_size 0
		.amdhsa_wavefront_size32 1
		.amdhsa_uses_dynamic_stack 0
		.amdhsa_enable_private_segment 0
		.amdhsa_system_sgpr_workgroup_id_x 1
		.amdhsa_system_sgpr_workgroup_id_y 0
		.amdhsa_system_sgpr_workgroup_id_z 0
		.amdhsa_system_sgpr_workgroup_info 0
		.amdhsa_system_vgpr_workitem_id 0
		.amdhsa_next_free_vgpr 1
		.amdhsa_next_free_sgpr 1
		.amdhsa_named_barrier_count 0
		.amdhsa_reserve_vcc 0
		.amdhsa_float_round_mode_32 0
		.amdhsa_float_round_mode_16_64 0
		.amdhsa_float_denorm_mode_32 3
		.amdhsa_float_denorm_mode_16_64 3
		.amdhsa_fp16_overflow 0
		.amdhsa_memory_ordered 1
		.amdhsa_forward_progress 1
		.amdhsa_inst_pref_size 0
		.amdhsa_round_robin_scheduling 0
		.amdhsa_exception_fp_ieee_invalid_op 0
		.amdhsa_exception_fp_denorm_src 0
		.amdhsa_exception_fp_ieee_div_zero 0
		.amdhsa_exception_fp_ieee_overflow 0
		.amdhsa_exception_fp_ieee_underflow 0
		.amdhsa_exception_fp_ieee_inexact 0
		.amdhsa_exception_int_div_zero 0
	.end_amdhsa_kernel
	.section	.text._ZN7rocprim17ROCPRIM_400000_NS6detail17trampoline_kernelINS0_14default_configENS1_25partition_config_selectorILNS1_17partition_subalgoE8EsNS0_10empty_typeEbEEZZNS1_14partition_implILS5_8ELb0ES3_jPKsPS6_PKS6_NS0_5tupleIJPsS6_EEENSE_IJSB_SB_EEENS0_18inequality_wrapperIN6hipcub16HIPCUB_304000_NS8EqualityEEEPlJS6_EEE10hipError_tPvRmT3_T4_T5_T6_T7_T9_mT8_P12ihipStream_tbDpT10_ENKUlT_T0_E_clISt17integral_constantIbLb0EES16_IbLb1EEEEDaS12_S13_EUlS12_E_NS1_11comp_targetILNS1_3genE3ELNS1_11target_archE908ELNS1_3gpuE7ELNS1_3repE0EEENS1_30default_config_static_selectorELNS0_4arch9wavefront6targetE0EEEvT1_,"axG",@progbits,_ZN7rocprim17ROCPRIM_400000_NS6detail17trampoline_kernelINS0_14default_configENS1_25partition_config_selectorILNS1_17partition_subalgoE8EsNS0_10empty_typeEbEEZZNS1_14partition_implILS5_8ELb0ES3_jPKsPS6_PKS6_NS0_5tupleIJPsS6_EEENSE_IJSB_SB_EEENS0_18inequality_wrapperIN6hipcub16HIPCUB_304000_NS8EqualityEEEPlJS6_EEE10hipError_tPvRmT3_T4_T5_T6_T7_T9_mT8_P12ihipStream_tbDpT10_ENKUlT_T0_E_clISt17integral_constantIbLb0EES16_IbLb1EEEEDaS12_S13_EUlS12_E_NS1_11comp_targetILNS1_3genE3ELNS1_11target_archE908ELNS1_3gpuE7ELNS1_3repE0EEENS1_30default_config_static_selectorELNS0_4arch9wavefront6targetE0EEEvT1_,comdat
.Lfunc_end575:
	.size	_ZN7rocprim17ROCPRIM_400000_NS6detail17trampoline_kernelINS0_14default_configENS1_25partition_config_selectorILNS1_17partition_subalgoE8EsNS0_10empty_typeEbEEZZNS1_14partition_implILS5_8ELb0ES3_jPKsPS6_PKS6_NS0_5tupleIJPsS6_EEENSE_IJSB_SB_EEENS0_18inequality_wrapperIN6hipcub16HIPCUB_304000_NS8EqualityEEEPlJS6_EEE10hipError_tPvRmT3_T4_T5_T6_T7_T9_mT8_P12ihipStream_tbDpT10_ENKUlT_T0_E_clISt17integral_constantIbLb0EES16_IbLb1EEEEDaS12_S13_EUlS12_E_NS1_11comp_targetILNS1_3genE3ELNS1_11target_archE908ELNS1_3gpuE7ELNS1_3repE0EEENS1_30default_config_static_selectorELNS0_4arch9wavefront6targetE0EEEvT1_, .Lfunc_end575-_ZN7rocprim17ROCPRIM_400000_NS6detail17trampoline_kernelINS0_14default_configENS1_25partition_config_selectorILNS1_17partition_subalgoE8EsNS0_10empty_typeEbEEZZNS1_14partition_implILS5_8ELb0ES3_jPKsPS6_PKS6_NS0_5tupleIJPsS6_EEENSE_IJSB_SB_EEENS0_18inequality_wrapperIN6hipcub16HIPCUB_304000_NS8EqualityEEEPlJS6_EEE10hipError_tPvRmT3_T4_T5_T6_T7_T9_mT8_P12ihipStream_tbDpT10_ENKUlT_T0_E_clISt17integral_constantIbLb0EES16_IbLb1EEEEDaS12_S13_EUlS12_E_NS1_11comp_targetILNS1_3genE3ELNS1_11target_archE908ELNS1_3gpuE7ELNS1_3repE0EEENS1_30default_config_static_selectorELNS0_4arch9wavefront6targetE0EEEvT1_
                                        ; -- End function
	.set _ZN7rocprim17ROCPRIM_400000_NS6detail17trampoline_kernelINS0_14default_configENS1_25partition_config_selectorILNS1_17partition_subalgoE8EsNS0_10empty_typeEbEEZZNS1_14partition_implILS5_8ELb0ES3_jPKsPS6_PKS6_NS0_5tupleIJPsS6_EEENSE_IJSB_SB_EEENS0_18inequality_wrapperIN6hipcub16HIPCUB_304000_NS8EqualityEEEPlJS6_EEE10hipError_tPvRmT3_T4_T5_T6_T7_T9_mT8_P12ihipStream_tbDpT10_ENKUlT_T0_E_clISt17integral_constantIbLb0EES16_IbLb1EEEEDaS12_S13_EUlS12_E_NS1_11comp_targetILNS1_3genE3ELNS1_11target_archE908ELNS1_3gpuE7ELNS1_3repE0EEENS1_30default_config_static_selectorELNS0_4arch9wavefront6targetE0EEEvT1_.num_vgpr, 0
	.set _ZN7rocprim17ROCPRIM_400000_NS6detail17trampoline_kernelINS0_14default_configENS1_25partition_config_selectorILNS1_17partition_subalgoE8EsNS0_10empty_typeEbEEZZNS1_14partition_implILS5_8ELb0ES3_jPKsPS6_PKS6_NS0_5tupleIJPsS6_EEENSE_IJSB_SB_EEENS0_18inequality_wrapperIN6hipcub16HIPCUB_304000_NS8EqualityEEEPlJS6_EEE10hipError_tPvRmT3_T4_T5_T6_T7_T9_mT8_P12ihipStream_tbDpT10_ENKUlT_T0_E_clISt17integral_constantIbLb0EES16_IbLb1EEEEDaS12_S13_EUlS12_E_NS1_11comp_targetILNS1_3genE3ELNS1_11target_archE908ELNS1_3gpuE7ELNS1_3repE0EEENS1_30default_config_static_selectorELNS0_4arch9wavefront6targetE0EEEvT1_.num_agpr, 0
	.set _ZN7rocprim17ROCPRIM_400000_NS6detail17trampoline_kernelINS0_14default_configENS1_25partition_config_selectorILNS1_17partition_subalgoE8EsNS0_10empty_typeEbEEZZNS1_14partition_implILS5_8ELb0ES3_jPKsPS6_PKS6_NS0_5tupleIJPsS6_EEENSE_IJSB_SB_EEENS0_18inequality_wrapperIN6hipcub16HIPCUB_304000_NS8EqualityEEEPlJS6_EEE10hipError_tPvRmT3_T4_T5_T6_T7_T9_mT8_P12ihipStream_tbDpT10_ENKUlT_T0_E_clISt17integral_constantIbLb0EES16_IbLb1EEEEDaS12_S13_EUlS12_E_NS1_11comp_targetILNS1_3genE3ELNS1_11target_archE908ELNS1_3gpuE7ELNS1_3repE0EEENS1_30default_config_static_selectorELNS0_4arch9wavefront6targetE0EEEvT1_.numbered_sgpr, 0
	.set _ZN7rocprim17ROCPRIM_400000_NS6detail17trampoline_kernelINS0_14default_configENS1_25partition_config_selectorILNS1_17partition_subalgoE8EsNS0_10empty_typeEbEEZZNS1_14partition_implILS5_8ELb0ES3_jPKsPS6_PKS6_NS0_5tupleIJPsS6_EEENSE_IJSB_SB_EEENS0_18inequality_wrapperIN6hipcub16HIPCUB_304000_NS8EqualityEEEPlJS6_EEE10hipError_tPvRmT3_T4_T5_T6_T7_T9_mT8_P12ihipStream_tbDpT10_ENKUlT_T0_E_clISt17integral_constantIbLb0EES16_IbLb1EEEEDaS12_S13_EUlS12_E_NS1_11comp_targetILNS1_3genE3ELNS1_11target_archE908ELNS1_3gpuE7ELNS1_3repE0EEENS1_30default_config_static_selectorELNS0_4arch9wavefront6targetE0EEEvT1_.num_named_barrier, 0
	.set _ZN7rocprim17ROCPRIM_400000_NS6detail17trampoline_kernelINS0_14default_configENS1_25partition_config_selectorILNS1_17partition_subalgoE8EsNS0_10empty_typeEbEEZZNS1_14partition_implILS5_8ELb0ES3_jPKsPS6_PKS6_NS0_5tupleIJPsS6_EEENSE_IJSB_SB_EEENS0_18inequality_wrapperIN6hipcub16HIPCUB_304000_NS8EqualityEEEPlJS6_EEE10hipError_tPvRmT3_T4_T5_T6_T7_T9_mT8_P12ihipStream_tbDpT10_ENKUlT_T0_E_clISt17integral_constantIbLb0EES16_IbLb1EEEEDaS12_S13_EUlS12_E_NS1_11comp_targetILNS1_3genE3ELNS1_11target_archE908ELNS1_3gpuE7ELNS1_3repE0EEENS1_30default_config_static_selectorELNS0_4arch9wavefront6targetE0EEEvT1_.private_seg_size, 0
	.set _ZN7rocprim17ROCPRIM_400000_NS6detail17trampoline_kernelINS0_14default_configENS1_25partition_config_selectorILNS1_17partition_subalgoE8EsNS0_10empty_typeEbEEZZNS1_14partition_implILS5_8ELb0ES3_jPKsPS6_PKS6_NS0_5tupleIJPsS6_EEENSE_IJSB_SB_EEENS0_18inequality_wrapperIN6hipcub16HIPCUB_304000_NS8EqualityEEEPlJS6_EEE10hipError_tPvRmT3_T4_T5_T6_T7_T9_mT8_P12ihipStream_tbDpT10_ENKUlT_T0_E_clISt17integral_constantIbLb0EES16_IbLb1EEEEDaS12_S13_EUlS12_E_NS1_11comp_targetILNS1_3genE3ELNS1_11target_archE908ELNS1_3gpuE7ELNS1_3repE0EEENS1_30default_config_static_selectorELNS0_4arch9wavefront6targetE0EEEvT1_.uses_vcc, 0
	.set _ZN7rocprim17ROCPRIM_400000_NS6detail17trampoline_kernelINS0_14default_configENS1_25partition_config_selectorILNS1_17partition_subalgoE8EsNS0_10empty_typeEbEEZZNS1_14partition_implILS5_8ELb0ES3_jPKsPS6_PKS6_NS0_5tupleIJPsS6_EEENSE_IJSB_SB_EEENS0_18inequality_wrapperIN6hipcub16HIPCUB_304000_NS8EqualityEEEPlJS6_EEE10hipError_tPvRmT3_T4_T5_T6_T7_T9_mT8_P12ihipStream_tbDpT10_ENKUlT_T0_E_clISt17integral_constantIbLb0EES16_IbLb1EEEEDaS12_S13_EUlS12_E_NS1_11comp_targetILNS1_3genE3ELNS1_11target_archE908ELNS1_3gpuE7ELNS1_3repE0EEENS1_30default_config_static_selectorELNS0_4arch9wavefront6targetE0EEEvT1_.uses_flat_scratch, 0
	.set _ZN7rocprim17ROCPRIM_400000_NS6detail17trampoline_kernelINS0_14default_configENS1_25partition_config_selectorILNS1_17partition_subalgoE8EsNS0_10empty_typeEbEEZZNS1_14partition_implILS5_8ELb0ES3_jPKsPS6_PKS6_NS0_5tupleIJPsS6_EEENSE_IJSB_SB_EEENS0_18inequality_wrapperIN6hipcub16HIPCUB_304000_NS8EqualityEEEPlJS6_EEE10hipError_tPvRmT3_T4_T5_T6_T7_T9_mT8_P12ihipStream_tbDpT10_ENKUlT_T0_E_clISt17integral_constantIbLb0EES16_IbLb1EEEEDaS12_S13_EUlS12_E_NS1_11comp_targetILNS1_3genE3ELNS1_11target_archE908ELNS1_3gpuE7ELNS1_3repE0EEENS1_30default_config_static_selectorELNS0_4arch9wavefront6targetE0EEEvT1_.has_dyn_sized_stack, 0
	.set _ZN7rocprim17ROCPRIM_400000_NS6detail17trampoline_kernelINS0_14default_configENS1_25partition_config_selectorILNS1_17partition_subalgoE8EsNS0_10empty_typeEbEEZZNS1_14partition_implILS5_8ELb0ES3_jPKsPS6_PKS6_NS0_5tupleIJPsS6_EEENSE_IJSB_SB_EEENS0_18inequality_wrapperIN6hipcub16HIPCUB_304000_NS8EqualityEEEPlJS6_EEE10hipError_tPvRmT3_T4_T5_T6_T7_T9_mT8_P12ihipStream_tbDpT10_ENKUlT_T0_E_clISt17integral_constantIbLb0EES16_IbLb1EEEEDaS12_S13_EUlS12_E_NS1_11comp_targetILNS1_3genE3ELNS1_11target_archE908ELNS1_3gpuE7ELNS1_3repE0EEENS1_30default_config_static_selectorELNS0_4arch9wavefront6targetE0EEEvT1_.has_recursion, 0
	.set _ZN7rocprim17ROCPRIM_400000_NS6detail17trampoline_kernelINS0_14default_configENS1_25partition_config_selectorILNS1_17partition_subalgoE8EsNS0_10empty_typeEbEEZZNS1_14partition_implILS5_8ELb0ES3_jPKsPS6_PKS6_NS0_5tupleIJPsS6_EEENSE_IJSB_SB_EEENS0_18inequality_wrapperIN6hipcub16HIPCUB_304000_NS8EqualityEEEPlJS6_EEE10hipError_tPvRmT3_T4_T5_T6_T7_T9_mT8_P12ihipStream_tbDpT10_ENKUlT_T0_E_clISt17integral_constantIbLb0EES16_IbLb1EEEEDaS12_S13_EUlS12_E_NS1_11comp_targetILNS1_3genE3ELNS1_11target_archE908ELNS1_3gpuE7ELNS1_3repE0EEENS1_30default_config_static_selectorELNS0_4arch9wavefront6targetE0EEEvT1_.has_indirect_call, 0
	.section	.AMDGPU.csdata,"",@progbits
; Kernel info:
; codeLenInByte = 0
; TotalNumSgprs: 0
; NumVgprs: 0
; ScratchSize: 0
; MemoryBound: 0
; FloatMode: 240
; IeeeMode: 1
; LDSByteSize: 0 bytes/workgroup (compile time only)
; SGPRBlocks: 0
; VGPRBlocks: 0
; NumSGPRsForWavesPerEU: 1
; NumVGPRsForWavesPerEU: 1
; NamedBarCnt: 0
; Occupancy: 16
; WaveLimiterHint : 0
; COMPUTE_PGM_RSRC2:SCRATCH_EN: 0
; COMPUTE_PGM_RSRC2:USER_SGPR: 2
; COMPUTE_PGM_RSRC2:TRAP_HANDLER: 0
; COMPUTE_PGM_RSRC2:TGID_X_EN: 1
; COMPUTE_PGM_RSRC2:TGID_Y_EN: 0
; COMPUTE_PGM_RSRC2:TGID_Z_EN: 0
; COMPUTE_PGM_RSRC2:TIDIG_COMP_CNT: 0
	.section	.text._ZN7rocprim17ROCPRIM_400000_NS6detail17trampoline_kernelINS0_14default_configENS1_25partition_config_selectorILNS1_17partition_subalgoE8EsNS0_10empty_typeEbEEZZNS1_14partition_implILS5_8ELb0ES3_jPKsPS6_PKS6_NS0_5tupleIJPsS6_EEENSE_IJSB_SB_EEENS0_18inequality_wrapperIN6hipcub16HIPCUB_304000_NS8EqualityEEEPlJS6_EEE10hipError_tPvRmT3_T4_T5_T6_T7_T9_mT8_P12ihipStream_tbDpT10_ENKUlT_T0_E_clISt17integral_constantIbLb0EES16_IbLb1EEEEDaS12_S13_EUlS12_E_NS1_11comp_targetILNS1_3genE2ELNS1_11target_archE906ELNS1_3gpuE6ELNS1_3repE0EEENS1_30default_config_static_selectorELNS0_4arch9wavefront6targetE0EEEvT1_,"axG",@progbits,_ZN7rocprim17ROCPRIM_400000_NS6detail17trampoline_kernelINS0_14default_configENS1_25partition_config_selectorILNS1_17partition_subalgoE8EsNS0_10empty_typeEbEEZZNS1_14partition_implILS5_8ELb0ES3_jPKsPS6_PKS6_NS0_5tupleIJPsS6_EEENSE_IJSB_SB_EEENS0_18inequality_wrapperIN6hipcub16HIPCUB_304000_NS8EqualityEEEPlJS6_EEE10hipError_tPvRmT3_T4_T5_T6_T7_T9_mT8_P12ihipStream_tbDpT10_ENKUlT_T0_E_clISt17integral_constantIbLb0EES16_IbLb1EEEEDaS12_S13_EUlS12_E_NS1_11comp_targetILNS1_3genE2ELNS1_11target_archE906ELNS1_3gpuE6ELNS1_3repE0EEENS1_30default_config_static_selectorELNS0_4arch9wavefront6targetE0EEEvT1_,comdat
	.protected	_ZN7rocprim17ROCPRIM_400000_NS6detail17trampoline_kernelINS0_14default_configENS1_25partition_config_selectorILNS1_17partition_subalgoE8EsNS0_10empty_typeEbEEZZNS1_14partition_implILS5_8ELb0ES3_jPKsPS6_PKS6_NS0_5tupleIJPsS6_EEENSE_IJSB_SB_EEENS0_18inequality_wrapperIN6hipcub16HIPCUB_304000_NS8EqualityEEEPlJS6_EEE10hipError_tPvRmT3_T4_T5_T6_T7_T9_mT8_P12ihipStream_tbDpT10_ENKUlT_T0_E_clISt17integral_constantIbLb0EES16_IbLb1EEEEDaS12_S13_EUlS12_E_NS1_11comp_targetILNS1_3genE2ELNS1_11target_archE906ELNS1_3gpuE6ELNS1_3repE0EEENS1_30default_config_static_selectorELNS0_4arch9wavefront6targetE0EEEvT1_ ; -- Begin function _ZN7rocprim17ROCPRIM_400000_NS6detail17trampoline_kernelINS0_14default_configENS1_25partition_config_selectorILNS1_17partition_subalgoE8EsNS0_10empty_typeEbEEZZNS1_14partition_implILS5_8ELb0ES3_jPKsPS6_PKS6_NS0_5tupleIJPsS6_EEENSE_IJSB_SB_EEENS0_18inequality_wrapperIN6hipcub16HIPCUB_304000_NS8EqualityEEEPlJS6_EEE10hipError_tPvRmT3_T4_T5_T6_T7_T9_mT8_P12ihipStream_tbDpT10_ENKUlT_T0_E_clISt17integral_constantIbLb0EES16_IbLb1EEEEDaS12_S13_EUlS12_E_NS1_11comp_targetILNS1_3genE2ELNS1_11target_archE906ELNS1_3gpuE6ELNS1_3repE0EEENS1_30default_config_static_selectorELNS0_4arch9wavefront6targetE0EEEvT1_
	.globl	_ZN7rocprim17ROCPRIM_400000_NS6detail17trampoline_kernelINS0_14default_configENS1_25partition_config_selectorILNS1_17partition_subalgoE8EsNS0_10empty_typeEbEEZZNS1_14partition_implILS5_8ELb0ES3_jPKsPS6_PKS6_NS0_5tupleIJPsS6_EEENSE_IJSB_SB_EEENS0_18inequality_wrapperIN6hipcub16HIPCUB_304000_NS8EqualityEEEPlJS6_EEE10hipError_tPvRmT3_T4_T5_T6_T7_T9_mT8_P12ihipStream_tbDpT10_ENKUlT_T0_E_clISt17integral_constantIbLb0EES16_IbLb1EEEEDaS12_S13_EUlS12_E_NS1_11comp_targetILNS1_3genE2ELNS1_11target_archE906ELNS1_3gpuE6ELNS1_3repE0EEENS1_30default_config_static_selectorELNS0_4arch9wavefront6targetE0EEEvT1_
	.p2align	8
	.type	_ZN7rocprim17ROCPRIM_400000_NS6detail17trampoline_kernelINS0_14default_configENS1_25partition_config_selectorILNS1_17partition_subalgoE8EsNS0_10empty_typeEbEEZZNS1_14partition_implILS5_8ELb0ES3_jPKsPS6_PKS6_NS0_5tupleIJPsS6_EEENSE_IJSB_SB_EEENS0_18inequality_wrapperIN6hipcub16HIPCUB_304000_NS8EqualityEEEPlJS6_EEE10hipError_tPvRmT3_T4_T5_T6_T7_T9_mT8_P12ihipStream_tbDpT10_ENKUlT_T0_E_clISt17integral_constantIbLb0EES16_IbLb1EEEEDaS12_S13_EUlS12_E_NS1_11comp_targetILNS1_3genE2ELNS1_11target_archE906ELNS1_3gpuE6ELNS1_3repE0EEENS1_30default_config_static_selectorELNS0_4arch9wavefront6targetE0EEEvT1_,@function
_ZN7rocprim17ROCPRIM_400000_NS6detail17trampoline_kernelINS0_14default_configENS1_25partition_config_selectorILNS1_17partition_subalgoE8EsNS0_10empty_typeEbEEZZNS1_14partition_implILS5_8ELb0ES3_jPKsPS6_PKS6_NS0_5tupleIJPsS6_EEENSE_IJSB_SB_EEENS0_18inequality_wrapperIN6hipcub16HIPCUB_304000_NS8EqualityEEEPlJS6_EEE10hipError_tPvRmT3_T4_T5_T6_T7_T9_mT8_P12ihipStream_tbDpT10_ENKUlT_T0_E_clISt17integral_constantIbLb0EES16_IbLb1EEEEDaS12_S13_EUlS12_E_NS1_11comp_targetILNS1_3genE2ELNS1_11target_archE906ELNS1_3gpuE6ELNS1_3repE0EEENS1_30default_config_static_selectorELNS0_4arch9wavefront6targetE0EEEvT1_: ; @_ZN7rocprim17ROCPRIM_400000_NS6detail17trampoline_kernelINS0_14default_configENS1_25partition_config_selectorILNS1_17partition_subalgoE8EsNS0_10empty_typeEbEEZZNS1_14partition_implILS5_8ELb0ES3_jPKsPS6_PKS6_NS0_5tupleIJPsS6_EEENSE_IJSB_SB_EEENS0_18inequality_wrapperIN6hipcub16HIPCUB_304000_NS8EqualityEEEPlJS6_EEE10hipError_tPvRmT3_T4_T5_T6_T7_T9_mT8_P12ihipStream_tbDpT10_ENKUlT_T0_E_clISt17integral_constantIbLb0EES16_IbLb1EEEEDaS12_S13_EUlS12_E_NS1_11comp_targetILNS1_3genE2ELNS1_11target_archE906ELNS1_3gpuE6ELNS1_3repE0EEENS1_30default_config_static_selectorELNS0_4arch9wavefront6targetE0EEEvT1_
; %bb.0:
	.section	.rodata,"a",@progbits
	.p2align	6, 0x0
	.amdhsa_kernel _ZN7rocprim17ROCPRIM_400000_NS6detail17trampoline_kernelINS0_14default_configENS1_25partition_config_selectorILNS1_17partition_subalgoE8EsNS0_10empty_typeEbEEZZNS1_14partition_implILS5_8ELb0ES3_jPKsPS6_PKS6_NS0_5tupleIJPsS6_EEENSE_IJSB_SB_EEENS0_18inequality_wrapperIN6hipcub16HIPCUB_304000_NS8EqualityEEEPlJS6_EEE10hipError_tPvRmT3_T4_T5_T6_T7_T9_mT8_P12ihipStream_tbDpT10_ENKUlT_T0_E_clISt17integral_constantIbLb0EES16_IbLb1EEEEDaS12_S13_EUlS12_E_NS1_11comp_targetILNS1_3genE2ELNS1_11target_archE906ELNS1_3gpuE6ELNS1_3repE0EEENS1_30default_config_static_selectorELNS0_4arch9wavefront6targetE0EEEvT1_
		.amdhsa_group_segment_fixed_size 0
		.amdhsa_private_segment_fixed_size 0
		.amdhsa_kernarg_size 128
		.amdhsa_user_sgpr_count 2
		.amdhsa_user_sgpr_dispatch_ptr 0
		.amdhsa_user_sgpr_queue_ptr 0
		.amdhsa_user_sgpr_kernarg_segment_ptr 1
		.amdhsa_user_sgpr_dispatch_id 0
		.amdhsa_user_sgpr_kernarg_preload_length 0
		.amdhsa_user_sgpr_kernarg_preload_offset 0
		.amdhsa_user_sgpr_private_segment_size 0
		.amdhsa_wavefront_size32 1
		.amdhsa_uses_dynamic_stack 0
		.amdhsa_enable_private_segment 0
		.amdhsa_system_sgpr_workgroup_id_x 1
		.amdhsa_system_sgpr_workgroup_id_y 0
		.amdhsa_system_sgpr_workgroup_id_z 0
		.amdhsa_system_sgpr_workgroup_info 0
		.amdhsa_system_vgpr_workitem_id 0
		.amdhsa_next_free_vgpr 1
		.amdhsa_next_free_sgpr 1
		.amdhsa_named_barrier_count 0
		.amdhsa_reserve_vcc 0
		.amdhsa_float_round_mode_32 0
		.amdhsa_float_round_mode_16_64 0
		.amdhsa_float_denorm_mode_32 3
		.amdhsa_float_denorm_mode_16_64 3
		.amdhsa_fp16_overflow 0
		.amdhsa_memory_ordered 1
		.amdhsa_forward_progress 1
		.amdhsa_inst_pref_size 0
		.amdhsa_round_robin_scheduling 0
		.amdhsa_exception_fp_ieee_invalid_op 0
		.amdhsa_exception_fp_denorm_src 0
		.amdhsa_exception_fp_ieee_div_zero 0
		.amdhsa_exception_fp_ieee_overflow 0
		.amdhsa_exception_fp_ieee_underflow 0
		.amdhsa_exception_fp_ieee_inexact 0
		.amdhsa_exception_int_div_zero 0
	.end_amdhsa_kernel
	.section	.text._ZN7rocprim17ROCPRIM_400000_NS6detail17trampoline_kernelINS0_14default_configENS1_25partition_config_selectorILNS1_17partition_subalgoE8EsNS0_10empty_typeEbEEZZNS1_14partition_implILS5_8ELb0ES3_jPKsPS6_PKS6_NS0_5tupleIJPsS6_EEENSE_IJSB_SB_EEENS0_18inequality_wrapperIN6hipcub16HIPCUB_304000_NS8EqualityEEEPlJS6_EEE10hipError_tPvRmT3_T4_T5_T6_T7_T9_mT8_P12ihipStream_tbDpT10_ENKUlT_T0_E_clISt17integral_constantIbLb0EES16_IbLb1EEEEDaS12_S13_EUlS12_E_NS1_11comp_targetILNS1_3genE2ELNS1_11target_archE906ELNS1_3gpuE6ELNS1_3repE0EEENS1_30default_config_static_selectorELNS0_4arch9wavefront6targetE0EEEvT1_,"axG",@progbits,_ZN7rocprim17ROCPRIM_400000_NS6detail17trampoline_kernelINS0_14default_configENS1_25partition_config_selectorILNS1_17partition_subalgoE8EsNS0_10empty_typeEbEEZZNS1_14partition_implILS5_8ELb0ES3_jPKsPS6_PKS6_NS0_5tupleIJPsS6_EEENSE_IJSB_SB_EEENS0_18inequality_wrapperIN6hipcub16HIPCUB_304000_NS8EqualityEEEPlJS6_EEE10hipError_tPvRmT3_T4_T5_T6_T7_T9_mT8_P12ihipStream_tbDpT10_ENKUlT_T0_E_clISt17integral_constantIbLb0EES16_IbLb1EEEEDaS12_S13_EUlS12_E_NS1_11comp_targetILNS1_3genE2ELNS1_11target_archE906ELNS1_3gpuE6ELNS1_3repE0EEENS1_30default_config_static_selectorELNS0_4arch9wavefront6targetE0EEEvT1_,comdat
.Lfunc_end576:
	.size	_ZN7rocprim17ROCPRIM_400000_NS6detail17trampoline_kernelINS0_14default_configENS1_25partition_config_selectorILNS1_17partition_subalgoE8EsNS0_10empty_typeEbEEZZNS1_14partition_implILS5_8ELb0ES3_jPKsPS6_PKS6_NS0_5tupleIJPsS6_EEENSE_IJSB_SB_EEENS0_18inequality_wrapperIN6hipcub16HIPCUB_304000_NS8EqualityEEEPlJS6_EEE10hipError_tPvRmT3_T4_T5_T6_T7_T9_mT8_P12ihipStream_tbDpT10_ENKUlT_T0_E_clISt17integral_constantIbLb0EES16_IbLb1EEEEDaS12_S13_EUlS12_E_NS1_11comp_targetILNS1_3genE2ELNS1_11target_archE906ELNS1_3gpuE6ELNS1_3repE0EEENS1_30default_config_static_selectorELNS0_4arch9wavefront6targetE0EEEvT1_, .Lfunc_end576-_ZN7rocprim17ROCPRIM_400000_NS6detail17trampoline_kernelINS0_14default_configENS1_25partition_config_selectorILNS1_17partition_subalgoE8EsNS0_10empty_typeEbEEZZNS1_14partition_implILS5_8ELb0ES3_jPKsPS6_PKS6_NS0_5tupleIJPsS6_EEENSE_IJSB_SB_EEENS0_18inequality_wrapperIN6hipcub16HIPCUB_304000_NS8EqualityEEEPlJS6_EEE10hipError_tPvRmT3_T4_T5_T6_T7_T9_mT8_P12ihipStream_tbDpT10_ENKUlT_T0_E_clISt17integral_constantIbLb0EES16_IbLb1EEEEDaS12_S13_EUlS12_E_NS1_11comp_targetILNS1_3genE2ELNS1_11target_archE906ELNS1_3gpuE6ELNS1_3repE0EEENS1_30default_config_static_selectorELNS0_4arch9wavefront6targetE0EEEvT1_
                                        ; -- End function
	.set _ZN7rocprim17ROCPRIM_400000_NS6detail17trampoline_kernelINS0_14default_configENS1_25partition_config_selectorILNS1_17partition_subalgoE8EsNS0_10empty_typeEbEEZZNS1_14partition_implILS5_8ELb0ES3_jPKsPS6_PKS6_NS0_5tupleIJPsS6_EEENSE_IJSB_SB_EEENS0_18inequality_wrapperIN6hipcub16HIPCUB_304000_NS8EqualityEEEPlJS6_EEE10hipError_tPvRmT3_T4_T5_T6_T7_T9_mT8_P12ihipStream_tbDpT10_ENKUlT_T0_E_clISt17integral_constantIbLb0EES16_IbLb1EEEEDaS12_S13_EUlS12_E_NS1_11comp_targetILNS1_3genE2ELNS1_11target_archE906ELNS1_3gpuE6ELNS1_3repE0EEENS1_30default_config_static_selectorELNS0_4arch9wavefront6targetE0EEEvT1_.num_vgpr, 0
	.set _ZN7rocprim17ROCPRIM_400000_NS6detail17trampoline_kernelINS0_14default_configENS1_25partition_config_selectorILNS1_17partition_subalgoE8EsNS0_10empty_typeEbEEZZNS1_14partition_implILS5_8ELb0ES3_jPKsPS6_PKS6_NS0_5tupleIJPsS6_EEENSE_IJSB_SB_EEENS0_18inequality_wrapperIN6hipcub16HIPCUB_304000_NS8EqualityEEEPlJS6_EEE10hipError_tPvRmT3_T4_T5_T6_T7_T9_mT8_P12ihipStream_tbDpT10_ENKUlT_T0_E_clISt17integral_constantIbLb0EES16_IbLb1EEEEDaS12_S13_EUlS12_E_NS1_11comp_targetILNS1_3genE2ELNS1_11target_archE906ELNS1_3gpuE6ELNS1_3repE0EEENS1_30default_config_static_selectorELNS0_4arch9wavefront6targetE0EEEvT1_.num_agpr, 0
	.set _ZN7rocprim17ROCPRIM_400000_NS6detail17trampoline_kernelINS0_14default_configENS1_25partition_config_selectorILNS1_17partition_subalgoE8EsNS0_10empty_typeEbEEZZNS1_14partition_implILS5_8ELb0ES3_jPKsPS6_PKS6_NS0_5tupleIJPsS6_EEENSE_IJSB_SB_EEENS0_18inequality_wrapperIN6hipcub16HIPCUB_304000_NS8EqualityEEEPlJS6_EEE10hipError_tPvRmT3_T4_T5_T6_T7_T9_mT8_P12ihipStream_tbDpT10_ENKUlT_T0_E_clISt17integral_constantIbLb0EES16_IbLb1EEEEDaS12_S13_EUlS12_E_NS1_11comp_targetILNS1_3genE2ELNS1_11target_archE906ELNS1_3gpuE6ELNS1_3repE0EEENS1_30default_config_static_selectorELNS0_4arch9wavefront6targetE0EEEvT1_.numbered_sgpr, 0
	.set _ZN7rocprim17ROCPRIM_400000_NS6detail17trampoline_kernelINS0_14default_configENS1_25partition_config_selectorILNS1_17partition_subalgoE8EsNS0_10empty_typeEbEEZZNS1_14partition_implILS5_8ELb0ES3_jPKsPS6_PKS6_NS0_5tupleIJPsS6_EEENSE_IJSB_SB_EEENS0_18inequality_wrapperIN6hipcub16HIPCUB_304000_NS8EqualityEEEPlJS6_EEE10hipError_tPvRmT3_T4_T5_T6_T7_T9_mT8_P12ihipStream_tbDpT10_ENKUlT_T0_E_clISt17integral_constantIbLb0EES16_IbLb1EEEEDaS12_S13_EUlS12_E_NS1_11comp_targetILNS1_3genE2ELNS1_11target_archE906ELNS1_3gpuE6ELNS1_3repE0EEENS1_30default_config_static_selectorELNS0_4arch9wavefront6targetE0EEEvT1_.num_named_barrier, 0
	.set _ZN7rocprim17ROCPRIM_400000_NS6detail17trampoline_kernelINS0_14default_configENS1_25partition_config_selectorILNS1_17partition_subalgoE8EsNS0_10empty_typeEbEEZZNS1_14partition_implILS5_8ELb0ES3_jPKsPS6_PKS6_NS0_5tupleIJPsS6_EEENSE_IJSB_SB_EEENS0_18inequality_wrapperIN6hipcub16HIPCUB_304000_NS8EqualityEEEPlJS6_EEE10hipError_tPvRmT3_T4_T5_T6_T7_T9_mT8_P12ihipStream_tbDpT10_ENKUlT_T0_E_clISt17integral_constantIbLb0EES16_IbLb1EEEEDaS12_S13_EUlS12_E_NS1_11comp_targetILNS1_3genE2ELNS1_11target_archE906ELNS1_3gpuE6ELNS1_3repE0EEENS1_30default_config_static_selectorELNS0_4arch9wavefront6targetE0EEEvT1_.private_seg_size, 0
	.set _ZN7rocprim17ROCPRIM_400000_NS6detail17trampoline_kernelINS0_14default_configENS1_25partition_config_selectorILNS1_17partition_subalgoE8EsNS0_10empty_typeEbEEZZNS1_14partition_implILS5_8ELb0ES3_jPKsPS6_PKS6_NS0_5tupleIJPsS6_EEENSE_IJSB_SB_EEENS0_18inequality_wrapperIN6hipcub16HIPCUB_304000_NS8EqualityEEEPlJS6_EEE10hipError_tPvRmT3_T4_T5_T6_T7_T9_mT8_P12ihipStream_tbDpT10_ENKUlT_T0_E_clISt17integral_constantIbLb0EES16_IbLb1EEEEDaS12_S13_EUlS12_E_NS1_11comp_targetILNS1_3genE2ELNS1_11target_archE906ELNS1_3gpuE6ELNS1_3repE0EEENS1_30default_config_static_selectorELNS0_4arch9wavefront6targetE0EEEvT1_.uses_vcc, 0
	.set _ZN7rocprim17ROCPRIM_400000_NS6detail17trampoline_kernelINS0_14default_configENS1_25partition_config_selectorILNS1_17partition_subalgoE8EsNS0_10empty_typeEbEEZZNS1_14partition_implILS5_8ELb0ES3_jPKsPS6_PKS6_NS0_5tupleIJPsS6_EEENSE_IJSB_SB_EEENS0_18inequality_wrapperIN6hipcub16HIPCUB_304000_NS8EqualityEEEPlJS6_EEE10hipError_tPvRmT3_T4_T5_T6_T7_T9_mT8_P12ihipStream_tbDpT10_ENKUlT_T0_E_clISt17integral_constantIbLb0EES16_IbLb1EEEEDaS12_S13_EUlS12_E_NS1_11comp_targetILNS1_3genE2ELNS1_11target_archE906ELNS1_3gpuE6ELNS1_3repE0EEENS1_30default_config_static_selectorELNS0_4arch9wavefront6targetE0EEEvT1_.uses_flat_scratch, 0
	.set _ZN7rocprim17ROCPRIM_400000_NS6detail17trampoline_kernelINS0_14default_configENS1_25partition_config_selectorILNS1_17partition_subalgoE8EsNS0_10empty_typeEbEEZZNS1_14partition_implILS5_8ELb0ES3_jPKsPS6_PKS6_NS0_5tupleIJPsS6_EEENSE_IJSB_SB_EEENS0_18inequality_wrapperIN6hipcub16HIPCUB_304000_NS8EqualityEEEPlJS6_EEE10hipError_tPvRmT3_T4_T5_T6_T7_T9_mT8_P12ihipStream_tbDpT10_ENKUlT_T0_E_clISt17integral_constantIbLb0EES16_IbLb1EEEEDaS12_S13_EUlS12_E_NS1_11comp_targetILNS1_3genE2ELNS1_11target_archE906ELNS1_3gpuE6ELNS1_3repE0EEENS1_30default_config_static_selectorELNS0_4arch9wavefront6targetE0EEEvT1_.has_dyn_sized_stack, 0
	.set _ZN7rocprim17ROCPRIM_400000_NS6detail17trampoline_kernelINS0_14default_configENS1_25partition_config_selectorILNS1_17partition_subalgoE8EsNS0_10empty_typeEbEEZZNS1_14partition_implILS5_8ELb0ES3_jPKsPS6_PKS6_NS0_5tupleIJPsS6_EEENSE_IJSB_SB_EEENS0_18inequality_wrapperIN6hipcub16HIPCUB_304000_NS8EqualityEEEPlJS6_EEE10hipError_tPvRmT3_T4_T5_T6_T7_T9_mT8_P12ihipStream_tbDpT10_ENKUlT_T0_E_clISt17integral_constantIbLb0EES16_IbLb1EEEEDaS12_S13_EUlS12_E_NS1_11comp_targetILNS1_3genE2ELNS1_11target_archE906ELNS1_3gpuE6ELNS1_3repE0EEENS1_30default_config_static_selectorELNS0_4arch9wavefront6targetE0EEEvT1_.has_recursion, 0
	.set _ZN7rocprim17ROCPRIM_400000_NS6detail17trampoline_kernelINS0_14default_configENS1_25partition_config_selectorILNS1_17partition_subalgoE8EsNS0_10empty_typeEbEEZZNS1_14partition_implILS5_8ELb0ES3_jPKsPS6_PKS6_NS0_5tupleIJPsS6_EEENSE_IJSB_SB_EEENS0_18inequality_wrapperIN6hipcub16HIPCUB_304000_NS8EqualityEEEPlJS6_EEE10hipError_tPvRmT3_T4_T5_T6_T7_T9_mT8_P12ihipStream_tbDpT10_ENKUlT_T0_E_clISt17integral_constantIbLb0EES16_IbLb1EEEEDaS12_S13_EUlS12_E_NS1_11comp_targetILNS1_3genE2ELNS1_11target_archE906ELNS1_3gpuE6ELNS1_3repE0EEENS1_30default_config_static_selectorELNS0_4arch9wavefront6targetE0EEEvT1_.has_indirect_call, 0
	.section	.AMDGPU.csdata,"",@progbits
; Kernel info:
; codeLenInByte = 0
; TotalNumSgprs: 0
; NumVgprs: 0
; ScratchSize: 0
; MemoryBound: 0
; FloatMode: 240
; IeeeMode: 1
; LDSByteSize: 0 bytes/workgroup (compile time only)
; SGPRBlocks: 0
; VGPRBlocks: 0
; NumSGPRsForWavesPerEU: 1
; NumVGPRsForWavesPerEU: 1
; NamedBarCnt: 0
; Occupancy: 16
; WaveLimiterHint : 0
; COMPUTE_PGM_RSRC2:SCRATCH_EN: 0
; COMPUTE_PGM_RSRC2:USER_SGPR: 2
; COMPUTE_PGM_RSRC2:TRAP_HANDLER: 0
; COMPUTE_PGM_RSRC2:TGID_X_EN: 1
; COMPUTE_PGM_RSRC2:TGID_Y_EN: 0
; COMPUTE_PGM_RSRC2:TGID_Z_EN: 0
; COMPUTE_PGM_RSRC2:TIDIG_COMP_CNT: 0
	.section	.text._ZN7rocprim17ROCPRIM_400000_NS6detail17trampoline_kernelINS0_14default_configENS1_25partition_config_selectorILNS1_17partition_subalgoE8EsNS0_10empty_typeEbEEZZNS1_14partition_implILS5_8ELb0ES3_jPKsPS6_PKS6_NS0_5tupleIJPsS6_EEENSE_IJSB_SB_EEENS0_18inequality_wrapperIN6hipcub16HIPCUB_304000_NS8EqualityEEEPlJS6_EEE10hipError_tPvRmT3_T4_T5_T6_T7_T9_mT8_P12ihipStream_tbDpT10_ENKUlT_T0_E_clISt17integral_constantIbLb0EES16_IbLb1EEEEDaS12_S13_EUlS12_E_NS1_11comp_targetILNS1_3genE10ELNS1_11target_archE1200ELNS1_3gpuE4ELNS1_3repE0EEENS1_30default_config_static_selectorELNS0_4arch9wavefront6targetE0EEEvT1_,"axG",@progbits,_ZN7rocprim17ROCPRIM_400000_NS6detail17trampoline_kernelINS0_14default_configENS1_25partition_config_selectorILNS1_17partition_subalgoE8EsNS0_10empty_typeEbEEZZNS1_14partition_implILS5_8ELb0ES3_jPKsPS6_PKS6_NS0_5tupleIJPsS6_EEENSE_IJSB_SB_EEENS0_18inequality_wrapperIN6hipcub16HIPCUB_304000_NS8EqualityEEEPlJS6_EEE10hipError_tPvRmT3_T4_T5_T6_T7_T9_mT8_P12ihipStream_tbDpT10_ENKUlT_T0_E_clISt17integral_constantIbLb0EES16_IbLb1EEEEDaS12_S13_EUlS12_E_NS1_11comp_targetILNS1_3genE10ELNS1_11target_archE1200ELNS1_3gpuE4ELNS1_3repE0EEENS1_30default_config_static_selectorELNS0_4arch9wavefront6targetE0EEEvT1_,comdat
	.protected	_ZN7rocprim17ROCPRIM_400000_NS6detail17trampoline_kernelINS0_14default_configENS1_25partition_config_selectorILNS1_17partition_subalgoE8EsNS0_10empty_typeEbEEZZNS1_14partition_implILS5_8ELb0ES3_jPKsPS6_PKS6_NS0_5tupleIJPsS6_EEENSE_IJSB_SB_EEENS0_18inequality_wrapperIN6hipcub16HIPCUB_304000_NS8EqualityEEEPlJS6_EEE10hipError_tPvRmT3_T4_T5_T6_T7_T9_mT8_P12ihipStream_tbDpT10_ENKUlT_T0_E_clISt17integral_constantIbLb0EES16_IbLb1EEEEDaS12_S13_EUlS12_E_NS1_11comp_targetILNS1_3genE10ELNS1_11target_archE1200ELNS1_3gpuE4ELNS1_3repE0EEENS1_30default_config_static_selectorELNS0_4arch9wavefront6targetE0EEEvT1_ ; -- Begin function _ZN7rocprim17ROCPRIM_400000_NS6detail17trampoline_kernelINS0_14default_configENS1_25partition_config_selectorILNS1_17partition_subalgoE8EsNS0_10empty_typeEbEEZZNS1_14partition_implILS5_8ELb0ES3_jPKsPS6_PKS6_NS0_5tupleIJPsS6_EEENSE_IJSB_SB_EEENS0_18inequality_wrapperIN6hipcub16HIPCUB_304000_NS8EqualityEEEPlJS6_EEE10hipError_tPvRmT3_T4_T5_T6_T7_T9_mT8_P12ihipStream_tbDpT10_ENKUlT_T0_E_clISt17integral_constantIbLb0EES16_IbLb1EEEEDaS12_S13_EUlS12_E_NS1_11comp_targetILNS1_3genE10ELNS1_11target_archE1200ELNS1_3gpuE4ELNS1_3repE0EEENS1_30default_config_static_selectorELNS0_4arch9wavefront6targetE0EEEvT1_
	.globl	_ZN7rocprim17ROCPRIM_400000_NS6detail17trampoline_kernelINS0_14default_configENS1_25partition_config_selectorILNS1_17partition_subalgoE8EsNS0_10empty_typeEbEEZZNS1_14partition_implILS5_8ELb0ES3_jPKsPS6_PKS6_NS0_5tupleIJPsS6_EEENSE_IJSB_SB_EEENS0_18inequality_wrapperIN6hipcub16HIPCUB_304000_NS8EqualityEEEPlJS6_EEE10hipError_tPvRmT3_T4_T5_T6_T7_T9_mT8_P12ihipStream_tbDpT10_ENKUlT_T0_E_clISt17integral_constantIbLb0EES16_IbLb1EEEEDaS12_S13_EUlS12_E_NS1_11comp_targetILNS1_3genE10ELNS1_11target_archE1200ELNS1_3gpuE4ELNS1_3repE0EEENS1_30default_config_static_selectorELNS0_4arch9wavefront6targetE0EEEvT1_
	.p2align	8
	.type	_ZN7rocprim17ROCPRIM_400000_NS6detail17trampoline_kernelINS0_14default_configENS1_25partition_config_selectorILNS1_17partition_subalgoE8EsNS0_10empty_typeEbEEZZNS1_14partition_implILS5_8ELb0ES3_jPKsPS6_PKS6_NS0_5tupleIJPsS6_EEENSE_IJSB_SB_EEENS0_18inequality_wrapperIN6hipcub16HIPCUB_304000_NS8EqualityEEEPlJS6_EEE10hipError_tPvRmT3_T4_T5_T6_T7_T9_mT8_P12ihipStream_tbDpT10_ENKUlT_T0_E_clISt17integral_constantIbLb0EES16_IbLb1EEEEDaS12_S13_EUlS12_E_NS1_11comp_targetILNS1_3genE10ELNS1_11target_archE1200ELNS1_3gpuE4ELNS1_3repE0EEENS1_30default_config_static_selectorELNS0_4arch9wavefront6targetE0EEEvT1_,@function
_ZN7rocprim17ROCPRIM_400000_NS6detail17trampoline_kernelINS0_14default_configENS1_25partition_config_selectorILNS1_17partition_subalgoE8EsNS0_10empty_typeEbEEZZNS1_14partition_implILS5_8ELb0ES3_jPKsPS6_PKS6_NS0_5tupleIJPsS6_EEENSE_IJSB_SB_EEENS0_18inequality_wrapperIN6hipcub16HIPCUB_304000_NS8EqualityEEEPlJS6_EEE10hipError_tPvRmT3_T4_T5_T6_T7_T9_mT8_P12ihipStream_tbDpT10_ENKUlT_T0_E_clISt17integral_constantIbLb0EES16_IbLb1EEEEDaS12_S13_EUlS12_E_NS1_11comp_targetILNS1_3genE10ELNS1_11target_archE1200ELNS1_3gpuE4ELNS1_3repE0EEENS1_30default_config_static_selectorELNS0_4arch9wavefront6targetE0EEEvT1_: ; @_ZN7rocprim17ROCPRIM_400000_NS6detail17trampoline_kernelINS0_14default_configENS1_25partition_config_selectorILNS1_17partition_subalgoE8EsNS0_10empty_typeEbEEZZNS1_14partition_implILS5_8ELb0ES3_jPKsPS6_PKS6_NS0_5tupleIJPsS6_EEENSE_IJSB_SB_EEENS0_18inequality_wrapperIN6hipcub16HIPCUB_304000_NS8EqualityEEEPlJS6_EEE10hipError_tPvRmT3_T4_T5_T6_T7_T9_mT8_P12ihipStream_tbDpT10_ENKUlT_T0_E_clISt17integral_constantIbLb0EES16_IbLb1EEEEDaS12_S13_EUlS12_E_NS1_11comp_targetILNS1_3genE10ELNS1_11target_archE1200ELNS1_3gpuE4ELNS1_3repE0EEENS1_30default_config_static_selectorELNS0_4arch9wavefront6targetE0EEEvT1_
; %bb.0:
	.section	.rodata,"a",@progbits
	.p2align	6, 0x0
	.amdhsa_kernel _ZN7rocprim17ROCPRIM_400000_NS6detail17trampoline_kernelINS0_14default_configENS1_25partition_config_selectorILNS1_17partition_subalgoE8EsNS0_10empty_typeEbEEZZNS1_14partition_implILS5_8ELb0ES3_jPKsPS6_PKS6_NS0_5tupleIJPsS6_EEENSE_IJSB_SB_EEENS0_18inequality_wrapperIN6hipcub16HIPCUB_304000_NS8EqualityEEEPlJS6_EEE10hipError_tPvRmT3_T4_T5_T6_T7_T9_mT8_P12ihipStream_tbDpT10_ENKUlT_T0_E_clISt17integral_constantIbLb0EES16_IbLb1EEEEDaS12_S13_EUlS12_E_NS1_11comp_targetILNS1_3genE10ELNS1_11target_archE1200ELNS1_3gpuE4ELNS1_3repE0EEENS1_30default_config_static_selectorELNS0_4arch9wavefront6targetE0EEEvT1_
		.amdhsa_group_segment_fixed_size 0
		.amdhsa_private_segment_fixed_size 0
		.amdhsa_kernarg_size 128
		.amdhsa_user_sgpr_count 2
		.amdhsa_user_sgpr_dispatch_ptr 0
		.amdhsa_user_sgpr_queue_ptr 0
		.amdhsa_user_sgpr_kernarg_segment_ptr 1
		.amdhsa_user_sgpr_dispatch_id 0
		.amdhsa_user_sgpr_kernarg_preload_length 0
		.amdhsa_user_sgpr_kernarg_preload_offset 0
		.amdhsa_user_sgpr_private_segment_size 0
		.amdhsa_wavefront_size32 1
		.amdhsa_uses_dynamic_stack 0
		.amdhsa_enable_private_segment 0
		.amdhsa_system_sgpr_workgroup_id_x 1
		.amdhsa_system_sgpr_workgroup_id_y 0
		.amdhsa_system_sgpr_workgroup_id_z 0
		.amdhsa_system_sgpr_workgroup_info 0
		.amdhsa_system_vgpr_workitem_id 0
		.amdhsa_next_free_vgpr 1
		.amdhsa_next_free_sgpr 1
		.amdhsa_named_barrier_count 0
		.amdhsa_reserve_vcc 0
		.amdhsa_float_round_mode_32 0
		.amdhsa_float_round_mode_16_64 0
		.amdhsa_float_denorm_mode_32 3
		.amdhsa_float_denorm_mode_16_64 3
		.amdhsa_fp16_overflow 0
		.amdhsa_memory_ordered 1
		.amdhsa_forward_progress 1
		.amdhsa_inst_pref_size 0
		.amdhsa_round_robin_scheduling 0
		.amdhsa_exception_fp_ieee_invalid_op 0
		.amdhsa_exception_fp_denorm_src 0
		.amdhsa_exception_fp_ieee_div_zero 0
		.amdhsa_exception_fp_ieee_overflow 0
		.amdhsa_exception_fp_ieee_underflow 0
		.amdhsa_exception_fp_ieee_inexact 0
		.amdhsa_exception_int_div_zero 0
	.end_amdhsa_kernel
	.section	.text._ZN7rocprim17ROCPRIM_400000_NS6detail17trampoline_kernelINS0_14default_configENS1_25partition_config_selectorILNS1_17partition_subalgoE8EsNS0_10empty_typeEbEEZZNS1_14partition_implILS5_8ELb0ES3_jPKsPS6_PKS6_NS0_5tupleIJPsS6_EEENSE_IJSB_SB_EEENS0_18inequality_wrapperIN6hipcub16HIPCUB_304000_NS8EqualityEEEPlJS6_EEE10hipError_tPvRmT3_T4_T5_T6_T7_T9_mT8_P12ihipStream_tbDpT10_ENKUlT_T0_E_clISt17integral_constantIbLb0EES16_IbLb1EEEEDaS12_S13_EUlS12_E_NS1_11comp_targetILNS1_3genE10ELNS1_11target_archE1200ELNS1_3gpuE4ELNS1_3repE0EEENS1_30default_config_static_selectorELNS0_4arch9wavefront6targetE0EEEvT1_,"axG",@progbits,_ZN7rocprim17ROCPRIM_400000_NS6detail17trampoline_kernelINS0_14default_configENS1_25partition_config_selectorILNS1_17partition_subalgoE8EsNS0_10empty_typeEbEEZZNS1_14partition_implILS5_8ELb0ES3_jPKsPS6_PKS6_NS0_5tupleIJPsS6_EEENSE_IJSB_SB_EEENS0_18inequality_wrapperIN6hipcub16HIPCUB_304000_NS8EqualityEEEPlJS6_EEE10hipError_tPvRmT3_T4_T5_T6_T7_T9_mT8_P12ihipStream_tbDpT10_ENKUlT_T0_E_clISt17integral_constantIbLb0EES16_IbLb1EEEEDaS12_S13_EUlS12_E_NS1_11comp_targetILNS1_3genE10ELNS1_11target_archE1200ELNS1_3gpuE4ELNS1_3repE0EEENS1_30default_config_static_selectorELNS0_4arch9wavefront6targetE0EEEvT1_,comdat
.Lfunc_end577:
	.size	_ZN7rocprim17ROCPRIM_400000_NS6detail17trampoline_kernelINS0_14default_configENS1_25partition_config_selectorILNS1_17partition_subalgoE8EsNS0_10empty_typeEbEEZZNS1_14partition_implILS5_8ELb0ES3_jPKsPS6_PKS6_NS0_5tupleIJPsS6_EEENSE_IJSB_SB_EEENS0_18inequality_wrapperIN6hipcub16HIPCUB_304000_NS8EqualityEEEPlJS6_EEE10hipError_tPvRmT3_T4_T5_T6_T7_T9_mT8_P12ihipStream_tbDpT10_ENKUlT_T0_E_clISt17integral_constantIbLb0EES16_IbLb1EEEEDaS12_S13_EUlS12_E_NS1_11comp_targetILNS1_3genE10ELNS1_11target_archE1200ELNS1_3gpuE4ELNS1_3repE0EEENS1_30default_config_static_selectorELNS0_4arch9wavefront6targetE0EEEvT1_, .Lfunc_end577-_ZN7rocprim17ROCPRIM_400000_NS6detail17trampoline_kernelINS0_14default_configENS1_25partition_config_selectorILNS1_17partition_subalgoE8EsNS0_10empty_typeEbEEZZNS1_14partition_implILS5_8ELb0ES3_jPKsPS6_PKS6_NS0_5tupleIJPsS6_EEENSE_IJSB_SB_EEENS0_18inequality_wrapperIN6hipcub16HIPCUB_304000_NS8EqualityEEEPlJS6_EEE10hipError_tPvRmT3_T4_T5_T6_T7_T9_mT8_P12ihipStream_tbDpT10_ENKUlT_T0_E_clISt17integral_constantIbLb0EES16_IbLb1EEEEDaS12_S13_EUlS12_E_NS1_11comp_targetILNS1_3genE10ELNS1_11target_archE1200ELNS1_3gpuE4ELNS1_3repE0EEENS1_30default_config_static_selectorELNS0_4arch9wavefront6targetE0EEEvT1_
                                        ; -- End function
	.set _ZN7rocprim17ROCPRIM_400000_NS6detail17trampoline_kernelINS0_14default_configENS1_25partition_config_selectorILNS1_17partition_subalgoE8EsNS0_10empty_typeEbEEZZNS1_14partition_implILS5_8ELb0ES3_jPKsPS6_PKS6_NS0_5tupleIJPsS6_EEENSE_IJSB_SB_EEENS0_18inequality_wrapperIN6hipcub16HIPCUB_304000_NS8EqualityEEEPlJS6_EEE10hipError_tPvRmT3_T4_T5_T6_T7_T9_mT8_P12ihipStream_tbDpT10_ENKUlT_T0_E_clISt17integral_constantIbLb0EES16_IbLb1EEEEDaS12_S13_EUlS12_E_NS1_11comp_targetILNS1_3genE10ELNS1_11target_archE1200ELNS1_3gpuE4ELNS1_3repE0EEENS1_30default_config_static_selectorELNS0_4arch9wavefront6targetE0EEEvT1_.num_vgpr, 0
	.set _ZN7rocprim17ROCPRIM_400000_NS6detail17trampoline_kernelINS0_14default_configENS1_25partition_config_selectorILNS1_17partition_subalgoE8EsNS0_10empty_typeEbEEZZNS1_14partition_implILS5_8ELb0ES3_jPKsPS6_PKS6_NS0_5tupleIJPsS6_EEENSE_IJSB_SB_EEENS0_18inequality_wrapperIN6hipcub16HIPCUB_304000_NS8EqualityEEEPlJS6_EEE10hipError_tPvRmT3_T4_T5_T6_T7_T9_mT8_P12ihipStream_tbDpT10_ENKUlT_T0_E_clISt17integral_constantIbLb0EES16_IbLb1EEEEDaS12_S13_EUlS12_E_NS1_11comp_targetILNS1_3genE10ELNS1_11target_archE1200ELNS1_3gpuE4ELNS1_3repE0EEENS1_30default_config_static_selectorELNS0_4arch9wavefront6targetE0EEEvT1_.num_agpr, 0
	.set _ZN7rocprim17ROCPRIM_400000_NS6detail17trampoline_kernelINS0_14default_configENS1_25partition_config_selectorILNS1_17partition_subalgoE8EsNS0_10empty_typeEbEEZZNS1_14partition_implILS5_8ELb0ES3_jPKsPS6_PKS6_NS0_5tupleIJPsS6_EEENSE_IJSB_SB_EEENS0_18inequality_wrapperIN6hipcub16HIPCUB_304000_NS8EqualityEEEPlJS6_EEE10hipError_tPvRmT3_T4_T5_T6_T7_T9_mT8_P12ihipStream_tbDpT10_ENKUlT_T0_E_clISt17integral_constantIbLb0EES16_IbLb1EEEEDaS12_S13_EUlS12_E_NS1_11comp_targetILNS1_3genE10ELNS1_11target_archE1200ELNS1_3gpuE4ELNS1_3repE0EEENS1_30default_config_static_selectorELNS0_4arch9wavefront6targetE0EEEvT1_.numbered_sgpr, 0
	.set _ZN7rocprim17ROCPRIM_400000_NS6detail17trampoline_kernelINS0_14default_configENS1_25partition_config_selectorILNS1_17partition_subalgoE8EsNS0_10empty_typeEbEEZZNS1_14partition_implILS5_8ELb0ES3_jPKsPS6_PKS6_NS0_5tupleIJPsS6_EEENSE_IJSB_SB_EEENS0_18inequality_wrapperIN6hipcub16HIPCUB_304000_NS8EqualityEEEPlJS6_EEE10hipError_tPvRmT3_T4_T5_T6_T7_T9_mT8_P12ihipStream_tbDpT10_ENKUlT_T0_E_clISt17integral_constantIbLb0EES16_IbLb1EEEEDaS12_S13_EUlS12_E_NS1_11comp_targetILNS1_3genE10ELNS1_11target_archE1200ELNS1_3gpuE4ELNS1_3repE0EEENS1_30default_config_static_selectorELNS0_4arch9wavefront6targetE0EEEvT1_.num_named_barrier, 0
	.set _ZN7rocprim17ROCPRIM_400000_NS6detail17trampoline_kernelINS0_14default_configENS1_25partition_config_selectorILNS1_17partition_subalgoE8EsNS0_10empty_typeEbEEZZNS1_14partition_implILS5_8ELb0ES3_jPKsPS6_PKS6_NS0_5tupleIJPsS6_EEENSE_IJSB_SB_EEENS0_18inequality_wrapperIN6hipcub16HIPCUB_304000_NS8EqualityEEEPlJS6_EEE10hipError_tPvRmT3_T4_T5_T6_T7_T9_mT8_P12ihipStream_tbDpT10_ENKUlT_T0_E_clISt17integral_constantIbLb0EES16_IbLb1EEEEDaS12_S13_EUlS12_E_NS1_11comp_targetILNS1_3genE10ELNS1_11target_archE1200ELNS1_3gpuE4ELNS1_3repE0EEENS1_30default_config_static_selectorELNS0_4arch9wavefront6targetE0EEEvT1_.private_seg_size, 0
	.set _ZN7rocprim17ROCPRIM_400000_NS6detail17trampoline_kernelINS0_14default_configENS1_25partition_config_selectorILNS1_17partition_subalgoE8EsNS0_10empty_typeEbEEZZNS1_14partition_implILS5_8ELb0ES3_jPKsPS6_PKS6_NS0_5tupleIJPsS6_EEENSE_IJSB_SB_EEENS0_18inequality_wrapperIN6hipcub16HIPCUB_304000_NS8EqualityEEEPlJS6_EEE10hipError_tPvRmT3_T4_T5_T6_T7_T9_mT8_P12ihipStream_tbDpT10_ENKUlT_T0_E_clISt17integral_constantIbLb0EES16_IbLb1EEEEDaS12_S13_EUlS12_E_NS1_11comp_targetILNS1_3genE10ELNS1_11target_archE1200ELNS1_3gpuE4ELNS1_3repE0EEENS1_30default_config_static_selectorELNS0_4arch9wavefront6targetE0EEEvT1_.uses_vcc, 0
	.set _ZN7rocprim17ROCPRIM_400000_NS6detail17trampoline_kernelINS0_14default_configENS1_25partition_config_selectorILNS1_17partition_subalgoE8EsNS0_10empty_typeEbEEZZNS1_14partition_implILS5_8ELb0ES3_jPKsPS6_PKS6_NS0_5tupleIJPsS6_EEENSE_IJSB_SB_EEENS0_18inequality_wrapperIN6hipcub16HIPCUB_304000_NS8EqualityEEEPlJS6_EEE10hipError_tPvRmT3_T4_T5_T6_T7_T9_mT8_P12ihipStream_tbDpT10_ENKUlT_T0_E_clISt17integral_constantIbLb0EES16_IbLb1EEEEDaS12_S13_EUlS12_E_NS1_11comp_targetILNS1_3genE10ELNS1_11target_archE1200ELNS1_3gpuE4ELNS1_3repE0EEENS1_30default_config_static_selectorELNS0_4arch9wavefront6targetE0EEEvT1_.uses_flat_scratch, 0
	.set _ZN7rocprim17ROCPRIM_400000_NS6detail17trampoline_kernelINS0_14default_configENS1_25partition_config_selectorILNS1_17partition_subalgoE8EsNS0_10empty_typeEbEEZZNS1_14partition_implILS5_8ELb0ES3_jPKsPS6_PKS6_NS0_5tupleIJPsS6_EEENSE_IJSB_SB_EEENS0_18inequality_wrapperIN6hipcub16HIPCUB_304000_NS8EqualityEEEPlJS6_EEE10hipError_tPvRmT3_T4_T5_T6_T7_T9_mT8_P12ihipStream_tbDpT10_ENKUlT_T0_E_clISt17integral_constantIbLb0EES16_IbLb1EEEEDaS12_S13_EUlS12_E_NS1_11comp_targetILNS1_3genE10ELNS1_11target_archE1200ELNS1_3gpuE4ELNS1_3repE0EEENS1_30default_config_static_selectorELNS0_4arch9wavefront6targetE0EEEvT1_.has_dyn_sized_stack, 0
	.set _ZN7rocprim17ROCPRIM_400000_NS6detail17trampoline_kernelINS0_14default_configENS1_25partition_config_selectorILNS1_17partition_subalgoE8EsNS0_10empty_typeEbEEZZNS1_14partition_implILS5_8ELb0ES3_jPKsPS6_PKS6_NS0_5tupleIJPsS6_EEENSE_IJSB_SB_EEENS0_18inequality_wrapperIN6hipcub16HIPCUB_304000_NS8EqualityEEEPlJS6_EEE10hipError_tPvRmT3_T4_T5_T6_T7_T9_mT8_P12ihipStream_tbDpT10_ENKUlT_T0_E_clISt17integral_constantIbLb0EES16_IbLb1EEEEDaS12_S13_EUlS12_E_NS1_11comp_targetILNS1_3genE10ELNS1_11target_archE1200ELNS1_3gpuE4ELNS1_3repE0EEENS1_30default_config_static_selectorELNS0_4arch9wavefront6targetE0EEEvT1_.has_recursion, 0
	.set _ZN7rocprim17ROCPRIM_400000_NS6detail17trampoline_kernelINS0_14default_configENS1_25partition_config_selectorILNS1_17partition_subalgoE8EsNS0_10empty_typeEbEEZZNS1_14partition_implILS5_8ELb0ES3_jPKsPS6_PKS6_NS0_5tupleIJPsS6_EEENSE_IJSB_SB_EEENS0_18inequality_wrapperIN6hipcub16HIPCUB_304000_NS8EqualityEEEPlJS6_EEE10hipError_tPvRmT3_T4_T5_T6_T7_T9_mT8_P12ihipStream_tbDpT10_ENKUlT_T0_E_clISt17integral_constantIbLb0EES16_IbLb1EEEEDaS12_S13_EUlS12_E_NS1_11comp_targetILNS1_3genE10ELNS1_11target_archE1200ELNS1_3gpuE4ELNS1_3repE0EEENS1_30default_config_static_selectorELNS0_4arch9wavefront6targetE0EEEvT1_.has_indirect_call, 0
	.section	.AMDGPU.csdata,"",@progbits
; Kernel info:
; codeLenInByte = 0
; TotalNumSgprs: 0
; NumVgprs: 0
; ScratchSize: 0
; MemoryBound: 0
; FloatMode: 240
; IeeeMode: 1
; LDSByteSize: 0 bytes/workgroup (compile time only)
; SGPRBlocks: 0
; VGPRBlocks: 0
; NumSGPRsForWavesPerEU: 1
; NumVGPRsForWavesPerEU: 1
; NamedBarCnt: 0
; Occupancy: 16
; WaveLimiterHint : 0
; COMPUTE_PGM_RSRC2:SCRATCH_EN: 0
; COMPUTE_PGM_RSRC2:USER_SGPR: 2
; COMPUTE_PGM_RSRC2:TRAP_HANDLER: 0
; COMPUTE_PGM_RSRC2:TGID_X_EN: 1
; COMPUTE_PGM_RSRC2:TGID_Y_EN: 0
; COMPUTE_PGM_RSRC2:TGID_Z_EN: 0
; COMPUTE_PGM_RSRC2:TIDIG_COMP_CNT: 0
	.section	.text._ZN7rocprim17ROCPRIM_400000_NS6detail17trampoline_kernelINS0_14default_configENS1_25partition_config_selectorILNS1_17partition_subalgoE8EsNS0_10empty_typeEbEEZZNS1_14partition_implILS5_8ELb0ES3_jPKsPS6_PKS6_NS0_5tupleIJPsS6_EEENSE_IJSB_SB_EEENS0_18inequality_wrapperIN6hipcub16HIPCUB_304000_NS8EqualityEEEPlJS6_EEE10hipError_tPvRmT3_T4_T5_T6_T7_T9_mT8_P12ihipStream_tbDpT10_ENKUlT_T0_E_clISt17integral_constantIbLb0EES16_IbLb1EEEEDaS12_S13_EUlS12_E_NS1_11comp_targetILNS1_3genE9ELNS1_11target_archE1100ELNS1_3gpuE3ELNS1_3repE0EEENS1_30default_config_static_selectorELNS0_4arch9wavefront6targetE0EEEvT1_,"axG",@progbits,_ZN7rocprim17ROCPRIM_400000_NS6detail17trampoline_kernelINS0_14default_configENS1_25partition_config_selectorILNS1_17partition_subalgoE8EsNS0_10empty_typeEbEEZZNS1_14partition_implILS5_8ELb0ES3_jPKsPS6_PKS6_NS0_5tupleIJPsS6_EEENSE_IJSB_SB_EEENS0_18inequality_wrapperIN6hipcub16HIPCUB_304000_NS8EqualityEEEPlJS6_EEE10hipError_tPvRmT3_T4_T5_T6_T7_T9_mT8_P12ihipStream_tbDpT10_ENKUlT_T0_E_clISt17integral_constantIbLb0EES16_IbLb1EEEEDaS12_S13_EUlS12_E_NS1_11comp_targetILNS1_3genE9ELNS1_11target_archE1100ELNS1_3gpuE3ELNS1_3repE0EEENS1_30default_config_static_selectorELNS0_4arch9wavefront6targetE0EEEvT1_,comdat
	.protected	_ZN7rocprim17ROCPRIM_400000_NS6detail17trampoline_kernelINS0_14default_configENS1_25partition_config_selectorILNS1_17partition_subalgoE8EsNS0_10empty_typeEbEEZZNS1_14partition_implILS5_8ELb0ES3_jPKsPS6_PKS6_NS0_5tupleIJPsS6_EEENSE_IJSB_SB_EEENS0_18inequality_wrapperIN6hipcub16HIPCUB_304000_NS8EqualityEEEPlJS6_EEE10hipError_tPvRmT3_T4_T5_T6_T7_T9_mT8_P12ihipStream_tbDpT10_ENKUlT_T0_E_clISt17integral_constantIbLb0EES16_IbLb1EEEEDaS12_S13_EUlS12_E_NS1_11comp_targetILNS1_3genE9ELNS1_11target_archE1100ELNS1_3gpuE3ELNS1_3repE0EEENS1_30default_config_static_selectorELNS0_4arch9wavefront6targetE0EEEvT1_ ; -- Begin function _ZN7rocprim17ROCPRIM_400000_NS6detail17trampoline_kernelINS0_14default_configENS1_25partition_config_selectorILNS1_17partition_subalgoE8EsNS0_10empty_typeEbEEZZNS1_14partition_implILS5_8ELb0ES3_jPKsPS6_PKS6_NS0_5tupleIJPsS6_EEENSE_IJSB_SB_EEENS0_18inequality_wrapperIN6hipcub16HIPCUB_304000_NS8EqualityEEEPlJS6_EEE10hipError_tPvRmT3_T4_T5_T6_T7_T9_mT8_P12ihipStream_tbDpT10_ENKUlT_T0_E_clISt17integral_constantIbLb0EES16_IbLb1EEEEDaS12_S13_EUlS12_E_NS1_11comp_targetILNS1_3genE9ELNS1_11target_archE1100ELNS1_3gpuE3ELNS1_3repE0EEENS1_30default_config_static_selectorELNS0_4arch9wavefront6targetE0EEEvT1_
	.globl	_ZN7rocprim17ROCPRIM_400000_NS6detail17trampoline_kernelINS0_14default_configENS1_25partition_config_selectorILNS1_17partition_subalgoE8EsNS0_10empty_typeEbEEZZNS1_14partition_implILS5_8ELb0ES3_jPKsPS6_PKS6_NS0_5tupleIJPsS6_EEENSE_IJSB_SB_EEENS0_18inequality_wrapperIN6hipcub16HIPCUB_304000_NS8EqualityEEEPlJS6_EEE10hipError_tPvRmT3_T4_T5_T6_T7_T9_mT8_P12ihipStream_tbDpT10_ENKUlT_T0_E_clISt17integral_constantIbLb0EES16_IbLb1EEEEDaS12_S13_EUlS12_E_NS1_11comp_targetILNS1_3genE9ELNS1_11target_archE1100ELNS1_3gpuE3ELNS1_3repE0EEENS1_30default_config_static_selectorELNS0_4arch9wavefront6targetE0EEEvT1_
	.p2align	8
	.type	_ZN7rocprim17ROCPRIM_400000_NS6detail17trampoline_kernelINS0_14default_configENS1_25partition_config_selectorILNS1_17partition_subalgoE8EsNS0_10empty_typeEbEEZZNS1_14partition_implILS5_8ELb0ES3_jPKsPS6_PKS6_NS0_5tupleIJPsS6_EEENSE_IJSB_SB_EEENS0_18inequality_wrapperIN6hipcub16HIPCUB_304000_NS8EqualityEEEPlJS6_EEE10hipError_tPvRmT3_T4_T5_T6_T7_T9_mT8_P12ihipStream_tbDpT10_ENKUlT_T0_E_clISt17integral_constantIbLb0EES16_IbLb1EEEEDaS12_S13_EUlS12_E_NS1_11comp_targetILNS1_3genE9ELNS1_11target_archE1100ELNS1_3gpuE3ELNS1_3repE0EEENS1_30default_config_static_selectorELNS0_4arch9wavefront6targetE0EEEvT1_,@function
_ZN7rocprim17ROCPRIM_400000_NS6detail17trampoline_kernelINS0_14default_configENS1_25partition_config_selectorILNS1_17partition_subalgoE8EsNS0_10empty_typeEbEEZZNS1_14partition_implILS5_8ELb0ES3_jPKsPS6_PKS6_NS0_5tupleIJPsS6_EEENSE_IJSB_SB_EEENS0_18inequality_wrapperIN6hipcub16HIPCUB_304000_NS8EqualityEEEPlJS6_EEE10hipError_tPvRmT3_T4_T5_T6_T7_T9_mT8_P12ihipStream_tbDpT10_ENKUlT_T0_E_clISt17integral_constantIbLb0EES16_IbLb1EEEEDaS12_S13_EUlS12_E_NS1_11comp_targetILNS1_3genE9ELNS1_11target_archE1100ELNS1_3gpuE3ELNS1_3repE0EEENS1_30default_config_static_selectorELNS0_4arch9wavefront6targetE0EEEvT1_: ; @_ZN7rocprim17ROCPRIM_400000_NS6detail17trampoline_kernelINS0_14default_configENS1_25partition_config_selectorILNS1_17partition_subalgoE8EsNS0_10empty_typeEbEEZZNS1_14partition_implILS5_8ELb0ES3_jPKsPS6_PKS6_NS0_5tupleIJPsS6_EEENSE_IJSB_SB_EEENS0_18inequality_wrapperIN6hipcub16HIPCUB_304000_NS8EqualityEEEPlJS6_EEE10hipError_tPvRmT3_T4_T5_T6_T7_T9_mT8_P12ihipStream_tbDpT10_ENKUlT_T0_E_clISt17integral_constantIbLb0EES16_IbLb1EEEEDaS12_S13_EUlS12_E_NS1_11comp_targetILNS1_3genE9ELNS1_11target_archE1100ELNS1_3gpuE3ELNS1_3repE0EEENS1_30default_config_static_selectorELNS0_4arch9wavefront6targetE0EEEvT1_
; %bb.0:
	.section	.rodata,"a",@progbits
	.p2align	6, 0x0
	.amdhsa_kernel _ZN7rocprim17ROCPRIM_400000_NS6detail17trampoline_kernelINS0_14default_configENS1_25partition_config_selectorILNS1_17partition_subalgoE8EsNS0_10empty_typeEbEEZZNS1_14partition_implILS5_8ELb0ES3_jPKsPS6_PKS6_NS0_5tupleIJPsS6_EEENSE_IJSB_SB_EEENS0_18inequality_wrapperIN6hipcub16HIPCUB_304000_NS8EqualityEEEPlJS6_EEE10hipError_tPvRmT3_T4_T5_T6_T7_T9_mT8_P12ihipStream_tbDpT10_ENKUlT_T0_E_clISt17integral_constantIbLb0EES16_IbLb1EEEEDaS12_S13_EUlS12_E_NS1_11comp_targetILNS1_3genE9ELNS1_11target_archE1100ELNS1_3gpuE3ELNS1_3repE0EEENS1_30default_config_static_selectorELNS0_4arch9wavefront6targetE0EEEvT1_
		.amdhsa_group_segment_fixed_size 0
		.amdhsa_private_segment_fixed_size 0
		.amdhsa_kernarg_size 128
		.amdhsa_user_sgpr_count 2
		.amdhsa_user_sgpr_dispatch_ptr 0
		.amdhsa_user_sgpr_queue_ptr 0
		.amdhsa_user_sgpr_kernarg_segment_ptr 1
		.amdhsa_user_sgpr_dispatch_id 0
		.amdhsa_user_sgpr_kernarg_preload_length 0
		.amdhsa_user_sgpr_kernarg_preload_offset 0
		.amdhsa_user_sgpr_private_segment_size 0
		.amdhsa_wavefront_size32 1
		.amdhsa_uses_dynamic_stack 0
		.amdhsa_enable_private_segment 0
		.amdhsa_system_sgpr_workgroup_id_x 1
		.amdhsa_system_sgpr_workgroup_id_y 0
		.amdhsa_system_sgpr_workgroup_id_z 0
		.amdhsa_system_sgpr_workgroup_info 0
		.amdhsa_system_vgpr_workitem_id 0
		.amdhsa_next_free_vgpr 1
		.amdhsa_next_free_sgpr 1
		.amdhsa_named_barrier_count 0
		.amdhsa_reserve_vcc 0
		.amdhsa_float_round_mode_32 0
		.amdhsa_float_round_mode_16_64 0
		.amdhsa_float_denorm_mode_32 3
		.amdhsa_float_denorm_mode_16_64 3
		.amdhsa_fp16_overflow 0
		.amdhsa_memory_ordered 1
		.amdhsa_forward_progress 1
		.amdhsa_inst_pref_size 0
		.amdhsa_round_robin_scheduling 0
		.amdhsa_exception_fp_ieee_invalid_op 0
		.amdhsa_exception_fp_denorm_src 0
		.amdhsa_exception_fp_ieee_div_zero 0
		.amdhsa_exception_fp_ieee_overflow 0
		.amdhsa_exception_fp_ieee_underflow 0
		.amdhsa_exception_fp_ieee_inexact 0
		.amdhsa_exception_int_div_zero 0
	.end_amdhsa_kernel
	.section	.text._ZN7rocprim17ROCPRIM_400000_NS6detail17trampoline_kernelINS0_14default_configENS1_25partition_config_selectorILNS1_17partition_subalgoE8EsNS0_10empty_typeEbEEZZNS1_14partition_implILS5_8ELb0ES3_jPKsPS6_PKS6_NS0_5tupleIJPsS6_EEENSE_IJSB_SB_EEENS0_18inequality_wrapperIN6hipcub16HIPCUB_304000_NS8EqualityEEEPlJS6_EEE10hipError_tPvRmT3_T4_T5_T6_T7_T9_mT8_P12ihipStream_tbDpT10_ENKUlT_T0_E_clISt17integral_constantIbLb0EES16_IbLb1EEEEDaS12_S13_EUlS12_E_NS1_11comp_targetILNS1_3genE9ELNS1_11target_archE1100ELNS1_3gpuE3ELNS1_3repE0EEENS1_30default_config_static_selectorELNS0_4arch9wavefront6targetE0EEEvT1_,"axG",@progbits,_ZN7rocprim17ROCPRIM_400000_NS6detail17trampoline_kernelINS0_14default_configENS1_25partition_config_selectorILNS1_17partition_subalgoE8EsNS0_10empty_typeEbEEZZNS1_14partition_implILS5_8ELb0ES3_jPKsPS6_PKS6_NS0_5tupleIJPsS6_EEENSE_IJSB_SB_EEENS0_18inequality_wrapperIN6hipcub16HIPCUB_304000_NS8EqualityEEEPlJS6_EEE10hipError_tPvRmT3_T4_T5_T6_T7_T9_mT8_P12ihipStream_tbDpT10_ENKUlT_T0_E_clISt17integral_constantIbLb0EES16_IbLb1EEEEDaS12_S13_EUlS12_E_NS1_11comp_targetILNS1_3genE9ELNS1_11target_archE1100ELNS1_3gpuE3ELNS1_3repE0EEENS1_30default_config_static_selectorELNS0_4arch9wavefront6targetE0EEEvT1_,comdat
.Lfunc_end578:
	.size	_ZN7rocprim17ROCPRIM_400000_NS6detail17trampoline_kernelINS0_14default_configENS1_25partition_config_selectorILNS1_17partition_subalgoE8EsNS0_10empty_typeEbEEZZNS1_14partition_implILS5_8ELb0ES3_jPKsPS6_PKS6_NS0_5tupleIJPsS6_EEENSE_IJSB_SB_EEENS0_18inequality_wrapperIN6hipcub16HIPCUB_304000_NS8EqualityEEEPlJS6_EEE10hipError_tPvRmT3_T4_T5_T6_T7_T9_mT8_P12ihipStream_tbDpT10_ENKUlT_T0_E_clISt17integral_constantIbLb0EES16_IbLb1EEEEDaS12_S13_EUlS12_E_NS1_11comp_targetILNS1_3genE9ELNS1_11target_archE1100ELNS1_3gpuE3ELNS1_3repE0EEENS1_30default_config_static_selectorELNS0_4arch9wavefront6targetE0EEEvT1_, .Lfunc_end578-_ZN7rocprim17ROCPRIM_400000_NS6detail17trampoline_kernelINS0_14default_configENS1_25partition_config_selectorILNS1_17partition_subalgoE8EsNS0_10empty_typeEbEEZZNS1_14partition_implILS5_8ELb0ES3_jPKsPS6_PKS6_NS0_5tupleIJPsS6_EEENSE_IJSB_SB_EEENS0_18inequality_wrapperIN6hipcub16HIPCUB_304000_NS8EqualityEEEPlJS6_EEE10hipError_tPvRmT3_T4_T5_T6_T7_T9_mT8_P12ihipStream_tbDpT10_ENKUlT_T0_E_clISt17integral_constantIbLb0EES16_IbLb1EEEEDaS12_S13_EUlS12_E_NS1_11comp_targetILNS1_3genE9ELNS1_11target_archE1100ELNS1_3gpuE3ELNS1_3repE0EEENS1_30default_config_static_selectorELNS0_4arch9wavefront6targetE0EEEvT1_
                                        ; -- End function
	.set _ZN7rocprim17ROCPRIM_400000_NS6detail17trampoline_kernelINS0_14default_configENS1_25partition_config_selectorILNS1_17partition_subalgoE8EsNS0_10empty_typeEbEEZZNS1_14partition_implILS5_8ELb0ES3_jPKsPS6_PKS6_NS0_5tupleIJPsS6_EEENSE_IJSB_SB_EEENS0_18inequality_wrapperIN6hipcub16HIPCUB_304000_NS8EqualityEEEPlJS6_EEE10hipError_tPvRmT3_T4_T5_T6_T7_T9_mT8_P12ihipStream_tbDpT10_ENKUlT_T0_E_clISt17integral_constantIbLb0EES16_IbLb1EEEEDaS12_S13_EUlS12_E_NS1_11comp_targetILNS1_3genE9ELNS1_11target_archE1100ELNS1_3gpuE3ELNS1_3repE0EEENS1_30default_config_static_selectorELNS0_4arch9wavefront6targetE0EEEvT1_.num_vgpr, 0
	.set _ZN7rocprim17ROCPRIM_400000_NS6detail17trampoline_kernelINS0_14default_configENS1_25partition_config_selectorILNS1_17partition_subalgoE8EsNS0_10empty_typeEbEEZZNS1_14partition_implILS5_8ELb0ES3_jPKsPS6_PKS6_NS0_5tupleIJPsS6_EEENSE_IJSB_SB_EEENS0_18inequality_wrapperIN6hipcub16HIPCUB_304000_NS8EqualityEEEPlJS6_EEE10hipError_tPvRmT3_T4_T5_T6_T7_T9_mT8_P12ihipStream_tbDpT10_ENKUlT_T0_E_clISt17integral_constantIbLb0EES16_IbLb1EEEEDaS12_S13_EUlS12_E_NS1_11comp_targetILNS1_3genE9ELNS1_11target_archE1100ELNS1_3gpuE3ELNS1_3repE0EEENS1_30default_config_static_selectorELNS0_4arch9wavefront6targetE0EEEvT1_.num_agpr, 0
	.set _ZN7rocprim17ROCPRIM_400000_NS6detail17trampoline_kernelINS0_14default_configENS1_25partition_config_selectorILNS1_17partition_subalgoE8EsNS0_10empty_typeEbEEZZNS1_14partition_implILS5_8ELb0ES3_jPKsPS6_PKS6_NS0_5tupleIJPsS6_EEENSE_IJSB_SB_EEENS0_18inequality_wrapperIN6hipcub16HIPCUB_304000_NS8EqualityEEEPlJS6_EEE10hipError_tPvRmT3_T4_T5_T6_T7_T9_mT8_P12ihipStream_tbDpT10_ENKUlT_T0_E_clISt17integral_constantIbLb0EES16_IbLb1EEEEDaS12_S13_EUlS12_E_NS1_11comp_targetILNS1_3genE9ELNS1_11target_archE1100ELNS1_3gpuE3ELNS1_3repE0EEENS1_30default_config_static_selectorELNS0_4arch9wavefront6targetE0EEEvT1_.numbered_sgpr, 0
	.set _ZN7rocprim17ROCPRIM_400000_NS6detail17trampoline_kernelINS0_14default_configENS1_25partition_config_selectorILNS1_17partition_subalgoE8EsNS0_10empty_typeEbEEZZNS1_14partition_implILS5_8ELb0ES3_jPKsPS6_PKS6_NS0_5tupleIJPsS6_EEENSE_IJSB_SB_EEENS0_18inequality_wrapperIN6hipcub16HIPCUB_304000_NS8EqualityEEEPlJS6_EEE10hipError_tPvRmT3_T4_T5_T6_T7_T9_mT8_P12ihipStream_tbDpT10_ENKUlT_T0_E_clISt17integral_constantIbLb0EES16_IbLb1EEEEDaS12_S13_EUlS12_E_NS1_11comp_targetILNS1_3genE9ELNS1_11target_archE1100ELNS1_3gpuE3ELNS1_3repE0EEENS1_30default_config_static_selectorELNS0_4arch9wavefront6targetE0EEEvT1_.num_named_barrier, 0
	.set _ZN7rocprim17ROCPRIM_400000_NS6detail17trampoline_kernelINS0_14default_configENS1_25partition_config_selectorILNS1_17partition_subalgoE8EsNS0_10empty_typeEbEEZZNS1_14partition_implILS5_8ELb0ES3_jPKsPS6_PKS6_NS0_5tupleIJPsS6_EEENSE_IJSB_SB_EEENS0_18inequality_wrapperIN6hipcub16HIPCUB_304000_NS8EqualityEEEPlJS6_EEE10hipError_tPvRmT3_T4_T5_T6_T7_T9_mT8_P12ihipStream_tbDpT10_ENKUlT_T0_E_clISt17integral_constantIbLb0EES16_IbLb1EEEEDaS12_S13_EUlS12_E_NS1_11comp_targetILNS1_3genE9ELNS1_11target_archE1100ELNS1_3gpuE3ELNS1_3repE0EEENS1_30default_config_static_selectorELNS0_4arch9wavefront6targetE0EEEvT1_.private_seg_size, 0
	.set _ZN7rocprim17ROCPRIM_400000_NS6detail17trampoline_kernelINS0_14default_configENS1_25partition_config_selectorILNS1_17partition_subalgoE8EsNS0_10empty_typeEbEEZZNS1_14partition_implILS5_8ELb0ES3_jPKsPS6_PKS6_NS0_5tupleIJPsS6_EEENSE_IJSB_SB_EEENS0_18inequality_wrapperIN6hipcub16HIPCUB_304000_NS8EqualityEEEPlJS6_EEE10hipError_tPvRmT3_T4_T5_T6_T7_T9_mT8_P12ihipStream_tbDpT10_ENKUlT_T0_E_clISt17integral_constantIbLb0EES16_IbLb1EEEEDaS12_S13_EUlS12_E_NS1_11comp_targetILNS1_3genE9ELNS1_11target_archE1100ELNS1_3gpuE3ELNS1_3repE0EEENS1_30default_config_static_selectorELNS0_4arch9wavefront6targetE0EEEvT1_.uses_vcc, 0
	.set _ZN7rocprim17ROCPRIM_400000_NS6detail17trampoline_kernelINS0_14default_configENS1_25partition_config_selectorILNS1_17partition_subalgoE8EsNS0_10empty_typeEbEEZZNS1_14partition_implILS5_8ELb0ES3_jPKsPS6_PKS6_NS0_5tupleIJPsS6_EEENSE_IJSB_SB_EEENS0_18inequality_wrapperIN6hipcub16HIPCUB_304000_NS8EqualityEEEPlJS6_EEE10hipError_tPvRmT3_T4_T5_T6_T7_T9_mT8_P12ihipStream_tbDpT10_ENKUlT_T0_E_clISt17integral_constantIbLb0EES16_IbLb1EEEEDaS12_S13_EUlS12_E_NS1_11comp_targetILNS1_3genE9ELNS1_11target_archE1100ELNS1_3gpuE3ELNS1_3repE0EEENS1_30default_config_static_selectorELNS0_4arch9wavefront6targetE0EEEvT1_.uses_flat_scratch, 0
	.set _ZN7rocprim17ROCPRIM_400000_NS6detail17trampoline_kernelINS0_14default_configENS1_25partition_config_selectorILNS1_17partition_subalgoE8EsNS0_10empty_typeEbEEZZNS1_14partition_implILS5_8ELb0ES3_jPKsPS6_PKS6_NS0_5tupleIJPsS6_EEENSE_IJSB_SB_EEENS0_18inequality_wrapperIN6hipcub16HIPCUB_304000_NS8EqualityEEEPlJS6_EEE10hipError_tPvRmT3_T4_T5_T6_T7_T9_mT8_P12ihipStream_tbDpT10_ENKUlT_T0_E_clISt17integral_constantIbLb0EES16_IbLb1EEEEDaS12_S13_EUlS12_E_NS1_11comp_targetILNS1_3genE9ELNS1_11target_archE1100ELNS1_3gpuE3ELNS1_3repE0EEENS1_30default_config_static_selectorELNS0_4arch9wavefront6targetE0EEEvT1_.has_dyn_sized_stack, 0
	.set _ZN7rocprim17ROCPRIM_400000_NS6detail17trampoline_kernelINS0_14default_configENS1_25partition_config_selectorILNS1_17partition_subalgoE8EsNS0_10empty_typeEbEEZZNS1_14partition_implILS5_8ELb0ES3_jPKsPS6_PKS6_NS0_5tupleIJPsS6_EEENSE_IJSB_SB_EEENS0_18inequality_wrapperIN6hipcub16HIPCUB_304000_NS8EqualityEEEPlJS6_EEE10hipError_tPvRmT3_T4_T5_T6_T7_T9_mT8_P12ihipStream_tbDpT10_ENKUlT_T0_E_clISt17integral_constantIbLb0EES16_IbLb1EEEEDaS12_S13_EUlS12_E_NS1_11comp_targetILNS1_3genE9ELNS1_11target_archE1100ELNS1_3gpuE3ELNS1_3repE0EEENS1_30default_config_static_selectorELNS0_4arch9wavefront6targetE0EEEvT1_.has_recursion, 0
	.set _ZN7rocprim17ROCPRIM_400000_NS6detail17trampoline_kernelINS0_14default_configENS1_25partition_config_selectorILNS1_17partition_subalgoE8EsNS0_10empty_typeEbEEZZNS1_14partition_implILS5_8ELb0ES3_jPKsPS6_PKS6_NS0_5tupleIJPsS6_EEENSE_IJSB_SB_EEENS0_18inequality_wrapperIN6hipcub16HIPCUB_304000_NS8EqualityEEEPlJS6_EEE10hipError_tPvRmT3_T4_T5_T6_T7_T9_mT8_P12ihipStream_tbDpT10_ENKUlT_T0_E_clISt17integral_constantIbLb0EES16_IbLb1EEEEDaS12_S13_EUlS12_E_NS1_11comp_targetILNS1_3genE9ELNS1_11target_archE1100ELNS1_3gpuE3ELNS1_3repE0EEENS1_30default_config_static_selectorELNS0_4arch9wavefront6targetE0EEEvT1_.has_indirect_call, 0
	.section	.AMDGPU.csdata,"",@progbits
; Kernel info:
; codeLenInByte = 0
; TotalNumSgprs: 0
; NumVgprs: 0
; ScratchSize: 0
; MemoryBound: 0
; FloatMode: 240
; IeeeMode: 1
; LDSByteSize: 0 bytes/workgroup (compile time only)
; SGPRBlocks: 0
; VGPRBlocks: 0
; NumSGPRsForWavesPerEU: 1
; NumVGPRsForWavesPerEU: 1
; NamedBarCnt: 0
; Occupancy: 16
; WaveLimiterHint : 0
; COMPUTE_PGM_RSRC2:SCRATCH_EN: 0
; COMPUTE_PGM_RSRC2:USER_SGPR: 2
; COMPUTE_PGM_RSRC2:TRAP_HANDLER: 0
; COMPUTE_PGM_RSRC2:TGID_X_EN: 1
; COMPUTE_PGM_RSRC2:TGID_Y_EN: 0
; COMPUTE_PGM_RSRC2:TGID_Z_EN: 0
; COMPUTE_PGM_RSRC2:TIDIG_COMP_CNT: 0
	.section	.text._ZN7rocprim17ROCPRIM_400000_NS6detail17trampoline_kernelINS0_14default_configENS1_25partition_config_selectorILNS1_17partition_subalgoE8EsNS0_10empty_typeEbEEZZNS1_14partition_implILS5_8ELb0ES3_jPKsPS6_PKS6_NS0_5tupleIJPsS6_EEENSE_IJSB_SB_EEENS0_18inequality_wrapperIN6hipcub16HIPCUB_304000_NS8EqualityEEEPlJS6_EEE10hipError_tPvRmT3_T4_T5_T6_T7_T9_mT8_P12ihipStream_tbDpT10_ENKUlT_T0_E_clISt17integral_constantIbLb0EES16_IbLb1EEEEDaS12_S13_EUlS12_E_NS1_11comp_targetILNS1_3genE8ELNS1_11target_archE1030ELNS1_3gpuE2ELNS1_3repE0EEENS1_30default_config_static_selectorELNS0_4arch9wavefront6targetE0EEEvT1_,"axG",@progbits,_ZN7rocprim17ROCPRIM_400000_NS6detail17trampoline_kernelINS0_14default_configENS1_25partition_config_selectorILNS1_17partition_subalgoE8EsNS0_10empty_typeEbEEZZNS1_14partition_implILS5_8ELb0ES3_jPKsPS6_PKS6_NS0_5tupleIJPsS6_EEENSE_IJSB_SB_EEENS0_18inequality_wrapperIN6hipcub16HIPCUB_304000_NS8EqualityEEEPlJS6_EEE10hipError_tPvRmT3_T4_T5_T6_T7_T9_mT8_P12ihipStream_tbDpT10_ENKUlT_T0_E_clISt17integral_constantIbLb0EES16_IbLb1EEEEDaS12_S13_EUlS12_E_NS1_11comp_targetILNS1_3genE8ELNS1_11target_archE1030ELNS1_3gpuE2ELNS1_3repE0EEENS1_30default_config_static_selectorELNS0_4arch9wavefront6targetE0EEEvT1_,comdat
	.protected	_ZN7rocprim17ROCPRIM_400000_NS6detail17trampoline_kernelINS0_14default_configENS1_25partition_config_selectorILNS1_17partition_subalgoE8EsNS0_10empty_typeEbEEZZNS1_14partition_implILS5_8ELb0ES3_jPKsPS6_PKS6_NS0_5tupleIJPsS6_EEENSE_IJSB_SB_EEENS0_18inequality_wrapperIN6hipcub16HIPCUB_304000_NS8EqualityEEEPlJS6_EEE10hipError_tPvRmT3_T4_T5_T6_T7_T9_mT8_P12ihipStream_tbDpT10_ENKUlT_T0_E_clISt17integral_constantIbLb0EES16_IbLb1EEEEDaS12_S13_EUlS12_E_NS1_11comp_targetILNS1_3genE8ELNS1_11target_archE1030ELNS1_3gpuE2ELNS1_3repE0EEENS1_30default_config_static_selectorELNS0_4arch9wavefront6targetE0EEEvT1_ ; -- Begin function _ZN7rocprim17ROCPRIM_400000_NS6detail17trampoline_kernelINS0_14default_configENS1_25partition_config_selectorILNS1_17partition_subalgoE8EsNS0_10empty_typeEbEEZZNS1_14partition_implILS5_8ELb0ES3_jPKsPS6_PKS6_NS0_5tupleIJPsS6_EEENSE_IJSB_SB_EEENS0_18inequality_wrapperIN6hipcub16HIPCUB_304000_NS8EqualityEEEPlJS6_EEE10hipError_tPvRmT3_T4_T5_T6_T7_T9_mT8_P12ihipStream_tbDpT10_ENKUlT_T0_E_clISt17integral_constantIbLb0EES16_IbLb1EEEEDaS12_S13_EUlS12_E_NS1_11comp_targetILNS1_3genE8ELNS1_11target_archE1030ELNS1_3gpuE2ELNS1_3repE0EEENS1_30default_config_static_selectorELNS0_4arch9wavefront6targetE0EEEvT1_
	.globl	_ZN7rocprim17ROCPRIM_400000_NS6detail17trampoline_kernelINS0_14default_configENS1_25partition_config_selectorILNS1_17partition_subalgoE8EsNS0_10empty_typeEbEEZZNS1_14partition_implILS5_8ELb0ES3_jPKsPS6_PKS6_NS0_5tupleIJPsS6_EEENSE_IJSB_SB_EEENS0_18inequality_wrapperIN6hipcub16HIPCUB_304000_NS8EqualityEEEPlJS6_EEE10hipError_tPvRmT3_T4_T5_T6_T7_T9_mT8_P12ihipStream_tbDpT10_ENKUlT_T0_E_clISt17integral_constantIbLb0EES16_IbLb1EEEEDaS12_S13_EUlS12_E_NS1_11comp_targetILNS1_3genE8ELNS1_11target_archE1030ELNS1_3gpuE2ELNS1_3repE0EEENS1_30default_config_static_selectorELNS0_4arch9wavefront6targetE0EEEvT1_
	.p2align	8
	.type	_ZN7rocprim17ROCPRIM_400000_NS6detail17trampoline_kernelINS0_14default_configENS1_25partition_config_selectorILNS1_17partition_subalgoE8EsNS0_10empty_typeEbEEZZNS1_14partition_implILS5_8ELb0ES3_jPKsPS6_PKS6_NS0_5tupleIJPsS6_EEENSE_IJSB_SB_EEENS0_18inequality_wrapperIN6hipcub16HIPCUB_304000_NS8EqualityEEEPlJS6_EEE10hipError_tPvRmT3_T4_T5_T6_T7_T9_mT8_P12ihipStream_tbDpT10_ENKUlT_T0_E_clISt17integral_constantIbLb0EES16_IbLb1EEEEDaS12_S13_EUlS12_E_NS1_11comp_targetILNS1_3genE8ELNS1_11target_archE1030ELNS1_3gpuE2ELNS1_3repE0EEENS1_30default_config_static_selectorELNS0_4arch9wavefront6targetE0EEEvT1_,@function
_ZN7rocprim17ROCPRIM_400000_NS6detail17trampoline_kernelINS0_14default_configENS1_25partition_config_selectorILNS1_17partition_subalgoE8EsNS0_10empty_typeEbEEZZNS1_14partition_implILS5_8ELb0ES3_jPKsPS6_PKS6_NS0_5tupleIJPsS6_EEENSE_IJSB_SB_EEENS0_18inequality_wrapperIN6hipcub16HIPCUB_304000_NS8EqualityEEEPlJS6_EEE10hipError_tPvRmT3_T4_T5_T6_T7_T9_mT8_P12ihipStream_tbDpT10_ENKUlT_T0_E_clISt17integral_constantIbLb0EES16_IbLb1EEEEDaS12_S13_EUlS12_E_NS1_11comp_targetILNS1_3genE8ELNS1_11target_archE1030ELNS1_3gpuE2ELNS1_3repE0EEENS1_30default_config_static_selectorELNS0_4arch9wavefront6targetE0EEEvT1_: ; @_ZN7rocprim17ROCPRIM_400000_NS6detail17trampoline_kernelINS0_14default_configENS1_25partition_config_selectorILNS1_17partition_subalgoE8EsNS0_10empty_typeEbEEZZNS1_14partition_implILS5_8ELb0ES3_jPKsPS6_PKS6_NS0_5tupleIJPsS6_EEENSE_IJSB_SB_EEENS0_18inequality_wrapperIN6hipcub16HIPCUB_304000_NS8EqualityEEEPlJS6_EEE10hipError_tPvRmT3_T4_T5_T6_T7_T9_mT8_P12ihipStream_tbDpT10_ENKUlT_T0_E_clISt17integral_constantIbLb0EES16_IbLb1EEEEDaS12_S13_EUlS12_E_NS1_11comp_targetILNS1_3genE8ELNS1_11target_archE1030ELNS1_3gpuE2ELNS1_3repE0EEENS1_30default_config_static_selectorELNS0_4arch9wavefront6targetE0EEEvT1_
; %bb.0:
	.section	.rodata,"a",@progbits
	.p2align	6, 0x0
	.amdhsa_kernel _ZN7rocprim17ROCPRIM_400000_NS6detail17trampoline_kernelINS0_14default_configENS1_25partition_config_selectorILNS1_17partition_subalgoE8EsNS0_10empty_typeEbEEZZNS1_14partition_implILS5_8ELb0ES3_jPKsPS6_PKS6_NS0_5tupleIJPsS6_EEENSE_IJSB_SB_EEENS0_18inequality_wrapperIN6hipcub16HIPCUB_304000_NS8EqualityEEEPlJS6_EEE10hipError_tPvRmT3_T4_T5_T6_T7_T9_mT8_P12ihipStream_tbDpT10_ENKUlT_T0_E_clISt17integral_constantIbLb0EES16_IbLb1EEEEDaS12_S13_EUlS12_E_NS1_11comp_targetILNS1_3genE8ELNS1_11target_archE1030ELNS1_3gpuE2ELNS1_3repE0EEENS1_30default_config_static_selectorELNS0_4arch9wavefront6targetE0EEEvT1_
		.amdhsa_group_segment_fixed_size 0
		.amdhsa_private_segment_fixed_size 0
		.amdhsa_kernarg_size 128
		.amdhsa_user_sgpr_count 2
		.amdhsa_user_sgpr_dispatch_ptr 0
		.amdhsa_user_sgpr_queue_ptr 0
		.amdhsa_user_sgpr_kernarg_segment_ptr 1
		.amdhsa_user_sgpr_dispatch_id 0
		.amdhsa_user_sgpr_kernarg_preload_length 0
		.amdhsa_user_sgpr_kernarg_preload_offset 0
		.amdhsa_user_sgpr_private_segment_size 0
		.amdhsa_wavefront_size32 1
		.amdhsa_uses_dynamic_stack 0
		.amdhsa_enable_private_segment 0
		.amdhsa_system_sgpr_workgroup_id_x 1
		.amdhsa_system_sgpr_workgroup_id_y 0
		.amdhsa_system_sgpr_workgroup_id_z 0
		.amdhsa_system_sgpr_workgroup_info 0
		.amdhsa_system_vgpr_workitem_id 0
		.amdhsa_next_free_vgpr 1
		.amdhsa_next_free_sgpr 1
		.amdhsa_named_barrier_count 0
		.amdhsa_reserve_vcc 0
		.amdhsa_float_round_mode_32 0
		.amdhsa_float_round_mode_16_64 0
		.amdhsa_float_denorm_mode_32 3
		.amdhsa_float_denorm_mode_16_64 3
		.amdhsa_fp16_overflow 0
		.amdhsa_memory_ordered 1
		.amdhsa_forward_progress 1
		.amdhsa_inst_pref_size 0
		.amdhsa_round_robin_scheduling 0
		.amdhsa_exception_fp_ieee_invalid_op 0
		.amdhsa_exception_fp_denorm_src 0
		.amdhsa_exception_fp_ieee_div_zero 0
		.amdhsa_exception_fp_ieee_overflow 0
		.amdhsa_exception_fp_ieee_underflow 0
		.amdhsa_exception_fp_ieee_inexact 0
		.amdhsa_exception_int_div_zero 0
	.end_amdhsa_kernel
	.section	.text._ZN7rocprim17ROCPRIM_400000_NS6detail17trampoline_kernelINS0_14default_configENS1_25partition_config_selectorILNS1_17partition_subalgoE8EsNS0_10empty_typeEbEEZZNS1_14partition_implILS5_8ELb0ES3_jPKsPS6_PKS6_NS0_5tupleIJPsS6_EEENSE_IJSB_SB_EEENS0_18inequality_wrapperIN6hipcub16HIPCUB_304000_NS8EqualityEEEPlJS6_EEE10hipError_tPvRmT3_T4_T5_T6_T7_T9_mT8_P12ihipStream_tbDpT10_ENKUlT_T0_E_clISt17integral_constantIbLb0EES16_IbLb1EEEEDaS12_S13_EUlS12_E_NS1_11comp_targetILNS1_3genE8ELNS1_11target_archE1030ELNS1_3gpuE2ELNS1_3repE0EEENS1_30default_config_static_selectorELNS0_4arch9wavefront6targetE0EEEvT1_,"axG",@progbits,_ZN7rocprim17ROCPRIM_400000_NS6detail17trampoline_kernelINS0_14default_configENS1_25partition_config_selectorILNS1_17partition_subalgoE8EsNS0_10empty_typeEbEEZZNS1_14partition_implILS5_8ELb0ES3_jPKsPS6_PKS6_NS0_5tupleIJPsS6_EEENSE_IJSB_SB_EEENS0_18inequality_wrapperIN6hipcub16HIPCUB_304000_NS8EqualityEEEPlJS6_EEE10hipError_tPvRmT3_T4_T5_T6_T7_T9_mT8_P12ihipStream_tbDpT10_ENKUlT_T0_E_clISt17integral_constantIbLb0EES16_IbLb1EEEEDaS12_S13_EUlS12_E_NS1_11comp_targetILNS1_3genE8ELNS1_11target_archE1030ELNS1_3gpuE2ELNS1_3repE0EEENS1_30default_config_static_selectorELNS0_4arch9wavefront6targetE0EEEvT1_,comdat
.Lfunc_end579:
	.size	_ZN7rocprim17ROCPRIM_400000_NS6detail17trampoline_kernelINS0_14default_configENS1_25partition_config_selectorILNS1_17partition_subalgoE8EsNS0_10empty_typeEbEEZZNS1_14partition_implILS5_8ELb0ES3_jPKsPS6_PKS6_NS0_5tupleIJPsS6_EEENSE_IJSB_SB_EEENS0_18inequality_wrapperIN6hipcub16HIPCUB_304000_NS8EqualityEEEPlJS6_EEE10hipError_tPvRmT3_T4_T5_T6_T7_T9_mT8_P12ihipStream_tbDpT10_ENKUlT_T0_E_clISt17integral_constantIbLb0EES16_IbLb1EEEEDaS12_S13_EUlS12_E_NS1_11comp_targetILNS1_3genE8ELNS1_11target_archE1030ELNS1_3gpuE2ELNS1_3repE0EEENS1_30default_config_static_selectorELNS0_4arch9wavefront6targetE0EEEvT1_, .Lfunc_end579-_ZN7rocprim17ROCPRIM_400000_NS6detail17trampoline_kernelINS0_14default_configENS1_25partition_config_selectorILNS1_17partition_subalgoE8EsNS0_10empty_typeEbEEZZNS1_14partition_implILS5_8ELb0ES3_jPKsPS6_PKS6_NS0_5tupleIJPsS6_EEENSE_IJSB_SB_EEENS0_18inequality_wrapperIN6hipcub16HIPCUB_304000_NS8EqualityEEEPlJS6_EEE10hipError_tPvRmT3_T4_T5_T6_T7_T9_mT8_P12ihipStream_tbDpT10_ENKUlT_T0_E_clISt17integral_constantIbLb0EES16_IbLb1EEEEDaS12_S13_EUlS12_E_NS1_11comp_targetILNS1_3genE8ELNS1_11target_archE1030ELNS1_3gpuE2ELNS1_3repE0EEENS1_30default_config_static_selectorELNS0_4arch9wavefront6targetE0EEEvT1_
                                        ; -- End function
	.set _ZN7rocprim17ROCPRIM_400000_NS6detail17trampoline_kernelINS0_14default_configENS1_25partition_config_selectorILNS1_17partition_subalgoE8EsNS0_10empty_typeEbEEZZNS1_14partition_implILS5_8ELb0ES3_jPKsPS6_PKS6_NS0_5tupleIJPsS6_EEENSE_IJSB_SB_EEENS0_18inequality_wrapperIN6hipcub16HIPCUB_304000_NS8EqualityEEEPlJS6_EEE10hipError_tPvRmT3_T4_T5_T6_T7_T9_mT8_P12ihipStream_tbDpT10_ENKUlT_T0_E_clISt17integral_constantIbLb0EES16_IbLb1EEEEDaS12_S13_EUlS12_E_NS1_11comp_targetILNS1_3genE8ELNS1_11target_archE1030ELNS1_3gpuE2ELNS1_3repE0EEENS1_30default_config_static_selectorELNS0_4arch9wavefront6targetE0EEEvT1_.num_vgpr, 0
	.set _ZN7rocprim17ROCPRIM_400000_NS6detail17trampoline_kernelINS0_14default_configENS1_25partition_config_selectorILNS1_17partition_subalgoE8EsNS0_10empty_typeEbEEZZNS1_14partition_implILS5_8ELb0ES3_jPKsPS6_PKS6_NS0_5tupleIJPsS6_EEENSE_IJSB_SB_EEENS0_18inequality_wrapperIN6hipcub16HIPCUB_304000_NS8EqualityEEEPlJS6_EEE10hipError_tPvRmT3_T4_T5_T6_T7_T9_mT8_P12ihipStream_tbDpT10_ENKUlT_T0_E_clISt17integral_constantIbLb0EES16_IbLb1EEEEDaS12_S13_EUlS12_E_NS1_11comp_targetILNS1_3genE8ELNS1_11target_archE1030ELNS1_3gpuE2ELNS1_3repE0EEENS1_30default_config_static_selectorELNS0_4arch9wavefront6targetE0EEEvT1_.num_agpr, 0
	.set _ZN7rocprim17ROCPRIM_400000_NS6detail17trampoline_kernelINS0_14default_configENS1_25partition_config_selectorILNS1_17partition_subalgoE8EsNS0_10empty_typeEbEEZZNS1_14partition_implILS5_8ELb0ES3_jPKsPS6_PKS6_NS0_5tupleIJPsS6_EEENSE_IJSB_SB_EEENS0_18inequality_wrapperIN6hipcub16HIPCUB_304000_NS8EqualityEEEPlJS6_EEE10hipError_tPvRmT3_T4_T5_T6_T7_T9_mT8_P12ihipStream_tbDpT10_ENKUlT_T0_E_clISt17integral_constantIbLb0EES16_IbLb1EEEEDaS12_S13_EUlS12_E_NS1_11comp_targetILNS1_3genE8ELNS1_11target_archE1030ELNS1_3gpuE2ELNS1_3repE0EEENS1_30default_config_static_selectorELNS0_4arch9wavefront6targetE0EEEvT1_.numbered_sgpr, 0
	.set _ZN7rocprim17ROCPRIM_400000_NS6detail17trampoline_kernelINS0_14default_configENS1_25partition_config_selectorILNS1_17partition_subalgoE8EsNS0_10empty_typeEbEEZZNS1_14partition_implILS5_8ELb0ES3_jPKsPS6_PKS6_NS0_5tupleIJPsS6_EEENSE_IJSB_SB_EEENS0_18inequality_wrapperIN6hipcub16HIPCUB_304000_NS8EqualityEEEPlJS6_EEE10hipError_tPvRmT3_T4_T5_T6_T7_T9_mT8_P12ihipStream_tbDpT10_ENKUlT_T0_E_clISt17integral_constantIbLb0EES16_IbLb1EEEEDaS12_S13_EUlS12_E_NS1_11comp_targetILNS1_3genE8ELNS1_11target_archE1030ELNS1_3gpuE2ELNS1_3repE0EEENS1_30default_config_static_selectorELNS0_4arch9wavefront6targetE0EEEvT1_.num_named_barrier, 0
	.set _ZN7rocprim17ROCPRIM_400000_NS6detail17trampoline_kernelINS0_14default_configENS1_25partition_config_selectorILNS1_17partition_subalgoE8EsNS0_10empty_typeEbEEZZNS1_14partition_implILS5_8ELb0ES3_jPKsPS6_PKS6_NS0_5tupleIJPsS6_EEENSE_IJSB_SB_EEENS0_18inequality_wrapperIN6hipcub16HIPCUB_304000_NS8EqualityEEEPlJS6_EEE10hipError_tPvRmT3_T4_T5_T6_T7_T9_mT8_P12ihipStream_tbDpT10_ENKUlT_T0_E_clISt17integral_constantIbLb0EES16_IbLb1EEEEDaS12_S13_EUlS12_E_NS1_11comp_targetILNS1_3genE8ELNS1_11target_archE1030ELNS1_3gpuE2ELNS1_3repE0EEENS1_30default_config_static_selectorELNS0_4arch9wavefront6targetE0EEEvT1_.private_seg_size, 0
	.set _ZN7rocprim17ROCPRIM_400000_NS6detail17trampoline_kernelINS0_14default_configENS1_25partition_config_selectorILNS1_17partition_subalgoE8EsNS0_10empty_typeEbEEZZNS1_14partition_implILS5_8ELb0ES3_jPKsPS6_PKS6_NS0_5tupleIJPsS6_EEENSE_IJSB_SB_EEENS0_18inequality_wrapperIN6hipcub16HIPCUB_304000_NS8EqualityEEEPlJS6_EEE10hipError_tPvRmT3_T4_T5_T6_T7_T9_mT8_P12ihipStream_tbDpT10_ENKUlT_T0_E_clISt17integral_constantIbLb0EES16_IbLb1EEEEDaS12_S13_EUlS12_E_NS1_11comp_targetILNS1_3genE8ELNS1_11target_archE1030ELNS1_3gpuE2ELNS1_3repE0EEENS1_30default_config_static_selectorELNS0_4arch9wavefront6targetE0EEEvT1_.uses_vcc, 0
	.set _ZN7rocprim17ROCPRIM_400000_NS6detail17trampoline_kernelINS0_14default_configENS1_25partition_config_selectorILNS1_17partition_subalgoE8EsNS0_10empty_typeEbEEZZNS1_14partition_implILS5_8ELb0ES3_jPKsPS6_PKS6_NS0_5tupleIJPsS6_EEENSE_IJSB_SB_EEENS0_18inequality_wrapperIN6hipcub16HIPCUB_304000_NS8EqualityEEEPlJS6_EEE10hipError_tPvRmT3_T4_T5_T6_T7_T9_mT8_P12ihipStream_tbDpT10_ENKUlT_T0_E_clISt17integral_constantIbLb0EES16_IbLb1EEEEDaS12_S13_EUlS12_E_NS1_11comp_targetILNS1_3genE8ELNS1_11target_archE1030ELNS1_3gpuE2ELNS1_3repE0EEENS1_30default_config_static_selectorELNS0_4arch9wavefront6targetE0EEEvT1_.uses_flat_scratch, 0
	.set _ZN7rocprim17ROCPRIM_400000_NS6detail17trampoline_kernelINS0_14default_configENS1_25partition_config_selectorILNS1_17partition_subalgoE8EsNS0_10empty_typeEbEEZZNS1_14partition_implILS5_8ELb0ES3_jPKsPS6_PKS6_NS0_5tupleIJPsS6_EEENSE_IJSB_SB_EEENS0_18inequality_wrapperIN6hipcub16HIPCUB_304000_NS8EqualityEEEPlJS6_EEE10hipError_tPvRmT3_T4_T5_T6_T7_T9_mT8_P12ihipStream_tbDpT10_ENKUlT_T0_E_clISt17integral_constantIbLb0EES16_IbLb1EEEEDaS12_S13_EUlS12_E_NS1_11comp_targetILNS1_3genE8ELNS1_11target_archE1030ELNS1_3gpuE2ELNS1_3repE0EEENS1_30default_config_static_selectorELNS0_4arch9wavefront6targetE0EEEvT1_.has_dyn_sized_stack, 0
	.set _ZN7rocprim17ROCPRIM_400000_NS6detail17trampoline_kernelINS0_14default_configENS1_25partition_config_selectorILNS1_17partition_subalgoE8EsNS0_10empty_typeEbEEZZNS1_14partition_implILS5_8ELb0ES3_jPKsPS6_PKS6_NS0_5tupleIJPsS6_EEENSE_IJSB_SB_EEENS0_18inequality_wrapperIN6hipcub16HIPCUB_304000_NS8EqualityEEEPlJS6_EEE10hipError_tPvRmT3_T4_T5_T6_T7_T9_mT8_P12ihipStream_tbDpT10_ENKUlT_T0_E_clISt17integral_constantIbLb0EES16_IbLb1EEEEDaS12_S13_EUlS12_E_NS1_11comp_targetILNS1_3genE8ELNS1_11target_archE1030ELNS1_3gpuE2ELNS1_3repE0EEENS1_30default_config_static_selectorELNS0_4arch9wavefront6targetE0EEEvT1_.has_recursion, 0
	.set _ZN7rocprim17ROCPRIM_400000_NS6detail17trampoline_kernelINS0_14default_configENS1_25partition_config_selectorILNS1_17partition_subalgoE8EsNS0_10empty_typeEbEEZZNS1_14partition_implILS5_8ELb0ES3_jPKsPS6_PKS6_NS0_5tupleIJPsS6_EEENSE_IJSB_SB_EEENS0_18inequality_wrapperIN6hipcub16HIPCUB_304000_NS8EqualityEEEPlJS6_EEE10hipError_tPvRmT3_T4_T5_T6_T7_T9_mT8_P12ihipStream_tbDpT10_ENKUlT_T0_E_clISt17integral_constantIbLb0EES16_IbLb1EEEEDaS12_S13_EUlS12_E_NS1_11comp_targetILNS1_3genE8ELNS1_11target_archE1030ELNS1_3gpuE2ELNS1_3repE0EEENS1_30default_config_static_selectorELNS0_4arch9wavefront6targetE0EEEvT1_.has_indirect_call, 0
	.section	.AMDGPU.csdata,"",@progbits
; Kernel info:
; codeLenInByte = 0
; TotalNumSgprs: 0
; NumVgprs: 0
; ScratchSize: 0
; MemoryBound: 0
; FloatMode: 240
; IeeeMode: 1
; LDSByteSize: 0 bytes/workgroup (compile time only)
; SGPRBlocks: 0
; VGPRBlocks: 0
; NumSGPRsForWavesPerEU: 1
; NumVGPRsForWavesPerEU: 1
; NamedBarCnt: 0
; Occupancy: 16
; WaveLimiterHint : 0
; COMPUTE_PGM_RSRC2:SCRATCH_EN: 0
; COMPUTE_PGM_RSRC2:USER_SGPR: 2
; COMPUTE_PGM_RSRC2:TRAP_HANDLER: 0
; COMPUTE_PGM_RSRC2:TGID_X_EN: 1
; COMPUTE_PGM_RSRC2:TGID_Y_EN: 0
; COMPUTE_PGM_RSRC2:TGID_Z_EN: 0
; COMPUTE_PGM_RSRC2:TIDIG_COMP_CNT: 0
	.section	.text._ZN7rocprim17ROCPRIM_400000_NS6detail17trampoline_kernelINS0_14default_configENS1_33run_length_encode_config_selectorIsjNS0_4plusIjEEEEZZNS1_33reduce_by_key_impl_wrapped_configILNS1_25lookback_scan_determinismE0ES3_S7_PKsNS0_17constant_iteratorIjlEEPsPlSF_S6_NS0_8equal_toIsEEEE10hipError_tPvRmT2_T3_mT4_T5_T6_T7_T8_P12ihipStream_tbENKUlT_T0_E_clISt17integral_constantIbLb0EESZ_EEDaSU_SV_EUlSU_E_NS1_11comp_targetILNS1_3genE0ELNS1_11target_archE4294967295ELNS1_3gpuE0ELNS1_3repE0EEENS1_30default_config_static_selectorELNS0_4arch9wavefront6targetE0EEEvT1_,"axG",@progbits,_ZN7rocprim17ROCPRIM_400000_NS6detail17trampoline_kernelINS0_14default_configENS1_33run_length_encode_config_selectorIsjNS0_4plusIjEEEEZZNS1_33reduce_by_key_impl_wrapped_configILNS1_25lookback_scan_determinismE0ES3_S7_PKsNS0_17constant_iteratorIjlEEPsPlSF_S6_NS0_8equal_toIsEEEE10hipError_tPvRmT2_T3_mT4_T5_T6_T7_T8_P12ihipStream_tbENKUlT_T0_E_clISt17integral_constantIbLb0EESZ_EEDaSU_SV_EUlSU_E_NS1_11comp_targetILNS1_3genE0ELNS1_11target_archE4294967295ELNS1_3gpuE0ELNS1_3repE0EEENS1_30default_config_static_selectorELNS0_4arch9wavefront6targetE0EEEvT1_,comdat
	.protected	_ZN7rocprim17ROCPRIM_400000_NS6detail17trampoline_kernelINS0_14default_configENS1_33run_length_encode_config_selectorIsjNS0_4plusIjEEEEZZNS1_33reduce_by_key_impl_wrapped_configILNS1_25lookback_scan_determinismE0ES3_S7_PKsNS0_17constant_iteratorIjlEEPsPlSF_S6_NS0_8equal_toIsEEEE10hipError_tPvRmT2_T3_mT4_T5_T6_T7_T8_P12ihipStream_tbENKUlT_T0_E_clISt17integral_constantIbLb0EESZ_EEDaSU_SV_EUlSU_E_NS1_11comp_targetILNS1_3genE0ELNS1_11target_archE4294967295ELNS1_3gpuE0ELNS1_3repE0EEENS1_30default_config_static_selectorELNS0_4arch9wavefront6targetE0EEEvT1_ ; -- Begin function _ZN7rocprim17ROCPRIM_400000_NS6detail17trampoline_kernelINS0_14default_configENS1_33run_length_encode_config_selectorIsjNS0_4plusIjEEEEZZNS1_33reduce_by_key_impl_wrapped_configILNS1_25lookback_scan_determinismE0ES3_S7_PKsNS0_17constant_iteratorIjlEEPsPlSF_S6_NS0_8equal_toIsEEEE10hipError_tPvRmT2_T3_mT4_T5_T6_T7_T8_P12ihipStream_tbENKUlT_T0_E_clISt17integral_constantIbLb0EESZ_EEDaSU_SV_EUlSU_E_NS1_11comp_targetILNS1_3genE0ELNS1_11target_archE4294967295ELNS1_3gpuE0ELNS1_3repE0EEENS1_30default_config_static_selectorELNS0_4arch9wavefront6targetE0EEEvT1_
	.globl	_ZN7rocprim17ROCPRIM_400000_NS6detail17trampoline_kernelINS0_14default_configENS1_33run_length_encode_config_selectorIsjNS0_4plusIjEEEEZZNS1_33reduce_by_key_impl_wrapped_configILNS1_25lookback_scan_determinismE0ES3_S7_PKsNS0_17constant_iteratorIjlEEPsPlSF_S6_NS0_8equal_toIsEEEE10hipError_tPvRmT2_T3_mT4_T5_T6_T7_T8_P12ihipStream_tbENKUlT_T0_E_clISt17integral_constantIbLb0EESZ_EEDaSU_SV_EUlSU_E_NS1_11comp_targetILNS1_3genE0ELNS1_11target_archE4294967295ELNS1_3gpuE0ELNS1_3repE0EEENS1_30default_config_static_selectorELNS0_4arch9wavefront6targetE0EEEvT1_
	.p2align	8
	.type	_ZN7rocprim17ROCPRIM_400000_NS6detail17trampoline_kernelINS0_14default_configENS1_33run_length_encode_config_selectorIsjNS0_4plusIjEEEEZZNS1_33reduce_by_key_impl_wrapped_configILNS1_25lookback_scan_determinismE0ES3_S7_PKsNS0_17constant_iteratorIjlEEPsPlSF_S6_NS0_8equal_toIsEEEE10hipError_tPvRmT2_T3_mT4_T5_T6_T7_T8_P12ihipStream_tbENKUlT_T0_E_clISt17integral_constantIbLb0EESZ_EEDaSU_SV_EUlSU_E_NS1_11comp_targetILNS1_3genE0ELNS1_11target_archE4294967295ELNS1_3gpuE0ELNS1_3repE0EEENS1_30default_config_static_selectorELNS0_4arch9wavefront6targetE0EEEvT1_,@function
_ZN7rocprim17ROCPRIM_400000_NS6detail17trampoline_kernelINS0_14default_configENS1_33run_length_encode_config_selectorIsjNS0_4plusIjEEEEZZNS1_33reduce_by_key_impl_wrapped_configILNS1_25lookback_scan_determinismE0ES3_S7_PKsNS0_17constant_iteratorIjlEEPsPlSF_S6_NS0_8equal_toIsEEEE10hipError_tPvRmT2_T3_mT4_T5_T6_T7_T8_P12ihipStream_tbENKUlT_T0_E_clISt17integral_constantIbLb0EESZ_EEDaSU_SV_EUlSU_E_NS1_11comp_targetILNS1_3genE0ELNS1_11target_archE4294967295ELNS1_3gpuE0ELNS1_3repE0EEENS1_30default_config_static_selectorELNS0_4arch9wavefront6targetE0EEEvT1_: ; @_ZN7rocprim17ROCPRIM_400000_NS6detail17trampoline_kernelINS0_14default_configENS1_33run_length_encode_config_selectorIsjNS0_4plusIjEEEEZZNS1_33reduce_by_key_impl_wrapped_configILNS1_25lookback_scan_determinismE0ES3_S7_PKsNS0_17constant_iteratorIjlEEPsPlSF_S6_NS0_8equal_toIsEEEE10hipError_tPvRmT2_T3_mT4_T5_T6_T7_T8_P12ihipStream_tbENKUlT_T0_E_clISt17integral_constantIbLb0EESZ_EEDaSU_SV_EUlSU_E_NS1_11comp_targetILNS1_3genE0ELNS1_11target_archE4294967295ELNS1_3gpuE0ELNS1_3repE0EEENS1_30default_config_static_selectorELNS0_4arch9wavefront6targetE0EEEvT1_
; %bb.0:
	s_clause 0x1
	s_load_b128 s[8:11], s[0:1], 0x0
	s_load_b256 s[16:23], s[0:1], 0x40
	s_bfe_u32 s5, ttmp6, 0x4000c
	s_clause 0x1
	s_load_b32 s4, s[0:1], 0x10
	s_load_b128 s[24:27], s[0:1], 0x60
	s_add_co_i32 s5, s5, 1
	s_and_b32 s2, ttmp6, 15
	s_mul_i32 s5, ttmp9, s5
	s_getreg_b32 s12, hwreg(HW_REG_IB_STS2, 6, 4)
	s_add_co_i32 s2, s2, s5
	s_mov_b32 s3, 0
	s_delay_alu instid0(SALU_CYCLE_1)
	s_mov_b32 s29, s3
	s_wait_kmcnt 0x0
	s_lshl_b64 s[6:7], s[10:11], 1
	s_cmp_eq_u32 s12, 0
	s_mul_u64 s[10:11], s[20:21], s[18:19]
	s_cselect_b32 s28, ttmp9, s2
	s_add_nc_u64 s[20:21], s[22:23], -1
	s_mul_i32 s2, s28, 0x1400
	s_add_nc_u64 s[14:15], s[10:11], s[28:29]
	s_lshl_b64 s[10:11], s[2:3], 1
	s_cmp_eq_u64 s[14:15], s[20:21]
	s_add_nc_u64 s[6:7], s[8:9], s[6:7]
	s_cselect_b32 s29, -1, 0
	s_cmp_lg_u64 s[14:15], s[20:21]
	s_add_nc_u64 s[12:13], s[6:7], s[10:11]
	s_cselect_b32 s2, -1, 0
	s_and_b32 vcc_lo, exec_lo, s29
	s_mul_i32 s30, s20, 0xffffec00
	s_cbranch_vccnz .LBB580_2
; %bb.1:
	s_clause 0x9
	global_load_u16 v1, v0, s[12:13] scale_offset
	global_load_u16 v2, v0, s[12:13] offset:1024 scale_offset
	global_load_u16 v3, v0, s[12:13] offset:2048 scale_offset
	;; [unrolled: 1-line block ×9, first 2 shown]
	v_lshlrev_b32_e32 v11, 1, v0
	s_mov_b32 s5, 0
	s_mov_b32 s3, -1
	s_wait_loadcnt 0x9
	ds_store_b16 v11, v1
	s_wait_loadcnt 0x8
	ds_store_b16 v11, v2 offset:1024
	s_wait_loadcnt 0x7
	ds_store_b16 v11, v3 offset:2048
	s_wait_loadcnt 0x6
	ds_store_b16 v11, v4 offset:3072
	s_wait_loadcnt 0x5
	ds_store_b16 v11, v5 offset:4096
	s_wait_loadcnt 0x4
	ds_store_b16 v11, v6 offset:5120
	s_wait_loadcnt 0x3
	ds_store_b16 v11, v7 offset:6144
	s_wait_loadcnt 0x2
	ds_store_b16 v11, v8 offset:7168
	s_wait_loadcnt 0x1
	ds_store_b16 v11, v9 offset:8192
	s_wait_loadcnt 0x0
	ds_store_b16 v11, v10 offset:9216
	v_mad_u32_u24 v14, v0, 18, v11
	s_wait_dscnt 0x0
	s_barrier_signal -1
	s_barrier_wait -1
	ds_load_2addr_b32 v[12:13], v14 offset1:1
	ds_load_2addr_b32 v[10:11], v14 offset0:2 offset1:3
	ds_load_b32 v1, v14 offset:16
	s_branch .LBB580_3
.LBB580_2:
	s_mov_b32 s5, -1
                                        ; implicit-def: $vgpr12
                                        ; implicit-def: $vgpr10
                                        ; implicit-def: $vgpr1
.LBB580_3:
	v_dual_mov_b32 v36, s4 :: v_dual_mov_b32 v37, s4
	v_dual_mov_b32 v38, s4 :: v_dual_mov_b32 v40, s4
	;; [unrolled: 1-line block ×4, first 2 shown]
	v_mov_b32_e32 v39, s4
	s_and_not1_b32 vcc_lo, exec_lo, s5
	s_add_co_i32 s30, s30, s24
                                        ; implicit-def: $vgpr60
	s_cbranch_vccnz .LBB580_25
; %bb.4:
	s_mov_b32 s3, exec_lo
                                        ; implicit-def: $vgpr1
	v_cmpx_gt_u32_e64 s30, v0
	s_cbranch_execz .LBB580_6
; %bb.5:
	s_wait_dscnt 0x0
	global_load_u16 v1, v0, s[12:13] scale_offset
.LBB580_6:
	s_wait_xcnt 0x0
	s_or_b32 exec_lo, exec_lo, s3
	v_or_b32_e32 v2, 0x200, v0
	s_delay_alu instid0(VALU_DEP_1)
	v_cmp_gt_u32_e32 vcc_lo, s30, v2
                                        ; implicit-def: $vgpr2
	s_and_saveexec_b32 s3, vcc_lo
	s_cbranch_execz .LBB580_8
; %bb.7:
	global_load_u16 v2, v0, s[12:13] offset:1024 scale_offset
.LBB580_8:
	s_wait_xcnt 0x0
	s_or_b32 exec_lo, exec_lo, s3
	v_or_b32_e32 v3, 0x400, v0
	s_delay_alu instid0(VALU_DEP_1)
	v_cmp_gt_u32_e32 vcc_lo, s30, v3
                                        ; implicit-def: $vgpr3
	s_and_saveexec_b32 s3, vcc_lo
	s_cbranch_execz .LBB580_10
; %bb.9:
	global_load_u16 v3, v0, s[12:13] offset:2048 scale_offset
.LBB580_10:
	s_wait_xcnt 0x0
	s_or_b32 exec_lo, exec_lo, s3
	v_or_b32_e32 v4, 0x600, v0
	s_delay_alu instid0(VALU_DEP_1)
	v_cmp_gt_u32_e32 vcc_lo, s30, v4
                                        ; implicit-def: $vgpr4
	s_and_saveexec_b32 s3, vcc_lo
	s_cbranch_execz .LBB580_12
; %bb.11:
	global_load_u16 v4, v0, s[12:13] offset:3072 scale_offset
.LBB580_12:
	s_wait_xcnt 0x0
	s_or_b32 exec_lo, exec_lo, s3
	v_or_b32_e32 v5, 0x800, v0
	s_delay_alu instid0(VALU_DEP_1)
	v_cmp_gt_u32_e32 vcc_lo, s30, v5
                                        ; implicit-def: $vgpr5
	s_and_saveexec_b32 s3, vcc_lo
	s_cbranch_execz .LBB580_14
; %bb.13:
	global_load_u16 v5, v0, s[12:13] offset:4096 scale_offset
.LBB580_14:
	s_wait_xcnt 0x0
	s_or_b32 exec_lo, exec_lo, s3
	v_or_b32_e32 v6, 0xa00, v0
	s_delay_alu instid0(VALU_DEP_1)
	v_cmp_gt_u32_e32 vcc_lo, s30, v6
                                        ; implicit-def: $vgpr6
	s_and_saveexec_b32 s3, vcc_lo
	s_cbranch_execz .LBB580_16
; %bb.15:
	global_load_u16 v6, v0, s[12:13] offset:5120 scale_offset
.LBB580_16:
	s_wait_xcnt 0x0
	s_or_b32 exec_lo, exec_lo, s3
	v_or_b32_e32 v7, 0xc00, v0
	s_delay_alu instid0(VALU_DEP_1)
	v_cmp_gt_u32_e32 vcc_lo, s30, v7
                                        ; implicit-def: $vgpr7
	s_and_saveexec_b32 s3, vcc_lo
	s_cbranch_execz .LBB580_18
; %bb.17:
	global_load_u16 v7, v0, s[12:13] offset:6144 scale_offset
.LBB580_18:
	s_wait_xcnt 0x0
	s_or_b32 exec_lo, exec_lo, s3
	v_or_b32_e32 v8, 0xe00, v0
	s_delay_alu instid0(VALU_DEP_1)
	v_cmp_gt_u32_e32 vcc_lo, s30, v8
                                        ; implicit-def: $vgpr8
	s_and_saveexec_b32 s3, vcc_lo
	s_cbranch_execz .LBB580_20
; %bb.19:
	global_load_u16 v8, v0, s[12:13] offset:7168 scale_offset
.LBB580_20:
	s_wait_xcnt 0x0
	s_or_b32 exec_lo, exec_lo, s3
	v_or_b32_e32 v9, 0x1000, v0
	s_delay_alu instid0(VALU_DEP_1)
	v_cmp_gt_u32_e32 vcc_lo, s30, v9
                                        ; implicit-def: $vgpr9
	s_and_saveexec_b32 s3, vcc_lo
	s_cbranch_execz .LBB580_22
; %bb.21:
	global_load_u16 v9, v0, s[12:13] offset:8192 scale_offset
.LBB580_22:
	s_wait_xcnt 0x0
	s_or_b32 exec_lo, exec_lo, s3
	s_wait_dscnt 0x1
	v_or_b32_e32 v10, 0x1200, v0
	s_delay_alu instid0(VALU_DEP_1)
	v_cmp_gt_u32_e32 vcc_lo, s30, v10
                                        ; implicit-def: $vgpr10
	s_and_saveexec_b32 s3, vcc_lo
	s_cbranch_execz .LBB580_24
; %bb.23:
	global_load_u16 v10, v0, s[12:13] offset:9216 scale_offset
.LBB580_24:
	s_wait_xcnt 0x0
	s_or_b32 exec_lo, exec_lo, s3
	v_dual_mov_b32 v60, 0 :: v_dual_lshlrev_b32 v11, 1, v0
	s_wait_loadcnt_dscnt 0x0
	ds_store_b16 v11, v1
	ds_store_b16 v11, v2 offset:1024
	ds_store_b16 v11, v3 offset:2048
	;; [unrolled: 1-line block ×9, first 2 shown]
	v_mul_u32_u24_e32 v2, 10, v0
	v_mad_u32_u24 v4, v0, 10, 4
	s_wait_dscnt 0x0
	s_barrier_signal -1
	s_barrier_wait -1
	v_or_b32_e32 v3, 1, v2
	v_cmp_gt_u32_e32 vcc_lo, s30, v2
	v_mad_u32_u24 v2, v0, 10, 2
	v_mad_u32_u24 v1, v0, 18, v11
	ds_load_2addr_b32 v[12:13], v1 offset1:1
	ds_load_2addr_b32 v[10:11], v1 offset0:2 offset1:3
	ds_load_b32 v1, v1 offset:16
	v_cndmask_b32_e64 v39, 0, s4, vcc_lo
	v_cmp_gt_u32_e32 vcc_lo, s30, v3
	v_mad_u32_u24 v3, v0, 10, 3
	v_cndmask_b32_e64 v41, 0, s4, vcc_lo
	v_cmp_gt_u32_e32 vcc_lo, s30, v2
	v_mad_u32_u24 v2, v0, 10, 5
	;; [unrolled: 3-line block ×6, first 2 shown]
	v_cndmask_b32_e64 v38, 0, s4, vcc_lo
	v_cmp_gt_u32_e32 vcc_lo, s30, v2
	s_delay_alu instid0(VALU_DEP_3)
	v_cmp_gt_u32_e64 s3, s30, v3
	v_cndmask_b32_e64 v37, 0, s4, vcc_lo
	v_cmp_gt_u32_e32 vcc_lo, s30, v4
	v_cndmask_b32_e64 v36, 0, s4, vcc_lo
.LBB580_25:
	s_delay_alu instid0(VALU_DEP_4)
	s_and_saveexec_b32 s5, s3
; %bb.26:
	v_mov_b32_e32 v60, s4
; %bb.27:
	s_or_b32 exec_lo, exec_lo, s5
	s_load_b64 s[22:23], s[0:1], 0x70
	s_cmp_eq_u64 s[14:15], 0
	s_wait_dscnt 0x2
	v_dual_lshrrev_b32 v57, 16, v12 :: v_dual_lshrrev_b32 v56, 16, v13
	s_wait_dscnt 0x1
	v_dual_lshrrev_b32 v55, 16, v10 :: v_dual_lshrrev_b32 v54, 16, v11
	s_wait_dscnt 0x0
	v_lshrrev_b32_e32 v53, 16, v1
	s_cselect_b32 s31, -1, 0
	s_cmp_lg_u64 s[14:15], 0
	s_cselect_b32 s20, -1, 0
	s_and_b32 vcc_lo, exec_lo, s2
	s_barrier_signal -1
	s_barrier_wait -1
	s_cbranch_vccz .LBB580_32
; %bb.28:
	s_and_b32 vcc_lo, exec_lo, s20
	s_cbranch_vccz .LBB580_33
; %bb.29:
	v_dual_mov_b32 v2, 0 :: v_dual_lshlrev_b32 v3, 1, v0
	v_cmp_ne_u16_e64 s2, v54, v1
	v_cmp_ne_u16_e64 s3, v11, v54
	;; [unrolled: 1-line block ×3, first 2 shown]
	global_load_u16 v2, v2, s[12:13] offset:-2
	v_cmp_ne_u16_e64 s5, v10, v55
	v_cmp_ne_u16_e64 s6, v56, v10
	;; [unrolled: 1-line block ×5, first 2 shown]
	s_mov_b32 s21, 0
	s_mov_b32 s11, exec_lo
	ds_store_b16 v3, v53
	v_cmp_ne_u16_e32 vcc_lo, v1, v53
	s_wait_loadcnt_dscnt 0x0
	s_barrier_signal -1
	s_barrier_wait -1
	v_cmpx_ne_u32_e32 0, v0
; %bb.30:
	v_add_nc_u32_e32 v2, -2, v3
	ds_load_u16 v2, v2
; %bb.31:
	s_or_b32 exec_lo, exec_lo, s11
	v_cndmask_b32_e64 v48, 0, 1, vcc_lo
	v_cndmask_b32_e64 v46, 0, 1, s2
	v_cndmask_b32_e64 v44, 0, 1, s3
	;; [unrolled: 1-line block ×8, first 2 shown]
	s_wait_dscnt 0x0
	v_cmp_ne_u16_e64 s11, v2, v12
	s_mov_b32 s33, -1
	s_and_b32 vcc_lo, exec_lo, s21
	s_cbranch_vccnz .LBB580_34
	s_branch .LBB580_37
.LBB580_32:
	s_mov_b32 s33, 0
                                        ; implicit-def: $sgpr11
                                        ; implicit-def: $vgpr48
                                        ; implicit-def: $vgpr46
                                        ; implicit-def: $vgpr44
                                        ; implicit-def: $vgpr45
                                        ; implicit-def: $vgpr47
                                        ; implicit-def: $vgpr49
                                        ; implicit-def: $vgpr50
                                        ; implicit-def: $vgpr51
                                        ; implicit-def: $vgpr52
	s_cbranch_execnz .LBB580_38
	s_branch .LBB580_46
.LBB580_33:
	s_mov_b32 s33, 0
                                        ; implicit-def: $sgpr11
                                        ; implicit-def: $vgpr48
                                        ; implicit-def: $vgpr46
                                        ; implicit-def: $vgpr44
                                        ; implicit-def: $vgpr45
                                        ; implicit-def: $vgpr47
                                        ; implicit-def: $vgpr49
                                        ; implicit-def: $vgpr50
                                        ; implicit-def: $vgpr51
                                        ; implicit-def: $vgpr52
	s_cbranch_execz .LBB580_37
.LBB580_34:
	v_lshlrev_b32_e32 v2, 1, v0
	v_cmp_ne_u16_e64 s2, v54, v1
	v_cmp_ne_u16_e64 s3, v11, v54
	;; [unrolled: 1-line block ×8, first 2 shown]
	v_cmp_ne_u32_e64 s10, 0, v0
	v_cmp_ne_u16_e32 vcc_lo, v1, v53
	ds_store_b16 v2, v53
	s_wait_dscnt 0x0
	s_barrier_signal -1
	s_barrier_wait -1
                                        ; implicit-def: $sgpr11
	s_and_saveexec_b32 s21, s10
	s_delay_alu instid0(SALU_CYCLE_1)
	s_xor_b32 s10, exec_lo, s21
	s_cbranch_execz .LBB580_36
; %bb.35:
	v_add_nc_u32_e32 v2, -2, v2
	s_or_b32 s33, s33, exec_lo
	ds_load_u16 v2, v2
	s_wait_dscnt 0x0
	v_cmp_ne_u16_e64 s11, v2, v12
.LBB580_36:
	s_or_b32 exec_lo, exec_lo, s10
	v_cndmask_b32_e64 v48, 0, 1, vcc_lo
	v_cndmask_b32_e64 v46, 0, 1, s2
	v_cndmask_b32_e64 v44, 0, 1, s3
	;; [unrolled: 1-line block ×8, first 2 shown]
.LBB580_37:
	s_branch .LBB580_46
.LBB580_38:
	s_mov_b64 s[2:3], 0xffffffffffffec00
	v_cmp_ne_u16_e64 s10, v1, v53
	s_mul_u64 s[14:15], s[14:15], s[2:3]
	v_cmp_ne_u16_e64 s11, v54, v1
	v_cmp_ne_u16_e64 s2, v11, v54
	;; [unrolled: 1-line block ×8, first 2 shown]
	v_mul_u32_u24_e32 v2, 10, v0
	v_mad_u32_u24 v4, v0, 10, 9
	v_mad_u32_u24 v22, v0, 10, 8
	;; [unrolled: 1-line block ×8, first 2 shown]
	v_cmp_ne_u32_e64 s9, 0, v0
	s_and_b32 vcc_lo, exec_lo, s20
	s_add_nc_u64 s[20:21], s[14:15], s[24:25]
	s_cbranch_vccz .LBB580_42
; %bb.39:
	v_dual_mov_b32 v5, 0 :: v_dual_lshlrev_b32 v3, 1, v0
	s_delay_alu instid0(VALU_DEP_1)
	v_dual_mov_b32 v7, v5 :: v_dual_bitop2_b32 v26, 1, v2 bitop3:0x54
	global_load_u16 v24, v5, s[12:13] offset:-2
	v_dual_mov_b32 v23, v5 :: v_dual_mov_b32 v21, v5
	v_cmp_gt_u64_e32 vcc_lo, s[20:21], v[4:5]
	v_dual_mov_b32 v19, v5 :: v_dual_mov_b32 v17, v5
	s_wait_xcnt 0x0
	s_delay_alu instid0(VALU_DEP_3)
	v_cmp_gt_u64_e64 s12, s[20:21], v[22:23]
	v_dual_mov_b32 v15, v5 :: v_dual_mov_b32 v9, v5
	v_mov_b32_e32 v27, v5
	s_and_b32 s25, vcc_lo, s10
	v_cmp_gt_u64_e32 vcc_lo, s[20:21], v[20:21]
	v_cmp_gt_u64_e64 s10, s[20:21], v[18:19]
	s_and_b32 s24, s12, s11
	v_cmp_gt_u64_e64 s11, s[20:21], v[16:17]
	v_cmp_gt_u64_e64 s12, s[20:21], v[14:15]
	;; [unrolled: 1-line block ×5, first 2 shown]
	s_and_b32 s33, vcc_lo, s2
	s_and_b32 s10, s10, s3
	s_and_b32 s11, s11, s4
	;; [unrolled: 1-line block ×6, first 2 shown]
	s_mov_b32 s3, 0
	ds_store_b16 v3, v53
	s_wait_loadcnt_dscnt 0x0
	s_barrier_signal -1
	s_barrier_wait -1
	s_and_saveexec_b32 s7, s9
; %bb.40:
	v_add_nc_u32_e32 v3, -2, v3
	ds_load_u16 v24, v3
; %bb.41:
	s_or_b32 exec_lo, exec_lo, s7
	v_mov_b32_e32 v3, v5
	v_cndmask_b32_e64 v49, 0, 1, s2
	s_wait_dscnt 0x0
	v_cmp_ne_u16_e64 s2, v24, v12
	v_cndmask_b32_e64 v48, 0, 1, s25
	v_cndmask_b32_e64 v46, 0, 1, s24
	v_cmp_gt_u64_e32 vcc_lo, s[20:21], v[2:3]
	v_cndmask_b32_e64 v44, 0, 1, s33
	v_cndmask_b32_e64 v45, 0, 1, s10
	;; [unrolled: 1-line block ×6, first 2 shown]
	s_and_b32 s11, vcc_lo, s2
	s_mov_b32 s33, -1
	s_and_b32 vcc_lo, exec_lo, s3
	s_cbranch_vccnz .LBB580_43
	s_branch .LBB580_46
.LBB580_42:
                                        ; implicit-def: $sgpr11
                                        ; implicit-def: $vgpr48
                                        ; implicit-def: $vgpr46
                                        ; implicit-def: $vgpr44
                                        ; implicit-def: $vgpr45
                                        ; implicit-def: $vgpr47
                                        ; implicit-def: $vgpr49
                                        ; implicit-def: $vgpr50
                                        ; implicit-def: $vgpr51
                                        ; implicit-def: $vgpr52
	s_cbranch_execz .LBB580_46
.LBB580_43:
	v_dual_mov_b32 v5, 0 :: v_dual_lshlrev_b32 v3, 1, v0
	v_cmp_ne_u16_e32 vcc_lo, v1, v53
	v_cmp_ne_u16_e64 s2, v54, v1
	v_cmp_ne_u16_e64 s3, v11, v54
	s_delay_alu instid0(VALU_DEP_4) | instskip(SKIP_2) | instid1(VALU_DEP_3)
	v_dual_mov_b32 v23, v5 :: v_dual_mov_b32 v21, v5
	v_dual_mov_b32 v19, v5 :: v_dual_mov_b32 v17, v5
	v_cmp_gt_u64_e64 s4, s[20:21], v[4:5]
	v_cmp_gt_u64_e64 s5, s[20:21], v[22:23]
	s_delay_alu instid0(VALU_DEP_4) | instskip(NEXT) | instid1(VALU_DEP_4)
	v_cmp_gt_u64_e64 s6, s[20:21], v[20:21]
	v_cmp_gt_u64_e64 s8, s[20:21], v[18:19]
	v_cmp_ne_u16_e64 s7, v55, v11
	v_dual_mov_b32 v15, v5 :: v_dual_mov_b32 v9, v5
	v_dual_mov_b32 v7, v5 :: v_dual_bitop2_b32 v4, 1, v2 bitop3:0x54
	s_and_b32 s12, s4, vcc_lo
	s_and_b32 s13, s5, s2
	s_and_b32 s14, s6, s3
	;; [unrolled: 1-line block ×3, first 2 shown]
	v_cmp_gt_u64_e32 vcc_lo, s[20:21], v[16:17]
	v_cmp_gt_u64_e64 s3, s[20:21], v[14:15]
	v_cmp_gt_u64_e64 s5, s[20:21], v[8:9]
	;; [unrolled: 1-line block ×4, first 2 shown]
	v_cmp_ne_u16_e64 s2, v10, v55
	v_cmp_ne_u16_e64 s4, v56, v10
	;; [unrolled: 1-line block ×5, first 2 shown]
	s_and_b32 s24, vcc_lo, s2
	s_and_b32 s3, s3, s4
	s_and_b32 s4, s5, s6
	;; [unrolled: 1-line block ×4, first 2 shown]
	s_mov_b32 s7, exec_lo
	ds_store_b16 v3, v53
	s_wait_dscnt 0x0
	s_barrier_signal -1
	s_barrier_wait -1
                                        ; implicit-def: $sgpr11
	v_cmpx_ne_u32_e32 0, v0
	s_cbranch_execz .LBB580_45
; %bb.44:
	v_add_nc_u32_e32 v3, -2, v3
	s_or_b32 s33, s33, exec_lo
	ds_load_u16 v4, v3
	v_mov_b32_e32 v3, v5
	s_delay_alu instid0(VALU_DEP_1)
	v_cmp_gt_u64_e32 vcc_lo, s[20:21], v[2:3]
	s_wait_dscnt 0x0
	v_cmp_ne_u16_e64 s2, v4, v12
	s_and_b32 s11, vcc_lo, s2
.LBB580_45:
	s_or_b32 exec_lo, exec_lo, s7
	v_cndmask_b32_e64 v48, 0, 1, s12
	v_cndmask_b32_e64 v46, 0, 1, s13
	;; [unrolled: 1-line block ×9, first 2 shown]
.LBB580_46:
	v_mov_b32_e32 v58, 1
	s_and_saveexec_b32 s2, s33
; %bb.47:
	v_cndmask_b32_e64 v58, 0, 1, s11
; %bb.48:
	s_or_b32 exec_lo, exec_lo, s2
	s_clause 0x1
	s_load_b128 s[12:15], s[0:1], 0x20
	s_load_b64 s[20:21], s[0:1], 0x30
	v_dual_add_nc_u32 v2, v52, v58 :: v_dual_lshrrev_b32 v62, 5, v0
	v_cmp_eq_u32_e64 s7, 0, v52
	v_cmp_eq_u32_e64 s6, 0, v51
	;; [unrolled: 1-line block ×3, first 2 shown]
	s_delay_alu instid0(VALU_DEP_4)
	v_add3_u32 v64, v2, v51, v50
	v_cmp_eq_u32_e64 s4, 0, v49
	v_cmp_eq_u32_e64 s3, 0, v47
	;; [unrolled: 1-line block ×3, first 2 shown]
	s_wait_xcnt 0x0
	v_cmp_eq_u32_e64 s1, 0, v44
	v_cmp_eq_u32_e64 s0, 0, v46
	v_mbcnt_lo_u32_b32 v61, -1, 0
	v_or_b32_e32 v63, 31, v0
	s_cmp_eq_u64 s[18:19], 0
	v_cmp_eq_u32_e32 vcc_lo, 0, v48
	s_cselect_b32 s18, -1, 0
	s_cmp_lg_u32 s28, 0
	s_cbranch_scc0 .LBB580_69
; %bb.49:
	v_add3_u32 v3, v64, v49, v47
	v_dual_cndmask_b32 v2, 0, v39, s7 :: v_dual_bitop2_b32 v5, 15, v61 bitop3:0x40
	s_mov_b32 s19, exec_lo
	s_delay_alu instid0(VALU_DEP_2) | instskip(NEXT) | instid1(VALU_DEP_2)
	v_add3_u32 v3, v3, v45, v44
	v_add_nc_u32_e32 v2, v2, v41
	s_delay_alu instid0(VALU_DEP_3) | instskip(NEXT) | instid1(VALU_DEP_3)
	v_cmp_eq_u32_e64 s9, 0, v5
	v_add3_u32 v3, v3, v46, v48
	s_delay_alu instid0(VALU_DEP_1) | instskip(NEXT) | instid1(VALU_DEP_1)
	v_mov_b32_dpp v6, v3 row_shr:1 row_mask:0xf bank_mask:0xf
	v_cndmask_b32_e64 v6, v6, 0, s9
	v_cndmask_b32_e64 v2, 0, v2, s6
	s_delay_alu instid0(VALU_DEP_1) | instskip(NEXT) | instid1(VALU_DEP_1)
	v_add_nc_u32_e32 v2, v2, v43
	v_cndmask_b32_e64 v2, 0, v2, s5
	s_delay_alu instid0(VALU_DEP_1) | instskip(NEXT) | instid1(VALU_DEP_1)
	v_add_nc_u32_e32 v2, v2, v59
	;; [unrolled: 3-line block ×7, first 2 shown]
	v_cndmask_b32_e32 v2, 0, v2, vcc_lo
	v_cmp_eq_u32_e32 vcc_lo, 0, v3
	v_add_nc_u32_e32 v3, v6, v3
	s_delay_alu instid0(VALU_DEP_3) | instskip(NEXT) | instid1(VALU_DEP_2)
	v_add_nc_u32_e32 v2, v2, v60
	v_cmp_eq_u32_e64 s8, 0, v3
	s_delay_alu instid0(VALU_DEP_2) | instskip(NEXT) | instid1(VALU_DEP_1)
	v_mov_b32_dpp v4, v2 row_shr:1 row_mask:0xf bank_mask:0xf
	v_cndmask_b32_e32 v4, 0, v4, vcc_lo
	v_cmp_lt_u32_e32 vcc_lo, 1, v5
	s_delay_alu instid0(VALU_DEP_2) | instskip(SKIP_1) | instid1(VALU_DEP_1)
	v_cndmask_b32_e64 v4, v4, 0, s9
	s_and_b32 s8, vcc_lo, s8
	v_add_nc_u32_e32 v2, v4, v2
	v_mov_b32_dpp v4, v3 row_shr:2 row_mask:0xf bank_mask:0xf
	s_delay_alu instid0(VALU_DEP_2) | instskip(NEXT) | instid1(VALU_DEP_1)
	v_mov_b32_dpp v6, v2 row_shr:2 row_mask:0xf bank_mask:0xf
	v_dual_cndmask_b32 v4, 0, v4, vcc_lo :: v_dual_cndmask_b32 v6, 0, v6, s8
	s_delay_alu instid0(VALU_DEP_1) | instskip(SKIP_1) | instid1(VALU_DEP_3)
	v_add_nc_u32_e32 v3, v3, v4
	v_cmp_lt_u32_e64 s8, 3, v5
	v_add_nc_u32_e32 v2, v6, v2
	s_delay_alu instid0(VALU_DEP_3) | instskip(SKIP_1) | instid1(VALU_DEP_3)
	v_mov_b32_dpp v4, v3 row_shr:4 row_mask:0xf bank_mask:0xf
	v_cmp_eq_u32_e64 s10, 0, v3
	v_mov_b32_dpp v6, v2 row_shr:4 row_mask:0xf bank_mask:0xf
	s_delay_alu instid0(VALU_DEP_3)
	v_cndmask_b32_e64 v4, 0, v4, s8
	s_and_b32 s10, s8, s10
	s_delay_alu instid0(VALU_DEP_1) | instid1(SALU_CYCLE_1)
	v_dual_cndmask_b32 v6, 0, v6, s10 :: v_dual_add_nc_u32 v3, v4, v3
	v_cmp_lt_u32_e64 s10, 7, v5
	s_delay_alu instid0(VALU_DEP_2) | instskip(NEXT) | instid1(VALU_DEP_3)
	v_add_nc_u32_e32 v2, v2, v6
	v_cmp_eq_u32_e64 s11, 0, v3
	v_mov_b32_dpp v4, v3 row_shr:8 row_mask:0xf bank_mask:0xf
	v_bfe_i32 v6, v61, 4, 1
	s_delay_alu instid0(VALU_DEP_4)
	v_mov_b32_dpp v5, v2 row_shr:8 row_mask:0xf bank_mask:0xf
	s_and_b32 s11, s10, s11
	s_delay_alu instid0(VALU_DEP_1) | instid1(SALU_CYCLE_1)
	v_dual_cndmask_b32 v4, 0, v4, s10 :: v_dual_cndmask_b32 v5, 0, v5, s11
	s_delay_alu instid0(VALU_DEP_1) | instskip(SKIP_4) | instid1(VALU_DEP_1)
	v_dual_add_nc_u32 v5, v5, v2 :: v_dual_add_nc_u32 v2, v4, v3
	ds_swizzle_b32 v3, v5 offset:swizzle(BROADCAST,32,15)
	ds_swizzle_b32 v4, v2 offset:swizzle(BROADCAST,32,15)
	v_cmp_eq_u32_e64 s11, 0, v2
	s_wait_dscnt 0x0
	v_dual_cndmask_b32 v3, 0, v3, s11 :: v_dual_bitop2_b32 v4, v6, v4 bitop3:0x40
	s_delay_alu instid0(VALU_DEP_1) | instskip(NEXT) | instid1(VALU_DEP_1)
	v_dual_add_nc_u32 v2, v4, v2 :: v_dual_bitop2_b32 v3, v6, v3 bitop3:0x40
	v_dual_lshlrev_b32 v4, 3, v62 :: v_dual_add_nc_u32 v3, v3, v5
	v_cmpx_eq_u32_e64 v0, v63
; %bb.50:
	ds_store_b64 v4, v[2:3] offset:2064
; %bb.51:
	s_or_b32 exec_lo, exec_lo, s19
	s_delay_alu instid0(SALU_CYCLE_1)
	s_mov_b32 s19, exec_lo
	s_wait_dscnt 0x0
	s_barrier_signal -1
	s_barrier_wait -1
	v_cmpx_gt_u32_e32 16, v0
	s_cbranch_execz .LBB580_53
; %bb.52:
	v_lshlrev_b32_e32 v5, 3, v0
	ds_load_b64 v[6:7], v5 offset:2064
	s_wait_dscnt 0x0
	v_mov_b32_dpp v8, v7 row_shr:1 row_mask:0xf bank_mask:0xf
	v_mov_b32_dpp v9, v6 row_shr:1 row_mask:0xf bank_mask:0xf
	v_cmp_eq_u32_e64 s11, 0, v6
	s_delay_alu instid0(VALU_DEP_2) | instskip(NEXT) | instid1(VALU_DEP_1)
	v_cndmask_b32_e64 v9, v9, 0, s9
	v_dual_cndmask_b32 v8, 0, v8, s11 :: v_dual_add_nc_u32 v6, v9, v6
	s_delay_alu instid0(VALU_DEP_1) | instskip(NEXT) | instid1(VALU_DEP_2)
	v_cndmask_b32_e64 v8, v8, 0, s9
	v_cmp_eq_u32_e64 s9, 0, v6
	s_delay_alu instid0(VALU_DEP_2) | instskip(SKIP_1) | instid1(VALU_DEP_1)
	v_add_nc_u32_e32 v7, v8, v7
	v_mov_b32_dpp v8, v6 row_shr:2 row_mask:0xf bank_mask:0xf
	v_cndmask_b32_e32 v8, 0, v8, vcc_lo
	s_delay_alu instid0(VALU_DEP_3) | instskip(SKIP_1) | instid1(VALU_DEP_1)
	v_mov_b32_dpp v9, v7 row_shr:2 row_mask:0xf bank_mask:0xf
	s_and_b32 vcc_lo, vcc_lo, s9
	v_dual_cndmask_b32 v9, 0, v9 :: v_dual_add_nc_u32 v6, v8, v6
	s_delay_alu instid0(VALU_DEP_1) | instskip(NEXT) | instid1(VALU_DEP_2)
	v_add_nc_u32_e32 v7, v9, v7
	v_mov_b32_dpp v8, v6 row_shr:4 row_mask:0xf bank_mask:0xf
	v_cmp_eq_u32_e32 vcc_lo, 0, v6
	s_delay_alu instid0(VALU_DEP_3)
	v_mov_b32_dpp v9, v7 row_shr:4 row_mask:0xf bank_mask:0xf
	s_and_b32 vcc_lo, s8, vcc_lo
	s_delay_alu instid0(VALU_DEP_1) | instid1(SALU_CYCLE_1)
	v_dual_cndmask_b32 v8, 0, v8, s8 :: v_dual_cndmask_b32 v9, 0, v9, vcc_lo
	s_delay_alu instid0(VALU_DEP_1) | instskip(NEXT) | instid1(VALU_DEP_1)
	v_dual_add_nc_u32 v6, v8, v6 :: v_dual_add_nc_u32 v7, v9, v7
	v_cmp_eq_u32_e32 vcc_lo, 0, v6
	v_mov_b32_dpp v8, v6 row_shr:8 row_mask:0xf bank_mask:0xf
	s_delay_alu instid0(VALU_DEP_3)
	v_mov_b32_dpp v9, v7 row_shr:8 row_mask:0xf bank_mask:0xf
	s_and_b32 vcc_lo, s10, vcc_lo
	s_delay_alu instid0(VALU_DEP_1) | instid1(SALU_CYCLE_1)
	v_dual_cndmask_b32 v8, 0, v8, s10 :: v_dual_cndmask_b32 v9, 0, v9, vcc_lo
	s_delay_alu instid0(VALU_DEP_1)
	v_dual_add_nc_u32 v6, v8, v6 :: v_dual_add_nc_u32 v7, v9, v7
	ds_store_b64 v5, v[6:7] offset:2064
.LBB580_53:
	s_or_b32 exec_lo, exec_lo, s19
	v_dual_mov_b32 v14, 0 :: v_dual_mov_b32 v15, 0
	s_mov_b32 s9, exec_lo
	v_cmp_gt_u32_e32 vcc_lo, 32, v0
	s_wait_dscnt 0x0
	s_barrier_signal -1
	s_barrier_wait -1
	v_cmpx_lt_u32_e32 31, v0
	s_cbranch_execz .LBB580_55
; %bb.54:
	ds_load_b64 v[14:15], v4 offset:2056
	v_cmp_eq_u32_e64 s8, 0, v2
	s_wait_dscnt 0x0
	s_delay_alu instid0(VALU_DEP_1) | instskip(NEXT) | instid1(VALU_DEP_1)
	v_dual_cndmask_b32 v4, 0, v15, s8 :: v_dual_add_nc_u32 v2, v14, v2
	v_add_nc_u32_e32 v3, v4, v3
.LBB580_55:
	s_or_b32 exec_lo, exec_lo, s9
	v_sub_co_u32 v4, s8, v61, 1
	s_delay_alu instid0(VALU_DEP_1) | instskip(NEXT) | instid1(VALU_DEP_1)
	v_cmp_gt_i32_e64 s9, 0, v4
	v_cndmask_b32_e64 v4, v4, v61, s9
	s_delay_alu instid0(VALU_DEP_1)
	v_lshlrev_b32_e32 v4, 2, v4
	ds_bpermute_b32 v20, v4, v2
	ds_bpermute_b32 v21, v4, v3
	s_and_saveexec_b32 s11, vcc_lo
	s_cbranch_execz .LBB580_74
; %bb.56:
	v_mov_b32_e32 v5, 0
	ds_load_b64 v[2:3], v5 offset:2184
	s_and_saveexec_b32 s9, s8
	s_cbranch_execz .LBB580_58
; %bb.57:
	s_add_co_i32 s24, s28, 32
	s_mov_b32 s25, 0
	v_mov_b32_e32 v4, 1
	s_lshl_b64 s[24:25], s[24:25], 4
	s_delay_alu instid0(SALU_CYCLE_1) | instskip(NEXT) | instid1(SALU_CYCLE_1)
	s_add_nc_u64 s[24:25], s[16:17], s[24:25]
	v_mov_b64_e32 v[6:7], s[24:25]
	s_wait_dscnt 0x0
	;;#ASMSTART
	global_store_b128 v[6:7], v[2:5] off scope:SCOPE_DEV	
s_wait_storecnt 0x0
	;;#ASMEND
.LBB580_58:
	s_or_b32 exec_lo, exec_lo, s9
	v_xad_u32 v16, v61, -1, s28
	s_mov_b32 s10, 0
	s_mov_b32 s9, exec_lo
	s_delay_alu instid0(VALU_DEP_1) | instskip(NEXT) | instid1(VALU_DEP_1)
	v_add_nc_u32_e32 v4, 32, v16
	v_lshl_add_u64 v[4:5], v[4:5], 4, s[16:17]
	;;#ASMSTART
	global_load_b128 v[6:9], v[4:5] off scope:SCOPE_DEV	
s_wait_loadcnt 0x0
	;;#ASMEND
	v_and_b32_e32 v9, 0xff, v8
	s_delay_alu instid0(VALU_DEP_1)
	v_cmpx_eq_u16_e32 0, v9
	s_cbranch_execz .LBB580_61
.LBB580_59:                             ; =>This Inner Loop Header: Depth=1
	;;#ASMSTART
	global_load_b128 v[6:9], v[4:5] off scope:SCOPE_DEV	
s_wait_loadcnt 0x0
	;;#ASMEND
	v_and_b32_e32 v9, 0xff, v8
	s_delay_alu instid0(VALU_DEP_1) | instskip(SKIP_1) | instid1(SALU_CYCLE_1)
	v_cmp_ne_u16_e32 vcc_lo, 0, v9
	s_or_b32 s10, vcc_lo, s10
	s_and_not1_b32 exec_lo, exec_lo, s10
	s_cbranch_execnz .LBB580_59
; %bb.60:
	s_or_b32 exec_lo, exec_lo, s10
.LBB580_61:
	s_delay_alu instid0(SALU_CYCLE_1)
	s_or_b32 exec_lo, exec_lo, s9
	v_cmp_ne_u32_e32 vcc_lo, 31, v61
	v_lshlrev_b32_e64 v23, v61, -1
	v_cmp_gt_u32_e64 s10, 30, v61
	v_lshl_or_b32 v30, v61, 2, 64
	v_add_nc_u32_e32 v25, 2, v61
	v_add_co_ci_u32_e64 v4, null, 0, v61, vcc_lo
	s_delay_alu instid0(VALU_DEP_4) | instskip(SKIP_1) | instid1(VALU_DEP_3)
	v_cndmask_b32_e64 v17, 0, 2, s10
	v_dual_add_nc_u32 v27, 4, v61 :: v_dual_add_nc_u32 v29, 8, v61
	v_lshlrev_b32_e32 v22, 2, v4
	v_and_b32_e32 v4, 0xff, v8
	s_delay_alu instid0(VALU_DEP_4)
	v_add_lshl_u32 v24, v17, v61, 2
	v_add_nc_u32_e32 v31, 16, v61
	ds_bpermute_b32 v5, v22, v6
	v_cmp_eq_u16_e32 vcc_lo, 2, v4
	v_and_or_b32 v9, vcc_lo, v23, 0x80000000
	v_cmp_eq_u32_e32 vcc_lo, 0, v6
	s_delay_alu instid0(VALU_DEP_2) | instskip(NEXT) | instid1(VALU_DEP_1)
	v_ctz_i32_b32_e32 v9, v9
	v_cmp_lt_u32_e64 s9, v61, v9
	s_wait_dscnt 0x0
	s_delay_alu instid0(VALU_DEP_1) | instskip(SKIP_4) | instid1(VALU_DEP_1)
	v_cndmask_b32_e64 v5, 0, v5, s9
	ds_bpermute_b32 v4, v22, v7
	s_and_b32 vcc_lo, s9, vcc_lo
	s_wait_dscnt 0x0
	v_dual_cndmask_b32 v4, 0, v4 :: v_dual_add_nc_u32 v5, v5, v6
	v_cmp_eq_u32_e32 vcc_lo, 0, v5
	s_delay_alu instid0(VALU_DEP_2)
	v_add_nc_u32_e32 v4, v4, v7
	ds_bpermute_b32 v7, v24, v4
	s_wait_dscnt 0x0
	v_cndmask_b32_e32 v6, 0, v7, vcc_lo
	ds_bpermute_b32 v7, v24, v5
	v_cmp_gt_u32_e32 vcc_lo, 28, v61
	v_cndmask_b32_e64 v17, 0, 4, vcc_lo
	v_cmp_gt_u32_e32 vcc_lo, v25, v9
	s_delay_alu instid0(VALU_DEP_2) | instskip(SKIP_2) | instid1(VALU_DEP_1)
	v_add_lshl_u32 v26, v17, v61, 2
	s_wait_dscnt 0x0
	v_cndmask_b32_e64 v7, v7, 0, vcc_lo
	v_add_nc_u32_e32 v5, v5, v7
	v_cndmask_b32_e64 v6, v6, 0, vcc_lo
	ds_bpermute_b32 v7, v26, v5
	v_add_nc_u32_e32 v4, v6, v4
	v_cmp_eq_u32_e32 vcc_lo, 0, v5
	ds_bpermute_b32 v6, v26, v4
	s_wait_dscnt 0x0
	v_cndmask_b32_e32 v6, 0, v6, vcc_lo
	v_cmp_gt_u32_e32 vcc_lo, 24, v61
	v_cndmask_b32_e64 v17, 0, 8, vcc_lo
	v_cmp_gt_u32_e32 vcc_lo, v27, v9
	s_delay_alu instid0(VALU_DEP_2) | instskip(SKIP_1) | instid1(VALU_DEP_1)
	v_add_lshl_u32 v28, v17, v61, 2
	v_cndmask_b32_e64 v7, v7, 0, vcc_lo
	v_dual_mov_b32 v17, 0 :: v_dual_add_nc_u32 v5, v5, v7
	v_cndmask_b32_e64 v6, v6, 0, vcc_lo
	ds_bpermute_b32 v7, v28, v5
	v_add_nc_u32_e32 v4, v4, v6
	v_cmp_eq_u32_e32 vcc_lo, 0, v5
	ds_bpermute_b32 v6, v28, v4
	s_wait_dscnt 0x0
	v_cndmask_b32_e32 v6, 0, v6, vcc_lo
	v_cmp_gt_u32_e32 vcc_lo, v29, v9
	s_delay_alu instid0(VALU_DEP_2) | instskip(NEXT) | instid1(VALU_DEP_1)
	v_cndmask_b32_e64 v6, v6, 0, vcc_lo
	v_add_nc_u32_e32 v4, v4, v6
	v_cndmask_b32_e64 v6, v7, 0, vcc_lo
	s_delay_alu instid0(VALU_DEP_1)
	v_add_nc_u32_e32 v5, v5, v6
	ds_bpermute_b32 v7, v30, v4
	ds_bpermute_b32 v6, v30, v5
	v_cmp_eq_u32_e32 vcc_lo, 0, v5
	s_wait_dscnt 0x1
	v_cndmask_b32_e32 v7, 0, v7, vcc_lo
	v_cmp_gt_u32_e32 vcc_lo, v31, v9
	s_wait_dscnt 0x0
	v_cndmask_b32_e64 v6, v6, 0, vcc_lo
	s_delay_alu instid0(VALU_DEP_1) | instskip(SKIP_1) | instid1(VALU_DEP_1)
	v_add_nc_u32_e32 v6, v6, v5
	v_cndmask_b32_e64 v7, v7, 0, vcc_lo
	v_add_nc_u32_e32 v7, v7, v4
	s_branch .LBB580_65
.LBB580_62:                             ;   in Loop: Header=BB580_65 Depth=1
	s_or_b32 exec_lo, exec_lo, s10
.LBB580_63:                             ;   in Loop: Header=BB580_65 Depth=1
	s_delay_alu instid0(SALU_CYCLE_1)
	s_or_b32 exec_lo, exec_lo, s9
	v_and_b32_e32 v9, 0xff, v8
	ds_bpermute_b32 v18, v22, v6
	v_subrev_nc_u32_e32 v16, 32, v16
	v_cmp_eq_u16_e32 vcc_lo, 2, v9
	ds_bpermute_b32 v9, v22, v7
	v_and_or_b32 v19, vcc_lo, v23, 0x80000000
	v_cmp_eq_u32_e32 vcc_lo, 0, v6
	s_delay_alu instid0(VALU_DEP_2) | instskip(NEXT) | instid1(VALU_DEP_1)
	v_ctz_i32_b32_e32 v19, v19
	v_cmp_lt_u32_e64 s9, v61, v19
	s_and_b32 vcc_lo, s9, vcc_lo
	s_wait_dscnt 0x0
	v_dual_cndmask_b32 v18, 0, v18, s9 :: v_dual_cndmask_b32 v9, 0, v9, vcc_lo
	s_mov_b32 s9, 0
	s_delay_alu instid0(VALU_DEP_1)
	v_dual_add_nc_u32 v6, v18, v6 :: v_dual_add_nc_u32 v7, v9, v7
	ds_bpermute_b32 v18, v24, v6
	ds_bpermute_b32 v9, v24, v7
	v_cmp_eq_u32_e32 vcc_lo, 0, v6
	s_wait_dscnt 0x0
	v_cndmask_b32_e32 v9, 0, v9, vcc_lo
	v_cmp_gt_u32_e32 vcc_lo, v25, v19
	v_cndmask_b32_e64 v18, v18, 0, vcc_lo
	s_delay_alu instid0(VALU_DEP_1) | instskip(NEXT) | instid1(VALU_DEP_4)
	v_add_nc_u32_e32 v6, v6, v18
	v_cndmask_b32_e64 v9, v9, 0, vcc_lo
	s_delay_alu instid0(VALU_DEP_2) | instskip(NEXT) | instid1(VALU_DEP_2)
	v_cmp_eq_u32_e32 vcc_lo, 0, v6
	v_add_nc_u32_e32 v7, v9, v7
	ds_bpermute_b32 v18, v26, v6
	ds_bpermute_b32 v9, v26, v7
	s_wait_dscnt 0x0
	v_cndmask_b32_e32 v9, 0, v9, vcc_lo
	v_cmp_gt_u32_e32 vcc_lo, v27, v19
	s_delay_alu instid0(VALU_DEP_2) | instskip(SKIP_1) | instid1(VALU_DEP_1)
	v_cndmask_b32_e64 v9, v9, 0, vcc_lo
	v_cndmask_b32_e64 v18, v18, 0, vcc_lo
	v_dual_add_nc_u32 v7, v7, v9 :: v_dual_add_nc_u32 v6, v6, v18
	ds_bpermute_b32 v9, v28, v7
	ds_bpermute_b32 v18, v28, v6
	v_cmp_eq_u32_e32 vcc_lo, 0, v6
	s_wait_dscnt 0x1
	v_cndmask_b32_e32 v9, 0, v9, vcc_lo
	v_cmp_gt_u32_e32 vcc_lo, v29, v19
	s_wait_dscnt 0x0
	v_cndmask_b32_e64 v18, v18, 0, vcc_lo
	s_delay_alu instid0(VALU_DEP_1) | instskip(SKIP_1) | instid1(VALU_DEP_2)
	v_add_nc_u32_e32 v6, v6, v18
	v_cndmask_b32_e64 v9, v9, 0, vcc_lo
	v_cmp_eq_u32_e32 vcc_lo, 0, v6
	s_delay_alu instid0(VALU_DEP_2)
	v_add_nc_u32_e32 v7, v7, v9
	ds_bpermute_b32 v18, v30, v6
	ds_bpermute_b32 v9, v30, v7
	s_wait_dscnt 0x0
	v_cndmask_b32_e32 v9, 0, v9, vcc_lo
	v_cmp_gt_u32_e32 vcc_lo, v31, v19
	s_delay_alu instid0(VALU_DEP_2) | instskip(NEXT) | instid1(VALU_DEP_1)
	v_cndmask_b32_e64 v9, v9, 0, vcc_lo
	v_add_nc_u32_e32 v7, v9, v7
	v_cndmask_b32_e64 v9, v18, 0, vcc_lo
	v_cmp_eq_u32_e32 vcc_lo, 0, v4
	s_delay_alu instid0(VALU_DEP_2) | instskip(NEXT) | instid1(VALU_DEP_4)
	v_add3_u32 v6, v6, v4, v9
	v_cndmask_b32_e32 v7, 0, v7, vcc_lo
	s_delay_alu instid0(VALU_DEP_1)
	v_add_nc_u32_e32 v7, v7, v5
.LBB580_64:                             ;   in Loop: Header=BB580_65 Depth=1
	s_and_b32 vcc_lo, exec_lo, s9
	s_cbranch_vccnz .LBB580_70
.LBB580_65:                             ; =>This Loop Header: Depth=1
                                        ;     Child Loop BB580_68 Depth 2
	v_and_b32_e32 v4, 0xff, v8
	s_delay_alu instid0(VALU_DEP_2) | instskip(SKIP_1) | instid1(VALU_DEP_2)
	v_mov_b32_e32 v5, v7
	s_mov_b32 s9, -1
                                        ; implicit-def: $vgpr7
                                        ; implicit-def: $vgpr8
	v_cmp_ne_u16_e32 vcc_lo, 2, v4
	v_mov_b32_e32 v4, v6
                                        ; implicit-def: $vgpr6
	s_cmp_lg_u32 vcc_lo, exec_lo
	s_cbranch_scc1 .LBB580_64
; %bb.66:                               ;   in Loop: Header=BB580_65 Depth=1
	v_lshl_add_u64 v[18:19], v[16:17], 4, s[16:17]
	;;#ASMSTART
	global_load_b128 v[6:9], v[18:19] off scope:SCOPE_DEV	
s_wait_loadcnt 0x0
	;;#ASMEND
	v_and_b32_e32 v9, 0xff, v8
	s_mov_b32 s9, exec_lo
	s_delay_alu instid0(VALU_DEP_1)
	v_cmpx_eq_u16_e32 0, v9
	s_cbranch_execz .LBB580_63
; %bb.67:                               ;   in Loop: Header=BB580_65 Depth=1
	s_mov_b32 s10, 0
.LBB580_68:                             ;   Parent Loop BB580_65 Depth=1
                                        ; =>  This Inner Loop Header: Depth=2
	;;#ASMSTART
	global_load_b128 v[6:9], v[18:19] off scope:SCOPE_DEV	
s_wait_loadcnt 0x0
	;;#ASMEND
	v_and_b32_e32 v9, 0xff, v8
	s_delay_alu instid0(VALU_DEP_1) | instskip(SKIP_1) | instid1(SALU_CYCLE_1)
	v_cmp_ne_u16_e32 vcc_lo, 0, v9
	s_or_b32 s10, vcc_lo, s10
	s_and_not1_b32 exec_lo, exec_lo, s10
	s_cbranch_execnz .LBB580_68
	s_branch .LBB580_62
.LBB580_69:
                                        ; implicit-def: $vgpr4
                                        ; implicit-def: $vgpr14
                                        ; implicit-def: $vgpr20_vgpr21
                                        ; implicit-def: $vgpr22_vgpr23
                                        ; implicit-def: $vgpr34_vgpr35
                                        ; implicit-def: $vgpr24_vgpr25
                                        ; implicit-def: $vgpr28_vgpr29
                                        ; implicit-def: $vgpr32_vgpr33
                                        ; implicit-def: $vgpr30_vgpr31
                                        ; implicit-def: $vgpr26_vgpr27
                                        ; implicit-def: $vgpr16_vgpr17
                                        ; implicit-def: $vgpr18_vgpr19
	s_cbranch_execnz .LBB580_75
	s_branch .LBB580_86
.LBB580_70:
	s_and_saveexec_b32 s9, s8
	s_cbranch_execz .LBB580_72
; %bb.71:
	v_cmp_eq_u32_e32 vcc_lo, 0, v2
	s_mov_b32 s25, 0
	s_add_co_i32 s24, s28, 32
	v_mov_b32_e32 v9, 0
	s_lshl_b64 s[24:25], s[24:25], 4
	v_dual_cndmask_b32 v7, 0, v5 :: v_dual_add_nc_u32 v6, v4, v2
	s_add_nc_u64 s[24:25], s[16:17], s[24:25]
	v_mov_b32_e32 v8, 2
	v_mov_b64_e32 v[16:17], s[24:25]
	s_delay_alu instid0(VALU_DEP_3)
	v_add_nc_u32_e32 v7, v7, v3
	;;#ASMSTART
	global_store_b128 v[16:17], v[6:9] off scope:SCOPE_DEV	
s_wait_storecnt 0x0
	;;#ASMEND
	ds_store_b128 v9, v[2:5] offset:2048
.LBB580_72:
	s_or_b32 exec_lo, exec_lo, s9
	v_cmp_eq_u32_e32 vcc_lo, 0, v0
	s_and_b32 exec_lo, exec_lo, vcc_lo
; %bb.73:
	v_mov_b32_e32 v2, 0
	ds_store_b64 v2, v[4:5] offset:2184
.LBB580_74:
	s_or_b32 exec_lo, exec_lo, s11
	s_wait_dscnt 0x1
	v_dual_mov_b32 v4, 0 :: v_dual_cndmask_b32 v5, v20, v14, s8
	s_wait_dscnt 0x0
	s_barrier_signal -1
	s_barrier_wait -1
	ds_load_b64 v[2:3], v4 offset:2184
	v_cmp_eq_u32_e32 vcc_lo, 0, v5
	v_cndmask_b32_e64 v6, v21, v15, s8
	v_cmp_eq_u32_e64 s8, 0, v58
	s_wait_dscnt 0x0
	s_barrier_signal -1
	s_barrier_wait -1
	v_cndmask_b32_e32 v7, 0, v3, vcc_lo
	v_cmp_eq_u32_e32 vcc_lo, 0, v0
	s_delay_alu instid0(VALU_DEP_2) | instskip(SKIP_1) | instid1(VALU_DEP_2)
	v_add_nc_u32_e32 v6, v7, v6
	v_cndmask_b32_e64 v5, v5, 0, vcc_lo
	v_cndmask_b32_e32 v29, v6, v3, vcc_lo
	s_delay_alu instid0(VALU_DEP_2) | instskip(SKIP_2) | instid1(VALU_DEP_1)
	v_add_nc_u32_e32 v28, v2, v5
	ds_load_b128 v[4:7], v4 offset:2048
	v_dual_cndmask_b32 v3, 0, v29, s8 :: v_dual_add_nc_u32 v32, v28, v58
	v_add_nc_u32_e32 v33, v3, v39
	s_delay_alu instid0(VALU_DEP_1) | instskip(NEXT) | instid1(VALU_DEP_1)
	v_cndmask_b32_e64 v3, 0, v33, s7
	v_add_nc_u32_e32 v31, v3, v41
	s_wait_dscnt 0x0
	v_cmp_eq_u32_e32 vcc_lo, 0, v4
	s_delay_alu instid0(VALU_DEP_2) | instskip(NEXT) | instid1(VALU_DEP_1)
	v_cndmask_b32_e64 v3, 0, v31, s6
	v_add_nc_u32_e32 v27, v3, v43
	s_delay_alu instid0(VALU_DEP_1) | instskip(NEXT) | instid1(VALU_DEP_1)
	v_cndmask_b32_e64 v3, 0, v27, s5
	v_add_nc_u32_e32 v17, v3, v59
	s_delay_alu instid0(VALU_DEP_1) | instskip(NEXT) | instid1(VALU_DEP_1)
	v_dual_cndmask_b32 v3, 0, v7, vcc_lo :: v_dual_cndmask_b32 v2, 0, v17, s4
	v_dual_add_nc_u32 v14, v3, v5 :: v_dual_add_nc_u32 v19, v2, v42
	s_delay_alu instid0(VALU_DEP_1) | instskip(NEXT) | instid1(VALU_DEP_1)
	v_dual_add_nc_u32 v30, v32, v52 :: v_dual_cndmask_b32 v2, 0, v19, s3
	v_add_nc_u32_e32 v25, v2, v40
	s_delay_alu instid0(VALU_DEP_1) | instskip(NEXT) | instid1(VALU_DEP_1)
	v_dual_add_nc_u32 v26, v30, v51 :: v_dual_cndmask_b32 v2, 0, v25, s2
	v_add_nc_u32_e32 v35, v2, v38
	;; [unrolled: 3-line block ×3, first 2 shown]
	s_delay_alu instid0(VALU_DEP_2) | instskip(NEXT) | instid1(VALU_DEP_2)
	v_add_nc_u32_e32 v23, v2, v37
	v_add_nc_u32_e32 v24, v18, v47
	s_delay_alu instid0(VALU_DEP_1) | instskip(NEXT) | instid1(VALU_DEP_1)
	v_dual_cndmask_b32 v2, 0, v23, s0 :: v_dual_add_nc_u32 v34, v24, v45
	v_add_nc_u32_e32 v21, v2, v36
	s_delay_alu instid0(VALU_DEP_2) | instskip(NEXT) | instid1(VALU_DEP_1)
	v_add_nc_u32_e32 v22, v34, v44
	v_add_nc_u32_e32 v20, v22, v46
	s_branch .LBB580_86
.LBB580_75:
	s_wait_kmcnt 0x0
	s_cmp_eq_u64 s[22:23], 0
	v_mov_b32_e32 v6, v39
	s_cselect_b32 s0, -1, 0
	s_delay_alu instid0(SALU_CYCLE_1) | instskip(NEXT) | instid1(SALU_CYCLE_1)
	s_or_b32 s0, s18, s0
	s_and_b32 vcc_lo, exec_lo, s0
	s_cbranch_vccnz .LBB580_77
; %bb.76:
	v_mov_b32_e32 v2, 0
	global_load_b32 v6, v2, s[22:23]
.LBB580_77:
	v_add3_u32 v3, v64, v49, v47
	v_cmp_eq_u32_e64 s4, 0, v52
	v_cmp_eq_u32_e64 s5, 0, v51
	v_cmp_eq_u32_e64 s6, 0, v50
	v_cmp_eq_u32_e64 s3, 0, v49
	v_add3_u32 v3, v3, v45, v44
	s_wait_xcnt 0x0
	v_dual_cndmask_b32 v2, 0, v39, s4 :: v_dual_bitop2_b32 v5, 15, v61 bitop3:0x40
	v_cmp_eq_u32_e64 s2, 0, v47
	v_cmp_eq_u32_e64 s1, 0, v45
	v_add3_u32 v3, v3, v46, v48
	s_delay_alu instid0(VALU_DEP_4)
	v_add_nc_u32_e32 v2, v2, v41
	v_cmp_eq_u32_e64 s9, 0, v5
	v_cmp_eq_u32_e64 s0, 0, v44
	v_cmp_eq_u32_e32 vcc_lo, 0, v46
	v_mov_b32_dpp v7, v3 row_shr:1 row_mask:0xf bank_mask:0xf
	v_cmp_eq_u32_e64 s7, 0, v48
	s_mov_b32 s19, exec_lo
	v_cndmask_b32_e64 v7, v7, 0, s9
	v_cndmask_b32_e64 v2, 0, v2, s5
	s_delay_alu instid0(VALU_DEP_1) | instskip(NEXT) | instid1(VALU_DEP_1)
	v_add_nc_u32_e32 v2, v2, v43
	v_cndmask_b32_e64 v2, 0, v2, s6
	s_delay_alu instid0(VALU_DEP_1) | instskip(NEXT) | instid1(VALU_DEP_1)
	v_add_nc_u32_e32 v2, v2, v59
	;; [unrolled: 3-line block ×6, first 2 shown]
	v_cndmask_b32_e32 v2, 0, v2, vcc_lo
	s_delay_alu instid0(VALU_DEP_1) | instskip(NEXT) | instid1(VALU_DEP_1)
	v_add_nc_u32_e32 v2, v2, v36
	v_cndmask_b32_e64 v2, 0, v2, s7
	v_cmp_eq_u32_e64 s7, 0, v3
	s_delay_alu instid0(VALU_DEP_2) | instskip(NEXT) | instid1(VALU_DEP_1)
	v_dual_add_nc_u32 v3, v7, v3 :: v_dual_add_nc_u32 v2, v2, v60
	v_cmp_eq_u32_e64 s8, 0, v3
	s_delay_alu instid0(VALU_DEP_2) | instskip(NEXT) | instid1(VALU_DEP_1)
	v_mov_b32_dpp v4, v2 row_shr:1 row_mask:0xf bank_mask:0xf
	v_cndmask_b32_e64 v4, 0, v4, s7
	v_cmp_lt_u32_e64 s7, 1, v5
	s_delay_alu instid0(VALU_DEP_2) | instskip(SKIP_1) | instid1(VALU_DEP_1)
	v_cndmask_b32_e64 v4, v4, 0, s9
	s_and_b32 s8, s7, s8
	v_add_nc_u32_e32 v2, v4, v2
	v_mov_b32_dpp v4, v3 row_shr:2 row_mask:0xf bank_mask:0xf
	s_delay_alu instid0(VALU_DEP_2) | instskip(NEXT) | instid1(VALU_DEP_1)
	v_mov_b32_dpp v7, v2 row_shr:2 row_mask:0xf bank_mask:0xf
	v_dual_cndmask_b32 v4, 0, v4, s7 :: v_dual_cndmask_b32 v7, 0, v7, s8
	s_delay_alu instid0(VALU_DEP_1) | instskip(SKIP_1) | instid1(VALU_DEP_3)
	v_add_nc_u32_e32 v3, v3, v4
	v_cmp_lt_u32_e64 s8, 3, v5
	v_add_nc_u32_e32 v2, v7, v2
	s_delay_alu instid0(VALU_DEP_3) | instskip(SKIP_1) | instid1(VALU_DEP_3)
	v_mov_b32_dpp v4, v3 row_shr:4 row_mask:0xf bank_mask:0xf
	v_cmp_eq_u32_e64 s10, 0, v3
	v_mov_b32_dpp v7, v2 row_shr:4 row_mask:0xf bank_mask:0xf
	s_delay_alu instid0(VALU_DEP_3)
	v_cndmask_b32_e64 v4, 0, v4, s8
	s_and_b32 s10, s8, s10
	s_delay_alu instid0(VALU_DEP_2) | instid1(SALU_CYCLE_1)
	v_cndmask_b32_e64 v7, 0, v7, s10
	s_delay_alu instid0(VALU_DEP_2) | instskip(SKIP_1) | instid1(VALU_DEP_3)
	v_add_nc_u32_e32 v3, v4, v3
	v_cmp_lt_u32_e64 s10, 7, v5
	v_add_nc_u32_e32 v2, v2, v7
	s_delay_alu instid0(VALU_DEP_3) | instskip(SKIP_2) | instid1(VALU_DEP_4)
	v_cmp_eq_u32_e64 s11, 0, v3
	v_mov_b32_dpp v4, v3 row_shr:8 row_mask:0xf bank_mask:0xf
	v_bfe_i32 v7, v61, 4, 1
	v_mov_b32_dpp v5, v2 row_shr:8 row_mask:0xf bank_mask:0xf
	s_and_b32 s11, s10, s11
	s_delay_alu instid0(VALU_DEP_1) | instid1(SALU_CYCLE_1)
	v_dual_cndmask_b32 v4, 0, v4, s10 :: v_dual_cndmask_b32 v5, 0, v5, s11
	s_delay_alu instid0(VALU_DEP_1) | instskip(SKIP_4) | instid1(VALU_DEP_1)
	v_dual_add_nc_u32 v5, v5, v2 :: v_dual_add_nc_u32 v2, v4, v3
	ds_swizzle_b32 v3, v5 offset:swizzle(BROADCAST,32,15)
	ds_swizzle_b32 v4, v2 offset:swizzle(BROADCAST,32,15)
	v_cmp_eq_u32_e64 s11, 0, v2
	s_wait_dscnt 0x0
	v_dual_cndmask_b32 v3, 0, v3, s11 :: v_dual_bitop2_b32 v4, v7, v4 bitop3:0x40
	s_delay_alu instid0(VALU_DEP_1) | instskip(NEXT) | instid1(VALU_DEP_1)
	v_dual_add_nc_u32 v2, v4, v2 :: v_dual_bitop2_b32 v3, v7, v3 bitop3:0x40
	v_dual_add_nc_u32 v3, v3, v5 :: v_dual_lshlrev_b32 v5, 3, v62
	v_cmpx_eq_u32_e64 v0, v63
; %bb.78:
	ds_store_b64 v5, v[2:3] offset:2064
; %bb.79:
	s_or_b32 exec_lo, exec_lo, s19
	s_delay_alu instid0(SALU_CYCLE_1)
	s_mov_b32 s19, exec_lo
	s_wait_loadcnt_dscnt 0x0
	s_barrier_signal -1
	s_barrier_wait -1
	v_cmpx_gt_u32_e32 16, v0
	s_cbranch_execz .LBB580_81
; %bb.80:
	v_lshlrev_b32_e32 v4, 3, v0
	ds_load_b64 v[8:9], v4 offset:2064
	s_wait_dscnt 0x0
	v_mov_b32_dpp v7, v9 row_shr:1 row_mask:0xf bank_mask:0xf
	v_cmp_eq_u32_e64 s11, 0, v8
	v_mov_b32_dpp v14, v8 row_shr:1 row_mask:0xf bank_mask:0xf
	s_delay_alu instid0(VALU_DEP_2) | instskip(NEXT) | instid1(VALU_DEP_2)
	v_cndmask_b32_e64 v7, 0, v7, s11
	v_cndmask_b32_e64 v14, v14, 0, s9
	s_delay_alu instid0(VALU_DEP_2) | instskip(NEXT) | instid1(VALU_DEP_1)
	v_cndmask_b32_e64 v7, v7, 0, s9
	v_dual_add_nc_u32 v8, v14, v8 :: v_dual_add_nc_u32 v7, v7, v9
	s_delay_alu instid0(VALU_DEP_1) | instskip(SKIP_1) | instid1(VALU_DEP_3)
	v_mov_b32_dpp v9, v8 row_shr:2 row_mask:0xf bank_mask:0xf
	v_cmp_eq_u32_e64 s9, 0, v8
	v_mov_b32_dpp v14, v7 row_shr:2 row_mask:0xf bank_mask:0xf
	s_delay_alu instid0(VALU_DEP_3)
	v_cndmask_b32_e64 v9, 0, v9, s7
	s_and_b32 s7, s7, s9
	s_delay_alu instid0(VALU_DEP_1) | instid1(SALU_CYCLE_1)
	v_dual_cndmask_b32 v14, 0, v14, s7 :: v_dual_add_nc_u32 v8, v9, v8
	s_delay_alu instid0(VALU_DEP_1) | instskip(NEXT) | instid1(VALU_DEP_2)
	v_add_nc_u32_e32 v7, v14, v7
	v_mov_b32_dpp v9, v8 row_shr:4 row_mask:0xf bank_mask:0xf
	v_cmp_eq_u32_e64 s7, 0, v8
	s_delay_alu instid0(VALU_DEP_3)
	v_mov_b32_dpp v14, v7 row_shr:4 row_mask:0xf bank_mask:0xf
	s_and_b32 s7, s8, s7
	s_delay_alu instid0(VALU_DEP_1) | instid1(SALU_CYCLE_1)
	v_dual_cndmask_b32 v9, 0, v9, s8 :: v_dual_cndmask_b32 v14, 0, v14, s7
	s_delay_alu instid0(VALU_DEP_1) | instskip(NEXT) | instid1(VALU_DEP_1)
	v_dual_add_nc_u32 v8, v9, v8 :: v_dual_add_nc_u32 v7, v14, v7
	v_cmp_eq_u32_e64 s7, 0, v8
	v_mov_b32_dpp v9, v8 row_shr:8 row_mask:0xf bank_mask:0xf
	s_delay_alu instid0(VALU_DEP_3)
	v_mov_b32_dpp v14, v7 row_shr:8 row_mask:0xf bank_mask:0xf
	s_and_b32 s7, s10, s7
	s_delay_alu instid0(VALU_DEP_1) | instid1(SALU_CYCLE_1)
	v_dual_cndmask_b32 v9, 0, v9, s10 :: v_dual_cndmask_b32 v14, 0, v14, s7
	s_delay_alu instid0(VALU_DEP_1)
	v_dual_add_nc_u32 v8, v9, v8 :: v_dual_add_nc_u32 v9, v14, v7
	ds_store_b64 v4, v[8:9] offset:2064
.LBB580_81:
	s_or_b32 exec_lo, exec_lo, s19
	v_dual_mov_b32 v7, 0 :: v_dual_mov_b32 v4, 0
	v_mov_b32_e32 v8, v6
	s_mov_b32 s8, exec_lo
	s_wait_dscnt 0x0
	s_barrier_signal -1
	s_barrier_wait -1
	v_cmpx_lt_u32_e32 31, v0
	s_cbranch_execz .LBB580_83
; %bb.82:
	ds_load_b64 v[4:5], v5 offset:2056
	s_wait_dscnt 0x0
	v_cmp_eq_u32_e64 s7, 0, v4
	s_delay_alu instid0(VALU_DEP_1) | instskip(NEXT) | instid1(VALU_DEP_1)
	v_cndmask_b32_e64 v8, 0, v6, s7
	v_add_nc_u32_e32 v8, v8, v5
.LBB580_83:
	s_or_b32 exec_lo, exec_lo, s8
	v_sub_co_u32 v5, s7, v61, 1
	s_delay_alu instid0(VALU_DEP_1) | instskip(NEXT) | instid1(VALU_DEP_1)
	v_cmp_gt_i32_e64 s8, 0, v5
	v_cndmask_b32_e64 v5, v5, v61, s8
	v_cmp_eq_u32_e64 s8, 0, v2
	s_delay_alu instid0(VALU_DEP_1) | instskip(NEXT) | instid1(VALU_DEP_3)
	v_dual_cndmask_b32 v9, 0, v8, s8 :: v_dual_add_nc_u32 v2, v4, v2
	v_lshlrev_b32_e32 v5, 2, v5
	v_cmp_eq_u32_e64 s8, 0, v58
	ds_bpermute_b32 v2, v5, v2
	s_wait_dscnt 0x0
	v_dual_add_nc_u32 v3, v9, v3 :: v_dual_cndmask_b32 v2, v2, v4, s7
	ds_bpermute_b32 v3, v5, v3
	ds_load_b64 v[4:5], v7 offset:2184
	s_wait_dscnt 0x1
	v_cndmask_b32_e64 v3, v3, v8, s7
	v_cmp_eq_u32_e64 s7, 0, v0
	s_delay_alu instid0(VALU_DEP_1) | instskip(SKIP_1) | instid1(VALU_DEP_1)
	v_cndmask_b32_e64 v29, v3, v6, s7
	v_cndmask_b32_e64 v28, v2, 0, s7
	v_dual_cndmask_b32 v3, 0, v29, s8 :: v_dual_add_nc_u32 v32, v28, v58
	s_delay_alu instid0(VALU_DEP_1) | instskip(NEXT) | instid1(VALU_DEP_1)
	v_dual_add_nc_u32 v33, v3, v39 :: v_dual_add_nc_u32 v30, v32, v52
	v_dual_cndmask_b32 v3, 0, v33, s4 :: v_dual_add_nc_u32 v26, v30, v51
	s_delay_alu instid0(VALU_DEP_1) | instskip(NEXT) | instid1(VALU_DEP_1)
	v_dual_add_nc_u32 v31, v3, v41 :: v_dual_add_nc_u32 v16, v26, v50
	v_dual_cndmask_b32 v3, 0, v31, s5 :: v_dual_add_nc_u32 v18, v16, v49
	s_delay_alu instid0(VALU_DEP_1) | instskip(NEXT) | instid1(VALU_DEP_2)
	v_add_nc_u32_e32 v27, v3, v43
	v_add_nc_u32_e32 v24, v18, v47
	s_delay_alu instid0(VALU_DEP_1) | instskip(NEXT) | instid1(VALU_DEP_1)
	v_dual_cndmask_b32 v3, 0, v27, s6 :: v_dual_add_nc_u32 v34, v24, v45
	v_dual_add_nc_u32 v17, v3, v59 :: v_dual_add_nc_u32 v22, v34, v44
	s_delay_alu instid0(VALU_DEP_1) | instskip(NEXT) | instid1(VALU_DEP_1)
	v_dual_cndmask_b32 v2, 0, v17, s3 :: v_dual_add_nc_u32 v20, v22, v46
	v_add_nc_u32_e32 v19, v2, v42
	s_delay_alu instid0(VALU_DEP_1) | instskip(NEXT) | instid1(VALU_DEP_1)
	v_cndmask_b32_e64 v2, 0, v19, s2
	v_add_nc_u32_e32 v25, v2, v40
	s_delay_alu instid0(VALU_DEP_1) | instskip(NEXT) | instid1(VALU_DEP_1)
	v_cndmask_b32_e64 v2, 0, v25, s1
	;; [unrolled: 3-line block ×3, first 2 shown]
	v_add_nc_u32_e32 v23, v2, v37
	s_delay_alu instid0(VALU_DEP_1) | instskip(SKIP_2) | instid1(VALU_DEP_2)
	v_cndmask_b32_e32 v2, 0, v23, vcc_lo
	s_wait_dscnt 0x0
	v_cmp_eq_u32_e32 vcc_lo, 0, v4
	v_dual_add_nc_u32 v21, v2, v36 :: v_dual_cndmask_b32 v3, 0, v6, vcc_lo
	s_delay_alu instid0(VALU_DEP_1)
	v_add_nc_u32_e32 v14, v3, v5
	s_and_saveexec_b32 s0, s7
	s_cbranch_execz .LBB580_85
; %bb.84:
	s_add_nc_u64 s[2:3], s[16:17], 0x200
	v_dual_mov_b32 v6, 2 :: v_dual_mov_b32 v7, 0
	v_mov_b32_e32 v5, v14
	v_mov_b64_e32 v[2:3], s[2:3]
	;;#ASMSTART
	global_store_b128 v[2:3], v[4:7] off scope:SCOPE_DEV	
s_wait_storecnt 0x0
	;;#ASMEND
.LBB580_85:
	s_or_b32 exec_lo, exec_lo, s0
	v_mov_b32_e32 v6, 0
.LBB580_86:
	s_cmp_eq_u64 s[26:27], 0
	v_mov_b64_e32 v[36:37], 0
	s_cselect_b32 s0, -1, 0
	s_delay_alu instid0(SALU_CYCLE_1)
	s_or_b32 s0, s18, s0
	s_barrier_signal -1
	s_and_b32 vcc_lo, exec_lo, s0
	s_barrier_wait -1
	s_cbranch_vccnz .LBB580_88
; %bb.87:
	v_mov_b32_e32 v2, 0
	global_load_b64 v[36:37], v2, s[26:27]
.LBB580_88:
	v_cmp_eq_u32_e32 vcc_lo, 0, v58
	s_wait_loadcnt 0x0
	v_lshlrev_b64_e32 v[38:39], 1, v[36:37]
	v_cmp_ne_u32_e64 s9, 0, v58
	v_cmp_ne_u32_e64 s8, 0, v52
	;; [unrolled: 1-line block ×3, first 2 shown]
	v_cndmask_b32_e64 v2, 1, 2, vcc_lo
	v_cmp_eq_u32_e32 vcc_lo, 0, v52
	v_cmp_ne_u32_e64 s6, 0, v50
	v_cmp_ne_u32_e64 s5, 0, v49
	;; [unrolled: 1-line block ×4, first 2 shown]
	v_cndmask_b32_e64 v3, 1, 2, vcc_lo
	v_cmp_eq_u32_e32 vcc_lo, 0, v51
	v_cmp_ne_u32_e64 s2, 0, v44
	v_cmp_ne_u32_e64 s1, 0, v46
	s_delay_alu instid0(VALU_DEP_4) | instskip(SKIP_3) | instid1(VALU_DEP_4)
	v_dual_mov_b32 v7, 0 :: v_dual_bitop2_b32 v2, v3, v2 bitop3:0x40
	v_cndmask_b32_e64 v3, 1, 2, vcc_lo
	v_cmp_eq_u32_e32 vcc_lo, 0, v50
	v_cmp_ne_u32_e64 s0, 0, v48
	v_lshlrev_b64_e32 v[40:41], 1, v[6:7]
	s_mov_b32 s11, -1
	v_cndmask_b32_e64 v5, 1, 2, vcc_lo
	v_cmp_eq_u32_e32 vcc_lo, 0, v49
	s_delay_alu instid0(VALU_DEP_2)
	v_bitop3_b16 v5, v2, v5, v3 bitop3:0x80
	v_cndmask_b32_e64 v8, 1, 2, vcc_lo
	v_cmp_eq_u32_e32 vcc_lo, 0, v47
	s_wait_kmcnt 0x0
	v_add_nc_u64_e32 v[2:3], s[12:13], v[38:39]
	v_cndmask_b32_e64 v9, 1, 2, vcc_lo
	v_cmp_eq_u32_e32 vcc_lo, 0, v45
	s_delay_alu instid0(VALU_DEP_3) | instskip(NEXT) | instid1(VALU_DEP_3)
	v_add_nc_u64_e32 v[42:43], v[2:3], v[40:41]
	v_bitop3_b16 v5, v5, v9, v8 bitop3:0x80
	v_cndmask_b32_e64 v8, 1, 2, vcc_lo
	v_cmp_eq_u32_e32 vcc_lo, 0, v44
	v_cndmask_b32_e64 v9, 1, 2, vcc_lo
	v_cmp_eq_u32_e32 vcc_lo, 0, v46
	s_delay_alu instid0(VALU_DEP_2) | instskip(SKIP_4) | instid1(VALU_DEP_2)
	v_bitop3_b16 v2, v5, v9, v8 bitop3:0x80
	v_cndmask_b32_e64 v3, 1, 2, vcc_lo
	v_cmp_eq_u32_e32 vcc_lo, 0, v48
	v_cndmask_b32_e64 v5, 1, 2, vcc_lo
	v_cmp_gt_u32_e32 vcc_lo, 0x200, v4
	v_bitop3_b16 v2, v2, v5, v3 bitop3:0x80
	s_delay_alu instid0(VALU_DEP_1)
	v_cmp_gt_i16_e64 s10, 2, v2
	s_cbranch_vccz .LBB580_95
; %bb.89:
	s_and_saveexec_b32 s11, s10
	s_cbranch_execz .LBB580_94
; %bb.90:
	s_mov_b32 s16, 0
	s_mov_b32 s10, exec_lo
	v_cmpx_ne_u16_e32 1, v2
	s_xor_b32 s10, exec_lo, s10
	s_cbranch_execnz .LBB580_136
; %bb.91:
	s_and_not1_saveexec_b32 s10, s10
	s_cbranch_execnz .LBB580_147
.LBB580_92:
	s_or_b32 exec_lo, exec_lo, s10
	s_delay_alu instid0(SALU_CYCLE_1)
	s_and_b32 exec_lo, exec_lo, s16
	s_cbranch_execz .LBB580_94
.LBB580_93:
	v_sub_nc_u32_e32 v3, v20, v6
	v_readfirstlane_b32 s16, v42
	v_readfirstlane_b32 s17, v43
	global_store_b16 v3, v53, s[16:17] scale_offset
.LBB580_94:
	s_wait_xcnt 0x0
	s_or_b32 exec_lo, exec_lo, s11
	s_mov_b32 s11, 0
.LBB580_95:
	s_delay_alu instid0(SALU_CYCLE_1)
	s_and_b32 vcc_lo, exec_lo, s11
	s_cbranch_vccz .LBB580_115
; %bb.96:
	s_mov_b32 s10, exec_lo
	v_cmpx_gt_i16_e32 2, v2
	s_cbranch_execz .LBB580_101
; %bb.97:
	s_mov_b32 s16, 0
	s_mov_b32 s11, exec_lo
	v_cmpx_ne_u16_e32 1, v2
	s_xor_b32 s11, exec_lo, s11
	s_cbranch_execnz .LBB580_148
; %bb.98:
	s_and_not1_saveexec_b32 s0, s11
	s_cbranch_execnz .LBB580_159
.LBB580_99:
	s_or_b32 exec_lo, exec_lo, s0
	s_delay_alu instid0(SALU_CYCLE_1)
	s_and_b32 exec_lo, exec_lo, s16
.LBB580_100:
	v_sub_nc_u32_e32 v1, v20, v6
	s_delay_alu instid0(VALU_DEP_1)
	v_lshlrev_b32_e32 v1, 1, v1
	ds_store_b16 v1, v53
.LBB580_101:
	s_or_b32 exec_lo, exec_lo, s10
	s_delay_alu instid0(SALU_CYCLE_1)
	s_mov_b32 s0, exec_lo
	s_wait_storecnt_dscnt 0x0
	s_barrier_signal -1
	s_barrier_wait -1
	v_cmpx_lt_u32_e64 v0, v4
	s_cbranch_execz .LBB580_114
; %bb.102:
	v_xad_u32 v1, v0, -1, v4
	v_mov_b32_e32 v2, v0
	s_mov_b32 s2, -1
	s_mov_b32 s1, exec_lo
	s_delay_alu instid0(VALU_DEP_2)
	v_cmpx_lt_u32_e32 0x5ff, v1
	s_cbranch_execz .LBB580_111
; %bb.103:
	v_lshrrev_b32_e32 v5, 9, v1
	v_or_b32_e32 v3, 0x600, v0
	v_or_b32_e32 v2, 0x400, v0
	;; [unrolled: 1-line block ×3, first 2 shown]
	s_delay_alu instid0(VALU_DEP_4) | instskip(NEXT) | instid1(VALU_DEP_1)
	v_dual_mov_b32 v55, 0 :: v_dual_add_nc_u32 v8, -3, v5
	v_lshrrev_b32_e32 v9, 2, v8
	v_cmp_lt_u32_e32 vcc_lo, 11, v8
	s_delay_alu instid0(VALU_DEP_2)
	v_add_nc_u32_e32 v15, 1, v9
	v_mov_b64_e32 v[10:11], v[2:3]
	v_mov_b64_e32 v[8:9], v[0:1]
	s_and_saveexec_b32 s2, vcc_lo
	s_cbranch_execz .LBB580_107
; %bb.104:
	v_mov_b64_e32 v[10:11], v[2:3]
	v_mov_b64_e32 v[8:9], v[0:1]
	v_and_b32_e32 v53, 0x7ffffffc, v15
	v_dual_mov_b32 v13, 0 :: v_dual_lshlrev_b32 v54, 1, v0
	s_mov_b32 s3, 0
	s_mov_b32 s4, 0
.LBB580_105:                            ; =>This Inner Loop Header: Depth=1
	s_delay_alu instid0(VALU_DEP_1) | instskip(SKIP_2) | instid1(VALU_DEP_3)
	v_dual_mov_b32 v12, v8 :: v_dual_mov_b32 v61, v13
	v_add_nc_u32_e32 v53, -4, v53
	v_dual_mov_b32 v67, v13 :: v_dual_add_nc_u32 v60, 0x800, v9
	v_lshl_add_u64 v[74:75], v[12:13], 1, v[42:43]
	v_mov_b32_e32 v12, v9
	ds_load_u16 v1, v54
	ds_load_u16 v59, v54 offset:1024
	ds_load_u16 v82, v54 offset:2048
	;; [unrolled: 1-line block ×7, first 2 shown]
	v_dual_mov_b32 v73, v13 :: v_dual_add_nc_u32 v66, 0x1000, v9
	s_add_co_i32 s4, s4, 16
	s_delay_alu instid0(SALU_CYCLE_1)
	v_dual_mov_b32 v55, s4 :: v_dual_add_nc_u32 v72, 0x1800, v9
	v_add_nc_u32_e32 v9, 0x2000, v9
	v_lshl_add_u64 v[76:77], v[12:13], 1, v[42:43]
	v_mov_b32_e32 v12, v10
	ds_load_u16 v88, v54 offset:8192
	ds_load_u16 v89, v54 offset:9216
	ds_load_u16 v90, v54 offset:10240
	ds_load_u16 v91, v54 offset:11264
	ds_load_u16 v92, v54 offset:12288
	ds_load_u16 v93, v54 offset:13312
	ds_load_u16 v94, v54 offset:14336
	ds_load_u16 v95, v54 offset:15360
	v_dual_mov_b32 v57, v13 :: v_dual_add_nc_u32 v2, 0x800, v11
	v_dual_mov_b32 v65, v13 :: v_dual_add_nc_u32 v62, 0x1000, v11
	v_lshl_add_u64 v[78:79], v[12:13], 1, v[42:43]
	v_mov_b32_e32 v12, v11
	v_dual_mov_b32 v71, v13 :: v_dual_add_nc_u32 v68, 0x1800, v11
	v_add_nc_u32_e32 v11, 0x2000, v11
	s_wait_dscnt 0xf
	global_store_b16 v[74:75], v1, off
	s_wait_dscnt 0xe
	global_store_b16 v[76:77], v59, off
	;; [unrolled: 2-line block ×3, first 2 shown]
	v_lshl_add_u64 v[80:81], v[12:13], 1, v[42:43]
	v_add_nc_u32_e32 v12, 0x800, v8
	v_dual_mov_b32 v3, v13 :: v_dual_add_nc_u32 v56, 0x800, v10
	v_dual_mov_b32 v63, v13 :: v_dual_add_nc_u32 v64, 0x1000, v10
	s_wait_xcnt 0x2
	s_delay_alu instid0(VALU_DEP_3)
	v_lshl_add_u64 v[74:75], v[12:13], 1, v[42:43]
	v_add_nc_u32_e32 v12, 0x1000, v8
	v_cmp_eq_u32_e32 vcc_lo, 0, v53
	v_lshl_add_u64 v[60:61], v[60:61], 1, v[42:43]
	s_wait_dscnt 0xc
	global_store_b16 v[80:81], v83, off
	s_wait_dscnt 0xb
	global_store_b16 v[74:75], v84, off
	v_dual_mov_b32 v69, v13 :: v_dual_add_nc_u32 v70, 0x1800, v10
	s_wait_xcnt 0x0
	v_lshl_add_u64 v[74:75], v[12:13], 1, v[42:43]
	v_add_nc_u32_e32 v12, 0x1800, v8
	v_add_nc_u32_e32 v54, 0x4000, v54
	v_lshl_add_u64 v[56:57], v[56:57], 1, v[42:43]
	v_add_nc_u32_e32 v10, 0x2000, v10
	v_add_nc_u32_e32 v8, 0x2000, v8
	v_lshl_add_u64 v[2:3], v[2:3], 1, v[42:43]
	v_lshl_add_u64 v[66:67], v[66:67], 1, v[42:43]
	v_lshl_add_u64 v[64:65], v[64:65], 1, v[42:43]
	v_lshl_add_u64 v[62:63], v[62:63], 1, v[42:43]
	s_or_b32 s3, vcc_lo, s3
	s_wait_dscnt 0xa
	global_store_b16 v[60:61], v85, off
	s_wait_dscnt 0x9
	global_store_b16 v[56:57], v86, off
	;; [unrolled: 2-line block ×3, first 2 shown]
	s_wait_xcnt 0x0
	v_lshl_add_u64 v[2:3], v[12:13], 1, v[42:43]
	v_lshl_add_u64 v[72:73], v[72:73], 1, v[42:43]
	;; [unrolled: 1-line block ×4, first 2 shown]
	s_wait_dscnt 0x7
	global_store_b16 v[74:75], v88, off
	s_wait_dscnt 0x6
	global_store_b16 v[66:67], v89, off
	;; [unrolled: 2-line block ×8, first 2 shown]
	s_wait_xcnt 0x0
	s_and_not1_b32 exec_lo, exec_lo, s3
	s_cbranch_execnz .LBB580_105
; %bb.106:
	s_or_b32 exec_lo, exec_lo, s3
.LBB580_107:
	s_delay_alu instid0(SALU_CYCLE_1) | instskip(SKIP_3) | instid1(VALU_DEP_1)
	s_or_b32 exec_lo, exec_lo, s2
	v_and_b32_e32 v1, 3, v15
	s_mov_b32 s3, 0
	s_mov_b32 s2, exec_lo
	v_cmpx_ne_u32_e32 0, v1
	s_cbranch_execz .LBB580_110
; %bb.108:
	v_dual_mov_b32 v3, 0 :: v_dual_lshlrev_b32 v2, 1, v0
	s_delay_alu instid0(VALU_DEP_1)
	v_lshl_or_b32 v12, v55, 10, v2
.LBB580_109:                            ; =>This Inner Loop Header: Depth=1
	v_dual_mov_b32 v2, v8 :: v_dual_add_nc_u32 v1, -1, v1
	ds_load_u16 v13, v12
	ds_load_u16 v15, v12 offset:1024
	ds_load_u16 v53, v12 offset:2048
	;; [unrolled: 1-line block ×3, first 2 shown]
	v_add_nc_u32_e32 v8, 0x800, v8
	v_add_nc_u32_e32 v12, 0x1000, v12
	v_lshl_add_u64 v[54:55], v[2:3], 1, v[42:43]
	v_dual_mov_b32 v2, v9 :: v_dual_add_nc_u32 v9, 0x800, v9
	v_cmp_eq_u32_e32 vcc_lo, 0, v1
	s_delay_alu instid0(VALU_DEP_2) | instskip(SKIP_3) | instid1(VALU_DEP_2)
	v_lshl_add_u64 v[56:57], v[2:3], 1, v[42:43]
	v_mov_b32_e32 v2, v10
	v_add_nc_u32_e32 v10, 0x800, v10
	s_or_b32 s3, vcc_lo, s3
	v_lshl_add_u64 v[60:61], v[2:3], 1, v[42:43]
	v_dual_mov_b32 v2, v11 :: v_dual_add_nc_u32 v11, 0x800, v11
	s_delay_alu instid0(VALU_DEP_1)
	v_lshl_add_u64 v[62:63], v[2:3], 1, v[42:43]
	s_wait_dscnt 0x3
	global_store_b16 v[54:55], v13, off
	s_wait_dscnt 0x2
	global_store_b16 v[56:57], v15, off
	;; [unrolled: 2-line block ×4, first 2 shown]
	s_wait_xcnt 0x0
	s_and_not1_b32 exec_lo, exec_lo, s3
	s_cbranch_execnz .LBB580_109
.LBB580_110:
	s_or_b32 exec_lo, exec_lo, s2
	v_add_nc_u32_e32 v1, 1, v5
	s_delay_alu instid0(VALU_DEP_1) | instskip(NEXT) | instid1(VALU_DEP_1)
	v_and_b32_e32 v2, 0xfffffc, v1
	v_cmp_ne_u32_e32 vcc_lo, v1, v2
	v_lshl_or_b32 v2, v2, 9, v0
	s_or_not1_b32 s2, vcc_lo, exec_lo
.LBB580_111:
	s_or_b32 exec_lo, exec_lo, s1
	s_delay_alu instid0(SALU_CYCLE_1)
	s_and_b32 exec_lo, exec_lo, s2
	s_cbranch_execz .LBB580_114
; %bb.112:
	v_add_nc_u64_e32 v[8:9], v[38:39], v[40:41]
	v_dual_mov_b32 v3, 0 :: v_dual_lshlrev_b32 v1, 1, v2
	s_mov_b32 s1, 0
	s_delay_alu instid0(VALU_DEP_2) | instskip(NEXT) | instid1(VALU_DEP_1)
	v_add_nc_u64_e32 v[8:9], s[12:13], v[8:9]
	v_lshl_add_u64 v[8:9], v[2:3], 1, v[8:9]
.LBB580_113:                            ; =>This Inner Loop Header: Depth=1
	ds_load_u16 v3, v1
	v_add_nc_u32_e32 v2, 0x200, v2
	v_add_nc_u32_e32 v1, 0x400, v1
	s_delay_alu instid0(VALU_DEP_2)
	v_cmp_ge_u32_e32 vcc_lo, v2, v4
	s_or_b32 s1, vcc_lo, s1
	s_wait_dscnt 0x0
	global_store_b16 v[8:9], v3, off
	s_wait_xcnt 0x0
	v_add_nc_u64_e32 v[8:9], 0x400, v[8:9]
	s_and_not1_b32 exec_lo, exec_lo, s1
	s_cbranch_execnz .LBB580_113
.LBB580_114:
	s_or_b32 exec_lo, exec_lo, s0
.LBB580_115:
	v_cmp_eq_u32_e32 vcc_lo, 0, v0
	s_cmp_lg_u32 s30, 0x1400
	v_cndmask_b32_e64 v5, 0, 1, s31
	s_cselect_b32 s0, -1, 0
	s_mov_b32 s13, 0
	s_and_b32 s0, s29, s0
	s_and_b32 s1, vcc_lo, s31
	v_cndmask_b32_e64 v1, 0, 1, s0
	v_cndmask_b32_e64 v3, v58, 0, s1
	v_sub_nc_u32_e32 v2, v4, v5
	s_mul_hi_u32 s0, s30, 0xcccccccd
	v_readfirstlane_b32 s12, v5
	s_lshr_b32 s0, s0, 3
	s_mov_b32 s11, -1
	v_add_nc_u32_e32 v1, v2, v1
	v_mad_i32_i24 v2, v0, -10, s30
	v_cmp_eq_u32_e32 vcc_lo, s0, v0
	s_add_nc_u64 s[12:13], s[12:13], -1
	s_wait_storecnt 0x0
	s_barrier_signal -1
	v_cmp_ne_u32_e64 s0, 0, v2
	s_and_b32 vcc_lo, s29, vcc_lo
	s_barrier_wait -1
	v_dual_add_nc_u32 v5, v6, v5 :: v_dual_cndmask_b32 v8, 1, v3, s0
	v_cmp_ne_u32_e64 s0, 1, v2
	s_delay_alu instid0(VALU_DEP_2) | instskip(NEXT) | instid1(VALU_DEP_2)
	v_cndmask_b32_e32 v39, v3, v8, vcc_lo
	v_cndmask_b32_e64 v9, 1, v52, s0
	v_cmp_ne_u32_e64 s0, 2, v2
	s_delay_alu instid0(VALU_DEP_3) | instskip(NEXT) | instid1(VALU_DEP_2)
	v_cmp_ne_u32_e64 s9, 0, v39
	v_dual_cndmask_b32 v41, v52, v9, vcc_lo :: v_dual_cndmask_b32 v10, 1, v51, s0
	v_cmp_ne_u32_e64 s0, 3, v2
	v_lshlrev_b64_e32 v[8:9], 3, v[36:37]
	s_delay_alu instid0(VALU_DEP_3) | instskip(NEXT) | instid1(VALU_DEP_3)
	v_cmp_ne_u32_e64 s8, 0, v41
	v_cndmask_b32_e64 v11, 1, v50, s0
	v_cmp_ne_u32_e64 s0, 4, v2
	s_delay_alu instid0(VALU_DEP_1) | instskip(SKIP_1) | instid1(VALU_DEP_1)
	v_cndmask_b32_e64 v12, 1, v49, s0
	v_cmp_ne_u32_e64 s0, 9, v2
	v_cndmask_b32_e64 v13, 1, v48, s0
	v_cmp_ne_u32_e64 s0, 5, v2
	s_delay_alu instid0(VALU_DEP_2) | instskip(NEXT) | instid1(VALU_DEP_2)
	v_dual_cndmask_b32 v12, v49, v12 :: v_dual_cndmask_b32 v13, v48, v13
	v_cndmask_b32_e64 v15, 1, v47, s0
	v_cmp_ne_u32_e64 s0, 6, v2
	v_cndmask_b32_e32 v48, v50, v11, vcc_lo
	s_delay_alu instid0(VALU_DEP_4) | instskip(NEXT) | instid1(VALU_DEP_3)
	v_cmp_ne_u32_e64 s5, 0, v12
	v_cndmask_b32_e64 v38, 1, v45, s0
	v_cmp_ne_u32_e64 s0, 7, v2
	v_cndmask_b32_e32 v15, v47, v15, vcc_lo
	v_cmp_ne_u32_e64 s6, 0, v48
	s_delay_alu instid0(VALU_DEP_3) | instskip(SKIP_1) | instid1(VALU_DEP_4)
	v_dual_cndmask_b32 v38, v45, v38, vcc_lo :: v_dual_cndmask_b32 v40, 1, v44, s0
	v_cmp_ne_u32_e64 s0, 8, v2
	v_cmp_ne_u32_e64 s4, 0, v15
	s_delay_alu instid0(VALU_DEP_3) | instskip(NEXT) | instid1(VALU_DEP_3)
	v_cmp_ne_u32_e64 s3, 0, v38
	v_dual_cndmask_b32 v40, v44, v40, vcc_lo :: v_dual_cndmask_b32 v2, 1, v46, s0
	v_cmp_eq_u32_e64 s0, 0, v39
	s_delay_alu instid0(VALU_DEP_2) | instskip(NEXT) | instid1(VALU_DEP_3)
	v_cmp_ne_u32_e64 s2, 0, v40
	v_cndmask_b32_e32 v46, v46, v2, vcc_lo
	s_delay_alu instid0(VALU_DEP_3) | instskip(SKIP_1) | instid1(VALU_DEP_3)
	v_cndmask_b32_e64 v3, 1, 2, s0
	v_cmp_eq_u32_e64 s0, 0, v41
	v_cmp_ne_u32_e64 s1, 0, v46
	s_delay_alu instid0(VALU_DEP_2) | instskip(SKIP_3) | instid1(VALU_DEP_4)
	v_cndmask_b32_e64 v42, 1, 2, s0
	v_cndmask_b32_e32 v43, v51, v10, vcc_lo
	v_cmp_eq_u32_e32 vcc_lo, 0, v38
	v_lshlrev_b64_e32 v[10:11], 3, v[6:7]
	v_and_b32_e32 v42, v42, v3
	s_delay_alu instid0(VALU_DEP_4)
	v_cmp_eq_u32_e64 s0, 0, v43
	v_cndmask_b32_e64 v44, 1, 2, vcc_lo
	v_cmp_eq_u32_e32 vcc_lo, 0, v40
	v_add_nc_u64_e32 v[2:3], s[14:15], v[8:9]
	v_cmp_ne_u32_e64 s7, 0, v43
	v_cndmask_b32_e64 v50, 1, 2, s0
	v_cmp_eq_u32_e64 s0, 0, v48
	v_cndmask_b32_e64 v45, 1, 2, vcc_lo
	v_cmp_eq_u32_e32 vcc_lo, 0, v46
	v_add_nc_u64_e32 v[2:3], v[2:3], v[10:11]
	s_delay_alu instid0(VALU_DEP_4) | instskip(SKIP_3) | instid1(VALU_DEP_4)
	v_cndmask_b32_e64 v51, 1, 2, s0
	v_cmp_eq_u32_e64 s0, 0, v12
	v_cndmask_b32_e64 v41, 1, 2, vcc_lo
	v_cmp_eq_u32_e32 vcc_lo, 0, v13
	v_bitop3_b16 v42, v42, v51, v50 bitop3:0x80
	s_delay_alu instid0(VALU_DEP_4) | instskip(SKIP_1) | instid1(VALU_DEP_1)
	v_cndmask_b32_e64 v47, 1, 2, s0
	v_cmp_eq_u32_e64 s0, 0, v15
	v_cndmask_b32_e64 v49, 1, 2, s0
	v_cmp_ne_u32_e64 s0, 0, v13
	s_delay_alu instid0(VALU_DEP_2) | instskip(NEXT) | instid1(VALU_DEP_1)
	v_bitop3_b16 v42, v42, v49, v47 bitop3:0x80
	v_bitop3_b16 v39, v42, v45, v44 bitop3:0x80
	v_cndmask_b32_e64 v42, 1, 2, vcc_lo
	v_cmp_gt_u32_e32 vcc_lo, 0x200, v1
	s_delay_alu instid0(VALU_DEP_2) | instskip(NEXT) | instid1(VALU_DEP_1)
	v_bitop3_b16 v15, v39, v42, v41 bitop3:0x80
	v_cmp_gt_i16_e64 s10, 2, v15
	s_cbranch_vccnz .LBB580_119
; %bb.116:
	s_and_b32 vcc_lo, exec_lo, s11
	s_cbranch_vccnz .LBB580_125
.LBB580_117:
	v_cmp_eq_u32_e32 vcc_lo, 0x1ff, v0
	s_and_b32 s0, vcc_lo, s29
	s_delay_alu instid0(SALU_CYCLE_1)
	s_and_saveexec_b32 s1, s0
	s_cbranch_execnz .LBB580_134
.LBB580_118:
	s_sendmsg sendmsg(MSG_DEALLOC_VGPRS)
	s_endpgm
.LBB580_119:
	s_and_saveexec_b32 s11, s10
	s_cbranch_execz .LBB580_124
; %bb.120:
	s_lshl_b64 s[16:17], s[12:13], 3
	s_mov_b32 s10, exec_lo
	v_add_nc_u64_e32 v[12:13], s[16:17], v[2:3]
	s_mov_b32 s16, 0
	v_cmpx_ne_u16_e32 1, v15
	s_xor_b32 s10, exec_lo, s10
	s_cbranch_execnz .LBB580_160
; %bb.121:
	s_and_not1_saveexec_b32 s10, s10
	s_cbranch_execnz .LBB580_171
.LBB580_122:
	s_or_b32 exec_lo, exec_lo, s10
	s_delay_alu instid0(SALU_CYCLE_1)
	s_and_b32 exec_lo, exec_lo, s16
	s_cbranch_execz .LBB580_124
.LBB580_123:
	v_dual_mov_b32 v39, 0 :: v_dual_mov_b32 v38, v21
	v_sub_nc_u32_e32 v40, v20, v5
	v_readfirstlane_b32 s16, v12
	v_readfirstlane_b32 s17, v13
	global_store_b64 v40, v[38:39], s[16:17] scale_offset
.LBB580_124:
	s_wait_xcnt 0x0
	s_or_b32 exec_lo, exec_lo, s11
	s_branch .LBB580_117
.LBB580_125:
	s_mov_b32 s10, exec_lo
	v_cmpx_gt_i16_e32 2, v15
	s_cbranch_execz .LBB580_130
; %bb.126:
	s_mov_b32 s16, 0
	s_mov_b32 s11, exec_lo
	v_cmpx_ne_u16_e32 1, v15
	s_xor_b32 s11, exec_lo, s11
	s_cbranch_execnz .LBB580_172
; %bb.127:
	s_and_not1_saveexec_b32 s0, s11
	s_cbranch_execnz .LBB580_183
.LBB580_128:
	s_or_b32 exec_lo, exec_lo, s0
	s_delay_alu instid0(SALU_CYCLE_1)
	s_and_b32 exec_lo, exec_lo, s16
.LBB580_129:
	v_sub_nc_u32_e32 v5, v20, v5
	s_delay_alu instid0(VALU_DEP_1)
	v_lshlrev_b32_e32 v5, 2, v5
	ds_store_b32 v5, v21
.LBB580_130:
	s_or_b32 exec_lo, exec_lo, s10
	s_delay_alu instid0(SALU_CYCLE_1)
	s_mov_b32 s0, exec_lo
	s_wait_storecnt_dscnt 0x0
	s_barrier_signal -1
	s_barrier_wait -1
	v_cmpx_lt_u32_e64 v0, v1
	s_cbranch_execz .LBB580_133
; %bb.131:
	s_lshl_b64 s[2:3], s[12:13], 3
	v_dual_mov_b32 v12, v0 :: v_dual_lshlrev_b32 v5, 2, v0
	v_add_nc_u64_e32 v[8:9], s[2:3], v[8:9]
	s_mov_b32 s1, 0
	s_delay_alu instid0(VALU_DEP_1) | instskip(NEXT) | instid1(VALU_DEP_1)
	v_add_nc_u64_e32 v[8:9], v[8:9], v[10:11]
	v_add_nc_u64_e32 v[10:11], s[14:15], v[8:9]
	v_dual_mov_b32 v9, 0 :: v_dual_lshlrev_b32 v8, 3, v0
	s_delay_alu instid0(VALU_DEP_1)
	v_add_nc_u64_e32 v[10:11], v[10:11], v[8:9]
.LBB580_132:                            ; =>This Inner Loop Header: Depth=1
	ds_load_b32 v8, v5
	v_add_nc_u32_e32 v12, 0x200, v12
	v_add_nc_u32_e32 v5, 0x800, v5
	s_delay_alu instid0(VALU_DEP_2)
	v_cmp_ge_u32_e32 vcc_lo, v12, v1
	s_or_b32 s1, vcc_lo, s1
	s_wait_dscnt 0x0
	global_store_b64 v[10:11], v[8:9], off
	s_wait_xcnt 0x0
	v_add_nc_u64_e32 v[10:11], 0x1000, v[10:11]
	s_and_not1_b32 exec_lo, exec_lo, s1
	s_cbranch_execnz .LBB580_132
.LBB580_133:
	s_or_b32 exec_lo, exec_lo, s0
	v_cmp_eq_u32_e32 vcc_lo, 0x1ff, v0
	s_and_b32 s0, vcc_lo, s29
	s_delay_alu instid0(SALU_CYCLE_1)
	s_and_saveexec_b32 s1, s0
	s_cbranch_execz .LBB580_118
.LBB580_134:
	v_mov_b32_e32 v5, 0
	s_cmp_lg_u32 s30, 0x1400
	s_delay_alu instid0(VALU_DEP_1) | instskip(NEXT) | instid1(VALU_DEP_1)
	v_add_nc_u64_e32 v[0:1], v[4:5], v[6:7]
	v_add_nc_u64_e32 v[0:1], v[0:1], v[36:37]
	global_store_b64 v5, v[0:1], s[20:21]
	s_cbranch_scc1 .LBB580_118
; %bb.135:
	s_wait_xcnt 0x0
	v_lshlrev_b64_e32 v[0:1], 3, v[4:5]
	v_mov_b32_e32 v15, v5
	s_delay_alu instid0(VALU_DEP_2)
	v_add_nc_u64_e32 v[0:1], v[2:3], v[0:1]
	global_store_b64 v[0:1], v[14:15], off offset:-8
	s_sendmsg sendmsg(MSG_DEALLOC_VGPRS)
	s_endpgm
.LBB580_136:
	s_and_saveexec_b32 s16, s9
	s_cbranch_execnz .LBB580_184
; %bb.137:
	s_or_b32 exec_lo, exec_lo, s16
	s_and_saveexec_b32 s16, s8
	s_cbranch_execnz .LBB580_185
.LBB580_138:
	s_or_b32 exec_lo, exec_lo, s16
	s_and_saveexec_b32 s16, s7
	s_cbranch_execnz .LBB580_186
.LBB580_139:
	s_or_b32 exec_lo, exec_lo, s16
	s_and_saveexec_b32 s16, s6
	s_cbranch_execnz .LBB580_187
.LBB580_140:
	s_or_b32 exec_lo, exec_lo, s16
	s_and_saveexec_b32 s16, s5
	s_cbranch_execnz .LBB580_188
.LBB580_141:
	s_or_b32 exec_lo, exec_lo, s16
	s_and_saveexec_b32 s16, s4
	s_cbranch_execnz .LBB580_189
.LBB580_142:
	s_or_b32 exec_lo, exec_lo, s16
	s_and_saveexec_b32 s16, s3
	s_cbranch_execnz .LBB580_190
.LBB580_143:
	s_or_b32 exec_lo, exec_lo, s16
	s_and_saveexec_b32 s16, s2
	s_cbranch_execnz .LBB580_191
.LBB580_144:
	s_or_b32 exec_lo, exec_lo, s16
	s_and_saveexec_b32 s16, s1
	s_cbranch_execz .LBB580_146
.LBB580_145:
	v_sub_nc_u32_e32 v3, v22, v6
	v_readfirstlane_b32 s18, v42
	v_readfirstlane_b32 s19, v43
	global_store_b16 v3, v1, s[18:19] scale_offset
.LBB580_146:
	s_wait_xcnt 0x0
	s_or_b32 exec_lo, exec_lo, s16
	s_delay_alu instid0(SALU_CYCLE_1)
	s_and_b32 s16, s0, exec_lo
	s_and_not1_saveexec_b32 s10, s10
	s_cbranch_execz .LBB580_92
.LBB580_147:
	v_dual_sub_nc_u32 v3, v28, v6 :: v_dual_sub_nc_u32 v8, v30, v6
	v_readfirstlane_b32 s18, v42
	v_readfirstlane_b32 s19, v43
	v_dual_sub_nc_u32 v5, v32, v6 :: v_dual_sub_nc_u32 v9, v26, v6
	s_clause 0x2
	global_store_b16 v3, v12, s[18:19] scale_offset
	global_store_b16 v5, v57, s[18:19] scale_offset
	;; [unrolled: 1-line block ×3, first 2 shown]
	s_wait_xcnt 0x1
	v_dual_sub_nc_u32 v3, v16, v6 :: v_dual_sub_nc_u32 v5, v18, v6
	global_store_b16 v9, v56, s[18:19] scale_offset
	s_wait_xcnt 0x0
	v_dual_sub_nc_u32 v8, v24, v6 :: v_dual_sub_nc_u32 v9, v34, v6
	global_store_b16 v3, v10, s[18:19] scale_offset
	s_wait_xcnt 0x0
	v_sub_nc_u32_e32 v3, v22, v6
	s_or_b32 s16, s16, exec_lo
	s_clause 0x3
	global_store_b16 v5, v55, s[18:19] scale_offset
	global_store_b16 v8, v11, s[18:19] scale_offset
	;; [unrolled: 1-line block ×4, first 2 shown]
	s_wait_xcnt 0x0
	s_or_b32 exec_lo, exec_lo, s10
	s_delay_alu instid0(SALU_CYCLE_1)
	s_and_b32 exec_lo, exec_lo, s16
	s_cbranch_execnz .LBB580_93
	s_branch .LBB580_94
.LBB580_148:
	s_and_saveexec_b32 s16, s9
	s_cbranch_execnz .LBB580_192
; %bb.149:
	s_or_b32 exec_lo, exec_lo, s16
	s_and_saveexec_b32 s9, s8
	s_cbranch_execnz .LBB580_193
.LBB580_150:
	s_or_b32 exec_lo, exec_lo, s9
	s_and_saveexec_b32 s8, s7
	s_cbranch_execnz .LBB580_194
.LBB580_151:
	s_or_b32 exec_lo, exec_lo, s8
	s_and_saveexec_b32 s7, s6
	s_cbranch_execnz .LBB580_195
.LBB580_152:
	s_or_b32 exec_lo, exec_lo, s7
	s_and_saveexec_b32 s6, s5
	s_cbranch_execnz .LBB580_196
.LBB580_153:
	s_or_b32 exec_lo, exec_lo, s6
	s_and_saveexec_b32 s5, s4
	s_cbranch_execnz .LBB580_197
.LBB580_154:
	s_or_b32 exec_lo, exec_lo, s5
	s_and_saveexec_b32 s4, s3
	s_cbranch_execnz .LBB580_198
.LBB580_155:
	s_or_b32 exec_lo, exec_lo, s4
	s_and_saveexec_b32 s3, s2
	s_cbranch_execnz .LBB580_199
.LBB580_156:
	s_or_b32 exec_lo, exec_lo, s3
	s_and_saveexec_b32 s2, s1
.LBB580_157:
	v_sub_nc_u32_e32 v2, v22, v6
	s_delay_alu instid0(VALU_DEP_1)
	v_lshlrev_b32_e32 v2, 1, v2
	ds_store_b16 v2, v1
.LBB580_158:
	s_or_b32 exec_lo, exec_lo, s2
	s_delay_alu instid0(SALU_CYCLE_1)
	s_and_b32 s16, s0, exec_lo
                                        ; implicit-def: $vgpr12
                                        ; implicit-def: $vgpr10
                                        ; implicit-def: $vgpr1
                                        ; implicit-def: $vgpr57
                                        ; implicit-def: $vgpr56
                                        ; implicit-def: $vgpr55
                                        ; implicit-def: $vgpr54
	s_and_not1_saveexec_b32 s0, s11
	s_cbranch_execz .LBB580_99
.LBB580_159:
	v_dual_sub_nc_u32 v2, v28, v6 :: v_dual_sub_nc_u32 v5, v30, v6
	v_dual_sub_nc_u32 v3, v32, v6 :: v_dual_sub_nc_u32 v8, v26, v6
	s_or_b32 s16, s16, exec_lo
	s_delay_alu instid0(VALU_DEP_2) | instskip(NEXT) | instid1(VALU_DEP_2)
	v_dual_lshlrev_b32 v2, 1, v2 :: v_dual_lshlrev_b32 v5, 1, v5
	v_dual_lshlrev_b32 v3, 1, v3 :: v_dual_lshlrev_b32 v8, 1, v8
	ds_store_b16 v2, v12
	ds_store_b16 v3, v57
	;; [unrolled: 1-line block ×3, first 2 shown]
	v_dual_sub_nc_u32 v2, v16, v6 :: v_dual_sub_nc_u32 v3, v18, v6
	ds_store_b16 v8, v56
	v_dual_sub_nc_u32 v5, v24, v6 :: v_dual_sub_nc_u32 v8, v34, v6
	v_dual_lshlrev_b32 v2, 1, v2 :: v_dual_lshlrev_b32 v3, 1, v3
	s_delay_alu instid0(VALU_DEP_2) | instskip(NEXT) | instid1(VALU_DEP_3)
	v_dual_sub_nc_u32 v9, v22, v6 :: v_dual_lshlrev_b32 v5, 1, v5
	v_lshlrev_b32_e32 v8, 1, v8
	ds_store_b16 v2, v10
	v_lshlrev_b32_e32 v2, 1, v9
	ds_store_b16 v3, v55
	ds_store_b16 v5, v11
	;; [unrolled: 1-line block ×4, first 2 shown]
	s_or_b32 exec_lo, exec_lo, s0
	s_delay_alu instid0(SALU_CYCLE_1)
	s_and_b32 exec_lo, exec_lo, s16
	s_cbranch_execnz .LBB580_100
	s_branch .LBB580_101
.LBB580_160:
	s_and_saveexec_b32 s16, s9
	s_cbranch_execnz .LBB580_200
; %bb.161:
	s_or_b32 exec_lo, exec_lo, s16
	s_and_saveexec_b32 s16, s8
	s_cbranch_execnz .LBB580_201
.LBB580_162:
	s_or_b32 exec_lo, exec_lo, s16
	s_and_saveexec_b32 s16, s7
	s_cbranch_execnz .LBB580_202
.LBB580_163:
	s_or_b32 exec_lo, exec_lo, s16
	s_and_saveexec_b32 s16, s6
	s_cbranch_execnz .LBB580_203
.LBB580_164:
	s_or_b32 exec_lo, exec_lo, s16
	s_and_saveexec_b32 s16, s5
	s_cbranch_execnz .LBB580_204
.LBB580_165:
	s_or_b32 exec_lo, exec_lo, s16
	s_and_saveexec_b32 s16, s4
	s_cbranch_execnz .LBB580_205
.LBB580_166:
	s_or_b32 exec_lo, exec_lo, s16
	s_and_saveexec_b32 s16, s3
	s_cbranch_execnz .LBB580_206
.LBB580_167:
	s_or_b32 exec_lo, exec_lo, s16
	s_and_saveexec_b32 s16, s2
	s_cbranch_execnz .LBB580_207
.LBB580_168:
	s_or_b32 exec_lo, exec_lo, s16
	s_and_saveexec_b32 s16, s1
	s_cbranch_execz .LBB580_170
.LBB580_169:
	v_dual_mov_b32 v39, 0 :: v_dual_sub_nc_u32 v40, v22, v5
	v_mov_b32_e32 v38, v23
	v_readfirstlane_b32 s18, v12
	v_readfirstlane_b32 s19, v13
	global_store_b64 v40, v[38:39], s[18:19] scale_offset
.LBB580_170:
	s_wait_xcnt 0x0
	s_or_b32 exec_lo, exec_lo, s16
	s_delay_alu instid0(SALU_CYCLE_1)
	s_and_b32 s16, s0, exec_lo
	s_and_not1_saveexec_b32 s10, s10
	s_cbranch_execz .LBB580_122
.LBB580_171:
	v_dual_mov_b32 v39, 0 :: v_dual_mov_b32 v38, v29
	v_sub_nc_u32_e32 v40, v28, v5
	v_readfirstlane_b32 s18, v12
	v_readfirstlane_b32 s19, v13
	v_sub_nc_u32_e32 v41, v30, v5
	s_or_b32 s16, s16, exec_lo
	global_store_b64 v40, v[38:39], s[18:19] scale_offset
	s_wait_xcnt 0x0
	v_dual_sub_nc_u32 v40, v32, v5 :: v_dual_mov_b32 v38, v33
	global_store_b64 v40, v[38:39], s[18:19] scale_offset
	s_wait_xcnt 0x0
	v_dual_mov_b32 v38, v31 :: v_dual_sub_nc_u32 v40, v26, v5
	global_store_b64 v41, v[38:39], s[18:19] scale_offset
	s_wait_xcnt 0x0
	v_dual_mov_b32 v38, v27 :: v_dual_sub_nc_u32 v41, v16, v5
	;; [unrolled: 3-line block ×5, first 2 shown]
	global_store_b64 v41, v[38:39], s[18:19] scale_offset
	s_wait_xcnt 0x0
	v_mov_b32_e32 v38, v35
	global_store_b64 v40, v[38:39], s[18:19] scale_offset
	s_wait_xcnt 0x0
	v_dual_mov_b32 v38, v23 :: v_dual_sub_nc_u32 v40, v22, v5
	global_store_b64 v40, v[38:39], s[18:19] scale_offset
	s_wait_xcnt 0x0
	s_or_b32 exec_lo, exec_lo, s10
	s_delay_alu instid0(SALU_CYCLE_1)
	s_and_b32 exec_lo, exec_lo, s16
	s_cbranch_execnz .LBB580_123
	s_branch .LBB580_124
.LBB580_172:
	s_and_saveexec_b32 s16, s9
	s_cbranch_execnz .LBB580_208
; %bb.173:
	s_or_b32 exec_lo, exec_lo, s16
	s_and_saveexec_b32 s9, s8
	s_cbranch_execnz .LBB580_209
.LBB580_174:
	s_or_b32 exec_lo, exec_lo, s9
	s_and_saveexec_b32 s8, s7
	s_cbranch_execnz .LBB580_210
.LBB580_175:
	s_or_b32 exec_lo, exec_lo, s8
	s_and_saveexec_b32 s7, s6
	s_cbranch_execnz .LBB580_211
.LBB580_176:
	s_or_b32 exec_lo, exec_lo, s7
	s_and_saveexec_b32 s6, s5
	s_cbranch_execnz .LBB580_212
.LBB580_177:
	s_or_b32 exec_lo, exec_lo, s6
	s_and_saveexec_b32 s5, s4
	s_cbranch_execnz .LBB580_213
.LBB580_178:
	s_or_b32 exec_lo, exec_lo, s5
	s_and_saveexec_b32 s4, s3
	s_cbranch_execnz .LBB580_214
.LBB580_179:
	s_or_b32 exec_lo, exec_lo, s4
	s_and_saveexec_b32 s3, s2
	s_cbranch_execnz .LBB580_215
.LBB580_180:
	s_or_b32 exec_lo, exec_lo, s3
	s_and_saveexec_b32 s2, s1
.LBB580_181:
	v_sub_nc_u32_e32 v12, v22, v5
	s_delay_alu instid0(VALU_DEP_1)
	v_lshlrev_b32_e32 v12, 2, v12
	ds_store_b32 v12, v23
.LBB580_182:
	s_or_b32 exec_lo, exec_lo, s2
	s_delay_alu instid0(SALU_CYCLE_1)
	s_and_b32 s16, s0, exec_lo
                                        ; implicit-def: $vgpr22_vgpr23
                                        ; implicit-def: $vgpr34_vgpr35
                                        ; implicit-def: $vgpr24_vgpr25
                                        ; implicit-def: $vgpr28_vgpr29
                                        ; implicit-def: $vgpr32_vgpr33
                                        ; implicit-def: $vgpr30_vgpr31
                                        ; implicit-def: $vgpr26_vgpr27
                                        ; implicit-def: $vgpr16_vgpr17
                                        ; implicit-def: $vgpr18_vgpr19
	s_and_not1_saveexec_b32 s0, s11
	s_cbranch_execz .LBB580_128
.LBB580_183:
	v_dual_sub_nc_u32 v12, v28, v5 :: v_dual_sub_nc_u32 v15, v30, v5
	v_dual_sub_nc_u32 v13, v32, v5 :: v_dual_sub_nc_u32 v26, v26, v5
	s_or_b32 s16, s16, exec_lo
	s_delay_alu instid0(VALU_DEP_2) | instskip(NEXT) | instid1(VALU_DEP_2)
	v_dual_lshlrev_b32 v12, 2, v12 :: v_dual_lshlrev_b32 v15, 2, v15
	v_dual_lshlrev_b32 v13, 2, v13 :: v_dual_lshlrev_b32 v26, 2, v26
	ds_store_b32 v12, v29
	ds_store_b32 v13, v33
	;; [unrolled: 1-line block ×3, first 2 shown]
	v_dual_sub_nc_u32 v12, v16, v5 :: v_dual_sub_nc_u32 v13, v18, v5
	v_dual_sub_nc_u32 v15, v24, v5 :: v_dual_sub_nc_u32 v16, v34, v5
	s_delay_alu instid0(VALU_DEP_2)
	v_dual_sub_nc_u32 v18, v22, v5 :: v_dual_lshlrev_b32 v12, 2, v12
	ds_store_b32 v26, v27
	v_dual_lshlrev_b32 v13, 2, v13 :: v_dual_lshlrev_b32 v15, 2, v15
	v_lshlrev_b32_e32 v16, 2, v16
	ds_store_b32 v12, v17
	v_lshlrev_b32_e32 v12, 2, v18
	ds_store_b32 v13, v19
	ds_store_b32 v15, v25
	ds_store_b32 v16, v35
	ds_store_b32 v12, v23
	s_or_b32 exec_lo, exec_lo, s0
	s_delay_alu instid0(SALU_CYCLE_1)
	s_and_b32 exec_lo, exec_lo, s16
	s_cbranch_execnz .LBB580_129
	s_branch .LBB580_130
.LBB580_184:
	v_sub_nc_u32_e32 v3, v28, v6
	v_readfirstlane_b32 s18, v42
	v_readfirstlane_b32 s19, v43
	global_store_b16 v3, v12, s[18:19] scale_offset
	s_wait_xcnt 0x0
	s_or_b32 exec_lo, exec_lo, s16
	s_and_saveexec_b32 s16, s8
	s_cbranch_execz .LBB580_138
.LBB580_185:
	v_sub_nc_u32_e32 v3, v32, v6
	v_readfirstlane_b32 s18, v42
	v_readfirstlane_b32 s19, v43
	global_store_b16 v3, v57, s[18:19] scale_offset
	s_wait_xcnt 0x0
	s_or_b32 exec_lo, exec_lo, s16
	s_and_saveexec_b32 s16, s7
	s_cbranch_execz .LBB580_139
.LBB580_186:
	v_sub_nc_u32_e32 v3, v30, v6
	v_readfirstlane_b32 s18, v42
	v_readfirstlane_b32 s19, v43
	global_store_b16 v3, v13, s[18:19] scale_offset
	s_wait_xcnt 0x0
	s_or_b32 exec_lo, exec_lo, s16
	s_and_saveexec_b32 s16, s6
	s_cbranch_execz .LBB580_140
.LBB580_187:
	v_sub_nc_u32_e32 v3, v26, v6
	v_readfirstlane_b32 s18, v42
	v_readfirstlane_b32 s19, v43
	global_store_b16 v3, v56, s[18:19] scale_offset
	s_wait_xcnt 0x0
	s_or_b32 exec_lo, exec_lo, s16
	s_and_saveexec_b32 s16, s5
	s_cbranch_execz .LBB580_141
.LBB580_188:
	v_sub_nc_u32_e32 v3, v16, v6
	v_readfirstlane_b32 s18, v42
	v_readfirstlane_b32 s19, v43
	global_store_b16 v3, v10, s[18:19] scale_offset
	s_wait_xcnt 0x0
	s_or_b32 exec_lo, exec_lo, s16
	s_and_saveexec_b32 s16, s4
	s_cbranch_execz .LBB580_142
.LBB580_189:
	v_sub_nc_u32_e32 v3, v18, v6
	v_readfirstlane_b32 s18, v42
	v_readfirstlane_b32 s19, v43
	global_store_b16 v3, v55, s[18:19] scale_offset
	s_wait_xcnt 0x0
	s_or_b32 exec_lo, exec_lo, s16
	s_and_saveexec_b32 s16, s3
	s_cbranch_execz .LBB580_143
.LBB580_190:
	v_sub_nc_u32_e32 v3, v24, v6
	v_readfirstlane_b32 s18, v42
	v_readfirstlane_b32 s19, v43
	global_store_b16 v3, v11, s[18:19] scale_offset
	s_wait_xcnt 0x0
	s_or_b32 exec_lo, exec_lo, s16
	s_and_saveexec_b32 s16, s2
	s_cbranch_execz .LBB580_144
.LBB580_191:
	v_sub_nc_u32_e32 v3, v34, v6
	v_readfirstlane_b32 s18, v42
	v_readfirstlane_b32 s19, v43
	global_store_b16 v3, v54, s[18:19] scale_offset
	s_wait_xcnt 0x0
	s_or_b32 exec_lo, exec_lo, s16
	s_and_saveexec_b32 s16, s1
	s_cbranch_execnz .LBB580_145
	s_branch .LBB580_146
.LBB580_192:
	v_sub_nc_u32_e32 v2, v28, v6
	s_delay_alu instid0(VALU_DEP_1)
	v_lshlrev_b32_e32 v2, 1, v2
	ds_store_b16 v2, v12
	s_or_b32 exec_lo, exec_lo, s16
	s_and_saveexec_b32 s9, s8
	s_cbranch_execz .LBB580_150
.LBB580_193:
	v_sub_nc_u32_e32 v2, v32, v6
	s_delay_alu instid0(VALU_DEP_1)
	v_lshlrev_b32_e32 v2, 1, v2
	ds_store_b16 v2, v57
	s_or_b32 exec_lo, exec_lo, s9
	s_and_saveexec_b32 s8, s7
	s_cbranch_execz .LBB580_151
.LBB580_194:
	v_sub_nc_u32_e32 v2, v30, v6
	s_delay_alu instid0(VALU_DEP_1)
	v_lshlrev_b32_e32 v2, 1, v2
	ds_store_b16 v2, v13
	s_or_b32 exec_lo, exec_lo, s8
	s_and_saveexec_b32 s7, s6
	s_cbranch_execz .LBB580_152
.LBB580_195:
	v_sub_nc_u32_e32 v2, v26, v6
	s_delay_alu instid0(VALU_DEP_1)
	v_lshlrev_b32_e32 v2, 1, v2
	ds_store_b16 v2, v56
	s_or_b32 exec_lo, exec_lo, s7
	s_and_saveexec_b32 s6, s5
	s_cbranch_execz .LBB580_153
.LBB580_196:
	v_sub_nc_u32_e32 v2, v16, v6
	s_delay_alu instid0(VALU_DEP_1)
	v_lshlrev_b32_e32 v2, 1, v2
	ds_store_b16 v2, v10
	s_or_b32 exec_lo, exec_lo, s6
	s_and_saveexec_b32 s5, s4
	s_cbranch_execz .LBB580_154
.LBB580_197:
	v_sub_nc_u32_e32 v2, v18, v6
	s_delay_alu instid0(VALU_DEP_1)
	v_lshlrev_b32_e32 v2, 1, v2
	ds_store_b16 v2, v55
	s_or_b32 exec_lo, exec_lo, s5
	s_and_saveexec_b32 s4, s3
	s_cbranch_execz .LBB580_155
.LBB580_198:
	v_sub_nc_u32_e32 v2, v24, v6
	s_delay_alu instid0(VALU_DEP_1)
	v_lshlrev_b32_e32 v2, 1, v2
	ds_store_b16 v2, v11
	s_or_b32 exec_lo, exec_lo, s4
	s_and_saveexec_b32 s3, s2
	s_cbranch_execz .LBB580_156
.LBB580_199:
	v_sub_nc_u32_e32 v2, v34, v6
	s_delay_alu instid0(VALU_DEP_1)
	v_lshlrev_b32_e32 v2, 1, v2
	ds_store_b16 v2, v54
	s_or_b32 exec_lo, exec_lo, s3
	s_and_saveexec_b32 s2, s1
	s_cbranch_execnz .LBB580_157
	s_branch .LBB580_158
.LBB580_200:
	v_dual_mov_b32 v39, 0 :: v_dual_sub_nc_u32 v40, v28, v5
	v_mov_b32_e32 v38, v29
	v_readfirstlane_b32 s18, v12
	v_readfirstlane_b32 s19, v13
	global_store_b64 v40, v[38:39], s[18:19] scale_offset
	s_wait_xcnt 0x0
	s_or_b32 exec_lo, exec_lo, s16
	s_and_saveexec_b32 s16, s8
	s_cbranch_execz .LBB580_162
.LBB580_201:
	v_dual_mov_b32 v39, 0 :: v_dual_sub_nc_u32 v40, v32, v5
	v_mov_b32_e32 v38, v33
	v_readfirstlane_b32 s18, v12
	v_readfirstlane_b32 s19, v13
	global_store_b64 v40, v[38:39], s[18:19] scale_offset
	s_wait_xcnt 0x0
	s_or_b32 exec_lo, exec_lo, s16
	s_and_saveexec_b32 s16, s7
	s_cbranch_execz .LBB580_163
.LBB580_202:
	v_dual_mov_b32 v39, 0 :: v_dual_sub_nc_u32 v40, v30, v5
	v_mov_b32_e32 v38, v31
	v_readfirstlane_b32 s18, v12
	v_readfirstlane_b32 s19, v13
	global_store_b64 v40, v[38:39], s[18:19] scale_offset
	s_wait_xcnt 0x0
	s_or_b32 exec_lo, exec_lo, s16
	s_and_saveexec_b32 s16, s6
	s_cbranch_execz .LBB580_164
.LBB580_203:
	v_dual_mov_b32 v39, 0 :: v_dual_sub_nc_u32 v40, v26, v5
	v_mov_b32_e32 v38, v27
	v_readfirstlane_b32 s18, v12
	v_readfirstlane_b32 s19, v13
	global_store_b64 v40, v[38:39], s[18:19] scale_offset
	s_wait_xcnt 0x0
	s_or_b32 exec_lo, exec_lo, s16
	s_and_saveexec_b32 s16, s5
	s_cbranch_execz .LBB580_165
.LBB580_204:
	v_dual_mov_b32 v39, 0 :: v_dual_sub_nc_u32 v40, v16, v5
	v_mov_b32_e32 v38, v17
	v_readfirstlane_b32 s18, v12
	v_readfirstlane_b32 s19, v13
	global_store_b64 v40, v[38:39], s[18:19] scale_offset
	s_wait_xcnt 0x0
	s_or_b32 exec_lo, exec_lo, s16
	s_and_saveexec_b32 s16, s4
	s_cbranch_execz .LBB580_166
.LBB580_205:
	v_dual_mov_b32 v39, 0 :: v_dual_sub_nc_u32 v40, v18, v5
	v_mov_b32_e32 v38, v19
	v_readfirstlane_b32 s18, v12
	v_readfirstlane_b32 s19, v13
	global_store_b64 v40, v[38:39], s[18:19] scale_offset
	s_wait_xcnt 0x0
	s_or_b32 exec_lo, exec_lo, s16
	s_and_saveexec_b32 s16, s3
	s_cbranch_execz .LBB580_167
.LBB580_206:
	v_dual_mov_b32 v39, 0 :: v_dual_sub_nc_u32 v40, v24, v5
	v_mov_b32_e32 v38, v25
	v_readfirstlane_b32 s18, v12
	v_readfirstlane_b32 s19, v13
	global_store_b64 v40, v[38:39], s[18:19] scale_offset
	s_wait_xcnt 0x0
	s_or_b32 exec_lo, exec_lo, s16
	s_and_saveexec_b32 s16, s2
	s_cbranch_execz .LBB580_168
.LBB580_207:
	v_dual_mov_b32 v39, 0 :: v_dual_sub_nc_u32 v40, v34, v5
	v_mov_b32_e32 v38, v35
	v_readfirstlane_b32 s18, v12
	v_readfirstlane_b32 s19, v13
	global_store_b64 v40, v[38:39], s[18:19] scale_offset
	s_wait_xcnt 0x0
	s_or_b32 exec_lo, exec_lo, s16
	s_and_saveexec_b32 s16, s1
	s_cbranch_execnz .LBB580_169
	s_branch .LBB580_170
.LBB580_208:
	v_sub_nc_u32_e32 v12, v28, v5
	s_delay_alu instid0(VALU_DEP_1)
	v_lshlrev_b32_e32 v12, 2, v12
	ds_store_b32 v12, v29
	s_or_b32 exec_lo, exec_lo, s16
	s_and_saveexec_b32 s9, s8
	s_cbranch_execz .LBB580_174
.LBB580_209:
	v_sub_nc_u32_e32 v12, v32, v5
	s_delay_alu instid0(VALU_DEP_1)
	v_lshlrev_b32_e32 v12, 2, v12
	ds_store_b32 v12, v33
	s_or_b32 exec_lo, exec_lo, s9
	s_and_saveexec_b32 s8, s7
	s_cbranch_execz .LBB580_175
.LBB580_210:
	v_sub_nc_u32_e32 v12, v30, v5
	s_delay_alu instid0(VALU_DEP_1)
	v_lshlrev_b32_e32 v12, 2, v12
	ds_store_b32 v12, v31
	s_or_b32 exec_lo, exec_lo, s8
	s_and_saveexec_b32 s7, s6
	s_cbranch_execz .LBB580_176
.LBB580_211:
	v_sub_nc_u32_e32 v12, v26, v5
	s_delay_alu instid0(VALU_DEP_1)
	v_lshlrev_b32_e32 v12, 2, v12
	ds_store_b32 v12, v27
	s_or_b32 exec_lo, exec_lo, s7
	s_and_saveexec_b32 s6, s5
	s_cbranch_execz .LBB580_177
.LBB580_212:
	v_sub_nc_u32_e32 v12, v16, v5
	s_delay_alu instid0(VALU_DEP_1)
	v_lshlrev_b32_e32 v12, 2, v12
	ds_store_b32 v12, v17
	s_or_b32 exec_lo, exec_lo, s6
	s_and_saveexec_b32 s5, s4
	s_cbranch_execz .LBB580_178
.LBB580_213:
	v_sub_nc_u32_e32 v12, v18, v5
	s_delay_alu instid0(VALU_DEP_1)
	v_lshlrev_b32_e32 v12, 2, v12
	ds_store_b32 v12, v19
	s_or_b32 exec_lo, exec_lo, s5
	s_and_saveexec_b32 s4, s3
	s_cbranch_execz .LBB580_179
.LBB580_214:
	v_sub_nc_u32_e32 v12, v24, v5
	s_delay_alu instid0(VALU_DEP_1)
	v_lshlrev_b32_e32 v12, 2, v12
	ds_store_b32 v12, v25
	s_or_b32 exec_lo, exec_lo, s4
	s_and_saveexec_b32 s3, s2
	s_cbranch_execz .LBB580_180
.LBB580_215:
	v_sub_nc_u32_e32 v12, v34, v5
	s_delay_alu instid0(VALU_DEP_1)
	v_lshlrev_b32_e32 v12, 2, v12
	ds_store_b32 v12, v35
	s_or_b32 exec_lo, exec_lo, s3
	s_and_saveexec_b32 s2, s1
	s_cbranch_execnz .LBB580_181
	s_branch .LBB580_182
	.section	.rodata,"a",@progbits
	.p2align	6, 0x0
	.amdhsa_kernel _ZN7rocprim17ROCPRIM_400000_NS6detail17trampoline_kernelINS0_14default_configENS1_33run_length_encode_config_selectorIsjNS0_4plusIjEEEEZZNS1_33reduce_by_key_impl_wrapped_configILNS1_25lookback_scan_determinismE0ES3_S7_PKsNS0_17constant_iteratorIjlEEPsPlSF_S6_NS0_8equal_toIsEEEE10hipError_tPvRmT2_T3_mT4_T5_T6_T7_T8_P12ihipStream_tbENKUlT_T0_E_clISt17integral_constantIbLb0EESZ_EEDaSU_SV_EUlSU_E_NS1_11comp_targetILNS1_3genE0ELNS1_11target_archE4294967295ELNS1_3gpuE0ELNS1_3repE0EEENS1_30default_config_static_selectorELNS0_4arch9wavefront6targetE0EEEvT1_
		.amdhsa_group_segment_fixed_size 20480
		.amdhsa_private_segment_fixed_size 0
		.amdhsa_kernarg_size 128
		.amdhsa_user_sgpr_count 2
		.amdhsa_user_sgpr_dispatch_ptr 0
		.amdhsa_user_sgpr_queue_ptr 0
		.amdhsa_user_sgpr_kernarg_segment_ptr 1
		.amdhsa_user_sgpr_dispatch_id 0
		.amdhsa_user_sgpr_kernarg_preload_length 0
		.amdhsa_user_sgpr_kernarg_preload_offset 0
		.amdhsa_user_sgpr_private_segment_size 0
		.amdhsa_wavefront_size32 1
		.amdhsa_uses_dynamic_stack 0
		.amdhsa_enable_private_segment 0
		.amdhsa_system_sgpr_workgroup_id_x 1
		.amdhsa_system_sgpr_workgroup_id_y 0
		.amdhsa_system_sgpr_workgroup_id_z 0
		.amdhsa_system_sgpr_workgroup_info 0
		.amdhsa_system_vgpr_workitem_id 0
		.amdhsa_next_free_vgpr 96
		.amdhsa_next_free_sgpr 34
		.amdhsa_named_barrier_count 0
		.amdhsa_reserve_vcc 1
		.amdhsa_float_round_mode_32 0
		.amdhsa_float_round_mode_16_64 0
		.amdhsa_float_denorm_mode_32 3
		.amdhsa_float_denorm_mode_16_64 3
		.amdhsa_fp16_overflow 0
		.amdhsa_memory_ordered 1
		.amdhsa_forward_progress 1
		.amdhsa_inst_pref_size 100
		.amdhsa_round_robin_scheduling 0
		.amdhsa_exception_fp_ieee_invalid_op 0
		.amdhsa_exception_fp_denorm_src 0
		.amdhsa_exception_fp_ieee_div_zero 0
		.amdhsa_exception_fp_ieee_overflow 0
		.amdhsa_exception_fp_ieee_underflow 0
		.amdhsa_exception_fp_ieee_inexact 0
		.amdhsa_exception_int_div_zero 0
	.end_amdhsa_kernel
	.section	.text._ZN7rocprim17ROCPRIM_400000_NS6detail17trampoline_kernelINS0_14default_configENS1_33run_length_encode_config_selectorIsjNS0_4plusIjEEEEZZNS1_33reduce_by_key_impl_wrapped_configILNS1_25lookback_scan_determinismE0ES3_S7_PKsNS0_17constant_iteratorIjlEEPsPlSF_S6_NS0_8equal_toIsEEEE10hipError_tPvRmT2_T3_mT4_T5_T6_T7_T8_P12ihipStream_tbENKUlT_T0_E_clISt17integral_constantIbLb0EESZ_EEDaSU_SV_EUlSU_E_NS1_11comp_targetILNS1_3genE0ELNS1_11target_archE4294967295ELNS1_3gpuE0ELNS1_3repE0EEENS1_30default_config_static_selectorELNS0_4arch9wavefront6targetE0EEEvT1_,"axG",@progbits,_ZN7rocprim17ROCPRIM_400000_NS6detail17trampoline_kernelINS0_14default_configENS1_33run_length_encode_config_selectorIsjNS0_4plusIjEEEEZZNS1_33reduce_by_key_impl_wrapped_configILNS1_25lookback_scan_determinismE0ES3_S7_PKsNS0_17constant_iteratorIjlEEPsPlSF_S6_NS0_8equal_toIsEEEE10hipError_tPvRmT2_T3_mT4_T5_T6_T7_T8_P12ihipStream_tbENKUlT_T0_E_clISt17integral_constantIbLb0EESZ_EEDaSU_SV_EUlSU_E_NS1_11comp_targetILNS1_3genE0ELNS1_11target_archE4294967295ELNS1_3gpuE0ELNS1_3repE0EEENS1_30default_config_static_selectorELNS0_4arch9wavefront6targetE0EEEvT1_,comdat
.Lfunc_end580:
	.size	_ZN7rocprim17ROCPRIM_400000_NS6detail17trampoline_kernelINS0_14default_configENS1_33run_length_encode_config_selectorIsjNS0_4plusIjEEEEZZNS1_33reduce_by_key_impl_wrapped_configILNS1_25lookback_scan_determinismE0ES3_S7_PKsNS0_17constant_iteratorIjlEEPsPlSF_S6_NS0_8equal_toIsEEEE10hipError_tPvRmT2_T3_mT4_T5_T6_T7_T8_P12ihipStream_tbENKUlT_T0_E_clISt17integral_constantIbLb0EESZ_EEDaSU_SV_EUlSU_E_NS1_11comp_targetILNS1_3genE0ELNS1_11target_archE4294967295ELNS1_3gpuE0ELNS1_3repE0EEENS1_30default_config_static_selectorELNS0_4arch9wavefront6targetE0EEEvT1_, .Lfunc_end580-_ZN7rocprim17ROCPRIM_400000_NS6detail17trampoline_kernelINS0_14default_configENS1_33run_length_encode_config_selectorIsjNS0_4plusIjEEEEZZNS1_33reduce_by_key_impl_wrapped_configILNS1_25lookback_scan_determinismE0ES3_S7_PKsNS0_17constant_iteratorIjlEEPsPlSF_S6_NS0_8equal_toIsEEEE10hipError_tPvRmT2_T3_mT4_T5_T6_T7_T8_P12ihipStream_tbENKUlT_T0_E_clISt17integral_constantIbLb0EESZ_EEDaSU_SV_EUlSU_E_NS1_11comp_targetILNS1_3genE0ELNS1_11target_archE4294967295ELNS1_3gpuE0ELNS1_3repE0EEENS1_30default_config_static_selectorELNS0_4arch9wavefront6targetE0EEEvT1_
                                        ; -- End function
	.set _ZN7rocprim17ROCPRIM_400000_NS6detail17trampoline_kernelINS0_14default_configENS1_33run_length_encode_config_selectorIsjNS0_4plusIjEEEEZZNS1_33reduce_by_key_impl_wrapped_configILNS1_25lookback_scan_determinismE0ES3_S7_PKsNS0_17constant_iteratorIjlEEPsPlSF_S6_NS0_8equal_toIsEEEE10hipError_tPvRmT2_T3_mT4_T5_T6_T7_T8_P12ihipStream_tbENKUlT_T0_E_clISt17integral_constantIbLb0EESZ_EEDaSU_SV_EUlSU_E_NS1_11comp_targetILNS1_3genE0ELNS1_11target_archE4294967295ELNS1_3gpuE0ELNS1_3repE0EEENS1_30default_config_static_selectorELNS0_4arch9wavefront6targetE0EEEvT1_.num_vgpr, 96
	.set _ZN7rocprim17ROCPRIM_400000_NS6detail17trampoline_kernelINS0_14default_configENS1_33run_length_encode_config_selectorIsjNS0_4plusIjEEEEZZNS1_33reduce_by_key_impl_wrapped_configILNS1_25lookback_scan_determinismE0ES3_S7_PKsNS0_17constant_iteratorIjlEEPsPlSF_S6_NS0_8equal_toIsEEEE10hipError_tPvRmT2_T3_mT4_T5_T6_T7_T8_P12ihipStream_tbENKUlT_T0_E_clISt17integral_constantIbLb0EESZ_EEDaSU_SV_EUlSU_E_NS1_11comp_targetILNS1_3genE0ELNS1_11target_archE4294967295ELNS1_3gpuE0ELNS1_3repE0EEENS1_30default_config_static_selectorELNS0_4arch9wavefront6targetE0EEEvT1_.num_agpr, 0
	.set _ZN7rocprim17ROCPRIM_400000_NS6detail17trampoline_kernelINS0_14default_configENS1_33run_length_encode_config_selectorIsjNS0_4plusIjEEEEZZNS1_33reduce_by_key_impl_wrapped_configILNS1_25lookback_scan_determinismE0ES3_S7_PKsNS0_17constant_iteratorIjlEEPsPlSF_S6_NS0_8equal_toIsEEEE10hipError_tPvRmT2_T3_mT4_T5_T6_T7_T8_P12ihipStream_tbENKUlT_T0_E_clISt17integral_constantIbLb0EESZ_EEDaSU_SV_EUlSU_E_NS1_11comp_targetILNS1_3genE0ELNS1_11target_archE4294967295ELNS1_3gpuE0ELNS1_3repE0EEENS1_30default_config_static_selectorELNS0_4arch9wavefront6targetE0EEEvT1_.numbered_sgpr, 34
	.set _ZN7rocprim17ROCPRIM_400000_NS6detail17trampoline_kernelINS0_14default_configENS1_33run_length_encode_config_selectorIsjNS0_4plusIjEEEEZZNS1_33reduce_by_key_impl_wrapped_configILNS1_25lookback_scan_determinismE0ES3_S7_PKsNS0_17constant_iteratorIjlEEPsPlSF_S6_NS0_8equal_toIsEEEE10hipError_tPvRmT2_T3_mT4_T5_T6_T7_T8_P12ihipStream_tbENKUlT_T0_E_clISt17integral_constantIbLb0EESZ_EEDaSU_SV_EUlSU_E_NS1_11comp_targetILNS1_3genE0ELNS1_11target_archE4294967295ELNS1_3gpuE0ELNS1_3repE0EEENS1_30default_config_static_selectorELNS0_4arch9wavefront6targetE0EEEvT1_.num_named_barrier, 0
	.set _ZN7rocprim17ROCPRIM_400000_NS6detail17trampoline_kernelINS0_14default_configENS1_33run_length_encode_config_selectorIsjNS0_4plusIjEEEEZZNS1_33reduce_by_key_impl_wrapped_configILNS1_25lookback_scan_determinismE0ES3_S7_PKsNS0_17constant_iteratorIjlEEPsPlSF_S6_NS0_8equal_toIsEEEE10hipError_tPvRmT2_T3_mT4_T5_T6_T7_T8_P12ihipStream_tbENKUlT_T0_E_clISt17integral_constantIbLb0EESZ_EEDaSU_SV_EUlSU_E_NS1_11comp_targetILNS1_3genE0ELNS1_11target_archE4294967295ELNS1_3gpuE0ELNS1_3repE0EEENS1_30default_config_static_selectorELNS0_4arch9wavefront6targetE0EEEvT1_.private_seg_size, 0
	.set _ZN7rocprim17ROCPRIM_400000_NS6detail17trampoline_kernelINS0_14default_configENS1_33run_length_encode_config_selectorIsjNS0_4plusIjEEEEZZNS1_33reduce_by_key_impl_wrapped_configILNS1_25lookback_scan_determinismE0ES3_S7_PKsNS0_17constant_iteratorIjlEEPsPlSF_S6_NS0_8equal_toIsEEEE10hipError_tPvRmT2_T3_mT4_T5_T6_T7_T8_P12ihipStream_tbENKUlT_T0_E_clISt17integral_constantIbLb0EESZ_EEDaSU_SV_EUlSU_E_NS1_11comp_targetILNS1_3genE0ELNS1_11target_archE4294967295ELNS1_3gpuE0ELNS1_3repE0EEENS1_30default_config_static_selectorELNS0_4arch9wavefront6targetE0EEEvT1_.uses_vcc, 1
	.set _ZN7rocprim17ROCPRIM_400000_NS6detail17trampoline_kernelINS0_14default_configENS1_33run_length_encode_config_selectorIsjNS0_4plusIjEEEEZZNS1_33reduce_by_key_impl_wrapped_configILNS1_25lookback_scan_determinismE0ES3_S7_PKsNS0_17constant_iteratorIjlEEPsPlSF_S6_NS0_8equal_toIsEEEE10hipError_tPvRmT2_T3_mT4_T5_T6_T7_T8_P12ihipStream_tbENKUlT_T0_E_clISt17integral_constantIbLb0EESZ_EEDaSU_SV_EUlSU_E_NS1_11comp_targetILNS1_3genE0ELNS1_11target_archE4294967295ELNS1_3gpuE0ELNS1_3repE0EEENS1_30default_config_static_selectorELNS0_4arch9wavefront6targetE0EEEvT1_.uses_flat_scratch, 0
	.set _ZN7rocprim17ROCPRIM_400000_NS6detail17trampoline_kernelINS0_14default_configENS1_33run_length_encode_config_selectorIsjNS0_4plusIjEEEEZZNS1_33reduce_by_key_impl_wrapped_configILNS1_25lookback_scan_determinismE0ES3_S7_PKsNS0_17constant_iteratorIjlEEPsPlSF_S6_NS0_8equal_toIsEEEE10hipError_tPvRmT2_T3_mT4_T5_T6_T7_T8_P12ihipStream_tbENKUlT_T0_E_clISt17integral_constantIbLb0EESZ_EEDaSU_SV_EUlSU_E_NS1_11comp_targetILNS1_3genE0ELNS1_11target_archE4294967295ELNS1_3gpuE0ELNS1_3repE0EEENS1_30default_config_static_selectorELNS0_4arch9wavefront6targetE0EEEvT1_.has_dyn_sized_stack, 0
	.set _ZN7rocprim17ROCPRIM_400000_NS6detail17trampoline_kernelINS0_14default_configENS1_33run_length_encode_config_selectorIsjNS0_4plusIjEEEEZZNS1_33reduce_by_key_impl_wrapped_configILNS1_25lookback_scan_determinismE0ES3_S7_PKsNS0_17constant_iteratorIjlEEPsPlSF_S6_NS0_8equal_toIsEEEE10hipError_tPvRmT2_T3_mT4_T5_T6_T7_T8_P12ihipStream_tbENKUlT_T0_E_clISt17integral_constantIbLb0EESZ_EEDaSU_SV_EUlSU_E_NS1_11comp_targetILNS1_3genE0ELNS1_11target_archE4294967295ELNS1_3gpuE0ELNS1_3repE0EEENS1_30default_config_static_selectorELNS0_4arch9wavefront6targetE0EEEvT1_.has_recursion, 0
	.set _ZN7rocprim17ROCPRIM_400000_NS6detail17trampoline_kernelINS0_14default_configENS1_33run_length_encode_config_selectorIsjNS0_4plusIjEEEEZZNS1_33reduce_by_key_impl_wrapped_configILNS1_25lookback_scan_determinismE0ES3_S7_PKsNS0_17constant_iteratorIjlEEPsPlSF_S6_NS0_8equal_toIsEEEE10hipError_tPvRmT2_T3_mT4_T5_T6_T7_T8_P12ihipStream_tbENKUlT_T0_E_clISt17integral_constantIbLb0EESZ_EEDaSU_SV_EUlSU_E_NS1_11comp_targetILNS1_3genE0ELNS1_11target_archE4294967295ELNS1_3gpuE0ELNS1_3repE0EEENS1_30default_config_static_selectorELNS0_4arch9wavefront6targetE0EEEvT1_.has_indirect_call, 0
	.section	.AMDGPU.csdata,"",@progbits
; Kernel info:
; codeLenInByte = 12752
; TotalNumSgprs: 36
; NumVgprs: 96
; ScratchSize: 0
; MemoryBound: 0
; FloatMode: 240
; IeeeMode: 1
; LDSByteSize: 20480 bytes/workgroup (compile time only)
; SGPRBlocks: 0
; VGPRBlocks: 5
; NumSGPRsForWavesPerEU: 36
; NumVGPRsForWavesPerEU: 96
; NamedBarCnt: 0
; Occupancy: 10
; WaveLimiterHint : 1
; COMPUTE_PGM_RSRC2:SCRATCH_EN: 0
; COMPUTE_PGM_RSRC2:USER_SGPR: 2
; COMPUTE_PGM_RSRC2:TRAP_HANDLER: 0
; COMPUTE_PGM_RSRC2:TGID_X_EN: 1
; COMPUTE_PGM_RSRC2:TGID_Y_EN: 0
; COMPUTE_PGM_RSRC2:TGID_Z_EN: 0
; COMPUTE_PGM_RSRC2:TIDIG_COMP_CNT: 0
	.section	.text._ZN7rocprim17ROCPRIM_400000_NS6detail17trampoline_kernelINS0_14default_configENS1_33run_length_encode_config_selectorIsjNS0_4plusIjEEEEZZNS1_33reduce_by_key_impl_wrapped_configILNS1_25lookback_scan_determinismE0ES3_S7_PKsNS0_17constant_iteratorIjlEEPsPlSF_S6_NS0_8equal_toIsEEEE10hipError_tPvRmT2_T3_mT4_T5_T6_T7_T8_P12ihipStream_tbENKUlT_T0_E_clISt17integral_constantIbLb0EESZ_EEDaSU_SV_EUlSU_E_NS1_11comp_targetILNS1_3genE5ELNS1_11target_archE942ELNS1_3gpuE9ELNS1_3repE0EEENS1_30default_config_static_selectorELNS0_4arch9wavefront6targetE0EEEvT1_,"axG",@progbits,_ZN7rocprim17ROCPRIM_400000_NS6detail17trampoline_kernelINS0_14default_configENS1_33run_length_encode_config_selectorIsjNS0_4plusIjEEEEZZNS1_33reduce_by_key_impl_wrapped_configILNS1_25lookback_scan_determinismE0ES3_S7_PKsNS0_17constant_iteratorIjlEEPsPlSF_S6_NS0_8equal_toIsEEEE10hipError_tPvRmT2_T3_mT4_T5_T6_T7_T8_P12ihipStream_tbENKUlT_T0_E_clISt17integral_constantIbLb0EESZ_EEDaSU_SV_EUlSU_E_NS1_11comp_targetILNS1_3genE5ELNS1_11target_archE942ELNS1_3gpuE9ELNS1_3repE0EEENS1_30default_config_static_selectorELNS0_4arch9wavefront6targetE0EEEvT1_,comdat
	.protected	_ZN7rocprim17ROCPRIM_400000_NS6detail17trampoline_kernelINS0_14default_configENS1_33run_length_encode_config_selectorIsjNS0_4plusIjEEEEZZNS1_33reduce_by_key_impl_wrapped_configILNS1_25lookback_scan_determinismE0ES3_S7_PKsNS0_17constant_iteratorIjlEEPsPlSF_S6_NS0_8equal_toIsEEEE10hipError_tPvRmT2_T3_mT4_T5_T6_T7_T8_P12ihipStream_tbENKUlT_T0_E_clISt17integral_constantIbLb0EESZ_EEDaSU_SV_EUlSU_E_NS1_11comp_targetILNS1_3genE5ELNS1_11target_archE942ELNS1_3gpuE9ELNS1_3repE0EEENS1_30default_config_static_selectorELNS0_4arch9wavefront6targetE0EEEvT1_ ; -- Begin function _ZN7rocprim17ROCPRIM_400000_NS6detail17trampoline_kernelINS0_14default_configENS1_33run_length_encode_config_selectorIsjNS0_4plusIjEEEEZZNS1_33reduce_by_key_impl_wrapped_configILNS1_25lookback_scan_determinismE0ES3_S7_PKsNS0_17constant_iteratorIjlEEPsPlSF_S6_NS0_8equal_toIsEEEE10hipError_tPvRmT2_T3_mT4_T5_T6_T7_T8_P12ihipStream_tbENKUlT_T0_E_clISt17integral_constantIbLb0EESZ_EEDaSU_SV_EUlSU_E_NS1_11comp_targetILNS1_3genE5ELNS1_11target_archE942ELNS1_3gpuE9ELNS1_3repE0EEENS1_30default_config_static_selectorELNS0_4arch9wavefront6targetE0EEEvT1_
	.globl	_ZN7rocprim17ROCPRIM_400000_NS6detail17trampoline_kernelINS0_14default_configENS1_33run_length_encode_config_selectorIsjNS0_4plusIjEEEEZZNS1_33reduce_by_key_impl_wrapped_configILNS1_25lookback_scan_determinismE0ES3_S7_PKsNS0_17constant_iteratorIjlEEPsPlSF_S6_NS0_8equal_toIsEEEE10hipError_tPvRmT2_T3_mT4_T5_T6_T7_T8_P12ihipStream_tbENKUlT_T0_E_clISt17integral_constantIbLb0EESZ_EEDaSU_SV_EUlSU_E_NS1_11comp_targetILNS1_3genE5ELNS1_11target_archE942ELNS1_3gpuE9ELNS1_3repE0EEENS1_30default_config_static_selectorELNS0_4arch9wavefront6targetE0EEEvT1_
	.p2align	8
	.type	_ZN7rocprim17ROCPRIM_400000_NS6detail17trampoline_kernelINS0_14default_configENS1_33run_length_encode_config_selectorIsjNS0_4plusIjEEEEZZNS1_33reduce_by_key_impl_wrapped_configILNS1_25lookback_scan_determinismE0ES3_S7_PKsNS0_17constant_iteratorIjlEEPsPlSF_S6_NS0_8equal_toIsEEEE10hipError_tPvRmT2_T3_mT4_T5_T6_T7_T8_P12ihipStream_tbENKUlT_T0_E_clISt17integral_constantIbLb0EESZ_EEDaSU_SV_EUlSU_E_NS1_11comp_targetILNS1_3genE5ELNS1_11target_archE942ELNS1_3gpuE9ELNS1_3repE0EEENS1_30default_config_static_selectorELNS0_4arch9wavefront6targetE0EEEvT1_,@function
_ZN7rocprim17ROCPRIM_400000_NS6detail17trampoline_kernelINS0_14default_configENS1_33run_length_encode_config_selectorIsjNS0_4plusIjEEEEZZNS1_33reduce_by_key_impl_wrapped_configILNS1_25lookback_scan_determinismE0ES3_S7_PKsNS0_17constant_iteratorIjlEEPsPlSF_S6_NS0_8equal_toIsEEEE10hipError_tPvRmT2_T3_mT4_T5_T6_T7_T8_P12ihipStream_tbENKUlT_T0_E_clISt17integral_constantIbLb0EESZ_EEDaSU_SV_EUlSU_E_NS1_11comp_targetILNS1_3genE5ELNS1_11target_archE942ELNS1_3gpuE9ELNS1_3repE0EEENS1_30default_config_static_selectorELNS0_4arch9wavefront6targetE0EEEvT1_: ; @_ZN7rocprim17ROCPRIM_400000_NS6detail17trampoline_kernelINS0_14default_configENS1_33run_length_encode_config_selectorIsjNS0_4plusIjEEEEZZNS1_33reduce_by_key_impl_wrapped_configILNS1_25lookback_scan_determinismE0ES3_S7_PKsNS0_17constant_iteratorIjlEEPsPlSF_S6_NS0_8equal_toIsEEEE10hipError_tPvRmT2_T3_mT4_T5_T6_T7_T8_P12ihipStream_tbENKUlT_T0_E_clISt17integral_constantIbLb0EESZ_EEDaSU_SV_EUlSU_E_NS1_11comp_targetILNS1_3genE5ELNS1_11target_archE942ELNS1_3gpuE9ELNS1_3repE0EEENS1_30default_config_static_selectorELNS0_4arch9wavefront6targetE0EEEvT1_
; %bb.0:
	.section	.rodata,"a",@progbits
	.p2align	6, 0x0
	.amdhsa_kernel _ZN7rocprim17ROCPRIM_400000_NS6detail17trampoline_kernelINS0_14default_configENS1_33run_length_encode_config_selectorIsjNS0_4plusIjEEEEZZNS1_33reduce_by_key_impl_wrapped_configILNS1_25lookback_scan_determinismE0ES3_S7_PKsNS0_17constant_iteratorIjlEEPsPlSF_S6_NS0_8equal_toIsEEEE10hipError_tPvRmT2_T3_mT4_T5_T6_T7_T8_P12ihipStream_tbENKUlT_T0_E_clISt17integral_constantIbLb0EESZ_EEDaSU_SV_EUlSU_E_NS1_11comp_targetILNS1_3genE5ELNS1_11target_archE942ELNS1_3gpuE9ELNS1_3repE0EEENS1_30default_config_static_selectorELNS0_4arch9wavefront6targetE0EEEvT1_
		.amdhsa_group_segment_fixed_size 0
		.amdhsa_private_segment_fixed_size 0
		.amdhsa_kernarg_size 128
		.amdhsa_user_sgpr_count 2
		.amdhsa_user_sgpr_dispatch_ptr 0
		.amdhsa_user_sgpr_queue_ptr 0
		.amdhsa_user_sgpr_kernarg_segment_ptr 1
		.amdhsa_user_sgpr_dispatch_id 0
		.amdhsa_user_sgpr_kernarg_preload_length 0
		.amdhsa_user_sgpr_kernarg_preload_offset 0
		.amdhsa_user_sgpr_private_segment_size 0
		.amdhsa_wavefront_size32 1
		.amdhsa_uses_dynamic_stack 0
		.amdhsa_enable_private_segment 0
		.amdhsa_system_sgpr_workgroup_id_x 1
		.amdhsa_system_sgpr_workgroup_id_y 0
		.amdhsa_system_sgpr_workgroup_id_z 0
		.amdhsa_system_sgpr_workgroup_info 0
		.amdhsa_system_vgpr_workitem_id 0
		.amdhsa_next_free_vgpr 1
		.amdhsa_next_free_sgpr 1
		.amdhsa_named_barrier_count 0
		.amdhsa_reserve_vcc 0
		.amdhsa_float_round_mode_32 0
		.amdhsa_float_round_mode_16_64 0
		.amdhsa_float_denorm_mode_32 3
		.amdhsa_float_denorm_mode_16_64 3
		.amdhsa_fp16_overflow 0
		.amdhsa_memory_ordered 1
		.amdhsa_forward_progress 1
		.amdhsa_inst_pref_size 0
		.amdhsa_round_robin_scheduling 0
		.amdhsa_exception_fp_ieee_invalid_op 0
		.amdhsa_exception_fp_denorm_src 0
		.amdhsa_exception_fp_ieee_div_zero 0
		.amdhsa_exception_fp_ieee_overflow 0
		.amdhsa_exception_fp_ieee_underflow 0
		.amdhsa_exception_fp_ieee_inexact 0
		.amdhsa_exception_int_div_zero 0
	.end_amdhsa_kernel
	.section	.text._ZN7rocprim17ROCPRIM_400000_NS6detail17trampoline_kernelINS0_14default_configENS1_33run_length_encode_config_selectorIsjNS0_4plusIjEEEEZZNS1_33reduce_by_key_impl_wrapped_configILNS1_25lookback_scan_determinismE0ES3_S7_PKsNS0_17constant_iteratorIjlEEPsPlSF_S6_NS0_8equal_toIsEEEE10hipError_tPvRmT2_T3_mT4_T5_T6_T7_T8_P12ihipStream_tbENKUlT_T0_E_clISt17integral_constantIbLb0EESZ_EEDaSU_SV_EUlSU_E_NS1_11comp_targetILNS1_3genE5ELNS1_11target_archE942ELNS1_3gpuE9ELNS1_3repE0EEENS1_30default_config_static_selectorELNS0_4arch9wavefront6targetE0EEEvT1_,"axG",@progbits,_ZN7rocprim17ROCPRIM_400000_NS6detail17trampoline_kernelINS0_14default_configENS1_33run_length_encode_config_selectorIsjNS0_4plusIjEEEEZZNS1_33reduce_by_key_impl_wrapped_configILNS1_25lookback_scan_determinismE0ES3_S7_PKsNS0_17constant_iteratorIjlEEPsPlSF_S6_NS0_8equal_toIsEEEE10hipError_tPvRmT2_T3_mT4_T5_T6_T7_T8_P12ihipStream_tbENKUlT_T0_E_clISt17integral_constantIbLb0EESZ_EEDaSU_SV_EUlSU_E_NS1_11comp_targetILNS1_3genE5ELNS1_11target_archE942ELNS1_3gpuE9ELNS1_3repE0EEENS1_30default_config_static_selectorELNS0_4arch9wavefront6targetE0EEEvT1_,comdat
.Lfunc_end581:
	.size	_ZN7rocprim17ROCPRIM_400000_NS6detail17trampoline_kernelINS0_14default_configENS1_33run_length_encode_config_selectorIsjNS0_4plusIjEEEEZZNS1_33reduce_by_key_impl_wrapped_configILNS1_25lookback_scan_determinismE0ES3_S7_PKsNS0_17constant_iteratorIjlEEPsPlSF_S6_NS0_8equal_toIsEEEE10hipError_tPvRmT2_T3_mT4_T5_T6_T7_T8_P12ihipStream_tbENKUlT_T0_E_clISt17integral_constantIbLb0EESZ_EEDaSU_SV_EUlSU_E_NS1_11comp_targetILNS1_3genE5ELNS1_11target_archE942ELNS1_3gpuE9ELNS1_3repE0EEENS1_30default_config_static_selectorELNS0_4arch9wavefront6targetE0EEEvT1_, .Lfunc_end581-_ZN7rocprim17ROCPRIM_400000_NS6detail17trampoline_kernelINS0_14default_configENS1_33run_length_encode_config_selectorIsjNS0_4plusIjEEEEZZNS1_33reduce_by_key_impl_wrapped_configILNS1_25lookback_scan_determinismE0ES3_S7_PKsNS0_17constant_iteratorIjlEEPsPlSF_S6_NS0_8equal_toIsEEEE10hipError_tPvRmT2_T3_mT4_T5_T6_T7_T8_P12ihipStream_tbENKUlT_T0_E_clISt17integral_constantIbLb0EESZ_EEDaSU_SV_EUlSU_E_NS1_11comp_targetILNS1_3genE5ELNS1_11target_archE942ELNS1_3gpuE9ELNS1_3repE0EEENS1_30default_config_static_selectorELNS0_4arch9wavefront6targetE0EEEvT1_
                                        ; -- End function
	.set _ZN7rocprim17ROCPRIM_400000_NS6detail17trampoline_kernelINS0_14default_configENS1_33run_length_encode_config_selectorIsjNS0_4plusIjEEEEZZNS1_33reduce_by_key_impl_wrapped_configILNS1_25lookback_scan_determinismE0ES3_S7_PKsNS0_17constant_iteratorIjlEEPsPlSF_S6_NS0_8equal_toIsEEEE10hipError_tPvRmT2_T3_mT4_T5_T6_T7_T8_P12ihipStream_tbENKUlT_T0_E_clISt17integral_constantIbLb0EESZ_EEDaSU_SV_EUlSU_E_NS1_11comp_targetILNS1_3genE5ELNS1_11target_archE942ELNS1_3gpuE9ELNS1_3repE0EEENS1_30default_config_static_selectorELNS0_4arch9wavefront6targetE0EEEvT1_.num_vgpr, 0
	.set _ZN7rocprim17ROCPRIM_400000_NS6detail17trampoline_kernelINS0_14default_configENS1_33run_length_encode_config_selectorIsjNS0_4plusIjEEEEZZNS1_33reduce_by_key_impl_wrapped_configILNS1_25lookback_scan_determinismE0ES3_S7_PKsNS0_17constant_iteratorIjlEEPsPlSF_S6_NS0_8equal_toIsEEEE10hipError_tPvRmT2_T3_mT4_T5_T6_T7_T8_P12ihipStream_tbENKUlT_T0_E_clISt17integral_constantIbLb0EESZ_EEDaSU_SV_EUlSU_E_NS1_11comp_targetILNS1_3genE5ELNS1_11target_archE942ELNS1_3gpuE9ELNS1_3repE0EEENS1_30default_config_static_selectorELNS0_4arch9wavefront6targetE0EEEvT1_.num_agpr, 0
	.set _ZN7rocprim17ROCPRIM_400000_NS6detail17trampoline_kernelINS0_14default_configENS1_33run_length_encode_config_selectorIsjNS0_4plusIjEEEEZZNS1_33reduce_by_key_impl_wrapped_configILNS1_25lookback_scan_determinismE0ES3_S7_PKsNS0_17constant_iteratorIjlEEPsPlSF_S6_NS0_8equal_toIsEEEE10hipError_tPvRmT2_T3_mT4_T5_T6_T7_T8_P12ihipStream_tbENKUlT_T0_E_clISt17integral_constantIbLb0EESZ_EEDaSU_SV_EUlSU_E_NS1_11comp_targetILNS1_3genE5ELNS1_11target_archE942ELNS1_3gpuE9ELNS1_3repE0EEENS1_30default_config_static_selectorELNS0_4arch9wavefront6targetE0EEEvT1_.numbered_sgpr, 0
	.set _ZN7rocprim17ROCPRIM_400000_NS6detail17trampoline_kernelINS0_14default_configENS1_33run_length_encode_config_selectorIsjNS0_4plusIjEEEEZZNS1_33reduce_by_key_impl_wrapped_configILNS1_25lookback_scan_determinismE0ES3_S7_PKsNS0_17constant_iteratorIjlEEPsPlSF_S6_NS0_8equal_toIsEEEE10hipError_tPvRmT2_T3_mT4_T5_T6_T7_T8_P12ihipStream_tbENKUlT_T0_E_clISt17integral_constantIbLb0EESZ_EEDaSU_SV_EUlSU_E_NS1_11comp_targetILNS1_3genE5ELNS1_11target_archE942ELNS1_3gpuE9ELNS1_3repE0EEENS1_30default_config_static_selectorELNS0_4arch9wavefront6targetE0EEEvT1_.num_named_barrier, 0
	.set _ZN7rocprim17ROCPRIM_400000_NS6detail17trampoline_kernelINS0_14default_configENS1_33run_length_encode_config_selectorIsjNS0_4plusIjEEEEZZNS1_33reduce_by_key_impl_wrapped_configILNS1_25lookback_scan_determinismE0ES3_S7_PKsNS0_17constant_iteratorIjlEEPsPlSF_S6_NS0_8equal_toIsEEEE10hipError_tPvRmT2_T3_mT4_T5_T6_T7_T8_P12ihipStream_tbENKUlT_T0_E_clISt17integral_constantIbLb0EESZ_EEDaSU_SV_EUlSU_E_NS1_11comp_targetILNS1_3genE5ELNS1_11target_archE942ELNS1_3gpuE9ELNS1_3repE0EEENS1_30default_config_static_selectorELNS0_4arch9wavefront6targetE0EEEvT1_.private_seg_size, 0
	.set _ZN7rocprim17ROCPRIM_400000_NS6detail17trampoline_kernelINS0_14default_configENS1_33run_length_encode_config_selectorIsjNS0_4plusIjEEEEZZNS1_33reduce_by_key_impl_wrapped_configILNS1_25lookback_scan_determinismE0ES3_S7_PKsNS0_17constant_iteratorIjlEEPsPlSF_S6_NS0_8equal_toIsEEEE10hipError_tPvRmT2_T3_mT4_T5_T6_T7_T8_P12ihipStream_tbENKUlT_T0_E_clISt17integral_constantIbLb0EESZ_EEDaSU_SV_EUlSU_E_NS1_11comp_targetILNS1_3genE5ELNS1_11target_archE942ELNS1_3gpuE9ELNS1_3repE0EEENS1_30default_config_static_selectorELNS0_4arch9wavefront6targetE0EEEvT1_.uses_vcc, 0
	.set _ZN7rocprim17ROCPRIM_400000_NS6detail17trampoline_kernelINS0_14default_configENS1_33run_length_encode_config_selectorIsjNS0_4plusIjEEEEZZNS1_33reduce_by_key_impl_wrapped_configILNS1_25lookback_scan_determinismE0ES3_S7_PKsNS0_17constant_iteratorIjlEEPsPlSF_S6_NS0_8equal_toIsEEEE10hipError_tPvRmT2_T3_mT4_T5_T6_T7_T8_P12ihipStream_tbENKUlT_T0_E_clISt17integral_constantIbLb0EESZ_EEDaSU_SV_EUlSU_E_NS1_11comp_targetILNS1_3genE5ELNS1_11target_archE942ELNS1_3gpuE9ELNS1_3repE0EEENS1_30default_config_static_selectorELNS0_4arch9wavefront6targetE0EEEvT1_.uses_flat_scratch, 0
	.set _ZN7rocprim17ROCPRIM_400000_NS6detail17trampoline_kernelINS0_14default_configENS1_33run_length_encode_config_selectorIsjNS0_4plusIjEEEEZZNS1_33reduce_by_key_impl_wrapped_configILNS1_25lookback_scan_determinismE0ES3_S7_PKsNS0_17constant_iteratorIjlEEPsPlSF_S6_NS0_8equal_toIsEEEE10hipError_tPvRmT2_T3_mT4_T5_T6_T7_T8_P12ihipStream_tbENKUlT_T0_E_clISt17integral_constantIbLb0EESZ_EEDaSU_SV_EUlSU_E_NS1_11comp_targetILNS1_3genE5ELNS1_11target_archE942ELNS1_3gpuE9ELNS1_3repE0EEENS1_30default_config_static_selectorELNS0_4arch9wavefront6targetE0EEEvT1_.has_dyn_sized_stack, 0
	.set _ZN7rocprim17ROCPRIM_400000_NS6detail17trampoline_kernelINS0_14default_configENS1_33run_length_encode_config_selectorIsjNS0_4plusIjEEEEZZNS1_33reduce_by_key_impl_wrapped_configILNS1_25lookback_scan_determinismE0ES3_S7_PKsNS0_17constant_iteratorIjlEEPsPlSF_S6_NS0_8equal_toIsEEEE10hipError_tPvRmT2_T3_mT4_T5_T6_T7_T8_P12ihipStream_tbENKUlT_T0_E_clISt17integral_constantIbLb0EESZ_EEDaSU_SV_EUlSU_E_NS1_11comp_targetILNS1_3genE5ELNS1_11target_archE942ELNS1_3gpuE9ELNS1_3repE0EEENS1_30default_config_static_selectorELNS0_4arch9wavefront6targetE0EEEvT1_.has_recursion, 0
	.set _ZN7rocprim17ROCPRIM_400000_NS6detail17trampoline_kernelINS0_14default_configENS1_33run_length_encode_config_selectorIsjNS0_4plusIjEEEEZZNS1_33reduce_by_key_impl_wrapped_configILNS1_25lookback_scan_determinismE0ES3_S7_PKsNS0_17constant_iteratorIjlEEPsPlSF_S6_NS0_8equal_toIsEEEE10hipError_tPvRmT2_T3_mT4_T5_T6_T7_T8_P12ihipStream_tbENKUlT_T0_E_clISt17integral_constantIbLb0EESZ_EEDaSU_SV_EUlSU_E_NS1_11comp_targetILNS1_3genE5ELNS1_11target_archE942ELNS1_3gpuE9ELNS1_3repE0EEENS1_30default_config_static_selectorELNS0_4arch9wavefront6targetE0EEEvT1_.has_indirect_call, 0
	.section	.AMDGPU.csdata,"",@progbits
; Kernel info:
; codeLenInByte = 0
; TotalNumSgprs: 0
; NumVgprs: 0
; ScratchSize: 0
; MemoryBound: 0
; FloatMode: 240
; IeeeMode: 1
; LDSByteSize: 0 bytes/workgroup (compile time only)
; SGPRBlocks: 0
; VGPRBlocks: 0
; NumSGPRsForWavesPerEU: 1
; NumVGPRsForWavesPerEU: 1
; NamedBarCnt: 0
; Occupancy: 16
; WaveLimiterHint : 0
; COMPUTE_PGM_RSRC2:SCRATCH_EN: 0
; COMPUTE_PGM_RSRC2:USER_SGPR: 2
; COMPUTE_PGM_RSRC2:TRAP_HANDLER: 0
; COMPUTE_PGM_RSRC2:TGID_X_EN: 1
; COMPUTE_PGM_RSRC2:TGID_Y_EN: 0
; COMPUTE_PGM_RSRC2:TGID_Z_EN: 0
; COMPUTE_PGM_RSRC2:TIDIG_COMP_CNT: 0
	.section	.text._ZN7rocprim17ROCPRIM_400000_NS6detail17trampoline_kernelINS0_14default_configENS1_33run_length_encode_config_selectorIsjNS0_4plusIjEEEEZZNS1_33reduce_by_key_impl_wrapped_configILNS1_25lookback_scan_determinismE0ES3_S7_PKsNS0_17constant_iteratorIjlEEPsPlSF_S6_NS0_8equal_toIsEEEE10hipError_tPvRmT2_T3_mT4_T5_T6_T7_T8_P12ihipStream_tbENKUlT_T0_E_clISt17integral_constantIbLb0EESZ_EEDaSU_SV_EUlSU_E_NS1_11comp_targetILNS1_3genE4ELNS1_11target_archE910ELNS1_3gpuE8ELNS1_3repE0EEENS1_30default_config_static_selectorELNS0_4arch9wavefront6targetE0EEEvT1_,"axG",@progbits,_ZN7rocprim17ROCPRIM_400000_NS6detail17trampoline_kernelINS0_14default_configENS1_33run_length_encode_config_selectorIsjNS0_4plusIjEEEEZZNS1_33reduce_by_key_impl_wrapped_configILNS1_25lookback_scan_determinismE0ES3_S7_PKsNS0_17constant_iteratorIjlEEPsPlSF_S6_NS0_8equal_toIsEEEE10hipError_tPvRmT2_T3_mT4_T5_T6_T7_T8_P12ihipStream_tbENKUlT_T0_E_clISt17integral_constantIbLb0EESZ_EEDaSU_SV_EUlSU_E_NS1_11comp_targetILNS1_3genE4ELNS1_11target_archE910ELNS1_3gpuE8ELNS1_3repE0EEENS1_30default_config_static_selectorELNS0_4arch9wavefront6targetE0EEEvT1_,comdat
	.protected	_ZN7rocprim17ROCPRIM_400000_NS6detail17trampoline_kernelINS0_14default_configENS1_33run_length_encode_config_selectorIsjNS0_4plusIjEEEEZZNS1_33reduce_by_key_impl_wrapped_configILNS1_25lookback_scan_determinismE0ES3_S7_PKsNS0_17constant_iteratorIjlEEPsPlSF_S6_NS0_8equal_toIsEEEE10hipError_tPvRmT2_T3_mT4_T5_T6_T7_T8_P12ihipStream_tbENKUlT_T0_E_clISt17integral_constantIbLb0EESZ_EEDaSU_SV_EUlSU_E_NS1_11comp_targetILNS1_3genE4ELNS1_11target_archE910ELNS1_3gpuE8ELNS1_3repE0EEENS1_30default_config_static_selectorELNS0_4arch9wavefront6targetE0EEEvT1_ ; -- Begin function _ZN7rocprim17ROCPRIM_400000_NS6detail17trampoline_kernelINS0_14default_configENS1_33run_length_encode_config_selectorIsjNS0_4plusIjEEEEZZNS1_33reduce_by_key_impl_wrapped_configILNS1_25lookback_scan_determinismE0ES3_S7_PKsNS0_17constant_iteratorIjlEEPsPlSF_S6_NS0_8equal_toIsEEEE10hipError_tPvRmT2_T3_mT4_T5_T6_T7_T8_P12ihipStream_tbENKUlT_T0_E_clISt17integral_constantIbLb0EESZ_EEDaSU_SV_EUlSU_E_NS1_11comp_targetILNS1_3genE4ELNS1_11target_archE910ELNS1_3gpuE8ELNS1_3repE0EEENS1_30default_config_static_selectorELNS0_4arch9wavefront6targetE0EEEvT1_
	.globl	_ZN7rocprim17ROCPRIM_400000_NS6detail17trampoline_kernelINS0_14default_configENS1_33run_length_encode_config_selectorIsjNS0_4plusIjEEEEZZNS1_33reduce_by_key_impl_wrapped_configILNS1_25lookback_scan_determinismE0ES3_S7_PKsNS0_17constant_iteratorIjlEEPsPlSF_S6_NS0_8equal_toIsEEEE10hipError_tPvRmT2_T3_mT4_T5_T6_T7_T8_P12ihipStream_tbENKUlT_T0_E_clISt17integral_constantIbLb0EESZ_EEDaSU_SV_EUlSU_E_NS1_11comp_targetILNS1_3genE4ELNS1_11target_archE910ELNS1_3gpuE8ELNS1_3repE0EEENS1_30default_config_static_selectorELNS0_4arch9wavefront6targetE0EEEvT1_
	.p2align	8
	.type	_ZN7rocprim17ROCPRIM_400000_NS6detail17trampoline_kernelINS0_14default_configENS1_33run_length_encode_config_selectorIsjNS0_4plusIjEEEEZZNS1_33reduce_by_key_impl_wrapped_configILNS1_25lookback_scan_determinismE0ES3_S7_PKsNS0_17constant_iteratorIjlEEPsPlSF_S6_NS0_8equal_toIsEEEE10hipError_tPvRmT2_T3_mT4_T5_T6_T7_T8_P12ihipStream_tbENKUlT_T0_E_clISt17integral_constantIbLb0EESZ_EEDaSU_SV_EUlSU_E_NS1_11comp_targetILNS1_3genE4ELNS1_11target_archE910ELNS1_3gpuE8ELNS1_3repE0EEENS1_30default_config_static_selectorELNS0_4arch9wavefront6targetE0EEEvT1_,@function
_ZN7rocprim17ROCPRIM_400000_NS6detail17trampoline_kernelINS0_14default_configENS1_33run_length_encode_config_selectorIsjNS0_4plusIjEEEEZZNS1_33reduce_by_key_impl_wrapped_configILNS1_25lookback_scan_determinismE0ES3_S7_PKsNS0_17constant_iteratorIjlEEPsPlSF_S6_NS0_8equal_toIsEEEE10hipError_tPvRmT2_T3_mT4_T5_T6_T7_T8_P12ihipStream_tbENKUlT_T0_E_clISt17integral_constantIbLb0EESZ_EEDaSU_SV_EUlSU_E_NS1_11comp_targetILNS1_3genE4ELNS1_11target_archE910ELNS1_3gpuE8ELNS1_3repE0EEENS1_30default_config_static_selectorELNS0_4arch9wavefront6targetE0EEEvT1_: ; @_ZN7rocprim17ROCPRIM_400000_NS6detail17trampoline_kernelINS0_14default_configENS1_33run_length_encode_config_selectorIsjNS0_4plusIjEEEEZZNS1_33reduce_by_key_impl_wrapped_configILNS1_25lookback_scan_determinismE0ES3_S7_PKsNS0_17constant_iteratorIjlEEPsPlSF_S6_NS0_8equal_toIsEEEE10hipError_tPvRmT2_T3_mT4_T5_T6_T7_T8_P12ihipStream_tbENKUlT_T0_E_clISt17integral_constantIbLb0EESZ_EEDaSU_SV_EUlSU_E_NS1_11comp_targetILNS1_3genE4ELNS1_11target_archE910ELNS1_3gpuE8ELNS1_3repE0EEENS1_30default_config_static_selectorELNS0_4arch9wavefront6targetE0EEEvT1_
; %bb.0:
	.section	.rodata,"a",@progbits
	.p2align	6, 0x0
	.amdhsa_kernel _ZN7rocprim17ROCPRIM_400000_NS6detail17trampoline_kernelINS0_14default_configENS1_33run_length_encode_config_selectorIsjNS0_4plusIjEEEEZZNS1_33reduce_by_key_impl_wrapped_configILNS1_25lookback_scan_determinismE0ES3_S7_PKsNS0_17constant_iteratorIjlEEPsPlSF_S6_NS0_8equal_toIsEEEE10hipError_tPvRmT2_T3_mT4_T5_T6_T7_T8_P12ihipStream_tbENKUlT_T0_E_clISt17integral_constantIbLb0EESZ_EEDaSU_SV_EUlSU_E_NS1_11comp_targetILNS1_3genE4ELNS1_11target_archE910ELNS1_3gpuE8ELNS1_3repE0EEENS1_30default_config_static_selectorELNS0_4arch9wavefront6targetE0EEEvT1_
		.amdhsa_group_segment_fixed_size 0
		.amdhsa_private_segment_fixed_size 0
		.amdhsa_kernarg_size 128
		.amdhsa_user_sgpr_count 2
		.amdhsa_user_sgpr_dispatch_ptr 0
		.amdhsa_user_sgpr_queue_ptr 0
		.amdhsa_user_sgpr_kernarg_segment_ptr 1
		.amdhsa_user_sgpr_dispatch_id 0
		.amdhsa_user_sgpr_kernarg_preload_length 0
		.amdhsa_user_sgpr_kernarg_preload_offset 0
		.amdhsa_user_sgpr_private_segment_size 0
		.amdhsa_wavefront_size32 1
		.amdhsa_uses_dynamic_stack 0
		.amdhsa_enable_private_segment 0
		.amdhsa_system_sgpr_workgroup_id_x 1
		.amdhsa_system_sgpr_workgroup_id_y 0
		.amdhsa_system_sgpr_workgroup_id_z 0
		.amdhsa_system_sgpr_workgroup_info 0
		.amdhsa_system_vgpr_workitem_id 0
		.amdhsa_next_free_vgpr 1
		.amdhsa_next_free_sgpr 1
		.amdhsa_named_barrier_count 0
		.amdhsa_reserve_vcc 0
		.amdhsa_float_round_mode_32 0
		.amdhsa_float_round_mode_16_64 0
		.amdhsa_float_denorm_mode_32 3
		.amdhsa_float_denorm_mode_16_64 3
		.amdhsa_fp16_overflow 0
		.amdhsa_memory_ordered 1
		.amdhsa_forward_progress 1
		.amdhsa_inst_pref_size 0
		.amdhsa_round_robin_scheduling 0
		.amdhsa_exception_fp_ieee_invalid_op 0
		.amdhsa_exception_fp_denorm_src 0
		.amdhsa_exception_fp_ieee_div_zero 0
		.amdhsa_exception_fp_ieee_overflow 0
		.amdhsa_exception_fp_ieee_underflow 0
		.amdhsa_exception_fp_ieee_inexact 0
		.amdhsa_exception_int_div_zero 0
	.end_amdhsa_kernel
	.section	.text._ZN7rocprim17ROCPRIM_400000_NS6detail17trampoline_kernelINS0_14default_configENS1_33run_length_encode_config_selectorIsjNS0_4plusIjEEEEZZNS1_33reduce_by_key_impl_wrapped_configILNS1_25lookback_scan_determinismE0ES3_S7_PKsNS0_17constant_iteratorIjlEEPsPlSF_S6_NS0_8equal_toIsEEEE10hipError_tPvRmT2_T3_mT4_T5_T6_T7_T8_P12ihipStream_tbENKUlT_T0_E_clISt17integral_constantIbLb0EESZ_EEDaSU_SV_EUlSU_E_NS1_11comp_targetILNS1_3genE4ELNS1_11target_archE910ELNS1_3gpuE8ELNS1_3repE0EEENS1_30default_config_static_selectorELNS0_4arch9wavefront6targetE0EEEvT1_,"axG",@progbits,_ZN7rocprim17ROCPRIM_400000_NS6detail17trampoline_kernelINS0_14default_configENS1_33run_length_encode_config_selectorIsjNS0_4plusIjEEEEZZNS1_33reduce_by_key_impl_wrapped_configILNS1_25lookback_scan_determinismE0ES3_S7_PKsNS0_17constant_iteratorIjlEEPsPlSF_S6_NS0_8equal_toIsEEEE10hipError_tPvRmT2_T3_mT4_T5_T6_T7_T8_P12ihipStream_tbENKUlT_T0_E_clISt17integral_constantIbLb0EESZ_EEDaSU_SV_EUlSU_E_NS1_11comp_targetILNS1_3genE4ELNS1_11target_archE910ELNS1_3gpuE8ELNS1_3repE0EEENS1_30default_config_static_selectorELNS0_4arch9wavefront6targetE0EEEvT1_,comdat
.Lfunc_end582:
	.size	_ZN7rocprim17ROCPRIM_400000_NS6detail17trampoline_kernelINS0_14default_configENS1_33run_length_encode_config_selectorIsjNS0_4plusIjEEEEZZNS1_33reduce_by_key_impl_wrapped_configILNS1_25lookback_scan_determinismE0ES3_S7_PKsNS0_17constant_iteratorIjlEEPsPlSF_S6_NS0_8equal_toIsEEEE10hipError_tPvRmT2_T3_mT4_T5_T6_T7_T8_P12ihipStream_tbENKUlT_T0_E_clISt17integral_constantIbLb0EESZ_EEDaSU_SV_EUlSU_E_NS1_11comp_targetILNS1_3genE4ELNS1_11target_archE910ELNS1_3gpuE8ELNS1_3repE0EEENS1_30default_config_static_selectorELNS0_4arch9wavefront6targetE0EEEvT1_, .Lfunc_end582-_ZN7rocprim17ROCPRIM_400000_NS6detail17trampoline_kernelINS0_14default_configENS1_33run_length_encode_config_selectorIsjNS0_4plusIjEEEEZZNS1_33reduce_by_key_impl_wrapped_configILNS1_25lookback_scan_determinismE0ES3_S7_PKsNS0_17constant_iteratorIjlEEPsPlSF_S6_NS0_8equal_toIsEEEE10hipError_tPvRmT2_T3_mT4_T5_T6_T7_T8_P12ihipStream_tbENKUlT_T0_E_clISt17integral_constantIbLb0EESZ_EEDaSU_SV_EUlSU_E_NS1_11comp_targetILNS1_3genE4ELNS1_11target_archE910ELNS1_3gpuE8ELNS1_3repE0EEENS1_30default_config_static_selectorELNS0_4arch9wavefront6targetE0EEEvT1_
                                        ; -- End function
	.set _ZN7rocprim17ROCPRIM_400000_NS6detail17trampoline_kernelINS0_14default_configENS1_33run_length_encode_config_selectorIsjNS0_4plusIjEEEEZZNS1_33reduce_by_key_impl_wrapped_configILNS1_25lookback_scan_determinismE0ES3_S7_PKsNS0_17constant_iteratorIjlEEPsPlSF_S6_NS0_8equal_toIsEEEE10hipError_tPvRmT2_T3_mT4_T5_T6_T7_T8_P12ihipStream_tbENKUlT_T0_E_clISt17integral_constantIbLb0EESZ_EEDaSU_SV_EUlSU_E_NS1_11comp_targetILNS1_3genE4ELNS1_11target_archE910ELNS1_3gpuE8ELNS1_3repE0EEENS1_30default_config_static_selectorELNS0_4arch9wavefront6targetE0EEEvT1_.num_vgpr, 0
	.set _ZN7rocprim17ROCPRIM_400000_NS6detail17trampoline_kernelINS0_14default_configENS1_33run_length_encode_config_selectorIsjNS0_4plusIjEEEEZZNS1_33reduce_by_key_impl_wrapped_configILNS1_25lookback_scan_determinismE0ES3_S7_PKsNS0_17constant_iteratorIjlEEPsPlSF_S6_NS0_8equal_toIsEEEE10hipError_tPvRmT2_T3_mT4_T5_T6_T7_T8_P12ihipStream_tbENKUlT_T0_E_clISt17integral_constantIbLb0EESZ_EEDaSU_SV_EUlSU_E_NS1_11comp_targetILNS1_3genE4ELNS1_11target_archE910ELNS1_3gpuE8ELNS1_3repE0EEENS1_30default_config_static_selectorELNS0_4arch9wavefront6targetE0EEEvT1_.num_agpr, 0
	.set _ZN7rocprim17ROCPRIM_400000_NS6detail17trampoline_kernelINS0_14default_configENS1_33run_length_encode_config_selectorIsjNS0_4plusIjEEEEZZNS1_33reduce_by_key_impl_wrapped_configILNS1_25lookback_scan_determinismE0ES3_S7_PKsNS0_17constant_iteratorIjlEEPsPlSF_S6_NS0_8equal_toIsEEEE10hipError_tPvRmT2_T3_mT4_T5_T6_T7_T8_P12ihipStream_tbENKUlT_T0_E_clISt17integral_constantIbLb0EESZ_EEDaSU_SV_EUlSU_E_NS1_11comp_targetILNS1_3genE4ELNS1_11target_archE910ELNS1_3gpuE8ELNS1_3repE0EEENS1_30default_config_static_selectorELNS0_4arch9wavefront6targetE0EEEvT1_.numbered_sgpr, 0
	.set _ZN7rocprim17ROCPRIM_400000_NS6detail17trampoline_kernelINS0_14default_configENS1_33run_length_encode_config_selectorIsjNS0_4plusIjEEEEZZNS1_33reduce_by_key_impl_wrapped_configILNS1_25lookback_scan_determinismE0ES3_S7_PKsNS0_17constant_iteratorIjlEEPsPlSF_S6_NS0_8equal_toIsEEEE10hipError_tPvRmT2_T3_mT4_T5_T6_T7_T8_P12ihipStream_tbENKUlT_T0_E_clISt17integral_constantIbLb0EESZ_EEDaSU_SV_EUlSU_E_NS1_11comp_targetILNS1_3genE4ELNS1_11target_archE910ELNS1_3gpuE8ELNS1_3repE0EEENS1_30default_config_static_selectorELNS0_4arch9wavefront6targetE0EEEvT1_.num_named_barrier, 0
	.set _ZN7rocprim17ROCPRIM_400000_NS6detail17trampoline_kernelINS0_14default_configENS1_33run_length_encode_config_selectorIsjNS0_4plusIjEEEEZZNS1_33reduce_by_key_impl_wrapped_configILNS1_25lookback_scan_determinismE0ES3_S7_PKsNS0_17constant_iteratorIjlEEPsPlSF_S6_NS0_8equal_toIsEEEE10hipError_tPvRmT2_T3_mT4_T5_T6_T7_T8_P12ihipStream_tbENKUlT_T0_E_clISt17integral_constantIbLb0EESZ_EEDaSU_SV_EUlSU_E_NS1_11comp_targetILNS1_3genE4ELNS1_11target_archE910ELNS1_3gpuE8ELNS1_3repE0EEENS1_30default_config_static_selectorELNS0_4arch9wavefront6targetE0EEEvT1_.private_seg_size, 0
	.set _ZN7rocprim17ROCPRIM_400000_NS6detail17trampoline_kernelINS0_14default_configENS1_33run_length_encode_config_selectorIsjNS0_4plusIjEEEEZZNS1_33reduce_by_key_impl_wrapped_configILNS1_25lookback_scan_determinismE0ES3_S7_PKsNS0_17constant_iteratorIjlEEPsPlSF_S6_NS0_8equal_toIsEEEE10hipError_tPvRmT2_T3_mT4_T5_T6_T7_T8_P12ihipStream_tbENKUlT_T0_E_clISt17integral_constantIbLb0EESZ_EEDaSU_SV_EUlSU_E_NS1_11comp_targetILNS1_3genE4ELNS1_11target_archE910ELNS1_3gpuE8ELNS1_3repE0EEENS1_30default_config_static_selectorELNS0_4arch9wavefront6targetE0EEEvT1_.uses_vcc, 0
	.set _ZN7rocprim17ROCPRIM_400000_NS6detail17trampoline_kernelINS0_14default_configENS1_33run_length_encode_config_selectorIsjNS0_4plusIjEEEEZZNS1_33reduce_by_key_impl_wrapped_configILNS1_25lookback_scan_determinismE0ES3_S7_PKsNS0_17constant_iteratorIjlEEPsPlSF_S6_NS0_8equal_toIsEEEE10hipError_tPvRmT2_T3_mT4_T5_T6_T7_T8_P12ihipStream_tbENKUlT_T0_E_clISt17integral_constantIbLb0EESZ_EEDaSU_SV_EUlSU_E_NS1_11comp_targetILNS1_3genE4ELNS1_11target_archE910ELNS1_3gpuE8ELNS1_3repE0EEENS1_30default_config_static_selectorELNS0_4arch9wavefront6targetE0EEEvT1_.uses_flat_scratch, 0
	.set _ZN7rocprim17ROCPRIM_400000_NS6detail17trampoline_kernelINS0_14default_configENS1_33run_length_encode_config_selectorIsjNS0_4plusIjEEEEZZNS1_33reduce_by_key_impl_wrapped_configILNS1_25lookback_scan_determinismE0ES3_S7_PKsNS0_17constant_iteratorIjlEEPsPlSF_S6_NS0_8equal_toIsEEEE10hipError_tPvRmT2_T3_mT4_T5_T6_T7_T8_P12ihipStream_tbENKUlT_T0_E_clISt17integral_constantIbLb0EESZ_EEDaSU_SV_EUlSU_E_NS1_11comp_targetILNS1_3genE4ELNS1_11target_archE910ELNS1_3gpuE8ELNS1_3repE0EEENS1_30default_config_static_selectorELNS0_4arch9wavefront6targetE0EEEvT1_.has_dyn_sized_stack, 0
	.set _ZN7rocprim17ROCPRIM_400000_NS6detail17trampoline_kernelINS0_14default_configENS1_33run_length_encode_config_selectorIsjNS0_4plusIjEEEEZZNS1_33reduce_by_key_impl_wrapped_configILNS1_25lookback_scan_determinismE0ES3_S7_PKsNS0_17constant_iteratorIjlEEPsPlSF_S6_NS0_8equal_toIsEEEE10hipError_tPvRmT2_T3_mT4_T5_T6_T7_T8_P12ihipStream_tbENKUlT_T0_E_clISt17integral_constantIbLb0EESZ_EEDaSU_SV_EUlSU_E_NS1_11comp_targetILNS1_3genE4ELNS1_11target_archE910ELNS1_3gpuE8ELNS1_3repE0EEENS1_30default_config_static_selectorELNS0_4arch9wavefront6targetE0EEEvT1_.has_recursion, 0
	.set _ZN7rocprim17ROCPRIM_400000_NS6detail17trampoline_kernelINS0_14default_configENS1_33run_length_encode_config_selectorIsjNS0_4plusIjEEEEZZNS1_33reduce_by_key_impl_wrapped_configILNS1_25lookback_scan_determinismE0ES3_S7_PKsNS0_17constant_iteratorIjlEEPsPlSF_S6_NS0_8equal_toIsEEEE10hipError_tPvRmT2_T3_mT4_T5_T6_T7_T8_P12ihipStream_tbENKUlT_T0_E_clISt17integral_constantIbLb0EESZ_EEDaSU_SV_EUlSU_E_NS1_11comp_targetILNS1_3genE4ELNS1_11target_archE910ELNS1_3gpuE8ELNS1_3repE0EEENS1_30default_config_static_selectorELNS0_4arch9wavefront6targetE0EEEvT1_.has_indirect_call, 0
	.section	.AMDGPU.csdata,"",@progbits
; Kernel info:
; codeLenInByte = 0
; TotalNumSgprs: 0
; NumVgprs: 0
; ScratchSize: 0
; MemoryBound: 0
; FloatMode: 240
; IeeeMode: 1
; LDSByteSize: 0 bytes/workgroup (compile time only)
; SGPRBlocks: 0
; VGPRBlocks: 0
; NumSGPRsForWavesPerEU: 1
; NumVGPRsForWavesPerEU: 1
; NamedBarCnt: 0
; Occupancy: 16
; WaveLimiterHint : 0
; COMPUTE_PGM_RSRC2:SCRATCH_EN: 0
; COMPUTE_PGM_RSRC2:USER_SGPR: 2
; COMPUTE_PGM_RSRC2:TRAP_HANDLER: 0
; COMPUTE_PGM_RSRC2:TGID_X_EN: 1
; COMPUTE_PGM_RSRC2:TGID_Y_EN: 0
; COMPUTE_PGM_RSRC2:TGID_Z_EN: 0
; COMPUTE_PGM_RSRC2:TIDIG_COMP_CNT: 0
	.section	.text._ZN7rocprim17ROCPRIM_400000_NS6detail17trampoline_kernelINS0_14default_configENS1_33run_length_encode_config_selectorIsjNS0_4plusIjEEEEZZNS1_33reduce_by_key_impl_wrapped_configILNS1_25lookback_scan_determinismE0ES3_S7_PKsNS0_17constant_iteratorIjlEEPsPlSF_S6_NS0_8equal_toIsEEEE10hipError_tPvRmT2_T3_mT4_T5_T6_T7_T8_P12ihipStream_tbENKUlT_T0_E_clISt17integral_constantIbLb0EESZ_EEDaSU_SV_EUlSU_E_NS1_11comp_targetILNS1_3genE3ELNS1_11target_archE908ELNS1_3gpuE7ELNS1_3repE0EEENS1_30default_config_static_selectorELNS0_4arch9wavefront6targetE0EEEvT1_,"axG",@progbits,_ZN7rocprim17ROCPRIM_400000_NS6detail17trampoline_kernelINS0_14default_configENS1_33run_length_encode_config_selectorIsjNS0_4plusIjEEEEZZNS1_33reduce_by_key_impl_wrapped_configILNS1_25lookback_scan_determinismE0ES3_S7_PKsNS0_17constant_iteratorIjlEEPsPlSF_S6_NS0_8equal_toIsEEEE10hipError_tPvRmT2_T3_mT4_T5_T6_T7_T8_P12ihipStream_tbENKUlT_T0_E_clISt17integral_constantIbLb0EESZ_EEDaSU_SV_EUlSU_E_NS1_11comp_targetILNS1_3genE3ELNS1_11target_archE908ELNS1_3gpuE7ELNS1_3repE0EEENS1_30default_config_static_selectorELNS0_4arch9wavefront6targetE0EEEvT1_,comdat
	.protected	_ZN7rocprim17ROCPRIM_400000_NS6detail17trampoline_kernelINS0_14default_configENS1_33run_length_encode_config_selectorIsjNS0_4plusIjEEEEZZNS1_33reduce_by_key_impl_wrapped_configILNS1_25lookback_scan_determinismE0ES3_S7_PKsNS0_17constant_iteratorIjlEEPsPlSF_S6_NS0_8equal_toIsEEEE10hipError_tPvRmT2_T3_mT4_T5_T6_T7_T8_P12ihipStream_tbENKUlT_T0_E_clISt17integral_constantIbLb0EESZ_EEDaSU_SV_EUlSU_E_NS1_11comp_targetILNS1_3genE3ELNS1_11target_archE908ELNS1_3gpuE7ELNS1_3repE0EEENS1_30default_config_static_selectorELNS0_4arch9wavefront6targetE0EEEvT1_ ; -- Begin function _ZN7rocprim17ROCPRIM_400000_NS6detail17trampoline_kernelINS0_14default_configENS1_33run_length_encode_config_selectorIsjNS0_4plusIjEEEEZZNS1_33reduce_by_key_impl_wrapped_configILNS1_25lookback_scan_determinismE0ES3_S7_PKsNS0_17constant_iteratorIjlEEPsPlSF_S6_NS0_8equal_toIsEEEE10hipError_tPvRmT2_T3_mT4_T5_T6_T7_T8_P12ihipStream_tbENKUlT_T0_E_clISt17integral_constantIbLb0EESZ_EEDaSU_SV_EUlSU_E_NS1_11comp_targetILNS1_3genE3ELNS1_11target_archE908ELNS1_3gpuE7ELNS1_3repE0EEENS1_30default_config_static_selectorELNS0_4arch9wavefront6targetE0EEEvT1_
	.globl	_ZN7rocprim17ROCPRIM_400000_NS6detail17trampoline_kernelINS0_14default_configENS1_33run_length_encode_config_selectorIsjNS0_4plusIjEEEEZZNS1_33reduce_by_key_impl_wrapped_configILNS1_25lookback_scan_determinismE0ES3_S7_PKsNS0_17constant_iteratorIjlEEPsPlSF_S6_NS0_8equal_toIsEEEE10hipError_tPvRmT2_T3_mT4_T5_T6_T7_T8_P12ihipStream_tbENKUlT_T0_E_clISt17integral_constantIbLb0EESZ_EEDaSU_SV_EUlSU_E_NS1_11comp_targetILNS1_3genE3ELNS1_11target_archE908ELNS1_3gpuE7ELNS1_3repE0EEENS1_30default_config_static_selectorELNS0_4arch9wavefront6targetE0EEEvT1_
	.p2align	8
	.type	_ZN7rocprim17ROCPRIM_400000_NS6detail17trampoline_kernelINS0_14default_configENS1_33run_length_encode_config_selectorIsjNS0_4plusIjEEEEZZNS1_33reduce_by_key_impl_wrapped_configILNS1_25lookback_scan_determinismE0ES3_S7_PKsNS0_17constant_iteratorIjlEEPsPlSF_S6_NS0_8equal_toIsEEEE10hipError_tPvRmT2_T3_mT4_T5_T6_T7_T8_P12ihipStream_tbENKUlT_T0_E_clISt17integral_constantIbLb0EESZ_EEDaSU_SV_EUlSU_E_NS1_11comp_targetILNS1_3genE3ELNS1_11target_archE908ELNS1_3gpuE7ELNS1_3repE0EEENS1_30default_config_static_selectorELNS0_4arch9wavefront6targetE0EEEvT1_,@function
_ZN7rocprim17ROCPRIM_400000_NS6detail17trampoline_kernelINS0_14default_configENS1_33run_length_encode_config_selectorIsjNS0_4plusIjEEEEZZNS1_33reduce_by_key_impl_wrapped_configILNS1_25lookback_scan_determinismE0ES3_S7_PKsNS0_17constant_iteratorIjlEEPsPlSF_S6_NS0_8equal_toIsEEEE10hipError_tPvRmT2_T3_mT4_T5_T6_T7_T8_P12ihipStream_tbENKUlT_T0_E_clISt17integral_constantIbLb0EESZ_EEDaSU_SV_EUlSU_E_NS1_11comp_targetILNS1_3genE3ELNS1_11target_archE908ELNS1_3gpuE7ELNS1_3repE0EEENS1_30default_config_static_selectorELNS0_4arch9wavefront6targetE0EEEvT1_: ; @_ZN7rocprim17ROCPRIM_400000_NS6detail17trampoline_kernelINS0_14default_configENS1_33run_length_encode_config_selectorIsjNS0_4plusIjEEEEZZNS1_33reduce_by_key_impl_wrapped_configILNS1_25lookback_scan_determinismE0ES3_S7_PKsNS0_17constant_iteratorIjlEEPsPlSF_S6_NS0_8equal_toIsEEEE10hipError_tPvRmT2_T3_mT4_T5_T6_T7_T8_P12ihipStream_tbENKUlT_T0_E_clISt17integral_constantIbLb0EESZ_EEDaSU_SV_EUlSU_E_NS1_11comp_targetILNS1_3genE3ELNS1_11target_archE908ELNS1_3gpuE7ELNS1_3repE0EEENS1_30default_config_static_selectorELNS0_4arch9wavefront6targetE0EEEvT1_
; %bb.0:
	.section	.rodata,"a",@progbits
	.p2align	6, 0x0
	.amdhsa_kernel _ZN7rocprim17ROCPRIM_400000_NS6detail17trampoline_kernelINS0_14default_configENS1_33run_length_encode_config_selectorIsjNS0_4plusIjEEEEZZNS1_33reduce_by_key_impl_wrapped_configILNS1_25lookback_scan_determinismE0ES3_S7_PKsNS0_17constant_iteratorIjlEEPsPlSF_S6_NS0_8equal_toIsEEEE10hipError_tPvRmT2_T3_mT4_T5_T6_T7_T8_P12ihipStream_tbENKUlT_T0_E_clISt17integral_constantIbLb0EESZ_EEDaSU_SV_EUlSU_E_NS1_11comp_targetILNS1_3genE3ELNS1_11target_archE908ELNS1_3gpuE7ELNS1_3repE0EEENS1_30default_config_static_selectorELNS0_4arch9wavefront6targetE0EEEvT1_
		.amdhsa_group_segment_fixed_size 0
		.amdhsa_private_segment_fixed_size 0
		.amdhsa_kernarg_size 128
		.amdhsa_user_sgpr_count 2
		.amdhsa_user_sgpr_dispatch_ptr 0
		.amdhsa_user_sgpr_queue_ptr 0
		.amdhsa_user_sgpr_kernarg_segment_ptr 1
		.amdhsa_user_sgpr_dispatch_id 0
		.amdhsa_user_sgpr_kernarg_preload_length 0
		.amdhsa_user_sgpr_kernarg_preload_offset 0
		.amdhsa_user_sgpr_private_segment_size 0
		.amdhsa_wavefront_size32 1
		.amdhsa_uses_dynamic_stack 0
		.amdhsa_enable_private_segment 0
		.amdhsa_system_sgpr_workgroup_id_x 1
		.amdhsa_system_sgpr_workgroup_id_y 0
		.amdhsa_system_sgpr_workgroup_id_z 0
		.amdhsa_system_sgpr_workgroup_info 0
		.amdhsa_system_vgpr_workitem_id 0
		.amdhsa_next_free_vgpr 1
		.amdhsa_next_free_sgpr 1
		.amdhsa_named_barrier_count 0
		.amdhsa_reserve_vcc 0
		.amdhsa_float_round_mode_32 0
		.amdhsa_float_round_mode_16_64 0
		.amdhsa_float_denorm_mode_32 3
		.amdhsa_float_denorm_mode_16_64 3
		.amdhsa_fp16_overflow 0
		.amdhsa_memory_ordered 1
		.amdhsa_forward_progress 1
		.amdhsa_inst_pref_size 0
		.amdhsa_round_robin_scheduling 0
		.amdhsa_exception_fp_ieee_invalid_op 0
		.amdhsa_exception_fp_denorm_src 0
		.amdhsa_exception_fp_ieee_div_zero 0
		.amdhsa_exception_fp_ieee_overflow 0
		.amdhsa_exception_fp_ieee_underflow 0
		.amdhsa_exception_fp_ieee_inexact 0
		.amdhsa_exception_int_div_zero 0
	.end_amdhsa_kernel
	.section	.text._ZN7rocprim17ROCPRIM_400000_NS6detail17trampoline_kernelINS0_14default_configENS1_33run_length_encode_config_selectorIsjNS0_4plusIjEEEEZZNS1_33reduce_by_key_impl_wrapped_configILNS1_25lookback_scan_determinismE0ES3_S7_PKsNS0_17constant_iteratorIjlEEPsPlSF_S6_NS0_8equal_toIsEEEE10hipError_tPvRmT2_T3_mT4_T5_T6_T7_T8_P12ihipStream_tbENKUlT_T0_E_clISt17integral_constantIbLb0EESZ_EEDaSU_SV_EUlSU_E_NS1_11comp_targetILNS1_3genE3ELNS1_11target_archE908ELNS1_3gpuE7ELNS1_3repE0EEENS1_30default_config_static_selectorELNS0_4arch9wavefront6targetE0EEEvT1_,"axG",@progbits,_ZN7rocprim17ROCPRIM_400000_NS6detail17trampoline_kernelINS0_14default_configENS1_33run_length_encode_config_selectorIsjNS0_4plusIjEEEEZZNS1_33reduce_by_key_impl_wrapped_configILNS1_25lookback_scan_determinismE0ES3_S7_PKsNS0_17constant_iteratorIjlEEPsPlSF_S6_NS0_8equal_toIsEEEE10hipError_tPvRmT2_T3_mT4_T5_T6_T7_T8_P12ihipStream_tbENKUlT_T0_E_clISt17integral_constantIbLb0EESZ_EEDaSU_SV_EUlSU_E_NS1_11comp_targetILNS1_3genE3ELNS1_11target_archE908ELNS1_3gpuE7ELNS1_3repE0EEENS1_30default_config_static_selectorELNS0_4arch9wavefront6targetE0EEEvT1_,comdat
.Lfunc_end583:
	.size	_ZN7rocprim17ROCPRIM_400000_NS6detail17trampoline_kernelINS0_14default_configENS1_33run_length_encode_config_selectorIsjNS0_4plusIjEEEEZZNS1_33reduce_by_key_impl_wrapped_configILNS1_25lookback_scan_determinismE0ES3_S7_PKsNS0_17constant_iteratorIjlEEPsPlSF_S6_NS0_8equal_toIsEEEE10hipError_tPvRmT2_T3_mT4_T5_T6_T7_T8_P12ihipStream_tbENKUlT_T0_E_clISt17integral_constantIbLb0EESZ_EEDaSU_SV_EUlSU_E_NS1_11comp_targetILNS1_3genE3ELNS1_11target_archE908ELNS1_3gpuE7ELNS1_3repE0EEENS1_30default_config_static_selectorELNS0_4arch9wavefront6targetE0EEEvT1_, .Lfunc_end583-_ZN7rocprim17ROCPRIM_400000_NS6detail17trampoline_kernelINS0_14default_configENS1_33run_length_encode_config_selectorIsjNS0_4plusIjEEEEZZNS1_33reduce_by_key_impl_wrapped_configILNS1_25lookback_scan_determinismE0ES3_S7_PKsNS0_17constant_iteratorIjlEEPsPlSF_S6_NS0_8equal_toIsEEEE10hipError_tPvRmT2_T3_mT4_T5_T6_T7_T8_P12ihipStream_tbENKUlT_T0_E_clISt17integral_constantIbLb0EESZ_EEDaSU_SV_EUlSU_E_NS1_11comp_targetILNS1_3genE3ELNS1_11target_archE908ELNS1_3gpuE7ELNS1_3repE0EEENS1_30default_config_static_selectorELNS0_4arch9wavefront6targetE0EEEvT1_
                                        ; -- End function
	.set _ZN7rocprim17ROCPRIM_400000_NS6detail17trampoline_kernelINS0_14default_configENS1_33run_length_encode_config_selectorIsjNS0_4plusIjEEEEZZNS1_33reduce_by_key_impl_wrapped_configILNS1_25lookback_scan_determinismE0ES3_S7_PKsNS0_17constant_iteratorIjlEEPsPlSF_S6_NS0_8equal_toIsEEEE10hipError_tPvRmT2_T3_mT4_T5_T6_T7_T8_P12ihipStream_tbENKUlT_T0_E_clISt17integral_constantIbLb0EESZ_EEDaSU_SV_EUlSU_E_NS1_11comp_targetILNS1_3genE3ELNS1_11target_archE908ELNS1_3gpuE7ELNS1_3repE0EEENS1_30default_config_static_selectorELNS0_4arch9wavefront6targetE0EEEvT1_.num_vgpr, 0
	.set _ZN7rocprim17ROCPRIM_400000_NS6detail17trampoline_kernelINS0_14default_configENS1_33run_length_encode_config_selectorIsjNS0_4plusIjEEEEZZNS1_33reduce_by_key_impl_wrapped_configILNS1_25lookback_scan_determinismE0ES3_S7_PKsNS0_17constant_iteratorIjlEEPsPlSF_S6_NS0_8equal_toIsEEEE10hipError_tPvRmT2_T3_mT4_T5_T6_T7_T8_P12ihipStream_tbENKUlT_T0_E_clISt17integral_constantIbLb0EESZ_EEDaSU_SV_EUlSU_E_NS1_11comp_targetILNS1_3genE3ELNS1_11target_archE908ELNS1_3gpuE7ELNS1_3repE0EEENS1_30default_config_static_selectorELNS0_4arch9wavefront6targetE0EEEvT1_.num_agpr, 0
	.set _ZN7rocprim17ROCPRIM_400000_NS6detail17trampoline_kernelINS0_14default_configENS1_33run_length_encode_config_selectorIsjNS0_4plusIjEEEEZZNS1_33reduce_by_key_impl_wrapped_configILNS1_25lookback_scan_determinismE0ES3_S7_PKsNS0_17constant_iteratorIjlEEPsPlSF_S6_NS0_8equal_toIsEEEE10hipError_tPvRmT2_T3_mT4_T5_T6_T7_T8_P12ihipStream_tbENKUlT_T0_E_clISt17integral_constantIbLb0EESZ_EEDaSU_SV_EUlSU_E_NS1_11comp_targetILNS1_3genE3ELNS1_11target_archE908ELNS1_3gpuE7ELNS1_3repE0EEENS1_30default_config_static_selectorELNS0_4arch9wavefront6targetE0EEEvT1_.numbered_sgpr, 0
	.set _ZN7rocprim17ROCPRIM_400000_NS6detail17trampoline_kernelINS0_14default_configENS1_33run_length_encode_config_selectorIsjNS0_4plusIjEEEEZZNS1_33reduce_by_key_impl_wrapped_configILNS1_25lookback_scan_determinismE0ES3_S7_PKsNS0_17constant_iteratorIjlEEPsPlSF_S6_NS0_8equal_toIsEEEE10hipError_tPvRmT2_T3_mT4_T5_T6_T7_T8_P12ihipStream_tbENKUlT_T0_E_clISt17integral_constantIbLb0EESZ_EEDaSU_SV_EUlSU_E_NS1_11comp_targetILNS1_3genE3ELNS1_11target_archE908ELNS1_3gpuE7ELNS1_3repE0EEENS1_30default_config_static_selectorELNS0_4arch9wavefront6targetE0EEEvT1_.num_named_barrier, 0
	.set _ZN7rocprim17ROCPRIM_400000_NS6detail17trampoline_kernelINS0_14default_configENS1_33run_length_encode_config_selectorIsjNS0_4plusIjEEEEZZNS1_33reduce_by_key_impl_wrapped_configILNS1_25lookback_scan_determinismE0ES3_S7_PKsNS0_17constant_iteratorIjlEEPsPlSF_S6_NS0_8equal_toIsEEEE10hipError_tPvRmT2_T3_mT4_T5_T6_T7_T8_P12ihipStream_tbENKUlT_T0_E_clISt17integral_constantIbLb0EESZ_EEDaSU_SV_EUlSU_E_NS1_11comp_targetILNS1_3genE3ELNS1_11target_archE908ELNS1_3gpuE7ELNS1_3repE0EEENS1_30default_config_static_selectorELNS0_4arch9wavefront6targetE0EEEvT1_.private_seg_size, 0
	.set _ZN7rocprim17ROCPRIM_400000_NS6detail17trampoline_kernelINS0_14default_configENS1_33run_length_encode_config_selectorIsjNS0_4plusIjEEEEZZNS1_33reduce_by_key_impl_wrapped_configILNS1_25lookback_scan_determinismE0ES3_S7_PKsNS0_17constant_iteratorIjlEEPsPlSF_S6_NS0_8equal_toIsEEEE10hipError_tPvRmT2_T3_mT4_T5_T6_T7_T8_P12ihipStream_tbENKUlT_T0_E_clISt17integral_constantIbLb0EESZ_EEDaSU_SV_EUlSU_E_NS1_11comp_targetILNS1_3genE3ELNS1_11target_archE908ELNS1_3gpuE7ELNS1_3repE0EEENS1_30default_config_static_selectorELNS0_4arch9wavefront6targetE0EEEvT1_.uses_vcc, 0
	.set _ZN7rocprim17ROCPRIM_400000_NS6detail17trampoline_kernelINS0_14default_configENS1_33run_length_encode_config_selectorIsjNS0_4plusIjEEEEZZNS1_33reduce_by_key_impl_wrapped_configILNS1_25lookback_scan_determinismE0ES3_S7_PKsNS0_17constant_iteratorIjlEEPsPlSF_S6_NS0_8equal_toIsEEEE10hipError_tPvRmT2_T3_mT4_T5_T6_T7_T8_P12ihipStream_tbENKUlT_T0_E_clISt17integral_constantIbLb0EESZ_EEDaSU_SV_EUlSU_E_NS1_11comp_targetILNS1_3genE3ELNS1_11target_archE908ELNS1_3gpuE7ELNS1_3repE0EEENS1_30default_config_static_selectorELNS0_4arch9wavefront6targetE0EEEvT1_.uses_flat_scratch, 0
	.set _ZN7rocprim17ROCPRIM_400000_NS6detail17trampoline_kernelINS0_14default_configENS1_33run_length_encode_config_selectorIsjNS0_4plusIjEEEEZZNS1_33reduce_by_key_impl_wrapped_configILNS1_25lookback_scan_determinismE0ES3_S7_PKsNS0_17constant_iteratorIjlEEPsPlSF_S6_NS0_8equal_toIsEEEE10hipError_tPvRmT2_T3_mT4_T5_T6_T7_T8_P12ihipStream_tbENKUlT_T0_E_clISt17integral_constantIbLb0EESZ_EEDaSU_SV_EUlSU_E_NS1_11comp_targetILNS1_3genE3ELNS1_11target_archE908ELNS1_3gpuE7ELNS1_3repE0EEENS1_30default_config_static_selectorELNS0_4arch9wavefront6targetE0EEEvT1_.has_dyn_sized_stack, 0
	.set _ZN7rocprim17ROCPRIM_400000_NS6detail17trampoline_kernelINS0_14default_configENS1_33run_length_encode_config_selectorIsjNS0_4plusIjEEEEZZNS1_33reduce_by_key_impl_wrapped_configILNS1_25lookback_scan_determinismE0ES3_S7_PKsNS0_17constant_iteratorIjlEEPsPlSF_S6_NS0_8equal_toIsEEEE10hipError_tPvRmT2_T3_mT4_T5_T6_T7_T8_P12ihipStream_tbENKUlT_T0_E_clISt17integral_constantIbLb0EESZ_EEDaSU_SV_EUlSU_E_NS1_11comp_targetILNS1_3genE3ELNS1_11target_archE908ELNS1_3gpuE7ELNS1_3repE0EEENS1_30default_config_static_selectorELNS0_4arch9wavefront6targetE0EEEvT1_.has_recursion, 0
	.set _ZN7rocprim17ROCPRIM_400000_NS6detail17trampoline_kernelINS0_14default_configENS1_33run_length_encode_config_selectorIsjNS0_4plusIjEEEEZZNS1_33reduce_by_key_impl_wrapped_configILNS1_25lookback_scan_determinismE0ES3_S7_PKsNS0_17constant_iteratorIjlEEPsPlSF_S6_NS0_8equal_toIsEEEE10hipError_tPvRmT2_T3_mT4_T5_T6_T7_T8_P12ihipStream_tbENKUlT_T0_E_clISt17integral_constantIbLb0EESZ_EEDaSU_SV_EUlSU_E_NS1_11comp_targetILNS1_3genE3ELNS1_11target_archE908ELNS1_3gpuE7ELNS1_3repE0EEENS1_30default_config_static_selectorELNS0_4arch9wavefront6targetE0EEEvT1_.has_indirect_call, 0
	.section	.AMDGPU.csdata,"",@progbits
; Kernel info:
; codeLenInByte = 0
; TotalNumSgprs: 0
; NumVgprs: 0
; ScratchSize: 0
; MemoryBound: 0
; FloatMode: 240
; IeeeMode: 1
; LDSByteSize: 0 bytes/workgroup (compile time only)
; SGPRBlocks: 0
; VGPRBlocks: 0
; NumSGPRsForWavesPerEU: 1
; NumVGPRsForWavesPerEU: 1
; NamedBarCnt: 0
; Occupancy: 16
; WaveLimiterHint : 0
; COMPUTE_PGM_RSRC2:SCRATCH_EN: 0
; COMPUTE_PGM_RSRC2:USER_SGPR: 2
; COMPUTE_PGM_RSRC2:TRAP_HANDLER: 0
; COMPUTE_PGM_RSRC2:TGID_X_EN: 1
; COMPUTE_PGM_RSRC2:TGID_Y_EN: 0
; COMPUTE_PGM_RSRC2:TGID_Z_EN: 0
; COMPUTE_PGM_RSRC2:TIDIG_COMP_CNT: 0
	.section	.text._ZN7rocprim17ROCPRIM_400000_NS6detail17trampoline_kernelINS0_14default_configENS1_33run_length_encode_config_selectorIsjNS0_4plusIjEEEEZZNS1_33reduce_by_key_impl_wrapped_configILNS1_25lookback_scan_determinismE0ES3_S7_PKsNS0_17constant_iteratorIjlEEPsPlSF_S6_NS0_8equal_toIsEEEE10hipError_tPvRmT2_T3_mT4_T5_T6_T7_T8_P12ihipStream_tbENKUlT_T0_E_clISt17integral_constantIbLb0EESZ_EEDaSU_SV_EUlSU_E_NS1_11comp_targetILNS1_3genE2ELNS1_11target_archE906ELNS1_3gpuE6ELNS1_3repE0EEENS1_30default_config_static_selectorELNS0_4arch9wavefront6targetE0EEEvT1_,"axG",@progbits,_ZN7rocprim17ROCPRIM_400000_NS6detail17trampoline_kernelINS0_14default_configENS1_33run_length_encode_config_selectorIsjNS0_4plusIjEEEEZZNS1_33reduce_by_key_impl_wrapped_configILNS1_25lookback_scan_determinismE0ES3_S7_PKsNS0_17constant_iteratorIjlEEPsPlSF_S6_NS0_8equal_toIsEEEE10hipError_tPvRmT2_T3_mT4_T5_T6_T7_T8_P12ihipStream_tbENKUlT_T0_E_clISt17integral_constantIbLb0EESZ_EEDaSU_SV_EUlSU_E_NS1_11comp_targetILNS1_3genE2ELNS1_11target_archE906ELNS1_3gpuE6ELNS1_3repE0EEENS1_30default_config_static_selectorELNS0_4arch9wavefront6targetE0EEEvT1_,comdat
	.protected	_ZN7rocprim17ROCPRIM_400000_NS6detail17trampoline_kernelINS0_14default_configENS1_33run_length_encode_config_selectorIsjNS0_4plusIjEEEEZZNS1_33reduce_by_key_impl_wrapped_configILNS1_25lookback_scan_determinismE0ES3_S7_PKsNS0_17constant_iteratorIjlEEPsPlSF_S6_NS0_8equal_toIsEEEE10hipError_tPvRmT2_T3_mT4_T5_T6_T7_T8_P12ihipStream_tbENKUlT_T0_E_clISt17integral_constantIbLb0EESZ_EEDaSU_SV_EUlSU_E_NS1_11comp_targetILNS1_3genE2ELNS1_11target_archE906ELNS1_3gpuE6ELNS1_3repE0EEENS1_30default_config_static_selectorELNS0_4arch9wavefront6targetE0EEEvT1_ ; -- Begin function _ZN7rocprim17ROCPRIM_400000_NS6detail17trampoline_kernelINS0_14default_configENS1_33run_length_encode_config_selectorIsjNS0_4plusIjEEEEZZNS1_33reduce_by_key_impl_wrapped_configILNS1_25lookback_scan_determinismE0ES3_S7_PKsNS0_17constant_iteratorIjlEEPsPlSF_S6_NS0_8equal_toIsEEEE10hipError_tPvRmT2_T3_mT4_T5_T6_T7_T8_P12ihipStream_tbENKUlT_T0_E_clISt17integral_constantIbLb0EESZ_EEDaSU_SV_EUlSU_E_NS1_11comp_targetILNS1_3genE2ELNS1_11target_archE906ELNS1_3gpuE6ELNS1_3repE0EEENS1_30default_config_static_selectorELNS0_4arch9wavefront6targetE0EEEvT1_
	.globl	_ZN7rocprim17ROCPRIM_400000_NS6detail17trampoline_kernelINS0_14default_configENS1_33run_length_encode_config_selectorIsjNS0_4plusIjEEEEZZNS1_33reduce_by_key_impl_wrapped_configILNS1_25lookback_scan_determinismE0ES3_S7_PKsNS0_17constant_iteratorIjlEEPsPlSF_S6_NS0_8equal_toIsEEEE10hipError_tPvRmT2_T3_mT4_T5_T6_T7_T8_P12ihipStream_tbENKUlT_T0_E_clISt17integral_constantIbLb0EESZ_EEDaSU_SV_EUlSU_E_NS1_11comp_targetILNS1_3genE2ELNS1_11target_archE906ELNS1_3gpuE6ELNS1_3repE0EEENS1_30default_config_static_selectorELNS0_4arch9wavefront6targetE0EEEvT1_
	.p2align	8
	.type	_ZN7rocprim17ROCPRIM_400000_NS6detail17trampoline_kernelINS0_14default_configENS1_33run_length_encode_config_selectorIsjNS0_4plusIjEEEEZZNS1_33reduce_by_key_impl_wrapped_configILNS1_25lookback_scan_determinismE0ES3_S7_PKsNS0_17constant_iteratorIjlEEPsPlSF_S6_NS0_8equal_toIsEEEE10hipError_tPvRmT2_T3_mT4_T5_T6_T7_T8_P12ihipStream_tbENKUlT_T0_E_clISt17integral_constantIbLb0EESZ_EEDaSU_SV_EUlSU_E_NS1_11comp_targetILNS1_3genE2ELNS1_11target_archE906ELNS1_3gpuE6ELNS1_3repE0EEENS1_30default_config_static_selectorELNS0_4arch9wavefront6targetE0EEEvT1_,@function
_ZN7rocprim17ROCPRIM_400000_NS6detail17trampoline_kernelINS0_14default_configENS1_33run_length_encode_config_selectorIsjNS0_4plusIjEEEEZZNS1_33reduce_by_key_impl_wrapped_configILNS1_25lookback_scan_determinismE0ES3_S7_PKsNS0_17constant_iteratorIjlEEPsPlSF_S6_NS0_8equal_toIsEEEE10hipError_tPvRmT2_T3_mT4_T5_T6_T7_T8_P12ihipStream_tbENKUlT_T0_E_clISt17integral_constantIbLb0EESZ_EEDaSU_SV_EUlSU_E_NS1_11comp_targetILNS1_3genE2ELNS1_11target_archE906ELNS1_3gpuE6ELNS1_3repE0EEENS1_30default_config_static_selectorELNS0_4arch9wavefront6targetE0EEEvT1_: ; @_ZN7rocprim17ROCPRIM_400000_NS6detail17trampoline_kernelINS0_14default_configENS1_33run_length_encode_config_selectorIsjNS0_4plusIjEEEEZZNS1_33reduce_by_key_impl_wrapped_configILNS1_25lookback_scan_determinismE0ES3_S7_PKsNS0_17constant_iteratorIjlEEPsPlSF_S6_NS0_8equal_toIsEEEE10hipError_tPvRmT2_T3_mT4_T5_T6_T7_T8_P12ihipStream_tbENKUlT_T0_E_clISt17integral_constantIbLb0EESZ_EEDaSU_SV_EUlSU_E_NS1_11comp_targetILNS1_3genE2ELNS1_11target_archE906ELNS1_3gpuE6ELNS1_3repE0EEENS1_30default_config_static_selectorELNS0_4arch9wavefront6targetE0EEEvT1_
; %bb.0:
	.section	.rodata,"a",@progbits
	.p2align	6, 0x0
	.amdhsa_kernel _ZN7rocprim17ROCPRIM_400000_NS6detail17trampoline_kernelINS0_14default_configENS1_33run_length_encode_config_selectorIsjNS0_4plusIjEEEEZZNS1_33reduce_by_key_impl_wrapped_configILNS1_25lookback_scan_determinismE0ES3_S7_PKsNS0_17constant_iteratorIjlEEPsPlSF_S6_NS0_8equal_toIsEEEE10hipError_tPvRmT2_T3_mT4_T5_T6_T7_T8_P12ihipStream_tbENKUlT_T0_E_clISt17integral_constantIbLb0EESZ_EEDaSU_SV_EUlSU_E_NS1_11comp_targetILNS1_3genE2ELNS1_11target_archE906ELNS1_3gpuE6ELNS1_3repE0EEENS1_30default_config_static_selectorELNS0_4arch9wavefront6targetE0EEEvT1_
		.amdhsa_group_segment_fixed_size 0
		.amdhsa_private_segment_fixed_size 0
		.amdhsa_kernarg_size 128
		.amdhsa_user_sgpr_count 2
		.amdhsa_user_sgpr_dispatch_ptr 0
		.amdhsa_user_sgpr_queue_ptr 0
		.amdhsa_user_sgpr_kernarg_segment_ptr 1
		.amdhsa_user_sgpr_dispatch_id 0
		.amdhsa_user_sgpr_kernarg_preload_length 0
		.amdhsa_user_sgpr_kernarg_preload_offset 0
		.amdhsa_user_sgpr_private_segment_size 0
		.amdhsa_wavefront_size32 1
		.amdhsa_uses_dynamic_stack 0
		.amdhsa_enable_private_segment 0
		.amdhsa_system_sgpr_workgroup_id_x 1
		.amdhsa_system_sgpr_workgroup_id_y 0
		.amdhsa_system_sgpr_workgroup_id_z 0
		.amdhsa_system_sgpr_workgroup_info 0
		.amdhsa_system_vgpr_workitem_id 0
		.amdhsa_next_free_vgpr 1
		.amdhsa_next_free_sgpr 1
		.amdhsa_named_barrier_count 0
		.amdhsa_reserve_vcc 0
		.amdhsa_float_round_mode_32 0
		.amdhsa_float_round_mode_16_64 0
		.amdhsa_float_denorm_mode_32 3
		.amdhsa_float_denorm_mode_16_64 3
		.amdhsa_fp16_overflow 0
		.amdhsa_memory_ordered 1
		.amdhsa_forward_progress 1
		.amdhsa_inst_pref_size 0
		.amdhsa_round_robin_scheduling 0
		.amdhsa_exception_fp_ieee_invalid_op 0
		.amdhsa_exception_fp_denorm_src 0
		.amdhsa_exception_fp_ieee_div_zero 0
		.amdhsa_exception_fp_ieee_overflow 0
		.amdhsa_exception_fp_ieee_underflow 0
		.amdhsa_exception_fp_ieee_inexact 0
		.amdhsa_exception_int_div_zero 0
	.end_amdhsa_kernel
	.section	.text._ZN7rocprim17ROCPRIM_400000_NS6detail17trampoline_kernelINS0_14default_configENS1_33run_length_encode_config_selectorIsjNS0_4plusIjEEEEZZNS1_33reduce_by_key_impl_wrapped_configILNS1_25lookback_scan_determinismE0ES3_S7_PKsNS0_17constant_iteratorIjlEEPsPlSF_S6_NS0_8equal_toIsEEEE10hipError_tPvRmT2_T3_mT4_T5_T6_T7_T8_P12ihipStream_tbENKUlT_T0_E_clISt17integral_constantIbLb0EESZ_EEDaSU_SV_EUlSU_E_NS1_11comp_targetILNS1_3genE2ELNS1_11target_archE906ELNS1_3gpuE6ELNS1_3repE0EEENS1_30default_config_static_selectorELNS0_4arch9wavefront6targetE0EEEvT1_,"axG",@progbits,_ZN7rocprim17ROCPRIM_400000_NS6detail17trampoline_kernelINS0_14default_configENS1_33run_length_encode_config_selectorIsjNS0_4plusIjEEEEZZNS1_33reduce_by_key_impl_wrapped_configILNS1_25lookback_scan_determinismE0ES3_S7_PKsNS0_17constant_iteratorIjlEEPsPlSF_S6_NS0_8equal_toIsEEEE10hipError_tPvRmT2_T3_mT4_T5_T6_T7_T8_P12ihipStream_tbENKUlT_T0_E_clISt17integral_constantIbLb0EESZ_EEDaSU_SV_EUlSU_E_NS1_11comp_targetILNS1_3genE2ELNS1_11target_archE906ELNS1_3gpuE6ELNS1_3repE0EEENS1_30default_config_static_selectorELNS0_4arch9wavefront6targetE0EEEvT1_,comdat
.Lfunc_end584:
	.size	_ZN7rocprim17ROCPRIM_400000_NS6detail17trampoline_kernelINS0_14default_configENS1_33run_length_encode_config_selectorIsjNS0_4plusIjEEEEZZNS1_33reduce_by_key_impl_wrapped_configILNS1_25lookback_scan_determinismE0ES3_S7_PKsNS0_17constant_iteratorIjlEEPsPlSF_S6_NS0_8equal_toIsEEEE10hipError_tPvRmT2_T3_mT4_T5_T6_T7_T8_P12ihipStream_tbENKUlT_T0_E_clISt17integral_constantIbLb0EESZ_EEDaSU_SV_EUlSU_E_NS1_11comp_targetILNS1_3genE2ELNS1_11target_archE906ELNS1_3gpuE6ELNS1_3repE0EEENS1_30default_config_static_selectorELNS0_4arch9wavefront6targetE0EEEvT1_, .Lfunc_end584-_ZN7rocprim17ROCPRIM_400000_NS6detail17trampoline_kernelINS0_14default_configENS1_33run_length_encode_config_selectorIsjNS0_4plusIjEEEEZZNS1_33reduce_by_key_impl_wrapped_configILNS1_25lookback_scan_determinismE0ES3_S7_PKsNS0_17constant_iteratorIjlEEPsPlSF_S6_NS0_8equal_toIsEEEE10hipError_tPvRmT2_T3_mT4_T5_T6_T7_T8_P12ihipStream_tbENKUlT_T0_E_clISt17integral_constantIbLb0EESZ_EEDaSU_SV_EUlSU_E_NS1_11comp_targetILNS1_3genE2ELNS1_11target_archE906ELNS1_3gpuE6ELNS1_3repE0EEENS1_30default_config_static_selectorELNS0_4arch9wavefront6targetE0EEEvT1_
                                        ; -- End function
	.set _ZN7rocprim17ROCPRIM_400000_NS6detail17trampoline_kernelINS0_14default_configENS1_33run_length_encode_config_selectorIsjNS0_4plusIjEEEEZZNS1_33reduce_by_key_impl_wrapped_configILNS1_25lookback_scan_determinismE0ES3_S7_PKsNS0_17constant_iteratorIjlEEPsPlSF_S6_NS0_8equal_toIsEEEE10hipError_tPvRmT2_T3_mT4_T5_T6_T7_T8_P12ihipStream_tbENKUlT_T0_E_clISt17integral_constantIbLb0EESZ_EEDaSU_SV_EUlSU_E_NS1_11comp_targetILNS1_3genE2ELNS1_11target_archE906ELNS1_3gpuE6ELNS1_3repE0EEENS1_30default_config_static_selectorELNS0_4arch9wavefront6targetE0EEEvT1_.num_vgpr, 0
	.set _ZN7rocprim17ROCPRIM_400000_NS6detail17trampoline_kernelINS0_14default_configENS1_33run_length_encode_config_selectorIsjNS0_4plusIjEEEEZZNS1_33reduce_by_key_impl_wrapped_configILNS1_25lookback_scan_determinismE0ES3_S7_PKsNS0_17constant_iteratorIjlEEPsPlSF_S6_NS0_8equal_toIsEEEE10hipError_tPvRmT2_T3_mT4_T5_T6_T7_T8_P12ihipStream_tbENKUlT_T0_E_clISt17integral_constantIbLb0EESZ_EEDaSU_SV_EUlSU_E_NS1_11comp_targetILNS1_3genE2ELNS1_11target_archE906ELNS1_3gpuE6ELNS1_3repE0EEENS1_30default_config_static_selectorELNS0_4arch9wavefront6targetE0EEEvT1_.num_agpr, 0
	.set _ZN7rocprim17ROCPRIM_400000_NS6detail17trampoline_kernelINS0_14default_configENS1_33run_length_encode_config_selectorIsjNS0_4plusIjEEEEZZNS1_33reduce_by_key_impl_wrapped_configILNS1_25lookback_scan_determinismE0ES3_S7_PKsNS0_17constant_iteratorIjlEEPsPlSF_S6_NS0_8equal_toIsEEEE10hipError_tPvRmT2_T3_mT4_T5_T6_T7_T8_P12ihipStream_tbENKUlT_T0_E_clISt17integral_constantIbLb0EESZ_EEDaSU_SV_EUlSU_E_NS1_11comp_targetILNS1_3genE2ELNS1_11target_archE906ELNS1_3gpuE6ELNS1_3repE0EEENS1_30default_config_static_selectorELNS0_4arch9wavefront6targetE0EEEvT1_.numbered_sgpr, 0
	.set _ZN7rocprim17ROCPRIM_400000_NS6detail17trampoline_kernelINS0_14default_configENS1_33run_length_encode_config_selectorIsjNS0_4plusIjEEEEZZNS1_33reduce_by_key_impl_wrapped_configILNS1_25lookback_scan_determinismE0ES3_S7_PKsNS0_17constant_iteratorIjlEEPsPlSF_S6_NS0_8equal_toIsEEEE10hipError_tPvRmT2_T3_mT4_T5_T6_T7_T8_P12ihipStream_tbENKUlT_T0_E_clISt17integral_constantIbLb0EESZ_EEDaSU_SV_EUlSU_E_NS1_11comp_targetILNS1_3genE2ELNS1_11target_archE906ELNS1_3gpuE6ELNS1_3repE0EEENS1_30default_config_static_selectorELNS0_4arch9wavefront6targetE0EEEvT1_.num_named_barrier, 0
	.set _ZN7rocprim17ROCPRIM_400000_NS6detail17trampoline_kernelINS0_14default_configENS1_33run_length_encode_config_selectorIsjNS0_4plusIjEEEEZZNS1_33reduce_by_key_impl_wrapped_configILNS1_25lookback_scan_determinismE0ES3_S7_PKsNS0_17constant_iteratorIjlEEPsPlSF_S6_NS0_8equal_toIsEEEE10hipError_tPvRmT2_T3_mT4_T5_T6_T7_T8_P12ihipStream_tbENKUlT_T0_E_clISt17integral_constantIbLb0EESZ_EEDaSU_SV_EUlSU_E_NS1_11comp_targetILNS1_3genE2ELNS1_11target_archE906ELNS1_3gpuE6ELNS1_3repE0EEENS1_30default_config_static_selectorELNS0_4arch9wavefront6targetE0EEEvT1_.private_seg_size, 0
	.set _ZN7rocprim17ROCPRIM_400000_NS6detail17trampoline_kernelINS0_14default_configENS1_33run_length_encode_config_selectorIsjNS0_4plusIjEEEEZZNS1_33reduce_by_key_impl_wrapped_configILNS1_25lookback_scan_determinismE0ES3_S7_PKsNS0_17constant_iteratorIjlEEPsPlSF_S6_NS0_8equal_toIsEEEE10hipError_tPvRmT2_T3_mT4_T5_T6_T7_T8_P12ihipStream_tbENKUlT_T0_E_clISt17integral_constantIbLb0EESZ_EEDaSU_SV_EUlSU_E_NS1_11comp_targetILNS1_3genE2ELNS1_11target_archE906ELNS1_3gpuE6ELNS1_3repE0EEENS1_30default_config_static_selectorELNS0_4arch9wavefront6targetE0EEEvT1_.uses_vcc, 0
	.set _ZN7rocprim17ROCPRIM_400000_NS6detail17trampoline_kernelINS0_14default_configENS1_33run_length_encode_config_selectorIsjNS0_4plusIjEEEEZZNS1_33reduce_by_key_impl_wrapped_configILNS1_25lookback_scan_determinismE0ES3_S7_PKsNS0_17constant_iteratorIjlEEPsPlSF_S6_NS0_8equal_toIsEEEE10hipError_tPvRmT2_T3_mT4_T5_T6_T7_T8_P12ihipStream_tbENKUlT_T0_E_clISt17integral_constantIbLb0EESZ_EEDaSU_SV_EUlSU_E_NS1_11comp_targetILNS1_3genE2ELNS1_11target_archE906ELNS1_3gpuE6ELNS1_3repE0EEENS1_30default_config_static_selectorELNS0_4arch9wavefront6targetE0EEEvT1_.uses_flat_scratch, 0
	.set _ZN7rocprim17ROCPRIM_400000_NS6detail17trampoline_kernelINS0_14default_configENS1_33run_length_encode_config_selectorIsjNS0_4plusIjEEEEZZNS1_33reduce_by_key_impl_wrapped_configILNS1_25lookback_scan_determinismE0ES3_S7_PKsNS0_17constant_iteratorIjlEEPsPlSF_S6_NS0_8equal_toIsEEEE10hipError_tPvRmT2_T3_mT4_T5_T6_T7_T8_P12ihipStream_tbENKUlT_T0_E_clISt17integral_constantIbLb0EESZ_EEDaSU_SV_EUlSU_E_NS1_11comp_targetILNS1_3genE2ELNS1_11target_archE906ELNS1_3gpuE6ELNS1_3repE0EEENS1_30default_config_static_selectorELNS0_4arch9wavefront6targetE0EEEvT1_.has_dyn_sized_stack, 0
	.set _ZN7rocprim17ROCPRIM_400000_NS6detail17trampoline_kernelINS0_14default_configENS1_33run_length_encode_config_selectorIsjNS0_4plusIjEEEEZZNS1_33reduce_by_key_impl_wrapped_configILNS1_25lookback_scan_determinismE0ES3_S7_PKsNS0_17constant_iteratorIjlEEPsPlSF_S6_NS0_8equal_toIsEEEE10hipError_tPvRmT2_T3_mT4_T5_T6_T7_T8_P12ihipStream_tbENKUlT_T0_E_clISt17integral_constantIbLb0EESZ_EEDaSU_SV_EUlSU_E_NS1_11comp_targetILNS1_3genE2ELNS1_11target_archE906ELNS1_3gpuE6ELNS1_3repE0EEENS1_30default_config_static_selectorELNS0_4arch9wavefront6targetE0EEEvT1_.has_recursion, 0
	.set _ZN7rocprim17ROCPRIM_400000_NS6detail17trampoline_kernelINS0_14default_configENS1_33run_length_encode_config_selectorIsjNS0_4plusIjEEEEZZNS1_33reduce_by_key_impl_wrapped_configILNS1_25lookback_scan_determinismE0ES3_S7_PKsNS0_17constant_iteratorIjlEEPsPlSF_S6_NS0_8equal_toIsEEEE10hipError_tPvRmT2_T3_mT4_T5_T6_T7_T8_P12ihipStream_tbENKUlT_T0_E_clISt17integral_constantIbLb0EESZ_EEDaSU_SV_EUlSU_E_NS1_11comp_targetILNS1_3genE2ELNS1_11target_archE906ELNS1_3gpuE6ELNS1_3repE0EEENS1_30default_config_static_selectorELNS0_4arch9wavefront6targetE0EEEvT1_.has_indirect_call, 0
	.section	.AMDGPU.csdata,"",@progbits
; Kernel info:
; codeLenInByte = 0
; TotalNumSgprs: 0
; NumVgprs: 0
; ScratchSize: 0
; MemoryBound: 0
; FloatMode: 240
; IeeeMode: 1
; LDSByteSize: 0 bytes/workgroup (compile time only)
; SGPRBlocks: 0
; VGPRBlocks: 0
; NumSGPRsForWavesPerEU: 1
; NumVGPRsForWavesPerEU: 1
; NamedBarCnt: 0
; Occupancy: 16
; WaveLimiterHint : 0
; COMPUTE_PGM_RSRC2:SCRATCH_EN: 0
; COMPUTE_PGM_RSRC2:USER_SGPR: 2
; COMPUTE_PGM_RSRC2:TRAP_HANDLER: 0
; COMPUTE_PGM_RSRC2:TGID_X_EN: 1
; COMPUTE_PGM_RSRC2:TGID_Y_EN: 0
; COMPUTE_PGM_RSRC2:TGID_Z_EN: 0
; COMPUTE_PGM_RSRC2:TIDIG_COMP_CNT: 0
	.section	.text._ZN7rocprim17ROCPRIM_400000_NS6detail17trampoline_kernelINS0_14default_configENS1_33run_length_encode_config_selectorIsjNS0_4plusIjEEEEZZNS1_33reduce_by_key_impl_wrapped_configILNS1_25lookback_scan_determinismE0ES3_S7_PKsNS0_17constant_iteratorIjlEEPsPlSF_S6_NS0_8equal_toIsEEEE10hipError_tPvRmT2_T3_mT4_T5_T6_T7_T8_P12ihipStream_tbENKUlT_T0_E_clISt17integral_constantIbLb0EESZ_EEDaSU_SV_EUlSU_E_NS1_11comp_targetILNS1_3genE10ELNS1_11target_archE1201ELNS1_3gpuE5ELNS1_3repE0EEENS1_30default_config_static_selectorELNS0_4arch9wavefront6targetE0EEEvT1_,"axG",@progbits,_ZN7rocprim17ROCPRIM_400000_NS6detail17trampoline_kernelINS0_14default_configENS1_33run_length_encode_config_selectorIsjNS0_4plusIjEEEEZZNS1_33reduce_by_key_impl_wrapped_configILNS1_25lookback_scan_determinismE0ES3_S7_PKsNS0_17constant_iteratorIjlEEPsPlSF_S6_NS0_8equal_toIsEEEE10hipError_tPvRmT2_T3_mT4_T5_T6_T7_T8_P12ihipStream_tbENKUlT_T0_E_clISt17integral_constantIbLb0EESZ_EEDaSU_SV_EUlSU_E_NS1_11comp_targetILNS1_3genE10ELNS1_11target_archE1201ELNS1_3gpuE5ELNS1_3repE0EEENS1_30default_config_static_selectorELNS0_4arch9wavefront6targetE0EEEvT1_,comdat
	.protected	_ZN7rocprim17ROCPRIM_400000_NS6detail17trampoline_kernelINS0_14default_configENS1_33run_length_encode_config_selectorIsjNS0_4plusIjEEEEZZNS1_33reduce_by_key_impl_wrapped_configILNS1_25lookback_scan_determinismE0ES3_S7_PKsNS0_17constant_iteratorIjlEEPsPlSF_S6_NS0_8equal_toIsEEEE10hipError_tPvRmT2_T3_mT4_T5_T6_T7_T8_P12ihipStream_tbENKUlT_T0_E_clISt17integral_constantIbLb0EESZ_EEDaSU_SV_EUlSU_E_NS1_11comp_targetILNS1_3genE10ELNS1_11target_archE1201ELNS1_3gpuE5ELNS1_3repE0EEENS1_30default_config_static_selectorELNS0_4arch9wavefront6targetE0EEEvT1_ ; -- Begin function _ZN7rocprim17ROCPRIM_400000_NS6detail17trampoline_kernelINS0_14default_configENS1_33run_length_encode_config_selectorIsjNS0_4plusIjEEEEZZNS1_33reduce_by_key_impl_wrapped_configILNS1_25lookback_scan_determinismE0ES3_S7_PKsNS0_17constant_iteratorIjlEEPsPlSF_S6_NS0_8equal_toIsEEEE10hipError_tPvRmT2_T3_mT4_T5_T6_T7_T8_P12ihipStream_tbENKUlT_T0_E_clISt17integral_constantIbLb0EESZ_EEDaSU_SV_EUlSU_E_NS1_11comp_targetILNS1_3genE10ELNS1_11target_archE1201ELNS1_3gpuE5ELNS1_3repE0EEENS1_30default_config_static_selectorELNS0_4arch9wavefront6targetE0EEEvT1_
	.globl	_ZN7rocprim17ROCPRIM_400000_NS6detail17trampoline_kernelINS0_14default_configENS1_33run_length_encode_config_selectorIsjNS0_4plusIjEEEEZZNS1_33reduce_by_key_impl_wrapped_configILNS1_25lookback_scan_determinismE0ES3_S7_PKsNS0_17constant_iteratorIjlEEPsPlSF_S6_NS0_8equal_toIsEEEE10hipError_tPvRmT2_T3_mT4_T5_T6_T7_T8_P12ihipStream_tbENKUlT_T0_E_clISt17integral_constantIbLb0EESZ_EEDaSU_SV_EUlSU_E_NS1_11comp_targetILNS1_3genE10ELNS1_11target_archE1201ELNS1_3gpuE5ELNS1_3repE0EEENS1_30default_config_static_selectorELNS0_4arch9wavefront6targetE0EEEvT1_
	.p2align	8
	.type	_ZN7rocprim17ROCPRIM_400000_NS6detail17trampoline_kernelINS0_14default_configENS1_33run_length_encode_config_selectorIsjNS0_4plusIjEEEEZZNS1_33reduce_by_key_impl_wrapped_configILNS1_25lookback_scan_determinismE0ES3_S7_PKsNS0_17constant_iteratorIjlEEPsPlSF_S6_NS0_8equal_toIsEEEE10hipError_tPvRmT2_T3_mT4_T5_T6_T7_T8_P12ihipStream_tbENKUlT_T0_E_clISt17integral_constantIbLb0EESZ_EEDaSU_SV_EUlSU_E_NS1_11comp_targetILNS1_3genE10ELNS1_11target_archE1201ELNS1_3gpuE5ELNS1_3repE0EEENS1_30default_config_static_selectorELNS0_4arch9wavefront6targetE0EEEvT1_,@function
_ZN7rocprim17ROCPRIM_400000_NS6detail17trampoline_kernelINS0_14default_configENS1_33run_length_encode_config_selectorIsjNS0_4plusIjEEEEZZNS1_33reduce_by_key_impl_wrapped_configILNS1_25lookback_scan_determinismE0ES3_S7_PKsNS0_17constant_iteratorIjlEEPsPlSF_S6_NS0_8equal_toIsEEEE10hipError_tPvRmT2_T3_mT4_T5_T6_T7_T8_P12ihipStream_tbENKUlT_T0_E_clISt17integral_constantIbLb0EESZ_EEDaSU_SV_EUlSU_E_NS1_11comp_targetILNS1_3genE10ELNS1_11target_archE1201ELNS1_3gpuE5ELNS1_3repE0EEENS1_30default_config_static_selectorELNS0_4arch9wavefront6targetE0EEEvT1_: ; @_ZN7rocprim17ROCPRIM_400000_NS6detail17trampoline_kernelINS0_14default_configENS1_33run_length_encode_config_selectorIsjNS0_4plusIjEEEEZZNS1_33reduce_by_key_impl_wrapped_configILNS1_25lookback_scan_determinismE0ES3_S7_PKsNS0_17constant_iteratorIjlEEPsPlSF_S6_NS0_8equal_toIsEEEE10hipError_tPvRmT2_T3_mT4_T5_T6_T7_T8_P12ihipStream_tbENKUlT_T0_E_clISt17integral_constantIbLb0EESZ_EEDaSU_SV_EUlSU_E_NS1_11comp_targetILNS1_3genE10ELNS1_11target_archE1201ELNS1_3gpuE5ELNS1_3repE0EEENS1_30default_config_static_selectorELNS0_4arch9wavefront6targetE0EEEvT1_
; %bb.0:
	.section	.rodata,"a",@progbits
	.p2align	6, 0x0
	.amdhsa_kernel _ZN7rocprim17ROCPRIM_400000_NS6detail17trampoline_kernelINS0_14default_configENS1_33run_length_encode_config_selectorIsjNS0_4plusIjEEEEZZNS1_33reduce_by_key_impl_wrapped_configILNS1_25lookback_scan_determinismE0ES3_S7_PKsNS0_17constant_iteratorIjlEEPsPlSF_S6_NS0_8equal_toIsEEEE10hipError_tPvRmT2_T3_mT4_T5_T6_T7_T8_P12ihipStream_tbENKUlT_T0_E_clISt17integral_constantIbLb0EESZ_EEDaSU_SV_EUlSU_E_NS1_11comp_targetILNS1_3genE10ELNS1_11target_archE1201ELNS1_3gpuE5ELNS1_3repE0EEENS1_30default_config_static_selectorELNS0_4arch9wavefront6targetE0EEEvT1_
		.amdhsa_group_segment_fixed_size 0
		.amdhsa_private_segment_fixed_size 0
		.amdhsa_kernarg_size 128
		.amdhsa_user_sgpr_count 2
		.amdhsa_user_sgpr_dispatch_ptr 0
		.amdhsa_user_sgpr_queue_ptr 0
		.amdhsa_user_sgpr_kernarg_segment_ptr 1
		.amdhsa_user_sgpr_dispatch_id 0
		.amdhsa_user_sgpr_kernarg_preload_length 0
		.amdhsa_user_sgpr_kernarg_preload_offset 0
		.amdhsa_user_sgpr_private_segment_size 0
		.amdhsa_wavefront_size32 1
		.amdhsa_uses_dynamic_stack 0
		.amdhsa_enable_private_segment 0
		.amdhsa_system_sgpr_workgroup_id_x 1
		.amdhsa_system_sgpr_workgroup_id_y 0
		.amdhsa_system_sgpr_workgroup_id_z 0
		.amdhsa_system_sgpr_workgroup_info 0
		.amdhsa_system_vgpr_workitem_id 0
		.amdhsa_next_free_vgpr 1
		.amdhsa_next_free_sgpr 1
		.amdhsa_named_barrier_count 0
		.amdhsa_reserve_vcc 0
		.amdhsa_float_round_mode_32 0
		.amdhsa_float_round_mode_16_64 0
		.amdhsa_float_denorm_mode_32 3
		.amdhsa_float_denorm_mode_16_64 3
		.amdhsa_fp16_overflow 0
		.amdhsa_memory_ordered 1
		.amdhsa_forward_progress 1
		.amdhsa_inst_pref_size 0
		.amdhsa_round_robin_scheduling 0
		.amdhsa_exception_fp_ieee_invalid_op 0
		.amdhsa_exception_fp_denorm_src 0
		.amdhsa_exception_fp_ieee_div_zero 0
		.amdhsa_exception_fp_ieee_overflow 0
		.amdhsa_exception_fp_ieee_underflow 0
		.amdhsa_exception_fp_ieee_inexact 0
		.amdhsa_exception_int_div_zero 0
	.end_amdhsa_kernel
	.section	.text._ZN7rocprim17ROCPRIM_400000_NS6detail17trampoline_kernelINS0_14default_configENS1_33run_length_encode_config_selectorIsjNS0_4plusIjEEEEZZNS1_33reduce_by_key_impl_wrapped_configILNS1_25lookback_scan_determinismE0ES3_S7_PKsNS0_17constant_iteratorIjlEEPsPlSF_S6_NS0_8equal_toIsEEEE10hipError_tPvRmT2_T3_mT4_T5_T6_T7_T8_P12ihipStream_tbENKUlT_T0_E_clISt17integral_constantIbLb0EESZ_EEDaSU_SV_EUlSU_E_NS1_11comp_targetILNS1_3genE10ELNS1_11target_archE1201ELNS1_3gpuE5ELNS1_3repE0EEENS1_30default_config_static_selectorELNS0_4arch9wavefront6targetE0EEEvT1_,"axG",@progbits,_ZN7rocprim17ROCPRIM_400000_NS6detail17trampoline_kernelINS0_14default_configENS1_33run_length_encode_config_selectorIsjNS0_4plusIjEEEEZZNS1_33reduce_by_key_impl_wrapped_configILNS1_25lookback_scan_determinismE0ES3_S7_PKsNS0_17constant_iteratorIjlEEPsPlSF_S6_NS0_8equal_toIsEEEE10hipError_tPvRmT2_T3_mT4_T5_T6_T7_T8_P12ihipStream_tbENKUlT_T0_E_clISt17integral_constantIbLb0EESZ_EEDaSU_SV_EUlSU_E_NS1_11comp_targetILNS1_3genE10ELNS1_11target_archE1201ELNS1_3gpuE5ELNS1_3repE0EEENS1_30default_config_static_selectorELNS0_4arch9wavefront6targetE0EEEvT1_,comdat
.Lfunc_end585:
	.size	_ZN7rocprim17ROCPRIM_400000_NS6detail17trampoline_kernelINS0_14default_configENS1_33run_length_encode_config_selectorIsjNS0_4plusIjEEEEZZNS1_33reduce_by_key_impl_wrapped_configILNS1_25lookback_scan_determinismE0ES3_S7_PKsNS0_17constant_iteratorIjlEEPsPlSF_S6_NS0_8equal_toIsEEEE10hipError_tPvRmT2_T3_mT4_T5_T6_T7_T8_P12ihipStream_tbENKUlT_T0_E_clISt17integral_constantIbLb0EESZ_EEDaSU_SV_EUlSU_E_NS1_11comp_targetILNS1_3genE10ELNS1_11target_archE1201ELNS1_3gpuE5ELNS1_3repE0EEENS1_30default_config_static_selectorELNS0_4arch9wavefront6targetE0EEEvT1_, .Lfunc_end585-_ZN7rocprim17ROCPRIM_400000_NS6detail17trampoline_kernelINS0_14default_configENS1_33run_length_encode_config_selectorIsjNS0_4plusIjEEEEZZNS1_33reduce_by_key_impl_wrapped_configILNS1_25lookback_scan_determinismE0ES3_S7_PKsNS0_17constant_iteratorIjlEEPsPlSF_S6_NS0_8equal_toIsEEEE10hipError_tPvRmT2_T3_mT4_T5_T6_T7_T8_P12ihipStream_tbENKUlT_T0_E_clISt17integral_constantIbLb0EESZ_EEDaSU_SV_EUlSU_E_NS1_11comp_targetILNS1_3genE10ELNS1_11target_archE1201ELNS1_3gpuE5ELNS1_3repE0EEENS1_30default_config_static_selectorELNS0_4arch9wavefront6targetE0EEEvT1_
                                        ; -- End function
	.set _ZN7rocprim17ROCPRIM_400000_NS6detail17trampoline_kernelINS0_14default_configENS1_33run_length_encode_config_selectorIsjNS0_4plusIjEEEEZZNS1_33reduce_by_key_impl_wrapped_configILNS1_25lookback_scan_determinismE0ES3_S7_PKsNS0_17constant_iteratorIjlEEPsPlSF_S6_NS0_8equal_toIsEEEE10hipError_tPvRmT2_T3_mT4_T5_T6_T7_T8_P12ihipStream_tbENKUlT_T0_E_clISt17integral_constantIbLb0EESZ_EEDaSU_SV_EUlSU_E_NS1_11comp_targetILNS1_3genE10ELNS1_11target_archE1201ELNS1_3gpuE5ELNS1_3repE0EEENS1_30default_config_static_selectorELNS0_4arch9wavefront6targetE0EEEvT1_.num_vgpr, 0
	.set _ZN7rocprim17ROCPRIM_400000_NS6detail17trampoline_kernelINS0_14default_configENS1_33run_length_encode_config_selectorIsjNS0_4plusIjEEEEZZNS1_33reduce_by_key_impl_wrapped_configILNS1_25lookback_scan_determinismE0ES3_S7_PKsNS0_17constant_iteratorIjlEEPsPlSF_S6_NS0_8equal_toIsEEEE10hipError_tPvRmT2_T3_mT4_T5_T6_T7_T8_P12ihipStream_tbENKUlT_T0_E_clISt17integral_constantIbLb0EESZ_EEDaSU_SV_EUlSU_E_NS1_11comp_targetILNS1_3genE10ELNS1_11target_archE1201ELNS1_3gpuE5ELNS1_3repE0EEENS1_30default_config_static_selectorELNS0_4arch9wavefront6targetE0EEEvT1_.num_agpr, 0
	.set _ZN7rocprim17ROCPRIM_400000_NS6detail17trampoline_kernelINS0_14default_configENS1_33run_length_encode_config_selectorIsjNS0_4plusIjEEEEZZNS1_33reduce_by_key_impl_wrapped_configILNS1_25lookback_scan_determinismE0ES3_S7_PKsNS0_17constant_iteratorIjlEEPsPlSF_S6_NS0_8equal_toIsEEEE10hipError_tPvRmT2_T3_mT4_T5_T6_T7_T8_P12ihipStream_tbENKUlT_T0_E_clISt17integral_constantIbLb0EESZ_EEDaSU_SV_EUlSU_E_NS1_11comp_targetILNS1_3genE10ELNS1_11target_archE1201ELNS1_3gpuE5ELNS1_3repE0EEENS1_30default_config_static_selectorELNS0_4arch9wavefront6targetE0EEEvT1_.numbered_sgpr, 0
	.set _ZN7rocprim17ROCPRIM_400000_NS6detail17trampoline_kernelINS0_14default_configENS1_33run_length_encode_config_selectorIsjNS0_4plusIjEEEEZZNS1_33reduce_by_key_impl_wrapped_configILNS1_25lookback_scan_determinismE0ES3_S7_PKsNS0_17constant_iteratorIjlEEPsPlSF_S6_NS0_8equal_toIsEEEE10hipError_tPvRmT2_T3_mT4_T5_T6_T7_T8_P12ihipStream_tbENKUlT_T0_E_clISt17integral_constantIbLb0EESZ_EEDaSU_SV_EUlSU_E_NS1_11comp_targetILNS1_3genE10ELNS1_11target_archE1201ELNS1_3gpuE5ELNS1_3repE0EEENS1_30default_config_static_selectorELNS0_4arch9wavefront6targetE0EEEvT1_.num_named_barrier, 0
	.set _ZN7rocprim17ROCPRIM_400000_NS6detail17trampoline_kernelINS0_14default_configENS1_33run_length_encode_config_selectorIsjNS0_4plusIjEEEEZZNS1_33reduce_by_key_impl_wrapped_configILNS1_25lookback_scan_determinismE0ES3_S7_PKsNS0_17constant_iteratorIjlEEPsPlSF_S6_NS0_8equal_toIsEEEE10hipError_tPvRmT2_T3_mT4_T5_T6_T7_T8_P12ihipStream_tbENKUlT_T0_E_clISt17integral_constantIbLb0EESZ_EEDaSU_SV_EUlSU_E_NS1_11comp_targetILNS1_3genE10ELNS1_11target_archE1201ELNS1_3gpuE5ELNS1_3repE0EEENS1_30default_config_static_selectorELNS0_4arch9wavefront6targetE0EEEvT1_.private_seg_size, 0
	.set _ZN7rocprim17ROCPRIM_400000_NS6detail17trampoline_kernelINS0_14default_configENS1_33run_length_encode_config_selectorIsjNS0_4plusIjEEEEZZNS1_33reduce_by_key_impl_wrapped_configILNS1_25lookback_scan_determinismE0ES3_S7_PKsNS0_17constant_iteratorIjlEEPsPlSF_S6_NS0_8equal_toIsEEEE10hipError_tPvRmT2_T3_mT4_T5_T6_T7_T8_P12ihipStream_tbENKUlT_T0_E_clISt17integral_constantIbLb0EESZ_EEDaSU_SV_EUlSU_E_NS1_11comp_targetILNS1_3genE10ELNS1_11target_archE1201ELNS1_3gpuE5ELNS1_3repE0EEENS1_30default_config_static_selectorELNS0_4arch9wavefront6targetE0EEEvT1_.uses_vcc, 0
	.set _ZN7rocprim17ROCPRIM_400000_NS6detail17trampoline_kernelINS0_14default_configENS1_33run_length_encode_config_selectorIsjNS0_4plusIjEEEEZZNS1_33reduce_by_key_impl_wrapped_configILNS1_25lookback_scan_determinismE0ES3_S7_PKsNS0_17constant_iteratorIjlEEPsPlSF_S6_NS0_8equal_toIsEEEE10hipError_tPvRmT2_T3_mT4_T5_T6_T7_T8_P12ihipStream_tbENKUlT_T0_E_clISt17integral_constantIbLb0EESZ_EEDaSU_SV_EUlSU_E_NS1_11comp_targetILNS1_3genE10ELNS1_11target_archE1201ELNS1_3gpuE5ELNS1_3repE0EEENS1_30default_config_static_selectorELNS0_4arch9wavefront6targetE0EEEvT1_.uses_flat_scratch, 0
	.set _ZN7rocprim17ROCPRIM_400000_NS6detail17trampoline_kernelINS0_14default_configENS1_33run_length_encode_config_selectorIsjNS0_4plusIjEEEEZZNS1_33reduce_by_key_impl_wrapped_configILNS1_25lookback_scan_determinismE0ES3_S7_PKsNS0_17constant_iteratorIjlEEPsPlSF_S6_NS0_8equal_toIsEEEE10hipError_tPvRmT2_T3_mT4_T5_T6_T7_T8_P12ihipStream_tbENKUlT_T0_E_clISt17integral_constantIbLb0EESZ_EEDaSU_SV_EUlSU_E_NS1_11comp_targetILNS1_3genE10ELNS1_11target_archE1201ELNS1_3gpuE5ELNS1_3repE0EEENS1_30default_config_static_selectorELNS0_4arch9wavefront6targetE0EEEvT1_.has_dyn_sized_stack, 0
	.set _ZN7rocprim17ROCPRIM_400000_NS6detail17trampoline_kernelINS0_14default_configENS1_33run_length_encode_config_selectorIsjNS0_4plusIjEEEEZZNS1_33reduce_by_key_impl_wrapped_configILNS1_25lookback_scan_determinismE0ES3_S7_PKsNS0_17constant_iteratorIjlEEPsPlSF_S6_NS0_8equal_toIsEEEE10hipError_tPvRmT2_T3_mT4_T5_T6_T7_T8_P12ihipStream_tbENKUlT_T0_E_clISt17integral_constantIbLb0EESZ_EEDaSU_SV_EUlSU_E_NS1_11comp_targetILNS1_3genE10ELNS1_11target_archE1201ELNS1_3gpuE5ELNS1_3repE0EEENS1_30default_config_static_selectorELNS0_4arch9wavefront6targetE0EEEvT1_.has_recursion, 0
	.set _ZN7rocprim17ROCPRIM_400000_NS6detail17trampoline_kernelINS0_14default_configENS1_33run_length_encode_config_selectorIsjNS0_4plusIjEEEEZZNS1_33reduce_by_key_impl_wrapped_configILNS1_25lookback_scan_determinismE0ES3_S7_PKsNS0_17constant_iteratorIjlEEPsPlSF_S6_NS0_8equal_toIsEEEE10hipError_tPvRmT2_T3_mT4_T5_T6_T7_T8_P12ihipStream_tbENKUlT_T0_E_clISt17integral_constantIbLb0EESZ_EEDaSU_SV_EUlSU_E_NS1_11comp_targetILNS1_3genE10ELNS1_11target_archE1201ELNS1_3gpuE5ELNS1_3repE0EEENS1_30default_config_static_selectorELNS0_4arch9wavefront6targetE0EEEvT1_.has_indirect_call, 0
	.section	.AMDGPU.csdata,"",@progbits
; Kernel info:
; codeLenInByte = 0
; TotalNumSgprs: 0
; NumVgprs: 0
; ScratchSize: 0
; MemoryBound: 0
; FloatMode: 240
; IeeeMode: 1
; LDSByteSize: 0 bytes/workgroup (compile time only)
; SGPRBlocks: 0
; VGPRBlocks: 0
; NumSGPRsForWavesPerEU: 1
; NumVGPRsForWavesPerEU: 1
; NamedBarCnt: 0
; Occupancy: 16
; WaveLimiterHint : 0
; COMPUTE_PGM_RSRC2:SCRATCH_EN: 0
; COMPUTE_PGM_RSRC2:USER_SGPR: 2
; COMPUTE_PGM_RSRC2:TRAP_HANDLER: 0
; COMPUTE_PGM_RSRC2:TGID_X_EN: 1
; COMPUTE_PGM_RSRC2:TGID_Y_EN: 0
; COMPUTE_PGM_RSRC2:TGID_Z_EN: 0
; COMPUTE_PGM_RSRC2:TIDIG_COMP_CNT: 0
	.section	.text._ZN7rocprim17ROCPRIM_400000_NS6detail17trampoline_kernelINS0_14default_configENS1_33run_length_encode_config_selectorIsjNS0_4plusIjEEEEZZNS1_33reduce_by_key_impl_wrapped_configILNS1_25lookback_scan_determinismE0ES3_S7_PKsNS0_17constant_iteratorIjlEEPsPlSF_S6_NS0_8equal_toIsEEEE10hipError_tPvRmT2_T3_mT4_T5_T6_T7_T8_P12ihipStream_tbENKUlT_T0_E_clISt17integral_constantIbLb0EESZ_EEDaSU_SV_EUlSU_E_NS1_11comp_targetILNS1_3genE10ELNS1_11target_archE1200ELNS1_3gpuE4ELNS1_3repE0EEENS1_30default_config_static_selectorELNS0_4arch9wavefront6targetE0EEEvT1_,"axG",@progbits,_ZN7rocprim17ROCPRIM_400000_NS6detail17trampoline_kernelINS0_14default_configENS1_33run_length_encode_config_selectorIsjNS0_4plusIjEEEEZZNS1_33reduce_by_key_impl_wrapped_configILNS1_25lookback_scan_determinismE0ES3_S7_PKsNS0_17constant_iteratorIjlEEPsPlSF_S6_NS0_8equal_toIsEEEE10hipError_tPvRmT2_T3_mT4_T5_T6_T7_T8_P12ihipStream_tbENKUlT_T0_E_clISt17integral_constantIbLb0EESZ_EEDaSU_SV_EUlSU_E_NS1_11comp_targetILNS1_3genE10ELNS1_11target_archE1200ELNS1_3gpuE4ELNS1_3repE0EEENS1_30default_config_static_selectorELNS0_4arch9wavefront6targetE0EEEvT1_,comdat
	.protected	_ZN7rocprim17ROCPRIM_400000_NS6detail17trampoline_kernelINS0_14default_configENS1_33run_length_encode_config_selectorIsjNS0_4plusIjEEEEZZNS1_33reduce_by_key_impl_wrapped_configILNS1_25lookback_scan_determinismE0ES3_S7_PKsNS0_17constant_iteratorIjlEEPsPlSF_S6_NS0_8equal_toIsEEEE10hipError_tPvRmT2_T3_mT4_T5_T6_T7_T8_P12ihipStream_tbENKUlT_T0_E_clISt17integral_constantIbLb0EESZ_EEDaSU_SV_EUlSU_E_NS1_11comp_targetILNS1_3genE10ELNS1_11target_archE1200ELNS1_3gpuE4ELNS1_3repE0EEENS1_30default_config_static_selectorELNS0_4arch9wavefront6targetE0EEEvT1_ ; -- Begin function _ZN7rocprim17ROCPRIM_400000_NS6detail17trampoline_kernelINS0_14default_configENS1_33run_length_encode_config_selectorIsjNS0_4plusIjEEEEZZNS1_33reduce_by_key_impl_wrapped_configILNS1_25lookback_scan_determinismE0ES3_S7_PKsNS0_17constant_iteratorIjlEEPsPlSF_S6_NS0_8equal_toIsEEEE10hipError_tPvRmT2_T3_mT4_T5_T6_T7_T8_P12ihipStream_tbENKUlT_T0_E_clISt17integral_constantIbLb0EESZ_EEDaSU_SV_EUlSU_E_NS1_11comp_targetILNS1_3genE10ELNS1_11target_archE1200ELNS1_3gpuE4ELNS1_3repE0EEENS1_30default_config_static_selectorELNS0_4arch9wavefront6targetE0EEEvT1_
	.globl	_ZN7rocprim17ROCPRIM_400000_NS6detail17trampoline_kernelINS0_14default_configENS1_33run_length_encode_config_selectorIsjNS0_4plusIjEEEEZZNS1_33reduce_by_key_impl_wrapped_configILNS1_25lookback_scan_determinismE0ES3_S7_PKsNS0_17constant_iteratorIjlEEPsPlSF_S6_NS0_8equal_toIsEEEE10hipError_tPvRmT2_T3_mT4_T5_T6_T7_T8_P12ihipStream_tbENKUlT_T0_E_clISt17integral_constantIbLb0EESZ_EEDaSU_SV_EUlSU_E_NS1_11comp_targetILNS1_3genE10ELNS1_11target_archE1200ELNS1_3gpuE4ELNS1_3repE0EEENS1_30default_config_static_selectorELNS0_4arch9wavefront6targetE0EEEvT1_
	.p2align	8
	.type	_ZN7rocprim17ROCPRIM_400000_NS6detail17trampoline_kernelINS0_14default_configENS1_33run_length_encode_config_selectorIsjNS0_4plusIjEEEEZZNS1_33reduce_by_key_impl_wrapped_configILNS1_25lookback_scan_determinismE0ES3_S7_PKsNS0_17constant_iteratorIjlEEPsPlSF_S6_NS0_8equal_toIsEEEE10hipError_tPvRmT2_T3_mT4_T5_T6_T7_T8_P12ihipStream_tbENKUlT_T0_E_clISt17integral_constantIbLb0EESZ_EEDaSU_SV_EUlSU_E_NS1_11comp_targetILNS1_3genE10ELNS1_11target_archE1200ELNS1_3gpuE4ELNS1_3repE0EEENS1_30default_config_static_selectorELNS0_4arch9wavefront6targetE0EEEvT1_,@function
_ZN7rocprim17ROCPRIM_400000_NS6detail17trampoline_kernelINS0_14default_configENS1_33run_length_encode_config_selectorIsjNS0_4plusIjEEEEZZNS1_33reduce_by_key_impl_wrapped_configILNS1_25lookback_scan_determinismE0ES3_S7_PKsNS0_17constant_iteratorIjlEEPsPlSF_S6_NS0_8equal_toIsEEEE10hipError_tPvRmT2_T3_mT4_T5_T6_T7_T8_P12ihipStream_tbENKUlT_T0_E_clISt17integral_constantIbLb0EESZ_EEDaSU_SV_EUlSU_E_NS1_11comp_targetILNS1_3genE10ELNS1_11target_archE1200ELNS1_3gpuE4ELNS1_3repE0EEENS1_30default_config_static_selectorELNS0_4arch9wavefront6targetE0EEEvT1_: ; @_ZN7rocprim17ROCPRIM_400000_NS6detail17trampoline_kernelINS0_14default_configENS1_33run_length_encode_config_selectorIsjNS0_4plusIjEEEEZZNS1_33reduce_by_key_impl_wrapped_configILNS1_25lookback_scan_determinismE0ES3_S7_PKsNS0_17constant_iteratorIjlEEPsPlSF_S6_NS0_8equal_toIsEEEE10hipError_tPvRmT2_T3_mT4_T5_T6_T7_T8_P12ihipStream_tbENKUlT_T0_E_clISt17integral_constantIbLb0EESZ_EEDaSU_SV_EUlSU_E_NS1_11comp_targetILNS1_3genE10ELNS1_11target_archE1200ELNS1_3gpuE4ELNS1_3repE0EEENS1_30default_config_static_selectorELNS0_4arch9wavefront6targetE0EEEvT1_
; %bb.0:
	.section	.rodata,"a",@progbits
	.p2align	6, 0x0
	.amdhsa_kernel _ZN7rocprim17ROCPRIM_400000_NS6detail17trampoline_kernelINS0_14default_configENS1_33run_length_encode_config_selectorIsjNS0_4plusIjEEEEZZNS1_33reduce_by_key_impl_wrapped_configILNS1_25lookback_scan_determinismE0ES3_S7_PKsNS0_17constant_iteratorIjlEEPsPlSF_S6_NS0_8equal_toIsEEEE10hipError_tPvRmT2_T3_mT4_T5_T6_T7_T8_P12ihipStream_tbENKUlT_T0_E_clISt17integral_constantIbLb0EESZ_EEDaSU_SV_EUlSU_E_NS1_11comp_targetILNS1_3genE10ELNS1_11target_archE1200ELNS1_3gpuE4ELNS1_3repE0EEENS1_30default_config_static_selectorELNS0_4arch9wavefront6targetE0EEEvT1_
		.amdhsa_group_segment_fixed_size 0
		.amdhsa_private_segment_fixed_size 0
		.amdhsa_kernarg_size 128
		.amdhsa_user_sgpr_count 2
		.amdhsa_user_sgpr_dispatch_ptr 0
		.amdhsa_user_sgpr_queue_ptr 0
		.amdhsa_user_sgpr_kernarg_segment_ptr 1
		.amdhsa_user_sgpr_dispatch_id 0
		.amdhsa_user_sgpr_kernarg_preload_length 0
		.amdhsa_user_sgpr_kernarg_preload_offset 0
		.amdhsa_user_sgpr_private_segment_size 0
		.amdhsa_wavefront_size32 1
		.amdhsa_uses_dynamic_stack 0
		.amdhsa_enable_private_segment 0
		.amdhsa_system_sgpr_workgroup_id_x 1
		.amdhsa_system_sgpr_workgroup_id_y 0
		.amdhsa_system_sgpr_workgroup_id_z 0
		.amdhsa_system_sgpr_workgroup_info 0
		.amdhsa_system_vgpr_workitem_id 0
		.amdhsa_next_free_vgpr 1
		.amdhsa_next_free_sgpr 1
		.amdhsa_named_barrier_count 0
		.amdhsa_reserve_vcc 0
		.amdhsa_float_round_mode_32 0
		.amdhsa_float_round_mode_16_64 0
		.amdhsa_float_denorm_mode_32 3
		.amdhsa_float_denorm_mode_16_64 3
		.amdhsa_fp16_overflow 0
		.amdhsa_memory_ordered 1
		.amdhsa_forward_progress 1
		.amdhsa_inst_pref_size 0
		.amdhsa_round_robin_scheduling 0
		.amdhsa_exception_fp_ieee_invalid_op 0
		.amdhsa_exception_fp_denorm_src 0
		.amdhsa_exception_fp_ieee_div_zero 0
		.amdhsa_exception_fp_ieee_overflow 0
		.amdhsa_exception_fp_ieee_underflow 0
		.amdhsa_exception_fp_ieee_inexact 0
		.amdhsa_exception_int_div_zero 0
	.end_amdhsa_kernel
	.section	.text._ZN7rocprim17ROCPRIM_400000_NS6detail17trampoline_kernelINS0_14default_configENS1_33run_length_encode_config_selectorIsjNS0_4plusIjEEEEZZNS1_33reduce_by_key_impl_wrapped_configILNS1_25lookback_scan_determinismE0ES3_S7_PKsNS0_17constant_iteratorIjlEEPsPlSF_S6_NS0_8equal_toIsEEEE10hipError_tPvRmT2_T3_mT4_T5_T6_T7_T8_P12ihipStream_tbENKUlT_T0_E_clISt17integral_constantIbLb0EESZ_EEDaSU_SV_EUlSU_E_NS1_11comp_targetILNS1_3genE10ELNS1_11target_archE1200ELNS1_3gpuE4ELNS1_3repE0EEENS1_30default_config_static_selectorELNS0_4arch9wavefront6targetE0EEEvT1_,"axG",@progbits,_ZN7rocprim17ROCPRIM_400000_NS6detail17trampoline_kernelINS0_14default_configENS1_33run_length_encode_config_selectorIsjNS0_4plusIjEEEEZZNS1_33reduce_by_key_impl_wrapped_configILNS1_25lookback_scan_determinismE0ES3_S7_PKsNS0_17constant_iteratorIjlEEPsPlSF_S6_NS0_8equal_toIsEEEE10hipError_tPvRmT2_T3_mT4_T5_T6_T7_T8_P12ihipStream_tbENKUlT_T0_E_clISt17integral_constantIbLb0EESZ_EEDaSU_SV_EUlSU_E_NS1_11comp_targetILNS1_3genE10ELNS1_11target_archE1200ELNS1_3gpuE4ELNS1_3repE0EEENS1_30default_config_static_selectorELNS0_4arch9wavefront6targetE0EEEvT1_,comdat
.Lfunc_end586:
	.size	_ZN7rocprim17ROCPRIM_400000_NS6detail17trampoline_kernelINS0_14default_configENS1_33run_length_encode_config_selectorIsjNS0_4plusIjEEEEZZNS1_33reduce_by_key_impl_wrapped_configILNS1_25lookback_scan_determinismE0ES3_S7_PKsNS0_17constant_iteratorIjlEEPsPlSF_S6_NS0_8equal_toIsEEEE10hipError_tPvRmT2_T3_mT4_T5_T6_T7_T8_P12ihipStream_tbENKUlT_T0_E_clISt17integral_constantIbLb0EESZ_EEDaSU_SV_EUlSU_E_NS1_11comp_targetILNS1_3genE10ELNS1_11target_archE1200ELNS1_3gpuE4ELNS1_3repE0EEENS1_30default_config_static_selectorELNS0_4arch9wavefront6targetE0EEEvT1_, .Lfunc_end586-_ZN7rocprim17ROCPRIM_400000_NS6detail17trampoline_kernelINS0_14default_configENS1_33run_length_encode_config_selectorIsjNS0_4plusIjEEEEZZNS1_33reduce_by_key_impl_wrapped_configILNS1_25lookback_scan_determinismE0ES3_S7_PKsNS0_17constant_iteratorIjlEEPsPlSF_S6_NS0_8equal_toIsEEEE10hipError_tPvRmT2_T3_mT4_T5_T6_T7_T8_P12ihipStream_tbENKUlT_T0_E_clISt17integral_constantIbLb0EESZ_EEDaSU_SV_EUlSU_E_NS1_11comp_targetILNS1_3genE10ELNS1_11target_archE1200ELNS1_3gpuE4ELNS1_3repE0EEENS1_30default_config_static_selectorELNS0_4arch9wavefront6targetE0EEEvT1_
                                        ; -- End function
	.set _ZN7rocprim17ROCPRIM_400000_NS6detail17trampoline_kernelINS0_14default_configENS1_33run_length_encode_config_selectorIsjNS0_4plusIjEEEEZZNS1_33reduce_by_key_impl_wrapped_configILNS1_25lookback_scan_determinismE0ES3_S7_PKsNS0_17constant_iteratorIjlEEPsPlSF_S6_NS0_8equal_toIsEEEE10hipError_tPvRmT2_T3_mT4_T5_T6_T7_T8_P12ihipStream_tbENKUlT_T0_E_clISt17integral_constantIbLb0EESZ_EEDaSU_SV_EUlSU_E_NS1_11comp_targetILNS1_3genE10ELNS1_11target_archE1200ELNS1_3gpuE4ELNS1_3repE0EEENS1_30default_config_static_selectorELNS0_4arch9wavefront6targetE0EEEvT1_.num_vgpr, 0
	.set _ZN7rocprim17ROCPRIM_400000_NS6detail17trampoline_kernelINS0_14default_configENS1_33run_length_encode_config_selectorIsjNS0_4plusIjEEEEZZNS1_33reduce_by_key_impl_wrapped_configILNS1_25lookback_scan_determinismE0ES3_S7_PKsNS0_17constant_iteratorIjlEEPsPlSF_S6_NS0_8equal_toIsEEEE10hipError_tPvRmT2_T3_mT4_T5_T6_T7_T8_P12ihipStream_tbENKUlT_T0_E_clISt17integral_constantIbLb0EESZ_EEDaSU_SV_EUlSU_E_NS1_11comp_targetILNS1_3genE10ELNS1_11target_archE1200ELNS1_3gpuE4ELNS1_3repE0EEENS1_30default_config_static_selectorELNS0_4arch9wavefront6targetE0EEEvT1_.num_agpr, 0
	.set _ZN7rocprim17ROCPRIM_400000_NS6detail17trampoline_kernelINS0_14default_configENS1_33run_length_encode_config_selectorIsjNS0_4plusIjEEEEZZNS1_33reduce_by_key_impl_wrapped_configILNS1_25lookback_scan_determinismE0ES3_S7_PKsNS0_17constant_iteratorIjlEEPsPlSF_S6_NS0_8equal_toIsEEEE10hipError_tPvRmT2_T3_mT4_T5_T6_T7_T8_P12ihipStream_tbENKUlT_T0_E_clISt17integral_constantIbLb0EESZ_EEDaSU_SV_EUlSU_E_NS1_11comp_targetILNS1_3genE10ELNS1_11target_archE1200ELNS1_3gpuE4ELNS1_3repE0EEENS1_30default_config_static_selectorELNS0_4arch9wavefront6targetE0EEEvT1_.numbered_sgpr, 0
	.set _ZN7rocprim17ROCPRIM_400000_NS6detail17trampoline_kernelINS0_14default_configENS1_33run_length_encode_config_selectorIsjNS0_4plusIjEEEEZZNS1_33reduce_by_key_impl_wrapped_configILNS1_25lookback_scan_determinismE0ES3_S7_PKsNS0_17constant_iteratorIjlEEPsPlSF_S6_NS0_8equal_toIsEEEE10hipError_tPvRmT2_T3_mT4_T5_T6_T7_T8_P12ihipStream_tbENKUlT_T0_E_clISt17integral_constantIbLb0EESZ_EEDaSU_SV_EUlSU_E_NS1_11comp_targetILNS1_3genE10ELNS1_11target_archE1200ELNS1_3gpuE4ELNS1_3repE0EEENS1_30default_config_static_selectorELNS0_4arch9wavefront6targetE0EEEvT1_.num_named_barrier, 0
	.set _ZN7rocprim17ROCPRIM_400000_NS6detail17trampoline_kernelINS0_14default_configENS1_33run_length_encode_config_selectorIsjNS0_4plusIjEEEEZZNS1_33reduce_by_key_impl_wrapped_configILNS1_25lookback_scan_determinismE0ES3_S7_PKsNS0_17constant_iteratorIjlEEPsPlSF_S6_NS0_8equal_toIsEEEE10hipError_tPvRmT2_T3_mT4_T5_T6_T7_T8_P12ihipStream_tbENKUlT_T0_E_clISt17integral_constantIbLb0EESZ_EEDaSU_SV_EUlSU_E_NS1_11comp_targetILNS1_3genE10ELNS1_11target_archE1200ELNS1_3gpuE4ELNS1_3repE0EEENS1_30default_config_static_selectorELNS0_4arch9wavefront6targetE0EEEvT1_.private_seg_size, 0
	.set _ZN7rocprim17ROCPRIM_400000_NS6detail17trampoline_kernelINS0_14default_configENS1_33run_length_encode_config_selectorIsjNS0_4plusIjEEEEZZNS1_33reduce_by_key_impl_wrapped_configILNS1_25lookback_scan_determinismE0ES3_S7_PKsNS0_17constant_iteratorIjlEEPsPlSF_S6_NS0_8equal_toIsEEEE10hipError_tPvRmT2_T3_mT4_T5_T6_T7_T8_P12ihipStream_tbENKUlT_T0_E_clISt17integral_constantIbLb0EESZ_EEDaSU_SV_EUlSU_E_NS1_11comp_targetILNS1_3genE10ELNS1_11target_archE1200ELNS1_3gpuE4ELNS1_3repE0EEENS1_30default_config_static_selectorELNS0_4arch9wavefront6targetE0EEEvT1_.uses_vcc, 0
	.set _ZN7rocprim17ROCPRIM_400000_NS6detail17trampoline_kernelINS0_14default_configENS1_33run_length_encode_config_selectorIsjNS0_4plusIjEEEEZZNS1_33reduce_by_key_impl_wrapped_configILNS1_25lookback_scan_determinismE0ES3_S7_PKsNS0_17constant_iteratorIjlEEPsPlSF_S6_NS0_8equal_toIsEEEE10hipError_tPvRmT2_T3_mT4_T5_T6_T7_T8_P12ihipStream_tbENKUlT_T0_E_clISt17integral_constantIbLb0EESZ_EEDaSU_SV_EUlSU_E_NS1_11comp_targetILNS1_3genE10ELNS1_11target_archE1200ELNS1_3gpuE4ELNS1_3repE0EEENS1_30default_config_static_selectorELNS0_4arch9wavefront6targetE0EEEvT1_.uses_flat_scratch, 0
	.set _ZN7rocprim17ROCPRIM_400000_NS6detail17trampoline_kernelINS0_14default_configENS1_33run_length_encode_config_selectorIsjNS0_4plusIjEEEEZZNS1_33reduce_by_key_impl_wrapped_configILNS1_25lookback_scan_determinismE0ES3_S7_PKsNS0_17constant_iteratorIjlEEPsPlSF_S6_NS0_8equal_toIsEEEE10hipError_tPvRmT2_T3_mT4_T5_T6_T7_T8_P12ihipStream_tbENKUlT_T0_E_clISt17integral_constantIbLb0EESZ_EEDaSU_SV_EUlSU_E_NS1_11comp_targetILNS1_3genE10ELNS1_11target_archE1200ELNS1_3gpuE4ELNS1_3repE0EEENS1_30default_config_static_selectorELNS0_4arch9wavefront6targetE0EEEvT1_.has_dyn_sized_stack, 0
	.set _ZN7rocprim17ROCPRIM_400000_NS6detail17trampoline_kernelINS0_14default_configENS1_33run_length_encode_config_selectorIsjNS0_4plusIjEEEEZZNS1_33reduce_by_key_impl_wrapped_configILNS1_25lookback_scan_determinismE0ES3_S7_PKsNS0_17constant_iteratorIjlEEPsPlSF_S6_NS0_8equal_toIsEEEE10hipError_tPvRmT2_T3_mT4_T5_T6_T7_T8_P12ihipStream_tbENKUlT_T0_E_clISt17integral_constantIbLb0EESZ_EEDaSU_SV_EUlSU_E_NS1_11comp_targetILNS1_3genE10ELNS1_11target_archE1200ELNS1_3gpuE4ELNS1_3repE0EEENS1_30default_config_static_selectorELNS0_4arch9wavefront6targetE0EEEvT1_.has_recursion, 0
	.set _ZN7rocprim17ROCPRIM_400000_NS6detail17trampoline_kernelINS0_14default_configENS1_33run_length_encode_config_selectorIsjNS0_4plusIjEEEEZZNS1_33reduce_by_key_impl_wrapped_configILNS1_25lookback_scan_determinismE0ES3_S7_PKsNS0_17constant_iteratorIjlEEPsPlSF_S6_NS0_8equal_toIsEEEE10hipError_tPvRmT2_T3_mT4_T5_T6_T7_T8_P12ihipStream_tbENKUlT_T0_E_clISt17integral_constantIbLb0EESZ_EEDaSU_SV_EUlSU_E_NS1_11comp_targetILNS1_3genE10ELNS1_11target_archE1200ELNS1_3gpuE4ELNS1_3repE0EEENS1_30default_config_static_selectorELNS0_4arch9wavefront6targetE0EEEvT1_.has_indirect_call, 0
	.section	.AMDGPU.csdata,"",@progbits
; Kernel info:
; codeLenInByte = 0
; TotalNumSgprs: 0
; NumVgprs: 0
; ScratchSize: 0
; MemoryBound: 0
; FloatMode: 240
; IeeeMode: 1
; LDSByteSize: 0 bytes/workgroup (compile time only)
; SGPRBlocks: 0
; VGPRBlocks: 0
; NumSGPRsForWavesPerEU: 1
; NumVGPRsForWavesPerEU: 1
; NamedBarCnt: 0
; Occupancy: 16
; WaveLimiterHint : 0
; COMPUTE_PGM_RSRC2:SCRATCH_EN: 0
; COMPUTE_PGM_RSRC2:USER_SGPR: 2
; COMPUTE_PGM_RSRC2:TRAP_HANDLER: 0
; COMPUTE_PGM_RSRC2:TGID_X_EN: 1
; COMPUTE_PGM_RSRC2:TGID_Y_EN: 0
; COMPUTE_PGM_RSRC2:TGID_Z_EN: 0
; COMPUTE_PGM_RSRC2:TIDIG_COMP_CNT: 0
	.section	.text._ZN7rocprim17ROCPRIM_400000_NS6detail17trampoline_kernelINS0_14default_configENS1_33run_length_encode_config_selectorIsjNS0_4plusIjEEEEZZNS1_33reduce_by_key_impl_wrapped_configILNS1_25lookback_scan_determinismE0ES3_S7_PKsNS0_17constant_iteratorIjlEEPsPlSF_S6_NS0_8equal_toIsEEEE10hipError_tPvRmT2_T3_mT4_T5_T6_T7_T8_P12ihipStream_tbENKUlT_T0_E_clISt17integral_constantIbLb0EESZ_EEDaSU_SV_EUlSU_E_NS1_11comp_targetILNS1_3genE9ELNS1_11target_archE1100ELNS1_3gpuE3ELNS1_3repE0EEENS1_30default_config_static_selectorELNS0_4arch9wavefront6targetE0EEEvT1_,"axG",@progbits,_ZN7rocprim17ROCPRIM_400000_NS6detail17trampoline_kernelINS0_14default_configENS1_33run_length_encode_config_selectorIsjNS0_4plusIjEEEEZZNS1_33reduce_by_key_impl_wrapped_configILNS1_25lookback_scan_determinismE0ES3_S7_PKsNS0_17constant_iteratorIjlEEPsPlSF_S6_NS0_8equal_toIsEEEE10hipError_tPvRmT2_T3_mT4_T5_T6_T7_T8_P12ihipStream_tbENKUlT_T0_E_clISt17integral_constantIbLb0EESZ_EEDaSU_SV_EUlSU_E_NS1_11comp_targetILNS1_3genE9ELNS1_11target_archE1100ELNS1_3gpuE3ELNS1_3repE0EEENS1_30default_config_static_selectorELNS0_4arch9wavefront6targetE0EEEvT1_,comdat
	.protected	_ZN7rocprim17ROCPRIM_400000_NS6detail17trampoline_kernelINS0_14default_configENS1_33run_length_encode_config_selectorIsjNS0_4plusIjEEEEZZNS1_33reduce_by_key_impl_wrapped_configILNS1_25lookback_scan_determinismE0ES3_S7_PKsNS0_17constant_iteratorIjlEEPsPlSF_S6_NS0_8equal_toIsEEEE10hipError_tPvRmT2_T3_mT4_T5_T6_T7_T8_P12ihipStream_tbENKUlT_T0_E_clISt17integral_constantIbLb0EESZ_EEDaSU_SV_EUlSU_E_NS1_11comp_targetILNS1_3genE9ELNS1_11target_archE1100ELNS1_3gpuE3ELNS1_3repE0EEENS1_30default_config_static_selectorELNS0_4arch9wavefront6targetE0EEEvT1_ ; -- Begin function _ZN7rocprim17ROCPRIM_400000_NS6detail17trampoline_kernelINS0_14default_configENS1_33run_length_encode_config_selectorIsjNS0_4plusIjEEEEZZNS1_33reduce_by_key_impl_wrapped_configILNS1_25lookback_scan_determinismE0ES3_S7_PKsNS0_17constant_iteratorIjlEEPsPlSF_S6_NS0_8equal_toIsEEEE10hipError_tPvRmT2_T3_mT4_T5_T6_T7_T8_P12ihipStream_tbENKUlT_T0_E_clISt17integral_constantIbLb0EESZ_EEDaSU_SV_EUlSU_E_NS1_11comp_targetILNS1_3genE9ELNS1_11target_archE1100ELNS1_3gpuE3ELNS1_3repE0EEENS1_30default_config_static_selectorELNS0_4arch9wavefront6targetE0EEEvT1_
	.globl	_ZN7rocprim17ROCPRIM_400000_NS6detail17trampoline_kernelINS0_14default_configENS1_33run_length_encode_config_selectorIsjNS0_4plusIjEEEEZZNS1_33reduce_by_key_impl_wrapped_configILNS1_25lookback_scan_determinismE0ES3_S7_PKsNS0_17constant_iteratorIjlEEPsPlSF_S6_NS0_8equal_toIsEEEE10hipError_tPvRmT2_T3_mT4_T5_T6_T7_T8_P12ihipStream_tbENKUlT_T0_E_clISt17integral_constantIbLb0EESZ_EEDaSU_SV_EUlSU_E_NS1_11comp_targetILNS1_3genE9ELNS1_11target_archE1100ELNS1_3gpuE3ELNS1_3repE0EEENS1_30default_config_static_selectorELNS0_4arch9wavefront6targetE0EEEvT1_
	.p2align	8
	.type	_ZN7rocprim17ROCPRIM_400000_NS6detail17trampoline_kernelINS0_14default_configENS1_33run_length_encode_config_selectorIsjNS0_4plusIjEEEEZZNS1_33reduce_by_key_impl_wrapped_configILNS1_25lookback_scan_determinismE0ES3_S7_PKsNS0_17constant_iteratorIjlEEPsPlSF_S6_NS0_8equal_toIsEEEE10hipError_tPvRmT2_T3_mT4_T5_T6_T7_T8_P12ihipStream_tbENKUlT_T0_E_clISt17integral_constantIbLb0EESZ_EEDaSU_SV_EUlSU_E_NS1_11comp_targetILNS1_3genE9ELNS1_11target_archE1100ELNS1_3gpuE3ELNS1_3repE0EEENS1_30default_config_static_selectorELNS0_4arch9wavefront6targetE0EEEvT1_,@function
_ZN7rocprim17ROCPRIM_400000_NS6detail17trampoline_kernelINS0_14default_configENS1_33run_length_encode_config_selectorIsjNS0_4plusIjEEEEZZNS1_33reduce_by_key_impl_wrapped_configILNS1_25lookback_scan_determinismE0ES3_S7_PKsNS0_17constant_iteratorIjlEEPsPlSF_S6_NS0_8equal_toIsEEEE10hipError_tPvRmT2_T3_mT4_T5_T6_T7_T8_P12ihipStream_tbENKUlT_T0_E_clISt17integral_constantIbLb0EESZ_EEDaSU_SV_EUlSU_E_NS1_11comp_targetILNS1_3genE9ELNS1_11target_archE1100ELNS1_3gpuE3ELNS1_3repE0EEENS1_30default_config_static_selectorELNS0_4arch9wavefront6targetE0EEEvT1_: ; @_ZN7rocprim17ROCPRIM_400000_NS6detail17trampoline_kernelINS0_14default_configENS1_33run_length_encode_config_selectorIsjNS0_4plusIjEEEEZZNS1_33reduce_by_key_impl_wrapped_configILNS1_25lookback_scan_determinismE0ES3_S7_PKsNS0_17constant_iteratorIjlEEPsPlSF_S6_NS0_8equal_toIsEEEE10hipError_tPvRmT2_T3_mT4_T5_T6_T7_T8_P12ihipStream_tbENKUlT_T0_E_clISt17integral_constantIbLb0EESZ_EEDaSU_SV_EUlSU_E_NS1_11comp_targetILNS1_3genE9ELNS1_11target_archE1100ELNS1_3gpuE3ELNS1_3repE0EEENS1_30default_config_static_selectorELNS0_4arch9wavefront6targetE0EEEvT1_
; %bb.0:
	.section	.rodata,"a",@progbits
	.p2align	6, 0x0
	.amdhsa_kernel _ZN7rocprim17ROCPRIM_400000_NS6detail17trampoline_kernelINS0_14default_configENS1_33run_length_encode_config_selectorIsjNS0_4plusIjEEEEZZNS1_33reduce_by_key_impl_wrapped_configILNS1_25lookback_scan_determinismE0ES3_S7_PKsNS0_17constant_iteratorIjlEEPsPlSF_S6_NS0_8equal_toIsEEEE10hipError_tPvRmT2_T3_mT4_T5_T6_T7_T8_P12ihipStream_tbENKUlT_T0_E_clISt17integral_constantIbLb0EESZ_EEDaSU_SV_EUlSU_E_NS1_11comp_targetILNS1_3genE9ELNS1_11target_archE1100ELNS1_3gpuE3ELNS1_3repE0EEENS1_30default_config_static_selectorELNS0_4arch9wavefront6targetE0EEEvT1_
		.amdhsa_group_segment_fixed_size 0
		.amdhsa_private_segment_fixed_size 0
		.amdhsa_kernarg_size 128
		.amdhsa_user_sgpr_count 2
		.amdhsa_user_sgpr_dispatch_ptr 0
		.amdhsa_user_sgpr_queue_ptr 0
		.amdhsa_user_sgpr_kernarg_segment_ptr 1
		.amdhsa_user_sgpr_dispatch_id 0
		.amdhsa_user_sgpr_kernarg_preload_length 0
		.amdhsa_user_sgpr_kernarg_preload_offset 0
		.amdhsa_user_sgpr_private_segment_size 0
		.amdhsa_wavefront_size32 1
		.amdhsa_uses_dynamic_stack 0
		.amdhsa_enable_private_segment 0
		.amdhsa_system_sgpr_workgroup_id_x 1
		.amdhsa_system_sgpr_workgroup_id_y 0
		.amdhsa_system_sgpr_workgroup_id_z 0
		.amdhsa_system_sgpr_workgroup_info 0
		.amdhsa_system_vgpr_workitem_id 0
		.amdhsa_next_free_vgpr 1
		.amdhsa_next_free_sgpr 1
		.amdhsa_named_barrier_count 0
		.amdhsa_reserve_vcc 0
		.amdhsa_float_round_mode_32 0
		.amdhsa_float_round_mode_16_64 0
		.amdhsa_float_denorm_mode_32 3
		.amdhsa_float_denorm_mode_16_64 3
		.amdhsa_fp16_overflow 0
		.amdhsa_memory_ordered 1
		.amdhsa_forward_progress 1
		.amdhsa_inst_pref_size 0
		.amdhsa_round_robin_scheduling 0
		.amdhsa_exception_fp_ieee_invalid_op 0
		.amdhsa_exception_fp_denorm_src 0
		.amdhsa_exception_fp_ieee_div_zero 0
		.amdhsa_exception_fp_ieee_overflow 0
		.amdhsa_exception_fp_ieee_underflow 0
		.amdhsa_exception_fp_ieee_inexact 0
		.amdhsa_exception_int_div_zero 0
	.end_amdhsa_kernel
	.section	.text._ZN7rocprim17ROCPRIM_400000_NS6detail17trampoline_kernelINS0_14default_configENS1_33run_length_encode_config_selectorIsjNS0_4plusIjEEEEZZNS1_33reduce_by_key_impl_wrapped_configILNS1_25lookback_scan_determinismE0ES3_S7_PKsNS0_17constant_iteratorIjlEEPsPlSF_S6_NS0_8equal_toIsEEEE10hipError_tPvRmT2_T3_mT4_T5_T6_T7_T8_P12ihipStream_tbENKUlT_T0_E_clISt17integral_constantIbLb0EESZ_EEDaSU_SV_EUlSU_E_NS1_11comp_targetILNS1_3genE9ELNS1_11target_archE1100ELNS1_3gpuE3ELNS1_3repE0EEENS1_30default_config_static_selectorELNS0_4arch9wavefront6targetE0EEEvT1_,"axG",@progbits,_ZN7rocprim17ROCPRIM_400000_NS6detail17trampoline_kernelINS0_14default_configENS1_33run_length_encode_config_selectorIsjNS0_4plusIjEEEEZZNS1_33reduce_by_key_impl_wrapped_configILNS1_25lookback_scan_determinismE0ES3_S7_PKsNS0_17constant_iteratorIjlEEPsPlSF_S6_NS0_8equal_toIsEEEE10hipError_tPvRmT2_T3_mT4_T5_T6_T7_T8_P12ihipStream_tbENKUlT_T0_E_clISt17integral_constantIbLb0EESZ_EEDaSU_SV_EUlSU_E_NS1_11comp_targetILNS1_3genE9ELNS1_11target_archE1100ELNS1_3gpuE3ELNS1_3repE0EEENS1_30default_config_static_selectorELNS0_4arch9wavefront6targetE0EEEvT1_,comdat
.Lfunc_end587:
	.size	_ZN7rocprim17ROCPRIM_400000_NS6detail17trampoline_kernelINS0_14default_configENS1_33run_length_encode_config_selectorIsjNS0_4plusIjEEEEZZNS1_33reduce_by_key_impl_wrapped_configILNS1_25lookback_scan_determinismE0ES3_S7_PKsNS0_17constant_iteratorIjlEEPsPlSF_S6_NS0_8equal_toIsEEEE10hipError_tPvRmT2_T3_mT4_T5_T6_T7_T8_P12ihipStream_tbENKUlT_T0_E_clISt17integral_constantIbLb0EESZ_EEDaSU_SV_EUlSU_E_NS1_11comp_targetILNS1_3genE9ELNS1_11target_archE1100ELNS1_3gpuE3ELNS1_3repE0EEENS1_30default_config_static_selectorELNS0_4arch9wavefront6targetE0EEEvT1_, .Lfunc_end587-_ZN7rocprim17ROCPRIM_400000_NS6detail17trampoline_kernelINS0_14default_configENS1_33run_length_encode_config_selectorIsjNS0_4plusIjEEEEZZNS1_33reduce_by_key_impl_wrapped_configILNS1_25lookback_scan_determinismE0ES3_S7_PKsNS0_17constant_iteratorIjlEEPsPlSF_S6_NS0_8equal_toIsEEEE10hipError_tPvRmT2_T3_mT4_T5_T6_T7_T8_P12ihipStream_tbENKUlT_T0_E_clISt17integral_constantIbLb0EESZ_EEDaSU_SV_EUlSU_E_NS1_11comp_targetILNS1_3genE9ELNS1_11target_archE1100ELNS1_3gpuE3ELNS1_3repE0EEENS1_30default_config_static_selectorELNS0_4arch9wavefront6targetE0EEEvT1_
                                        ; -- End function
	.set _ZN7rocprim17ROCPRIM_400000_NS6detail17trampoline_kernelINS0_14default_configENS1_33run_length_encode_config_selectorIsjNS0_4plusIjEEEEZZNS1_33reduce_by_key_impl_wrapped_configILNS1_25lookback_scan_determinismE0ES3_S7_PKsNS0_17constant_iteratorIjlEEPsPlSF_S6_NS0_8equal_toIsEEEE10hipError_tPvRmT2_T3_mT4_T5_T6_T7_T8_P12ihipStream_tbENKUlT_T0_E_clISt17integral_constantIbLb0EESZ_EEDaSU_SV_EUlSU_E_NS1_11comp_targetILNS1_3genE9ELNS1_11target_archE1100ELNS1_3gpuE3ELNS1_3repE0EEENS1_30default_config_static_selectorELNS0_4arch9wavefront6targetE0EEEvT1_.num_vgpr, 0
	.set _ZN7rocprim17ROCPRIM_400000_NS6detail17trampoline_kernelINS0_14default_configENS1_33run_length_encode_config_selectorIsjNS0_4plusIjEEEEZZNS1_33reduce_by_key_impl_wrapped_configILNS1_25lookback_scan_determinismE0ES3_S7_PKsNS0_17constant_iteratorIjlEEPsPlSF_S6_NS0_8equal_toIsEEEE10hipError_tPvRmT2_T3_mT4_T5_T6_T7_T8_P12ihipStream_tbENKUlT_T0_E_clISt17integral_constantIbLb0EESZ_EEDaSU_SV_EUlSU_E_NS1_11comp_targetILNS1_3genE9ELNS1_11target_archE1100ELNS1_3gpuE3ELNS1_3repE0EEENS1_30default_config_static_selectorELNS0_4arch9wavefront6targetE0EEEvT1_.num_agpr, 0
	.set _ZN7rocprim17ROCPRIM_400000_NS6detail17trampoline_kernelINS0_14default_configENS1_33run_length_encode_config_selectorIsjNS0_4plusIjEEEEZZNS1_33reduce_by_key_impl_wrapped_configILNS1_25lookback_scan_determinismE0ES3_S7_PKsNS0_17constant_iteratorIjlEEPsPlSF_S6_NS0_8equal_toIsEEEE10hipError_tPvRmT2_T3_mT4_T5_T6_T7_T8_P12ihipStream_tbENKUlT_T0_E_clISt17integral_constantIbLb0EESZ_EEDaSU_SV_EUlSU_E_NS1_11comp_targetILNS1_3genE9ELNS1_11target_archE1100ELNS1_3gpuE3ELNS1_3repE0EEENS1_30default_config_static_selectorELNS0_4arch9wavefront6targetE0EEEvT1_.numbered_sgpr, 0
	.set _ZN7rocprim17ROCPRIM_400000_NS6detail17trampoline_kernelINS0_14default_configENS1_33run_length_encode_config_selectorIsjNS0_4plusIjEEEEZZNS1_33reduce_by_key_impl_wrapped_configILNS1_25lookback_scan_determinismE0ES3_S7_PKsNS0_17constant_iteratorIjlEEPsPlSF_S6_NS0_8equal_toIsEEEE10hipError_tPvRmT2_T3_mT4_T5_T6_T7_T8_P12ihipStream_tbENKUlT_T0_E_clISt17integral_constantIbLb0EESZ_EEDaSU_SV_EUlSU_E_NS1_11comp_targetILNS1_3genE9ELNS1_11target_archE1100ELNS1_3gpuE3ELNS1_3repE0EEENS1_30default_config_static_selectorELNS0_4arch9wavefront6targetE0EEEvT1_.num_named_barrier, 0
	.set _ZN7rocprim17ROCPRIM_400000_NS6detail17trampoline_kernelINS0_14default_configENS1_33run_length_encode_config_selectorIsjNS0_4plusIjEEEEZZNS1_33reduce_by_key_impl_wrapped_configILNS1_25lookback_scan_determinismE0ES3_S7_PKsNS0_17constant_iteratorIjlEEPsPlSF_S6_NS0_8equal_toIsEEEE10hipError_tPvRmT2_T3_mT4_T5_T6_T7_T8_P12ihipStream_tbENKUlT_T0_E_clISt17integral_constantIbLb0EESZ_EEDaSU_SV_EUlSU_E_NS1_11comp_targetILNS1_3genE9ELNS1_11target_archE1100ELNS1_3gpuE3ELNS1_3repE0EEENS1_30default_config_static_selectorELNS0_4arch9wavefront6targetE0EEEvT1_.private_seg_size, 0
	.set _ZN7rocprim17ROCPRIM_400000_NS6detail17trampoline_kernelINS0_14default_configENS1_33run_length_encode_config_selectorIsjNS0_4plusIjEEEEZZNS1_33reduce_by_key_impl_wrapped_configILNS1_25lookback_scan_determinismE0ES3_S7_PKsNS0_17constant_iteratorIjlEEPsPlSF_S6_NS0_8equal_toIsEEEE10hipError_tPvRmT2_T3_mT4_T5_T6_T7_T8_P12ihipStream_tbENKUlT_T0_E_clISt17integral_constantIbLb0EESZ_EEDaSU_SV_EUlSU_E_NS1_11comp_targetILNS1_3genE9ELNS1_11target_archE1100ELNS1_3gpuE3ELNS1_3repE0EEENS1_30default_config_static_selectorELNS0_4arch9wavefront6targetE0EEEvT1_.uses_vcc, 0
	.set _ZN7rocprim17ROCPRIM_400000_NS6detail17trampoline_kernelINS0_14default_configENS1_33run_length_encode_config_selectorIsjNS0_4plusIjEEEEZZNS1_33reduce_by_key_impl_wrapped_configILNS1_25lookback_scan_determinismE0ES3_S7_PKsNS0_17constant_iteratorIjlEEPsPlSF_S6_NS0_8equal_toIsEEEE10hipError_tPvRmT2_T3_mT4_T5_T6_T7_T8_P12ihipStream_tbENKUlT_T0_E_clISt17integral_constantIbLb0EESZ_EEDaSU_SV_EUlSU_E_NS1_11comp_targetILNS1_3genE9ELNS1_11target_archE1100ELNS1_3gpuE3ELNS1_3repE0EEENS1_30default_config_static_selectorELNS0_4arch9wavefront6targetE0EEEvT1_.uses_flat_scratch, 0
	.set _ZN7rocprim17ROCPRIM_400000_NS6detail17trampoline_kernelINS0_14default_configENS1_33run_length_encode_config_selectorIsjNS0_4plusIjEEEEZZNS1_33reduce_by_key_impl_wrapped_configILNS1_25lookback_scan_determinismE0ES3_S7_PKsNS0_17constant_iteratorIjlEEPsPlSF_S6_NS0_8equal_toIsEEEE10hipError_tPvRmT2_T3_mT4_T5_T6_T7_T8_P12ihipStream_tbENKUlT_T0_E_clISt17integral_constantIbLb0EESZ_EEDaSU_SV_EUlSU_E_NS1_11comp_targetILNS1_3genE9ELNS1_11target_archE1100ELNS1_3gpuE3ELNS1_3repE0EEENS1_30default_config_static_selectorELNS0_4arch9wavefront6targetE0EEEvT1_.has_dyn_sized_stack, 0
	.set _ZN7rocprim17ROCPRIM_400000_NS6detail17trampoline_kernelINS0_14default_configENS1_33run_length_encode_config_selectorIsjNS0_4plusIjEEEEZZNS1_33reduce_by_key_impl_wrapped_configILNS1_25lookback_scan_determinismE0ES3_S7_PKsNS0_17constant_iteratorIjlEEPsPlSF_S6_NS0_8equal_toIsEEEE10hipError_tPvRmT2_T3_mT4_T5_T6_T7_T8_P12ihipStream_tbENKUlT_T0_E_clISt17integral_constantIbLb0EESZ_EEDaSU_SV_EUlSU_E_NS1_11comp_targetILNS1_3genE9ELNS1_11target_archE1100ELNS1_3gpuE3ELNS1_3repE0EEENS1_30default_config_static_selectorELNS0_4arch9wavefront6targetE0EEEvT1_.has_recursion, 0
	.set _ZN7rocprim17ROCPRIM_400000_NS6detail17trampoline_kernelINS0_14default_configENS1_33run_length_encode_config_selectorIsjNS0_4plusIjEEEEZZNS1_33reduce_by_key_impl_wrapped_configILNS1_25lookback_scan_determinismE0ES3_S7_PKsNS0_17constant_iteratorIjlEEPsPlSF_S6_NS0_8equal_toIsEEEE10hipError_tPvRmT2_T3_mT4_T5_T6_T7_T8_P12ihipStream_tbENKUlT_T0_E_clISt17integral_constantIbLb0EESZ_EEDaSU_SV_EUlSU_E_NS1_11comp_targetILNS1_3genE9ELNS1_11target_archE1100ELNS1_3gpuE3ELNS1_3repE0EEENS1_30default_config_static_selectorELNS0_4arch9wavefront6targetE0EEEvT1_.has_indirect_call, 0
	.section	.AMDGPU.csdata,"",@progbits
; Kernel info:
; codeLenInByte = 0
; TotalNumSgprs: 0
; NumVgprs: 0
; ScratchSize: 0
; MemoryBound: 0
; FloatMode: 240
; IeeeMode: 1
; LDSByteSize: 0 bytes/workgroup (compile time only)
; SGPRBlocks: 0
; VGPRBlocks: 0
; NumSGPRsForWavesPerEU: 1
; NumVGPRsForWavesPerEU: 1
; NamedBarCnt: 0
; Occupancy: 16
; WaveLimiterHint : 0
; COMPUTE_PGM_RSRC2:SCRATCH_EN: 0
; COMPUTE_PGM_RSRC2:USER_SGPR: 2
; COMPUTE_PGM_RSRC2:TRAP_HANDLER: 0
; COMPUTE_PGM_RSRC2:TGID_X_EN: 1
; COMPUTE_PGM_RSRC2:TGID_Y_EN: 0
; COMPUTE_PGM_RSRC2:TGID_Z_EN: 0
; COMPUTE_PGM_RSRC2:TIDIG_COMP_CNT: 0
	.section	.text._ZN7rocprim17ROCPRIM_400000_NS6detail17trampoline_kernelINS0_14default_configENS1_33run_length_encode_config_selectorIsjNS0_4plusIjEEEEZZNS1_33reduce_by_key_impl_wrapped_configILNS1_25lookback_scan_determinismE0ES3_S7_PKsNS0_17constant_iteratorIjlEEPsPlSF_S6_NS0_8equal_toIsEEEE10hipError_tPvRmT2_T3_mT4_T5_T6_T7_T8_P12ihipStream_tbENKUlT_T0_E_clISt17integral_constantIbLb0EESZ_EEDaSU_SV_EUlSU_E_NS1_11comp_targetILNS1_3genE8ELNS1_11target_archE1030ELNS1_3gpuE2ELNS1_3repE0EEENS1_30default_config_static_selectorELNS0_4arch9wavefront6targetE0EEEvT1_,"axG",@progbits,_ZN7rocprim17ROCPRIM_400000_NS6detail17trampoline_kernelINS0_14default_configENS1_33run_length_encode_config_selectorIsjNS0_4plusIjEEEEZZNS1_33reduce_by_key_impl_wrapped_configILNS1_25lookback_scan_determinismE0ES3_S7_PKsNS0_17constant_iteratorIjlEEPsPlSF_S6_NS0_8equal_toIsEEEE10hipError_tPvRmT2_T3_mT4_T5_T6_T7_T8_P12ihipStream_tbENKUlT_T0_E_clISt17integral_constantIbLb0EESZ_EEDaSU_SV_EUlSU_E_NS1_11comp_targetILNS1_3genE8ELNS1_11target_archE1030ELNS1_3gpuE2ELNS1_3repE0EEENS1_30default_config_static_selectorELNS0_4arch9wavefront6targetE0EEEvT1_,comdat
	.protected	_ZN7rocprim17ROCPRIM_400000_NS6detail17trampoline_kernelINS0_14default_configENS1_33run_length_encode_config_selectorIsjNS0_4plusIjEEEEZZNS1_33reduce_by_key_impl_wrapped_configILNS1_25lookback_scan_determinismE0ES3_S7_PKsNS0_17constant_iteratorIjlEEPsPlSF_S6_NS0_8equal_toIsEEEE10hipError_tPvRmT2_T3_mT4_T5_T6_T7_T8_P12ihipStream_tbENKUlT_T0_E_clISt17integral_constantIbLb0EESZ_EEDaSU_SV_EUlSU_E_NS1_11comp_targetILNS1_3genE8ELNS1_11target_archE1030ELNS1_3gpuE2ELNS1_3repE0EEENS1_30default_config_static_selectorELNS0_4arch9wavefront6targetE0EEEvT1_ ; -- Begin function _ZN7rocprim17ROCPRIM_400000_NS6detail17trampoline_kernelINS0_14default_configENS1_33run_length_encode_config_selectorIsjNS0_4plusIjEEEEZZNS1_33reduce_by_key_impl_wrapped_configILNS1_25lookback_scan_determinismE0ES3_S7_PKsNS0_17constant_iteratorIjlEEPsPlSF_S6_NS0_8equal_toIsEEEE10hipError_tPvRmT2_T3_mT4_T5_T6_T7_T8_P12ihipStream_tbENKUlT_T0_E_clISt17integral_constantIbLb0EESZ_EEDaSU_SV_EUlSU_E_NS1_11comp_targetILNS1_3genE8ELNS1_11target_archE1030ELNS1_3gpuE2ELNS1_3repE0EEENS1_30default_config_static_selectorELNS0_4arch9wavefront6targetE0EEEvT1_
	.globl	_ZN7rocprim17ROCPRIM_400000_NS6detail17trampoline_kernelINS0_14default_configENS1_33run_length_encode_config_selectorIsjNS0_4plusIjEEEEZZNS1_33reduce_by_key_impl_wrapped_configILNS1_25lookback_scan_determinismE0ES3_S7_PKsNS0_17constant_iteratorIjlEEPsPlSF_S6_NS0_8equal_toIsEEEE10hipError_tPvRmT2_T3_mT4_T5_T6_T7_T8_P12ihipStream_tbENKUlT_T0_E_clISt17integral_constantIbLb0EESZ_EEDaSU_SV_EUlSU_E_NS1_11comp_targetILNS1_3genE8ELNS1_11target_archE1030ELNS1_3gpuE2ELNS1_3repE0EEENS1_30default_config_static_selectorELNS0_4arch9wavefront6targetE0EEEvT1_
	.p2align	8
	.type	_ZN7rocprim17ROCPRIM_400000_NS6detail17trampoline_kernelINS0_14default_configENS1_33run_length_encode_config_selectorIsjNS0_4plusIjEEEEZZNS1_33reduce_by_key_impl_wrapped_configILNS1_25lookback_scan_determinismE0ES3_S7_PKsNS0_17constant_iteratorIjlEEPsPlSF_S6_NS0_8equal_toIsEEEE10hipError_tPvRmT2_T3_mT4_T5_T6_T7_T8_P12ihipStream_tbENKUlT_T0_E_clISt17integral_constantIbLb0EESZ_EEDaSU_SV_EUlSU_E_NS1_11comp_targetILNS1_3genE8ELNS1_11target_archE1030ELNS1_3gpuE2ELNS1_3repE0EEENS1_30default_config_static_selectorELNS0_4arch9wavefront6targetE0EEEvT1_,@function
_ZN7rocprim17ROCPRIM_400000_NS6detail17trampoline_kernelINS0_14default_configENS1_33run_length_encode_config_selectorIsjNS0_4plusIjEEEEZZNS1_33reduce_by_key_impl_wrapped_configILNS1_25lookback_scan_determinismE0ES3_S7_PKsNS0_17constant_iteratorIjlEEPsPlSF_S6_NS0_8equal_toIsEEEE10hipError_tPvRmT2_T3_mT4_T5_T6_T7_T8_P12ihipStream_tbENKUlT_T0_E_clISt17integral_constantIbLb0EESZ_EEDaSU_SV_EUlSU_E_NS1_11comp_targetILNS1_3genE8ELNS1_11target_archE1030ELNS1_3gpuE2ELNS1_3repE0EEENS1_30default_config_static_selectorELNS0_4arch9wavefront6targetE0EEEvT1_: ; @_ZN7rocprim17ROCPRIM_400000_NS6detail17trampoline_kernelINS0_14default_configENS1_33run_length_encode_config_selectorIsjNS0_4plusIjEEEEZZNS1_33reduce_by_key_impl_wrapped_configILNS1_25lookback_scan_determinismE0ES3_S7_PKsNS0_17constant_iteratorIjlEEPsPlSF_S6_NS0_8equal_toIsEEEE10hipError_tPvRmT2_T3_mT4_T5_T6_T7_T8_P12ihipStream_tbENKUlT_T0_E_clISt17integral_constantIbLb0EESZ_EEDaSU_SV_EUlSU_E_NS1_11comp_targetILNS1_3genE8ELNS1_11target_archE1030ELNS1_3gpuE2ELNS1_3repE0EEENS1_30default_config_static_selectorELNS0_4arch9wavefront6targetE0EEEvT1_
; %bb.0:
	.section	.rodata,"a",@progbits
	.p2align	6, 0x0
	.amdhsa_kernel _ZN7rocprim17ROCPRIM_400000_NS6detail17trampoline_kernelINS0_14default_configENS1_33run_length_encode_config_selectorIsjNS0_4plusIjEEEEZZNS1_33reduce_by_key_impl_wrapped_configILNS1_25lookback_scan_determinismE0ES3_S7_PKsNS0_17constant_iteratorIjlEEPsPlSF_S6_NS0_8equal_toIsEEEE10hipError_tPvRmT2_T3_mT4_T5_T6_T7_T8_P12ihipStream_tbENKUlT_T0_E_clISt17integral_constantIbLb0EESZ_EEDaSU_SV_EUlSU_E_NS1_11comp_targetILNS1_3genE8ELNS1_11target_archE1030ELNS1_3gpuE2ELNS1_3repE0EEENS1_30default_config_static_selectorELNS0_4arch9wavefront6targetE0EEEvT1_
		.amdhsa_group_segment_fixed_size 0
		.amdhsa_private_segment_fixed_size 0
		.amdhsa_kernarg_size 128
		.amdhsa_user_sgpr_count 2
		.amdhsa_user_sgpr_dispatch_ptr 0
		.amdhsa_user_sgpr_queue_ptr 0
		.amdhsa_user_sgpr_kernarg_segment_ptr 1
		.amdhsa_user_sgpr_dispatch_id 0
		.amdhsa_user_sgpr_kernarg_preload_length 0
		.amdhsa_user_sgpr_kernarg_preload_offset 0
		.amdhsa_user_sgpr_private_segment_size 0
		.amdhsa_wavefront_size32 1
		.amdhsa_uses_dynamic_stack 0
		.amdhsa_enable_private_segment 0
		.amdhsa_system_sgpr_workgroup_id_x 1
		.amdhsa_system_sgpr_workgroup_id_y 0
		.amdhsa_system_sgpr_workgroup_id_z 0
		.amdhsa_system_sgpr_workgroup_info 0
		.amdhsa_system_vgpr_workitem_id 0
		.amdhsa_next_free_vgpr 1
		.amdhsa_next_free_sgpr 1
		.amdhsa_named_barrier_count 0
		.amdhsa_reserve_vcc 0
		.amdhsa_float_round_mode_32 0
		.amdhsa_float_round_mode_16_64 0
		.amdhsa_float_denorm_mode_32 3
		.amdhsa_float_denorm_mode_16_64 3
		.amdhsa_fp16_overflow 0
		.amdhsa_memory_ordered 1
		.amdhsa_forward_progress 1
		.amdhsa_inst_pref_size 0
		.amdhsa_round_robin_scheduling 0
		.amdhsa_exception_fp_ieee_invalid_op 0
		.amdhsa_exception_fp_denorm_src 0
		.amdhsa_exception_fp_ieee_div_zero 0
		.amdhsa_exception_fp_ieee_overflow 0
		.amdhsa_exception_fp_ieee_underflow 0
		.amdhsa_exception_fp_ieee_inexact 0
		.amdhsa_exception_int_div_zero 0
	.end_amdhsa_kernel
	.section	.text._ZN7rocprim17ROCPRIM_400000_NS6detail17trampoline_kernelINS0_14default_configENS1_33run_length_encode_config_selectorIsjNS0_4plusIjEEEEZZNS1_33reduce_by_key_impl_wrapped_configILNS1_25lookback_scan_determinismE0ES3_S7_PKsNS0_17constant_iteratorIjlEEPsPlSF_S6_NS0_8equal_toIsEEEE10hipError_tPvRmT2_T3_mT4_T5_T6_T7_T8_P12ihipStream_tbENKUlT_T0_E_clISt17integral_constantIbLb0EESZ_EEDaSU_SV_EUlSU_E_NS1_11comp_targetILNS1_3genE8ELNS1_11target_archE1030ELNS1_3gpuE2ELNS1_3repE0EEENS1_30default_config_static_selectorELNS0_4arch9wavefront6targetE0EEEvT1_,"axG",@progbits,_ZN7rocprim17ROCPRIM_400000_NS6detail17trampoline_kernelINS0_14default_configENS1_33run_length_encode_config_selectorIsjNS0_4plusIjEEEEZZNS1_33reduce_by_key_impl_wrapped_configILNS1_25lookback_scan_determinismE0ES3_S7_PKsNS0_17constant_iteratorIjlEEPsPlSF_S6_NS0_8equal_toIsEEEE10hipError_tPvRmT2_T3_mT4_T5_T6_T7_T8_P12ihipStream_tbENKUlT_T0_E_clISt17integral_constantIbLb0EESZ_EEDaSU_SV_EUlSU_E_NS1_11comp_targetILNS1_3genE8ELNS1_11target_archE1030ELNS1_3gpuE2ELNS1_3repE0EEENS1_30default_config_static_selectorELNS0_4arch9wavefront6targetE0EEEvT1_,comdat
.Lfunc_end588:
	.size	_ZN7rocprim17ROCPRIM_400000_NS6detail17trampoline_kernelINS0_14default_configENS1_33run_length_encode_config_selectorIsjNS0_4plusIjEEEEZZNS1_33reduce_by_key_impl_wrapped_configILNS1_25lookback_scan_determinismE0ES3_S7_PKsNS0_17constant_iteratorIjlEEPsPlSF_S6_NS0_8equal_toIsEEEE10hipError_tPvRmT2_T3_mT4_T5_T6_T7_T8_P12ihipStream_tbENKUlT_T0_E_clISt17integral_constantIbLb0EESZ_EEDaSU_SV_EUlSU_E_NS1_11comp_targetILNS1_3genE8ELNS1_11target_archE1030ELNS1_3gpuE2ELNS1_3repE0EEENS1_30default_config_static_selectorELNS0_4arch9wavefront6targetE0EEEvT1_, .Lfunc_end588-_ZN7rocprim17ROCPRIM_400000_NS6detail17trampoline_kernelINS0_14default_configENS1_33run_length_encode_config_selectorIsjNS0_4plusIjEEEEZZNS1_33reduce_by_key_impl_wrapped_configILNS1_25lookback_scan_determinismE0ES3_S7_PKsNS0_17constant_iteratorIjlEEPsPlSF_S6_NS0_8equal_toIsEEEE10hipError_tPvRmT2_T3_mT4_T5_T6_T7_T8_P12ihipStream_tbENKUlT_T0_E_clISt17integral_constantIbLb0EESZ_EEDaSU_SV_EUlSU_E_NS1_11comp_targetILNS1_3genE8ELNS1_11target_archE1030ELNS1_3gpuE2ELNS1_3repE0EEENS1_30default_config_static_selectorELNS0_4arch9wavefront6targetE0EEEvT1_
                                        ; -- End function
	.set _ZN7rocprim17ROCPRIM_400000_NS6detail17trampoline_kernelINS0_14default_configENS1_33run_length_encode_config_selectorIsjNS0_4plusIjEEEEZZNS1_33reduce_by_key_impl_wrapped_configILNS1_25lookback_scan_determinismE0ES3_S7_PKsNS0_17constant_iteratorIjlEEPsPlSF_S6_NS0_8equal_toIsEEEE10hipError_tPvRmT2_T3_mT4_T5_T6_T7_T8_P12ihipStream_tbENKUlT_T0_E_clISt17integral_constantIbLb0EESZ_EEDaSU_SV_EUlSU_E_NS1_11comp_targetILNS1_3genE8ELNS1_11target_archE1030ELNS1_3gpuE2ELNS1_3repE0EEENS1_30default_config_static_selectorELNS0_4arch9wavefront6targetE0EEEvT1_.num_vgpr, 0
	.set _ZN7rocprim17ROCPRIM_400000_NS6detail17trampoline_kernelINS0_14default_configENS1_33run_length_encode_config_selectorIsjNS0_4plusIjEEEEZZNS1_33reduce_by_key_impl_wrapped_configILNS1_25lookback_scan_determinismE0ES3_S7_PKsNS0_17constant_iteratorIjlEEPsPlSF_S6_NS0_8equal_toIsEEEE10hipError_tPvRmT2_T3_mT4_T5_T6_T7_T8_P12ihipStream_tbENKUlT_T0_E_clISt17integral_constantIbLb0EESZ_EEDaSU_SV_EUlSU_E_NS1_11comp_targetILNS1_3genE8ELNS1_11target_archE1030ELNS1_3gpuE2ELNS1_3repE0EEENS1_30default_config_static_selectorELNS0_4arch9wavefront6targetE0EEEvT1_.num_agpr, 0
	.set _ZN7rocprim17ROCPRIM_400000_NS6detail17trampoline_kernelINS0_14default_configENS1_33run_length_encode_config_selectorIsjNS0_4plusIjEEEEZZNS1_33reduce_by_key_impl_wrapped_configILNS1_25lookback_scan_determinismE0ES3_S7_PKsNS0_17constant_iteratorIjlEEPsPlSF_S6_NS0_8equal_toIsEEEE10hipError_tPvRmT2_T3_mT4_T5_T6_T7_T8_P12ihipStream_tbENKUlT_T0_E_clISt17integral_constantIbLb0EESZ_EEDaSU_SV_EUlSU_E_NS1_11comp_targetILNS1_3genE8ELNS1_11target_archE1030ELNS1_3gpuE2ELNS1_3repE0EEENS1_30default_config_static_selectorELNS0_4arch9wavefront6targetE0EEEvT1_.numbered_sgpr, 0
	.set _ZN7rocprim17ROCPRIM_400000_NS6detail17trampoline_kernelINS0_14default_configENS1_33run_length_encode_config_selectorIsjNS0_4plusIjEEEEZZNS1_33reduce_by_key_impl_wrapped_configILNS1_25lookback_scan_determinismE0ES3_S7_PKsNS0_17constant_iteratorIjlEEPsPlSF_S6_NS0_8equal_toIsEEEE10hipError_tPvRmT2_T3_mT4_T5_T6_T7_T8_P12ihipStream_tbENKUlT_T0_E_clISt17integral_constantIbLb0EESZ_EEDaSU_SV_EUlSU_E_NS1_11comp_targetILNS1_3genE8ELNS1_11target_archE1030ELNS1_3gpuE2ELNS1_3repE0EEENS1_30default_config_static_selectorELNS0_4arch9wavefront6targetE0EEEvT1_.num_named_barrier, 0
	.set _ZN7rocprim17ROCPRIM_400000_NS6detail17trampoline_kernelINS0_14default_configENS1_33run_length_encode_config_selectorIsjNS0_4plusIjEEEEZZNS1_33reduce_by_key_impl_wrapped_configILNS1_25lookback_scan_determinismE0ES3_S7_PKsNS0_17constant_iteratorIjlEEPsPlSF_S6_NS0_8equal_toIsEEEE10hipError_tPvRmT2_T3_mT4_T5_T6_T7_T8_P12ihipStream_tbENKUlT_T0_E_clISt17integral_constantIbLb0EESZ_EEDaSU_SV_EUlSU_E_NS1_11comp_targetILNS1_3genE8ELNS1_11target_archE1030ELNS1_3gpuE2ELNS1_3repE0EEENS1_30default_config_static_selectorELNS0_4arch9wavefront6targetE0EEEvT1_.private_seg_size, 0
	.set _ZN7rocprim17ROCPRIM_400000_NS6detail17trampoline_kernelINS0_14default_configENS1_33run_length_encode_config_selectorIsjNS0_4plusIjEEEEZZNS1_33reduce_by_key_impl_wrapped_configILNS1_25lookback_scan_determinismE0ES3_S7_PKsNS0_17constant_iteratorIjlEEPsPlSF_S6_NS0_8equal_toIsEEEE10hipError_tPvRmT2_T3_mT4_T5_T6_T7_T8_P12ihipStream_tbENKUlT_T0_E_clISt17integral_constantIbLb0EESZ_EEDaSU_SV_EUlSU_E_NS1_11comp_targetILNS1_3genE8ELNS1_11target_archE1030ELNS1_3gpuE2ELNS1_3repE0EEENS1_30default_config_static_selectorELNS0_4arch9wavefront6targetE0EEEvT1_.uses_vcc, 0
	.set _ZN7rocprim17ROCPRIM_400000_NS6detail17trampoline_kernelINS0_14default_configENS1_33run_length_encode_config_selectorIsjNS0_4plusIjEEEEZZNS1_33reduce_by_key_impl_wrapped_configILNS1_25lookback_scan_determinismE0ES3_S7_PKsNS0_17constant_iteratorIjlEEPsPlSF_S6_NS0_8equal_toIsEEEE10hipError_tPvRmT2_T3_mT4_T5_T6_T7_T8_P12ihipStream_tbENKUlT_T0_E_clISt17integral_constantIbLb0EESZ_EEDaSU_SV_EUlSU_E_NS1_11comp_targetILNS1_3genE8ELNS1_11target_archE1030ELNS1_3gpuE2ELNS1_3repE0EEENS1_30default_config_static_selectorELNS0_4arch9wavefront6targetE0EEEvT1_.uses_flat_scratch, 0
	.set _ZN7rocprim17ROCPRIM_400000_NS6detail17trampoline_kernelINS0_14default_configENS1_33run_length_encode_config_selectorIsjNS0_4plusIjEEEEZZNS1_33reduce_by_key_impl_wrapped_configILNS1_25lookback_scan_determinismE0ES3_S7_PKsNS0_17constant_iteratorIjlEEPsPlSF_S6_NS0_8equal_toIsEEEE10hipError_tPvRmT2_T3_mT4_T5_T6_T7_T8_P12ihipStream_tbENKUlT_T0_E_clISt17integral_constantIbLb0EESZ_EEDaSU_SV_EUlSU_E_NS1_11comp_targetILNS1_3genE8ELNS1_11target_archE1030ELNS1_3gpuE2ELNS1_3repE0EEENS1_30default_config_static_selectorELNS0_4arch9wavefront6targetE0EEEvT1_.has_dyn_sized_stack, 0
	.set _ZN7rocprim17ROCPRIM_400000_NS6detail17trampoline_kernelINS0_14default_configENS1_33run_length_encode_config_selectorIsjNS0_4plusIjEEEEZZNS1_33reduce_by_key_impl_wrapped_configILNS1_25lookback_scan_determinismE0ES3_S7_PKsNS0_17constant_iteratorIjlEEPsPlSF_S6_NS0_8equal_toIsEEEE10hipError_tPvRmT2_T3_mT4_T5_T6_T7_T8_P12ihipStream_tbENKUlT_T0_E_clISt17integral_constantIbLb0EESZ_EEDaSU_SV_EUlSU_E_NS1_11comp_targetILNS1_3genE8ELNS1_11target_archE1030ELNS1_3gpuE2ELNS1_3repE0EEENS1_30default_config_static_selectorELNS0_4arch9wavefront6targetE0EEEvT1_.has_recursion, 0
	.set _ZN7rocprim17ROCPRIM_400000_NS6detail17trampoline_kernelINS0_14default_configENS1_33run_length_encode_config_selectorIsjNS0_4plusIjEEEEZZNS1_33reduce_by_key_impl_wrapped_configILNS1_25lookback_scan_determinismE0ES3_S7_PKsNS0_17constant_iteratorIjlEEPsPlSF_S6_NS0_8equal_toIsEEEE10hipError_tPvRmT2_T3_mT4_T5_T6_T7_T8_P12ihipStream_tbENKUlT_T0_E_clISt17integral_constantIbLb0EESZ_EEDaSU_SV_EUlSU_E_NS1_11comp_targetILNS1_3genE8ELNS1_11target_archE1030ELNS1_3gpuE2ELNS1_3repE0EEENS1_30default_config_static_selectorELNS0_4arch9wavefront6targetE0EEEvT1_.has_indirect_call, 0
	.section	.AMDGPU.csdata,"",@progbits
; Kernel info:
; codeLenInByte = 0
; TotalNumSgprs: 0
; NumVgprs: 0
; ScratchSize: 0
; MemoryBound: 0
; FloatMode: 240
; IeeeMode: 1
; LDSByteSize: 0 bytes/workgroup (compile time only)
; SGPRBlocks: 0
; VGPRBlocks: 0
; NumSGPRsForWavesPerEU: 1
; NumVGPRsForWavesPerEU: 1
; NamedBarCnt: 0
; Occupancy: 16
; WaveLimiterHint : 0
; COMPUTE_PGM_RSRC2:SCRATCH_EN: 0
; COMPUTE_PGM_RSRC2:USER_SGPR: 2
; COMPUTE_PGM_RSRC2:TRAP_HANDLER: 0
; COMPUTE_PGM_RSRC2:TGID_X_EN: 1
; COMPUTE_PGM_RSRC2:TGID_Y_EN: 0
; COMPUTE_PGM_RSRC2:TGID_Z_EN: 0
; COMPUTE_PGM_RSRC2:TIDIG_COMP_CNT: 0
	.section	.text._ZN7rocprim17ROCPRIM_400000_NS6detail17trampoline_kernelINS0_14default_configENS1_33run_length_encode_config_selectorIsjNS0_4plusIjEEEEZZNS1_33reduce_by_key_impl_wrapped_configILNS1_25lookback_scan_determinismE0ES3_S7_PKsNS0_17constant_iteratorIjlEEPsPlSF_S6_NS0_8equal_toIsEEEE10hipError_tPvRmT2_T3_mT4_T5_T6_T7_T8_P12ihipStream_tbENKUlT_T0_E_clISt17integral_constantIbLb1EESZ_EEDaSU_SV_EUlSU_E_NS1_11comp_targetILNS1_3genE0ELNS1_11target_archE4294967295ELNS1_3gpuE0ELNS1_3repE0EEENS1_30default_config_static_selectorELNS0_4arch9wavefront6targetE0EEEvT1_,"axG",@progbits,_ZN7rocprim17ROCPRIM_400000_NS6detail17trampoline_kernelINS0_14default_configENS1_33run_length_encode_config_selectorIsjNS0_4plusIjEEEEZZNS1_33reduce_by_key_impl_wrapped_configILNS1_25lookback_scan_determinismE0ES3_S7_PKsNS0_17constant_iteratorIjlEEPsPlSF_S6_NS0_8equal_toIsEEEE10hipError_tPvRmT2_T3_mT4_T5_T6_T7_T8_P12ihipStream_tbENKUlT_T0_E_clISt17integral_constantIbLb1EESZ_EEDaSU_SV_EUlSU_E_NS1_11comp_targetILNS1_3genE0ELNS1_11target_archE4294967295ELNS1_3gpuE0ELNS1_3repE0EEENS1_30default_config_static_selectorELNS0_4arch9wavefront6targetE0EEEvT1_,comdat
	.protected	_ZN7rocprim17ROCPRIM_400000_NS6detail17trampoline_kernelINS0_14default_configENS1_33run_length_encode_config_selectorIsjNS0_4plusIjEEEEZZNS1_33reduce_by_key_impl_wrapped_configILNS1_25lookback_scan_determinismE0ES3_S7_PKsNS0_17constant_iteratorIjlEEPsPlSF_S6_NS0_8equal_toIsEEEE10hipError_tPvRmT2_T3_mT4_T5_T6_T7_T8_P12ihipStream_tbENKUlT_T0_E_clISt17integral_constantIbLb1EESZ_EEDaSU_SV_EUlSU_E_NS1_11comp_targetILNS1_3genE0ELNS1_11target_archE4294967295ELNS1_3gpuE0ELNS1_3repE0EEENS1_30default_config_static_selectorELNS0_4arch9wavefront6targetE0EEEvT1_ ; -- Begin function _ZN7rocprim17ROCPRIM_400000_NS6detail17trampoline_kernelINS0_14default_configENS1_33run_length_encode_config_selectorIsjNS0_4plusIjEEEEZZNS1_33reduce_by_key_impl_wrapped_configILNS1_25lookback_scan_determinismE0ES3_S7_PKsNS0_17constant_iteratorIjlEEPsPlSF_S6_NS0_8equal_toIsEEEE10hipError_tPvRmT2_T3_mT4_T5_T6_T7_T8_P12ihipStream_tbENKUlT_T0_E_clISt17integral_constantIbLb1EESZ_EEDaSU_SV_EUlSU_E_NS1_11comp_targetILNS1_3genE0ELNS1_11target_archE4294967295ELNS1_3gpuE0ELNS1_3repE0EEENS1_30default_config_static_selectorELNS0_4arch9wavefront6targetE0EEEvT1_
	.globl	_ZN7rocprim17ROCPRIM_400000_NS6detail17trampoline_kernelINS0_14default_configENS1_33run_length_encode_config_selectorIsjNS0_4plusIjEEEEZZNS1_33reduce_by_key_impl_wrapped_configILNS1_25lookback_scan_determinismE0ES3_S7_PKsNS0_17constant_iteratorIjlEEPsPlSF_S6_NS0_8equal_toIsEEEE10hipError_tPvRmT2_T3_mT4_T5_T6_T7_T8_P12ihipStream_tbENKUlT_T0_E_clISt17integral_constantIbLb1EESZ_EEDaSU_SV_EUlSU_E_NS1_11comp_targetILNS1_3genE0ELNS1_11target_archE4294967295ELNS1_3gpuE0ELNS1_3repE0EEENS1_30default_config_static_selectorELNS0_4arch9wavefront6targetE0EEEvT1_
	.p2align	8
	.type	_ZN7rocprim17ROCPRIM_400000_NS6detail17trampoline_kernelINS0_14default_configENS1_33run_length_encode_config_selectorIsjNS0_4plusIjEEEEZZNS1_33reduce_by_key_impl_wrapped_configILNS1_25lookback_scan_determinismE0ES3_S7_PKsNS0_17constant_iteratorIjlEEPsPlSF_S6_NS0_8equal_toIsEEEE10hipError_tPvRmT2_T3_mT4_T5_T6_T7_T8_P12ihipStream_tbENKUlT_T0_E_clISt17integral_constantIbLb1EESZ_EEDaSU_SV_EUlSU_E_NS1_11comp_targetILNS1_3genE0ELNS1_11target_archE4294967295ELNS1_3gpuE0ELNS1_3repE0EEENS1_30default_config_static_selectorELNS0_4arch9wavefront6targetE0EEEvT1_,@function
_ZN7rocprim17ROCPRIM_400000_NS6detail17trampoline_kernelINS0_14default_configENS1_33run_length_encode_config_selectorIsjNS0_4plusIjEEEEZZNS1_33reduce_by_key_impl_wrapped_configILNS1_25lookback_scan_determinismE0ES3_S7_PKsNS0_17constant_iteratorIjlEEPsPlSF_S6_NS0_8equal_toIsEEEE10hipError_tPvRmT2_T3_mT4_T5_T6_T7_T8_P12ihipStream_tbENKUlT_T0_E_clISt17integral_constantIbLb1EESZ_EEDaSU_SV_EUlSU_E_NS1_11comp_targetILNS1_3genE0ELNS1_11target_archE4294967295ELNS1_3gpuE0ELNS1_3repE0EEENS1_30default_config_static_selectorELNS0_4arch9wavefront6targetE0EEEvT1_: ; @_ZN7rocprim17ROCPRIM_400000_NS6detail17trampoline_kernelINS0_14default_configENS1_33run_length_encode_config_selectorIsjNS0_4plusIjEEEEZZNS1_33reduce_by_key_impl_wrapped_configILNS1_25lookback_scan_determinismE0ES3_S7_PKsNS0_17constant_iteratorIjlEEPsPlSF_S6_NS0_8equal_toIsEEEE10hipError_tPvRmT2_T3_mT4_T5_T6_T7_T8_P12ihipStream_tbENKUlT_T0_E_clISt17integral_constantIbLb1EESZ_EEDaSU_SV_EUlSU_E_NS1_11comp_targetILNS1_3genE0ELNS1_11target_archE4294967295ELNS1_3gpuE0ELNS1_3repE0EEENS1_30default_config_static_selectorELNS0_4arch9wavefront6targetE0EEEvT1_
; %bb.0:
	s_endpgm
	.section	.rodata,"a",@progbits
	.p2align	6, 0x0
	.amdhsa_kernel _ZN7rocprim17ROCPRIM_400000_NS6detail17trampoline_kernelINS0_14default_configENS1_33run_length_encode_config_selectorIsjNS0_4plusIjEEEEZZNS1_33reduce_by_key_impl_wrapped_configILNS1_25lookback_scan_determinismE0ES3_S7_PKsNS0_17constant_iteratorIjlEEPsPlSF_S6_NS0_8equal_toIsEEEE10hipError_tPvRmT2_T3_mT4_T5_T6_T7_T8_P12ihipStream_tbENKUlT_T0_E_clISt17integral_constantIbLb1EESZ_EEDaSU_SV_EUlSU_E_NS1_11comp_targetILNS1_3genE0ELNS1_11target_archE4294967295ELNS1_3gpuE0ELNS1_3repE0EEENS1_30default_config_static_selectorELNS0_4arch9wavefront6targetE0EEEvT1_
		.amdhsa_group_segment_fixed_size 0
		.amdhsa_private_segment_fixed_size 0
		.amdhsa_kernarg_size 128
		.amdhsa_user_sgpr_count 2
		.amdhsa_user_sgpr_dispatch_ptr 0
		.amdhsa_user_sgpr_queue_ptr 0
		.amdhsa_user_sgpr_kernarg_segment_ptr 1
		.amdhsa_user_sgpr_dispatch_id 0
		.amdhsa_user_sgpr_kernarg_preload_length 0
		.amdhsa_user_sgpr_kernarg_preload_offset 0
		.amdhsa_user_sgpr_private_segment_size 0
		.amdhsa_wavefront_size32 1
		.amdhsa_uses_dynamic_stack 0
		.amdhsa_enable_private_segment 0
		.amdhsa_system_sgpr_workgroup_id_x 1
		.amdhsa_system_sgpr_workgroup_id_y 0
		.amdhsa_system_sgpr_workgroup_id_z 0
		.amdhsa_system_sgpr_workgroup_info 0
		.amdhsa_system_vgpr_workitem_id 0
		.amdhsa_next_free_vgpr 1
		.amdhsa_next_free_sgpr 1
		.amdhsa_named_barrier_count 0
		.amdhsa_reserve_vcc 0
		.amdhsa_float_round_mode_32 0
		.amdhsa_float_round_mode_16_64 0
		.amdhsa_float_denorm_mode_32 3
		.amdhsa_float_denorm_mode_16_64 3
		.amdhsa_fp16_overflow 0
		.amdhsa_memory_ordered 1
		.amdhsa_forward_progress 1
		.amdhsa_inst_pref_size 1
		.amdhsa_round_robin_scheduling 0
		.amdhsa_exception_fp_ieee_invalid_op 0
		.amdhsa_exception_fp_denorm_src 0
		.amdhsa_exception_fp_ieee_div_zero 0
		.amdhsa_exception_fp_ieee_overflow 0
		.amdhsa_exception_fp_ieee_underflow 0
		.amdhsa_exception_fp_ieee_inexact 0
		.amdhsa_exception_int_div_zero 0
	.end_amdhsa_kernel
	.section	.text._ZN7rocprim17ROCPRIM_400000_NS6detail17trampoline_kernelINS0_14default_configENS1_33run_length_encode_config_selectorIsjNS0_4plusIjEEEEZZNS1_33reduce_by_key_impl_wrapped_configILNS1_25lookback_scan_determinismE0ES3_S7_PKsNS0_17constant_iteratorIjlEEPsPlSF_S6_NS0_8equal_toIsEEEE10hipError_tPvRmT2_T3_mT4_T5_T6_T7_T8_P12ihipStream_tbENKUlT_T0_E_clISt17integral_constantIbLb1EESZ_EEDaSU_SV_EUlSU_E_NS1_11comp_targetILNS1_3genE0ELNS1_11target_archE4294967295ELNS1_3gpuE0ELNS1_3repE0EEENS1_30default_config_static_selectorELNS0_4arch9wavefront6targetE0EEEvT1_,"axG",@progbits,_ZN7rocprim17ROCPRIM_400000_NS6detail17trampoline_kernelINS0_14default_configENS1_33run_length_encode_config_selectorIsjNS0_4plusIjEEEEZZNS1_33reduce_by_key_impl_wrapped_configILNS1_25lookback_scan_determinismE0ES3_S7_PKsNS0_17constant_iteratorIjlEEPsPlSF_S6_NS0_8equal_toIsEEEE10hipError_tPvRmT2_T3_mT4_T5_T6_T7_T8_P12ihipStream_tbENKUlT_T0_E_clISt17integral_constantIbLb1EESZ_EEDaSU_SV_EUlSU_E_NS1_11comp_targetILNS1_3genE0ELNS1_11target_archE4294967295ELNS1_3gpuE0ELNS1_3repE0EEENS1_30default_config_static_selectorELNS0_4arch9wavefront6targetE0EEEvT1_,comdat
.Lfunc_end589:
	.size	_ZN7rocprim17ROCPRIM_400000_NS6detail17trampoline_kernelINS0_14default_configENS1_33run_length_encode_config_selectorIsjNS0_4plusIjEEEEZZNS1_33reduce_by_key_impl_wrapped_configILNS1_25lookback_scan_determinismE0ES3_S7_PKsNS0_17constant_iteratorIjlEEPsPlSF_S6_NS0_8equal_toIsEEEE10hipError_tPvRmT2_T3_mT4_T5_T6_T7_T8_P12ihipStream_tbENKUlT_T0_E_clISt17integral_constantIbLb1EESZ_EEDaSU_SV_EUlSU_E_NS1_11comp_targetILNS1_3genE0ELNS1_11target_archE4294967295ELNS1_3gpuE0ELNS1_3repE0EEENS1_30default_config_static_selectorELNS0_4arch9wavefront6targetE0EEEvT1_, .Lfunc_end589-_ZN7rocprim17ROCPRIM_400000_NS6detail17trampoline_kernelINS0_14default_configENS1_33run_length_encode_config_selectorIsjNS0_4plusIjEEEEZZNS1_33reduce_by_key_impl_wrapped_configILNS1_25lookback_scan_determinismE0ES3_S7_PKsNS0_17constant_iteratorIjlEEPsPlSF_S6_NS0_8equal_toIsEEEE10hipError_tPvRmT2_T3_mT4_T5_T6_T7_T8_P12ihipStream_tbENKUlT_T0_E_clISt17integral_constantIbLb1EESZ_EEDaSU_SV_EUlSU_E_NS1_11comp_targetILNS1_3genE0ELNS1_11target_archE4294967295ELNS1_3gpuE0ELNS1_3repE0EEENS1_30default_config_static_selectorELNS0_4arch9wavefront6targetE0EEEvT1_
                                        ; -- End function
	.set _ZN7rocprim17ROCPRIM_400000_NS6detail17trampoline_kernelINS0_14default_configENS1_33run_length_encode_config_selectorIsjNS0_4plusIjEEEEZZNS1_33reduce_by_key_impl_wrapped_configILNS1_25lookback_scan_determinismE0ES3_S7_PKsNS0_17constant_iteratorIjlEEPsPlSF_S6_NS0_8equal_toIsEEEE10hipError_tPvRmT2_T3_mT4_T5_T6_T7_T8_P12ihipStream_tbENKUlT_T0_E_clISt17integral_constantIbLb1EESZ_EEDaSU_SV_EUlSU_E_NS1_11comp_targetILNS1_3genE0ELNS1_11target_archE4294967295ELNS1_3gpuE0ELNS1_3repE0EEENS1_30default_config_static_selectorELNS0_4arch9wavefront6targetE0EEEvT1_.num_vgpr, 0
	.set _ZN7rocprim17ROCPRIM_400000_NS6detail17trampoline_kernelINS0_14default_configENS1_33run_length_encode_config_selectorIsjNS0_4plusIjEEEEZZNS1_33reduce_by_key_impl_wrapped_configILNS1_25lookback_scan_determinismE0ES3_S7_PKsNS0_17constant_iteratorIjlEEPsPlSF_S6_NS0_8equal_toIsEEEE10hipError_tPvRmT2_T3_mT4_T5_T6_T7_T8_P12ihipStream_tbENKUlT_T0_E_clISt17integral_constantIbLb1EESZ_EEDaSU_SV_EUlSU_E_NS1_11comp_targetILNS1_3genE0ELNS1_11target_archE4294967295ELNS1_3gpuE0ELNS1_3repE0EEENS1_30default_config_static_selectorELNS0_4arch9wavefront6targetE0EEEvT1_.num_agpr, 0
	.set _ZN7rocprim17ROCPRIM_400000_NS6detail17trampoline_kernelINS0_14default_configENS1_33run_length_encode_config_selectorIsjNS0_4plusIjEEEEZZNS1_33reduce_by_key_impl_wrapped_configILNS1_25lookback_scan_determinismE0ES3_S7_PKsNS0_17constant_iteratorIjlEEPsPlSF_S6_NS0_8equal_toIsEEEE10hipError_tPvRmT2_T3_mT4_T5_T6_T7_T8_P12ihipStream_tbENKUlT_T0_E_clISt17integral_constantIbLb1EESZ_EEDaSU_SV_EUlSU_E_NS1_11comp_targetILNS1_3genE0ELNS1_11target_archE4294967295ELNS1_3gpuE0ELNS1_3repE0EEENS1_30default_config_static_selectorELNS0_4arch9wavefront6targetE0EEEvT1_.numbered_sgpr, 0
	.set _ZN7rocprim17ROCPRIM_400000_NS6detail17trampoline_kernelINS0_14default_configENS1_33run_length_encode_config_selectorIsjNS0_4plusIjEEEEZZNS1_33reduce_by_key_impl_wrapped_configILNS1_25lookback_scan_determinismE0ES3_S7_PKsNS0_17constant_iteratorIjlEEPsPlSF_S6_NS0_8equal_toIsEEEE10hipError_tPvRmT2_T3_mT4_T5_T6_T7_T8_P12ihipStream_tbENKUlT_T0_E_clISt17integral_constantIbLb1EESZ_EEDaSU_SV_EUlSU_E_NS1_11comp_targetILNS1_3genE0ELNS1_11target_archE4294967295ELNS1_3gpuE0ELNS1_3repE0EEENS1_30default_config_static_selectorELNS0_4arch9wavefront6targetE0EEEvT1_.num_named_barrier, 0
	.set _ZN7rocprim17ROCPRIM_400000_NS6detail17trampoline_kernelINS0_14default_configENS1_33run_length_encode_config_selectorIsjNS0_4plusIjEEEEZZNS1_33reduce_by_key_impl_wrapped_configILNS1_25lookback_scan_determinismE0ES3_S7_PKsNS0_17constant_iteratorIjlEEPsPlSF_S6_NS0_8equal_toIsEEEE10hipError_tPvRmT2_T3_mT4_T5_T6_T7_T8_P12ihipStream_tbENKUlT_T0_E_clISt17integral_constantIbLb1EESZ_EEDaSU_SV_EUlSU_E_NS1_11comp_targetILNS1_3genE0ELNS1_11target_archE4294967295ELNS1_3gpuE0ELNS1_3repE0EEENS1_30default_config_static_selectorELNS0_4arch9wavefront6targetE0EEEvT1_.private_seg_size, 0
	.set _ZN7rocprim17ROCPRIM_400000_NS6detail17trampoline_kernelINS0_14default_configENS1_33run_length_encode_config_selectorIsjNS0_4plusIjEEEEZZNS1_33reduce_by_key_impl_wrapped_configILNS1_25lookback_scan_determinismE0ES3_S7_PKsNS0_17constant_iteratorIjlEEPsPlSF_S6_NS0_8equal_toIsEEEE10hipError_tPvRmT2_T3_mT4_T5_T6_T7_T8_P12ihipStream_tbENKUlT_T0_E_clISt17integral_constantIbLb1EESZ_EEDaSU_SV_EUlSU_E_NS1_11comp_targetILNS1_3genE0ELNS1_11target_archE4294967295ELNS1_3gpuE0ELNS1_3repE0EEENS1_30default_config_static_selectorELNS0_4arch9wavefront6targetE0EEEvT1_.uses_vcc, 0
	.set _ZN7rocprim17ROCPRIM_400000_NS6detail17trampoline_kernelINS0_14default_configENS1_33run_length_encode_config_selectorIsjNS0_4plusIjEEEEZZNS1_33reduce_by_key_impl_wrapped_configILNS1_25lookback_scan_determinismE0ES3_S7_PKsNS0_17constant_iteratorIjlEEPsPlSF_S6_NS0_8equal_toIsEEEE10hipError_tPvRmT2_T3_mT4_T5_T6_T7_T8_P12ihipStream_tbENKUlT_T0_E_clISt17integral_constantIbLb1EESZ_EEDaSU_SV_EUlSU_E_NS1_11comp_targetILNS1_3genE0ELNS1_11target_archE4294967295ELNS1_3gpuE0ELNS1_3repE0EEENS1_30default_config_static_selectorELNS0_4arch9wavefront6targetE0EEEvT1_.uses_flat_scratch, 0
	.set _ZN7rocprim17ROCPRIM_400000_NS6detail17trampoline_kernelINS0_14default_configENS1_33run_length_encode_config_selectorIsjNS0_4plusIjEEEEZZNS1_33reduce_by_key_impl_wrapped_configILNS1_25lookback_scan_determinismE0ES3_S7_PKsNS0_17constant_iteratorIjlEEPsPlSF_S6_NS0_8equal_toIsEEEE10hipError_tPvRmT2_T3_mT4_T5_T6_T7_T8_P12ihipStream_tbENKUlT_T0_E_clISt17integral_constantIbLb1EESZ_EEDaSU_SV_EUlSU_E_NS1_11comp_targetILNS1_3genE0ELNS1_11target_archE4294967295ELNS1_3gpuE0ELNS1_3repE0EEENS1_30default_config_static_selectorELNS0_4arch9wavefront6targetE0EEEvT1_.has_dyn_sized_stack, 0
	.set _ZN7rocprim17ROCPRIM_400000_NS6detail17trampoline_kernelINS0_14default_configENS1_33run_length_encode_config_selectorIsjNS0_4plusIjEEEEZZNS1_33reduce_by_key_impl_wrapped_configILNS1_25lookback_scan_determinismE0ES3_S7_PKsNS0_17constant_iteratorIjlEEPsPlSF_S6_NS0_8equal_toIsEEEE10hipError_tPvRmT2_T3_mT4_T5_T6_T7_T8_P12ihipStream_tbENKUlT_T0_E_clISt17integral_constantIbLb1EESZ_EEDaSU_SV_EUlSU_E_NS1_11comp_targetILNS1_3genE0ELNS1_11target_archE4294967295ELNS1_3gpuE0ELNS1_3repE0EEENS1_30default_config_static_selectorELNS0_4arch9wavefront6targetE0EEEvT1_.has_recursion, 0
	.set _ZN7rocprim17ROCPRIM_400000_NS6detail17trampoline_kernelINS0_14default_configENS1_33run_length_encode_config_selectorIsjNS0_4plusIjEEEEZZNS1_33reduce_by_key_impl_wrapped_configILNS1_25lookback_scan_determinismE0ES3_S7_PKsNS0_17constant_iteratorIjlEEPsPlSF_S6_NS0_8equal_toIsEEEE10hipError_tPvRmT2_T3_mT4_T5_T6_T7_T8_P12ihipStream_tbENKUlT_T0_E_clISt17integral_constantIbLb1EESZ_EEDaSU_SV_EUlSU_E_NS1_11comp_targetILNS1_3genE0ELNS1_11target_archE4294967295ELNS1_3gpuE0ELNS1_3repE0EEENS1_30default_config_static_selectorELNS0_4arch9wavefront6targetE0EEEvT1_.has_indirect_call, 0
	.section	.AMDGPU.csdata,"",@progbits
; Kernel info:
; codeLenInByte = 4
; TotalNumSgprs: 0
; NumVgprs: 0
; ScratchSize: 0
; MemoryBound: 0
; FloatMode: 240
; IeeeMode: 1
; LDSByteSize: 0 bytes/workgroup (compile time only)
; SGPRBlocks: 0
; VGPRBlocks: 0
; NumSGPRsForWavesPerEU: 1
; NumVGPRsForWavesPerEU: 1
; NamedBarCnt: 0
; Occupancy: 16
; WaveLimiterHint : 0
; COMPUTE_PGM_RSRC2:SCRATCH_EN: 0
; COMPUTE_PGM_RSRC2:USER_SGPR: 2
; COMPUTE_PGM_RSRC2:TRAP_HANDLER: 0
; COMPUTE_PGM_RSRC2:TGID_X_EN: 1
; COMPUTE_PGM_RSRC2:TGID_Y_EN: 0
; COMPUTE_PGM_RSRC2:TGID_Z_EN: 0
; COMPUTE_PGM_RSRC2:TIDIG_COMP_CNT: 0
	.section	.text._ZN7rocprim17ROCPRIM_400000_NS6detail17trampoline_kernelINS0_14default_configENS1_33run_length_encode_config_selectorIsjNS0_4plusIjEEEEZZNS1_33reduce_by_key_impl_wrapped_configILNS1_25lookback_scan_determinismE0ES3_S7_PKsNS0_17constant_iteratorIjlEEPsPlSF_S6_NS0_8equal_toIsEEEE10hipError_tPvRmT2_T3_mT4_T5_T6_T7_T8_P12ihipStream_tbENKUlT_T0_E_clISt17integral_constantIbLb1EESZ_EEDaSU_SV_EUlSU_E_NS1_11comp_targetILNS1_3genE5ELNS1_11target_archE942ELNS1_3gpuE9ELNS1_3repE0EEENS1_30default_config_static_selectorELNS0_4arch9wavefront6targetE0EEEvT1_,"axG",@progbits,_ZN7rocprim17ROCPRIM_400000_NS6detail17trampoline_kernelINS0_14default_configENS1_33run_length_encode_config_selectorIsjNS0_4plusIjEEEEZZNS1_33reduce_by_key_impl_wrapped_configILNS1_25lookback_scan_determinismE0ES3_S7_PKsNS0_17constant_iteratorIjlEEPsPlSF_S6_NS0_8equal_toIsEEEE10hipError_tPvRmT2_T3_mT4_T5_T6_T7_T8_P12ihipStream_tbENKUlT_T0_E_clISt17integral_constantIbLb1EESZ_EEDaSU_SV_EUlSU_E_NS1_11comp_targetILNS1_3genE5ELNS1_11target_archE942ELNS1_3gpuE9ELNS1_3repE0EEENS1_30default_config_static_selectorELNS0_4arch9wavefront6targetE0EEEvT1_,comdat
	.protected	_ZN7rocprim17ROCPRIM_400000_NS6detail17trampoline_kernelINS0_14default_configENS1_33run_length_encode_config_selectorIsjNS0_4plusIjEEEEZZNS1_33reduce_by_key_impl_wrapped_configILNS1_25lookback_scan_determinismE0ES3_S7_PKsNS0_17constant_iteratorIjlEEPsPlSF_S6_NS0_8equal_toIsEEEE10hipError_tPvRmT2_T3_mT4_T5_T6_T7_T8_P12ihipStream_tbENKUlT_T0_E_clISt17integral_constantIbLb1EESZ_EEDaSU_SV_EUlSU_E_NS1_11comp_targetILNS1_3genE5ELNS1_11target_archE942ELNS1_3gpuE9ELNS1_3repE0EEENS1_30default_config_static_selectorELNS0_4arch9wavefront6targetE0EEEvT1_ ; -- Begin function _ZN7rocprim17ROCPRIM_400000_NS6detail17trampoline_kernelINS0_14default_configENS1_33run_length_encode_config_selectorIsjNS0_4plusIjEEEEZZNS1_33reduce_by_key_impl_wrapped_configILNS1_25lookback_scan_determinismE0ES3_S7_PKsNS0_17constant_iteratorIjlEEPsPlSF_S6_NS0_8equal_toIsEEEE10hipError_tPvRmT2_T3_mT4_T5_T6_T7_T8_P12ihipStream_tbENKUlT_T0_E_clISt17integral_constantIbLb1EESZ_EEDaSU_SV_EUlSU_E_NS1_11comp_targetILNS1_3genE5ELNS1_11target_archE942ELNS1_3gpuE9ELNS1_3repE0EEENS1_30default_config_static_selectorELNS0_4arch9wavefront6targetE0EEEvT1_
	.globl	_ZN7rocprim17ROCPRIM_400000_NS6detail17trampoline_kernelINS0_14default_configENS1_33run_length_encode_config_selectorIsjNS0_4plusIjEEEEZZNS1_33reduce_by_key_impl_wrapped_configILNS1_25lookback_scan_determinismE0ES3_S7_PKsNS0_17constant_iteratorIjlEEPsPlSF_S6_NS0_8equal_toIsEEEE10hipError_tPvRmT2_T3_mT4_T5_T6_T7_T8_P12ihipStream_tbENKUlT_T0_E_clISt17integral_constantIbLb1EESZ_EEDaSU_SV_EUlSU_E_NS1_11comp_targetILNS1_3genE5ELNS1_11target_archE942ELNS1_3gpuE9ELNS1_3repE0EEENS1_30default_config_static_selectorELNS0_4arch9wavefront6targetE0EEEvT1_
	.p2align	8
	.type	_ZN7rocprim17ROCPRIM_400000_NS6detail17trampoline_kernelINS0_14default_configENS1_33run_length_encode_config_selectorIsjNS0_4plusIjEEEEZZNS1_33reduce_by_key_impl_wrapped_configILNS1_25lookback_scan_determinismE0ES3_S7_PKsNS0_17constant_iteratorIjlEEPsPlSF_S6_NS0_8equal_toIsEEEE10hipError_tPvRmT2_T3_mT4_T5_T6_T7_T8_P12ihipStream_tbENKUlT_T0_E_clISt17integral_constantIbLb1EESZ_EEDaSU_SV_EUlSU_E_NS1_11comp_targetILNS1_3genE5ELNS1_11target_archE942ELNS1_3gpuE9ELNS1_3repE0EEENS1_30default_config_static_selectorELNS0_4arch9wavefront6targetE0EEEvT1_,@function
_ZN7rocprim17ROCPRIM_400000_NS6detail17trampoline_kernelINS0_14default_configENS1_33run_length_encode_config_selectorIsjNS0_4plusIjEEEEZZNS1_33reduce_by_key_impl_wrapped_configILNS1_25lookback_scan_determinismE0ES3_S7_PKsNS0_17constant_iteratorIjlEEPsPlSF_S6_NS0_8equal_toIsEEEE10hipError_tPvRmT2_T3_mT4_T5_T6_T7_T8_P12ihipStream_tbENKUlT_T0_E_clISt17integral_constantIbLb1EESZ_EEDaSU_SV_EUlSU_E_NS1_11comp_targetILNS1_3genE5ELNS1_11target_archE942ELNS1_3gpuE9ELNS1_3repE0EEENS1_30default_config_static_selectorELNS0_4arch9wavefront6targetE0EEEvT1_: ; @_ZN7rocprim17ROCPRIM_400000_NS6detail17trampoline_kernelINS0_14default_configENS1_33run_length_encode_config_selectorIsjNS0_4plusIjEEEEZZNS1_33reduce_by_key_impl_wrapped_configILNS1_25lookback_scan_determinismE0ES3_S7_PKsNS0_17constant_iteratorIjlEEPsPlSF_S6_NS0_8equal_toIsEEEE10hipError_tPvRmT2_T3_mT4_T5_T6_T7_T8_P12ihipStream_tbENKUlT_T0_E_clISt17integral_constantIbLb1EESZ_EEDaSU_SV_EUlSU_E_NS1_11comp_targetILNS1_3genE5ELNS1_11target_archE942ELNS1_3gpuE9ELNS1_3repE0EEENS1_30default_config_static_selectorELNS0_4arch9wavefront6targetE0EEEvT1_
; %bb.0:
	.section	.rodata,"a",@progbits
	.p2align	6, 0x0
	.amdhsa_kernel _ZN7rocprim17ROCPRIM_400000_NS6detail17trampoline_kernelINS0_14default_configENS1_33run_length_encode_config_selectorIsjNS0_4plusIjEEEEZZNS1_33reduce_by_key_impl_wrapped_configILNS1_25lookback_scan_determinismE0ES3_S7_PKsNS0_17constant_iteratorIjlEEPsPlSF_S6_NS0_8equal_toIsEEEE10hipError_tPvRmT2_T3_mT4_T5_T6_T7_T8_P12ihipStream_tbENKUlT_T0_E_clISt17integral_constantIbLb1EESZ_EEDaSU_SV_EUlSU_E_NS1_11comp_targetILNS1_3genE5ELNS1_11target_archE942ELNS1_3gpuE9ELNS1_3repE0EEENS1_30default_config_static_selectorELNS0_4arch9wavefront6targetE0EEEvT1_
		.amdhsa_group_segment_fixed_size 0
		.amdhsa_private_segment_fixed_size 0
		.amdhsa_kernarg_size 128
		.amdhsa_user_sgpr_count 2
		.amdhsa_user_sgpr_dispatch_ptr 0
		.amdhsa_user_sgpr_queue_ptr 0
		.amdhsa_user_sgpr_kernarg_segment_ptr 1
		.amdhsa_user_sgpr_dispatch_id 0
		.amdhsa_user_sgpr_kernarg_preload_length 0
		.amdhsa_user_sgpr_kernarg_preload_offset 0
		.amdhsa_user_sgpr_private_segment_size 0
		.amdhsa_wavefront_size32 1
		.amdhsa_uses_dynamic_stack 0
		.amdhsa_enable_private_segment 0
		.amdhsa_system_sgpr_workgroup_id_x 1
		.amdhsa_system_sgpr_workgroup_id_y 0
		.amdhsa_system_sgpr_workgroup_id_z 0
		.amdhsa_system_sgpr_workgroup_info 0
		.amdhsa_system_vgpr_workitem_id 0
		.amdhsa_next_free_vgpr 1
		.amdhsa_next_free_sgpr 1
		.amdhsa_named_barrier_count 0
		.amdhsa_reserve_vcc 0
		.amdhsa_float_round_mode_32 0
		.amdhsa_float_round_mode_16_64 0
		.amdhsa_float_denorm_mode_32 3
		.amdhsa_float_denorm_mode_16_64 3
		.amdhsa_fp16_overflow 0
		.amdhsa_memory_ordered 1
		.amdhsa_forward_progress 1
		.amdhsa_inst_pref_size 0
		.amdhsa_round_robin_scheduling 0
		.amdhsa_exception_fp_ieee_invalid_op 0
		.amdhsa_exception_fp_denorm_src 0
		.amdhsa_exception_fp_ieee_div_zero 0
		.amdhsa_exception_fp_ieee_overflow 0
		.amdhsa_exception_fp_ieee_underflow 0
		.amdhsa_exception_fp_ieee_inexact 0
		.amdhsa_exception_int_div_zero 0
	.end_amdhsa_kernel
	.section	.text._ZN7rocprim17ROCPRIM_400000_NS6detail17trampoline_kernelINS0_14default_configENS1_33run_length_encode_config_selectorIsjNS0_4plusIjEEEEZZNS1_33reduce_by_key_impl_wrapped_configILNS1_25lookback_scan_determinismE0ES3_S7_PKsNS0_17constant_iteratorIjlEEPsPlSF_S6_NS0_8equal_toIsEEEE10hipError_tPvRmT2_T3_mT4_T5_T6_T7_T8_P12ihipStream_tbENKUlT_T0_E_clISt17integral_constantIbLb1EESZ_EEDaSU_SV_EUlSU_E_NS1_11comp_targetILNS1_3genE5ELNS1_11target_archE942ELNS1_3gpuE9ELNS1_3repE0EEENS1_30default_config_static_selectorELNS0_4arch9wavefront6targetE0EEEvT1_,"axG",@progbits,_ZN7rocprim17ROCPRIM_400000_NS6detail17trampoline_kernelINS0_14default_configENS1_33run_length_encode_config_selectorIsjNS0_4plusIjEEEEZZNS1_33reduce_by_key_impl_wrapped_configILNS1_25lookback_scan_determinismE0ES3_S7_PKsNS0_17constant_iteratorIjlEEPsPlSF_S6_NS0_8equal_toIsEEEE10hipError_tPvRmT2_T3_mT4_T5_T6_T7_T8_P12ihipStream_tbENKUlT_T0_E_clISt17integral_constantIbLb1EESZ_EEDaSU_SV_EUlSU_E_NS1_11comp_targetILNS1_3genE5ELNS1_11target_archE942ELNS1_3gpuE9ELNS1_3repE0EEENS1_30default_config_static_selectorELNS0_4arch9wavefront6targetE0EEEvT1_,comdat
.Lfunc_end590:
	.size	_ZN7rocprim17ROCPRIM_400000_NS6detail17trampoline_kernelINS0_14default_configENS1_33run_length_encode_config_selectorIsjNS0_4plusIjEEEEZZNS1_33reduce_by_key_impl_wrapped_configILNS1_25lookback_scan_determinismE0ES3_S7_PKsNS0_17constant_iteratorIjlEEPsPlSF_S6_NS0_8equal_toIsEEEE10hipError_tPvRmT2_T3_mT4_T5_T6_T7_T8_P12ihipStream_tbENKUlT_T0_E_clISt17integral_constantIbLb1EESZ_EEDaSU_SV_EUlSU_E_NS1_11comp_targetILNS1_3genE5ELNS1_11target_archE942ELNS1_3gpuE9ELNS1_3repE0EEENS1_30default_config_static_selectorELNS0_4arch9wavefront6targetE0EEEvT1_, .Lfunc_end590-_ZN7rocprim17ROCPRIM_400000_NS6detail17trampoline_kernelINS0_14default_configENS1_33run_length_encode_config_selectorIsjNS0_4plusIjEEEEZZNS1_33reduce_by_key_impl_wrapped_configILNS1_25lookback_scan_determinismE0ES3_S7_PKsNS0_17constant_iteratorIjlEEPsPlSF_S6_NS0_8equal_toIsEEEE10hipError_tPvRmT2_T3_mT4_T5_T6_T7_T8_P12ihipStream_tbENKUlT_T0_E_clISt17integral_constantIbLb1EESZ_EEDaSU_SV_EUlSU_E_NS1_11comp_targetILNS1_3genE5ELNS1_11target_archE942ELNS1_3gpuE9ELNS1_3repE0EEENS1_30default_config_static_selectorELNS0_4arch9wavefront6targetE0EEEvT1_
                                        ; -- End function
	.set _ZN7rocprim17ROCPRIM_400000_NS6detail17trampoline_kernelINS0_14default_configENS1_33run_length_encode_config_selectorIsjNS0_4plusIjEEEEZZNS1_33reduce_by_key_impl_wrapped_configILNS1_25lookback_scan_determinismE0ES3_S7_PKsNS0_17constant_iteratorIjlEEPsPlSF_S6_NS0_8equal_toIsEEEE10hipError_tPvRmT2_T3_mT4_T5_T6_T7_T8_P12ihipStream_tbENKUlT_T0_E_clISt17integral_constantIbLb1EESZ_EEDaSU_SV_EUlSU_E_NS1_11comp_targetILNS1_3genE5ELNS1_11target_archE942ELNS1_3gpuE9ELNS1_3repE0EEENS1_30default_config_static_selectorELNS0_4arch9wavefront6targetE0EEEvT1_.num_vgpr, 0
	.set _ZN7rocprim17ROCPRIM_400000_NS6detail17trampoline_kernelINS0_14default_configENS1_33run_length_encode_config_selectorIsjNS0_4plusIjEEEEZZNS1_33reduce_by_key_impl_wrapped_configILNS1_25lookback_scan_determinismE0ES3_S7_PKsNS0_17constant_iteratorIjlEEPsPlSF_S6_NS0_8equal_toIsEEEE10hipError_tPvRmT2_T3_mT4_T5_T6_T7_T8_P12ihipStream_tbENKUlT_T0_E_clISt17integral_constantIbLb1EESZ_EEDaSU_SV_EUlSU_E_NS1_11comp_targetILNS1_3genE5ELNS1_11target_archE942ELNS1_3gpuE9ELNS1_3repE0EEENS1_30default_config_static_selectorELNS0_4arch9wavefront6targetE0EEEvT1_.num_agpr, 0
	.set _ZN7rocprim17ROCPRIM_400000_NS6detail17trampoline_kernelINS0_14default_configENS1_33run_length_encode_config_selectorIsjNS0_4plusIjEEEEZZNS1_33reduce_by_key_impl_wrapped_configILNS1_25lookback_scan_determinismE0ES3_S7_PKsNS0_17constant_iteratorIjlEEPsPlSF_S6_NS0_8equal_toIsEEEE10hipError_tPvRmT2_T3_mT4_T5_T6_T7_T8_P12ihipStream_tbENKUlT_T0_E_clISt17integral_constantIbLb1EESZ_EEDaSU_SV_EUlSU_E_NS1_11comp_targetILNS1_3genE5ELNS1_11target_archE942ELNS1_3gpuE9ELNS1_3repE0EEENS1_30default_config_static_selectorELNS0_4arch9wavefront6targetE0EEEvT1_.numbered_sgpr, 0
	.set _ZN7rocprim17ROCPRIM_400000_NS6detail17trampoline_kernelINS0_14default_configENS1_33run_length_encode_config_selectorIsjNS0_4plusIjEEEEZZNS1_33reduce_by_key_impl_wrapped_configILNS1_25lookback_scan_determinismE0ES3_S7_PKsNS0_17constant_iteratorIjlEEPsPlSF_S6_NS0_8equal_toIsEEEE10hipError_tPvRmT2_T3_mT4_T5_T6_T7_T8_P12ihipStream_tbENKUlT_T0_E_clISt17integral_constantIbLb1EESZ_EEDaSU_SV_EUlSU_E_NS1_11comp_targetILNS1_3genE5ELNS1_11target_archE942ELNS1_3gpuE9ELNS1_3repE0EEENS1_30default_config_static_selectorELNS0_4arch9wavefront6targetE0EEEvT1_.num_named_barrier, 0
	.set _ZN7rocprim17ROCPRIM_400000_NS6detail17trampoline_kernelINS0_14default_configENS1_33run_length_encode_config_selectorIsjNS0_4plusIjEEEEZZNS1_33reduce_by_key_impl_wrapped_configILNS1_25lookback_scan_determinismE0ES3_S7_PKsNS0_17constant_iteratorIjlEEPsPlSF_S6_NS0_8equal_toIsEEEE10hipError_tPvRmT2_T3_mT4_T5_T6_T7_T8_P12ihipStream_tbENKUlT_T0_E_clISt17integral_constantIbLb1EESZ_EEDaSU_SV_EUlSU_E_NS1_11comp_targetILNS1_3genE5ELNS1_11target_archE942ELNS1_3gpuE9ELNS1_3repE0EEENS1_30default_config_static_selectorELNS0_4arch9wavefront6targetE0EEEvT1_.private_seg_size, 0
	.set _ZN7rocprim17ROCPRIM_400000_NS6detail17trampoline_kernelINS0_14default_configENS1_33run_length_encode_config_selectorIsjNS0_4plusIjEEEEZZNS1_33reduce_by_key_impl_wrapped_configILNS1_25lookback_scan_determinismE0ES3_S7_PKsNS0_17constant_iteratorIjlEEPsPlSF_S6_NS0_8equal_toIsEEEE10hipError_tPvRmT2_T3_mT4_T5_T6_T7_T8_P12ihipStream_tbENKUlT_T0_E_clISt17integral_constantIbLb1EESZ_EEDaSU_SV_EUlSU_E_NS1_11comp_targetILNS1_3genE5ELNS1_11target_archE942ELNS1_3gpuE9ELNS1_3repE0EEENS1_30default_config_static_selectorELNS0_4arch9wavefront6targetE0EEEvT1_.uses_vcc, 0
	.set _ZN7rocprim17ROCPRIM_400000_NS6detail17trampoline_kernelINS0_14default_configENS1_33run_length_encode_config_selectorIsjNS0_4plusIjEEEEZZNS1_33reduce_by_key_impl_wrapped_configILNS1_25lookback_scan_determinismE0ES3_S7_PKsNS0_17constant_iteratorIjlEEPsPlSF_S6_NS0_8equal_toIsEEEE10hipError_tPvRmT2_T3_mT4_T5_T6_T7_T8_P12ihipStream_tbENKUlT_T0_E_clISt17integral_constantIbLb1EESZ_EEDaSU_SV_EUlSU_E_NS1_11comp_targetILNS1_3genE5ELNS1_11target_archE942ELNS1_3gpuE9ELNS1_3repE0EEENS1_30default_config_static_selectorELNS0_4arch9wavefront6targetE0EEEvT1_.uses_flat_scratch, 0
	.set _ZN7rocprim17ROCPRIM_400000_NS6detail17trampoline_kernelINS0_14default_configENS1_33run_length_encode_config_selectorIsjNS0_4plusIjEEEEZZNS1_33reduce_by_key_impl_wrapped_configILNS1_25lookback_scan_determinismE0ES3_S7_PKsNS0_17constant_iteratorIjlEEPsPlSF_S6_NS0_8equal_toIsEEEE10hipError_tPvRmT2_T3_mT4_T5_T6_T7_T8_P12ihipStream_tbENKUlT_T0_E_clISt17integral_constantIbLb1EESZ_EEDaSU_SV_EUlSU_E_NS1_11comp_targetILNS1_3genE5ELNS1_11target_archE942ELNS1_3gpuE9ELNS1_3repE0EEENS1_30default_config_static_selectorELNS0_4arch9wavefront6targetE0EEEvT1_.has_dyn_sized_stack, 0
	.set _ZN7rocprim17ROCPRIM_400000_NS6detail17trampoline_kernelINS0_14default_configENS1_33run_length_encode_config_selectorIsjNS0_4plusIjEEEEZZNS1_33reduce_by_key_impl_wrapped_configILNS1_25lookback_scan_determinismE0ES3_S7_PKsNS0_17constant_iteratorIjlEEPsPlSF_S6_NS0_8equal_toIsEEEE10hipError_tPvRmT2_T3_mT4_T5_T6_T7_T8_P12ihipStream_tbENKUlT_T0_E_clISt17integral_constantIbLb1EESZ_EEDaSU_SV_EUlSU_E_NS1_11comp_targetILNS1_3genE5ELNS1_11target_archE942ELNS1_3gpuE9ELNS1_3repE0EEENS1_30default_config_static_selectorELNS0_4arch9wavefront6targetE0EEEvT1_.has_recursion, 0
	.set _ZN7rocprim17ROCPRIM_400000_NS6detail17trampoline_kernelINS0_14default_configENS1_33run_length_encode_config_selectorIsjNS0_4plusIjEEEEZZNS1_33reduce_by_key_impl_wrapped_configILNS1_25lookback_scan_determinismE0ES3_S7_PKsNS0_17constant_iteratorIjlEEPsPlSF_S6_NS0_8equal_toIsEEEE10hipError_tPvRmT2_T3_mT4_T5_T6_T7_T8_P12ihipStream_tbENKUlT_T0_E_clISt17integral_constantIbLb1EESZ_EEDaSU_SV_EUlSU_E_NS1_11comp_targetILNS1_3genE5ELNS1_11target_archE942ELNS1_3gpuE9ELNS1_3repE0EEENS1_30default_config_static_selectorELNS0_4arch9wavefront6targetE0EEEvT1_.has_indirect_call, 0
	.section	.AMDGPU.csdata,"",@progbits
; Kernel info:
; codeLenInByte = 0
; TotalNumSgprs: 0
; NumVgprs: 0
; ScratchSize: 0
; MemoryBound: 0
; FloatMode: 240
; IeeeMode: 1
; LDSByteSize: 0 bytes/workgroup (compile time only)
; SGPRBlocks: 0
; VGPRBlocks: 0
; NumSGPRsForWavesPerEU: 1
; NumVGPRsForWavesPerEU: 1
; NamedBarCnt: 0
; Occupancy: 16
; WaveLimiterHint : 0
; COMPUTE_PGM_RSRC2:SCRATCH_EN: 0
; COMPUTE_PGM_RSRC2:USER_SGPR: 2
; COMPUTE_PGM_RSRC2:TRAP_HANDLER: 0
; COMPUTE_PGM_RSRC2:TGID_X_EN: 1
; COMPUTE_PGM_RSRC2:TGID_Y_EN: 0
; COMPUTE_PGM_RSRC2:TGID_Z_EN: 0
; COMPUTE_PGM_RSRC2:TIDIG_COMP_CNT: 0
	.section	.text._ZN7rocprim17ROCPRIM_400000_NS6detail17trampoline_kernelINS0_14default_configENS1_33run_length_encode_config_selectorIsjNS0_4plusIjEEEEZZNS1_33reduce_by_key_impl_wrapped_configILNS1_25lookback_scan_determinismE0ES3_S7_PKsNS0_17constant_iteratorIjlEEPsPlSF_S6_NS0_8equal_toIsEEEE10hipError_tPvRmT2_T3_mT4_T5_T6_T7_T8_P12ihipStream_tbENKUlT_T0_E_clISt17integral_constantIbLb1EESZ_EEDaSU_SV_EUlSU_E_NS1_11comp_targetILNS1_3genE4ELNS1_11target_archE910ELNS1_3gpuE8ELNS1_3repE0EEENS1_30default_config_static_selectorELNS0_4arch9wavefront6targetE0EEEvT1_,"axG",@progbits,_ZN7rocprim17ROCPRIM_400000_NS6detail17trampoline_kernelINS0_14default_configENS1_33run_length_encode_config_selectorIsjNS0_4plusIjEEEEZZNS1_33reduce_by_key_impl_wrapped_configILNS1_25lookback_scan_determinismE0ES3_S7_PKsNS0_17constant_iteratorIjlEEPsPlSF_S6_NS0_8equal_toIsEEEE10hipError_tPvRmT2_T3_mT4_T5_T6_T7_T8_P12ihipStream_tbENKUlT_T0_E_clISt17integral_constantIbLb1EESZ_EEDaSU_SV_EUlSU_E_NS1_11comp_targetILNS1_3genE4ELNS1_11target_archE910ELNS1_3gpuE8ELNS1_3repE0EEENS1_30default_config_static_selectorELNS0_4arch9wavefront6targetE0EEEvT1_,comdat
	.protected	_ZN7rocprim17ROCPRIM_400000_NS6detail17trampoline_kernelINS0_14default_configENS1_33run_length_encode_config_selectorIsjNS0_4plusIjEEEEZZNS1_33reduce_by_key_impl_wrapped_configILNS1_25lookback_scan_determinismE0ES3_S7_PKsNS0_17constant_iteratorIjlEEPsPlSF_S6_NS0_8equal_toIsEEEE10hipError_tPvRmT2_T3_mT4_T5_T6_T7_T8_P12ihipStream_tbENKUlT_T0_E_clISt17integral_constantIbLb1EESZ_EEDaSU_SV_EUlSU_E_NS1_11comp_targetILNS1_3genE4ELNS1_11target_archE910ELNS1_3gpuE8ELNS1_3repE0EEENS1_30default_config_static_selectorELNS0_4arch9wavefront6targetE0EEEvT1_ ; -- Begin function _ZN7rocprim17ROCPRIM_400000_NS6detail17trampoline_kernelINS0_14default_configENS1_33run_length_encode_config_selectorIsjNS0_4plusIjEEEEZZNS1_33reduce_by_key_impl_wrapped_configILNS1_25lookback_scan_determinismE0ES3_S7_PKsNS0_17constant_iteratorIjlEEPsPlSF_S6_NS0_8equal_toIsEEEE10hipError_tPvRmT2_T3_mT4_T5_T6_T7_T8_P12ihipStream_tbENKUlT_T0_E_clISt17integral_constantIbLb1EESZ_EEDaSU_SV_EUlSU_E_NS1_11comp_targetILNS1_3genE4ELNS1_11target_archE910ELNS1_3gpuE8ELNS1_3repE0EEENS1_30default_config_static_selectorELNS0_4arch9wavefront6targetE0EEEvT1_
	.globl	_ZN7rocprim17ROCPRIM_400000_NS6detail17trampoline_kernelINS0_14default_configENS1_33run_length_encode_config_selectorIsjNS0_4plusIjEEEEZZNS1_33reduce_by_key_impl_wrapped_configILNS1_25lookback_scan_determinismE0ES3_S7_PKsNS0_17constant_iteratorIjlEEPsPlSF_S6_NS0_8equal_toIsEEEE10hipError_tPvRmT2_T3_mT4_T5_T6_T7_T8_P12ihipStream_tbENKUlT_T0_E_clISt17integral_constantIbLb1EESZ_EEDaSU_SV_EUlSU_E_NS1_11comp_targetILNS1_3genE4ELNS1_11target_archE910ELNS1_3gpuE8ELNS1_3repE0EEENS1_30default_config_static_selectorELNS0_4arch9wavefront6targetE0EEEvT1_
	.p2align	8
	.type	_ZN7rocprim17ROCPRIM_400000_NS6detail17trampoline_kernelINS0_14default_configENS1_33run_length_encode_config_selectorIsjNS0_4plusIjEEEEZZNS1_33reduce_by_key_impl_wrapped_configILNS1_25lookback_scan_determinismE0ES3_S7_PKsNS0_17constant_iteratorIjlEEPsPlSF_S6_NS0_8equal_toIsEEEE10hipError_tPvRmT2_T3_mT4_T5_T6_T7_T8_P12ihipStream_tbENKUlT_T0_E_clISt17integral_constantIbLb1EESZ_EEDaSU_SV_EUlSU_E_NS1_11comp_targetILNS1_3genE4ELNS1_11target_archE910ELNS1_3gpuE8ELNS1_3repE0EEENS1_30default_config_static_selectorELNS0_4arch9wavefront6targetE0EEEvT1_,@function
_ZN7rocprim17ROCPRIM_400000_NS6detail17trampoline_kernelINS0_14default_configENS1_33run_length_encode_config_selectorIsjNS0_4plusIjEEEEZZNS1_33reduce_by_key_impl_wrapped_configILNS1_25lookback_scan_determinismE0ES3_S7_PKsNS0_17constant_iteratorIjlEEPsPlSF_S6_NS0_8equal_toIsEEEE10hipError_tPvRmT2_T3_mT4_T5_T6_T7_T8_P12ihipStream_tbENKUlT_T0_E_clISt17integral_constantIbLb1EESZ_EEDaSU_SV_EUlSU_E_NS1_11comp_targetILNS1_3genE4ELNS1_11target_archE910ELNS1_3gpuE8ELNS1_3repE0EEENS1_30default_config_static_selectorELNS0_4arch9wavefront6targetE0EEEvT1_: ; @_ZN7rocprim17ROCPRIM_400000_NS6detail17trampoline_kernelINS0_14default_configENS1_33run_length_encode_config_selectorIsjNS0_4plusIjEEEEZZNS1_33reduce_by_key_impl_wrapped_configILNS1_25lookback_scan_determinismE0ES3_S7_PKsNS0_17constant_iteratorIjlEEPsPlSF_S6_NS0_8equal_toIsEEEE10hipError_tPvRmT2_T3_mT4_T5_T6_T7_T8_P12ihipStream_tbENKUlT_T0_E_clISt17integral_constantIbLb1EESZ_EEDaSU_SV_EUlSU_E_NS1_11comp_targetILNS1_3genE4ELNS1_11target_archE910ELNS1_3gpuE8ELNS1_3repE0EEENS1_30default_config_static_selectorELNS0_4arch9wavefront6targetE0EEEvT1_
; %bb.0:
	.section	.rodata,"a",@progbits
	.p2align	6, 0x0
	.amdhsa_kernel _ZN7rocprim17ROCPRIM_400000_NS6detail17trampoline_kernelINS0_14default_configENS1_33run_length_encode_config_selectorIsjNS0_4plusIjEEEEZZNS1_33reduce_by_key_impl_wrapped_configILNS1_25lookback_scan_determinismE0ES3_S7_PKsNS0_17constant_iteratorIjlEEPsPlSF_S6_NS0_8equal_toIsEEEE10hipError_tPvRmT2_T3_mT4_T5_T6_T7_T8_P12ihipStream_tbENKUlT_T0_E_clISt17integral_constantIbLb1EESZ_EEDaSU_SV_EUlSU_E_NS1_11comp_targetILNS1_3genE4ELNS1_11target_archE910ELNS1_3gpuE8ELNS1_3repE0EEENS1_30default_config_static_selectorELNS0_4arch9wavefront6targetE0EEEvT1_
		.amdhsa_group_segment_fixed_size 0
		.amdhsa_private_segment_fixed_size 0
		.amdhsa_kernarg_size 128
		.amdhsa_user_sgpr_count 2
		.amdhsa_user_sgpr_dispatch_ptr 0
		.amdhsa_user_sgpr_queue_ptr 0
		.amdhsa_user_sgpr_kernarg_segment_ptr 1
		.amdhsa_user_sgpr_dispatch_id 0
		.amdhsa_user_sgpr_kernarg_preload_length 0
		.amdhsa_user_sgpr_kernarg_preload_offset 0
		.amdhsa_user_sgpr_private_segment_size 0
		.amdhsa_wavefront_size32 1
		.amdhsa_uses_dynamic_stack 0
		.amdhsa_enable_private_segment 0
		.amdhsa_system_sgpr_workgroup_id_x 1
		.amdhsa_system_sgpr_workgroup_id_y 0
		.amdhsa_system_sgpr_workgroup_id_z 0
		.amdhsa_system_sgpr_workgroup_info 0
		.amdhsa_system_vgpr_workitem_id 0
		.amdhsa_next_free_vgpr 1
		.amdhsa_next_free_sgpr 1
		.amdhsa_named_barrier_count 0
		.amdhsa_reserve_vcc 0
		.amdhsa_float_round_mode_32 0
		.amdhsa_float_round_mode_16_64 0
		.amdhsa_float_denorm_mode_32 3
		.amdhsa_float_denorm_mode_16_64 3
		.amdhsa_fp16_overflow 0
		.amdhsa_memory_ordered 1
		.amdhsa_forward_progress 1
		.amdhsa_inst_pref_size 0
		.amdhsa_round_robin_scheduling 0
		.amdhsa_exception_fp_ieee_invalid_op 0
		.amdhsa_exception_fp_denorm_src 0
		.amdhsa_exception_fp_ieee_div_zero 0
		.amdhsa_exception_fp_ieee_overflow 0
		.amdhsa_exception_fp_ieee_underflow 0
		.amdhsa_exception_fp_ieee_inexact 0
		.amdhsa_exception_int_div_zero 0
	.end_amdhsa_kernel
	.section	.text._ZN7rocprim17ROCPRIM_400000_NS6detail17trampoline_kernelINS0_14default_configENS1_33run_length_encode_config_selectorIsjNS0_4plusIjEEEEZZNS1_33reduce_by_key_impl_wrapped_configILNS1_25lookback_scan_determinismE0ES3_S7_PKsNS0_17constant_iteratorIjlEEPsPlSF_S6_NS0_8equal_toIsEEEE10hipError_tPvRmT2_T3_mT4_T5_T6_T7_T8_P12ihipStream_tbENKUlT_T0_E_clISt17integral_constantIbLb1EESZ_EEDaSU_SV_EUlSU_E_NS1_11comp_targetILNS1_3genE4ELNS1_11target_archE910ELNS1_3gpuE8ELNS1_3repE0EEENS1_30default_config_static_selectorELNS0_4arch9wavefront6targetE0EEEvT1_,"axG",@progbits,_ZN7rocprim17ROCPRIM_400000_NS6detail17trampoline_kernelINS0_14default_configENS1_33run_length_encode_config_selectorIsjNS0_4plusIjEEEEZZNS1_33reduce_by_key_impl_wrapped_configILNS1_25lookback_scan_determinismE0ES3_S7_PKsNS0_17constant_iteratorIjlEEPsPlSF_S6_NS0_8equal_toIsEEEE10hipError_tPvRmT2_T3_mT4_T5_T6_T7_T8_P12ihipStream_tbENKUlT_T0_E_clISt17integral_constantIbLb1EESZ_EEDaSU_SV_EUlSU_E_NS1_11comp_targetILNS1_3genE4ELNS1_11target_archE910ELNS1_3gpuE8ELNS1_3repE0EEENS1_30default_config_static_selectorELNS0_4arch9wavefront6targetE0EEEvT1_,comdat
.Lfunc_end591:
	.size	_ZN7rocprim17ROCPRIM_400000_NS6detail17trampoline_kernelINS0_14default_configENS1_33run_length_encode_config_selectorIsjNS0_4plusIjEEEEZZNS1_33reduce_by_key_impl_wrapped_configILNS1_25lookback_scan_determinismE0ES3_S7_PKsNS0_17constant_iteratorIjlEEPsPlSF_S6_NS0_8equal_toIsEEEE10hipError_tPvRmT2_T3_mT4_T5_T6_T7_T8_P12ihipStream_tbENKUlT_T0_E_clISt17integral_constantIbLb1EESZ_EEDaSU_SV_EUlSU_E_NS1_11comp_targetILNS1_3genE4ELNS1_11target_archE910ELNS1_3gpuE8ELNS1_3repE0EEENS1_30default_config_static_selectorELNS0_4arch9wavefront6targetE0EEEvT1_, .Lfunc_end591-_ZN7rocprim17ROCPRIM_400000_NS6detail17trampoline_kernelINS0_14default_configENS1_33run_length_encode_config_selectorIsjNS0_4plusIjEEEEZZNS1_33reduce_by_key_impl_wrapped_configILNS1_25lookback_scan_determinismE0ES3_S7_PKsNS0_17constant_iteratorIjlEEPsPlSF_S6_NS0_8equal_toIsEEEE10hipError_tPvRmT2_T3_mT4_T5_T6_T7_T8_P12ihipStream_tbENKUlT_T0_E_clISt17integral_constantIbLb1EESZ_EEDaSU_SV_EUlSU_E_NS1_11comp_targetILNS1_3genE4ELNS1_11target_archE910ELNS1_3gpuE8ELNS1_3repE0EEENS1_30default_config_static_selectorELNS0_4arch9wavefront6targetE0EEEvT1_
                                        ; -- End function
	.set _ZN7rocprim17ROCPRIM_400000_NS6detail17trampoline_kernelINS0_14default_configENS1_33run_length_encode_config_selectorIsjNS0_4plusIjEEEEZZNS1_33reduce_by_key_impl_wrapped_configILNS1_25lookback_scan_determinismE0ES3_S7_PKsNS0_17constant_iteratorIjlEEPsPlSF_S6_NS0_8equal_toIsEEEE10hipError_tPvRmT2_T3_mT4_T5_T6_T7_T8_P12ihipStream_tbENKUlT_T0_E_clISt17integral_constantIbLb1EESZ_EEDaSU_SV_EUlSU_E_NS1_11comp_targetILNS1_3genE4ELNS1_11target_archE910ELNS1_3gpuE8ELNS1_3repE0EEENS1_30default_config_static_selectorELNS0_4arch9wavefront6targetE0EEEvT1_.num_vgpr, 0
	.set _ZN7rocprim17ROCPRIM_400000_NS6detail17trampoline_kernelINS0_14default_configENS1_33run_length_encode_config_selectorIsjNS0_4plusIjEEEEZZNS1_33reduce_by_key_impl_wrapped_configILNS1_25lookback_scan_determinismE0ES3_S7_PKsNS0_17constant_iteratorIjlEEPsPlSF_S6_NS0_8equal_toIsEEEE10hipError_tPvRmT2_T3_mT4_T5_T6_T7_T8_P12ihipStream_tbENKUlT_T0_E_clISt17integral_constantIbLb1EESZ_EEDaSU_SV_EUlSU_E_NS1_11comp_targetILNS1_3genE4ELNS1_11target_archE910ELNS1_3gpuE8ELNS1_3repE0EEENS1_30default_config_static_selectorELNS0_4arch9wavefront6targetE0EEEvT1_.num_agpr, 0
	.set _ZN7rocprim17ROCPRIM_400000_NS6detail17trampoline_kernelINS0_14default_configENS1_33run_length_encode_config_selectorIsjNS0_4plusIjEEEEZZNS1_33reduce_by_key_impl_wrapped_configILNS1_25lookback_scan_determinismE0ES3_S7_PKsNS0_17constant_iteratorIjlEEPsPlSF_S6_NS0_8equal_toIsEEEE10hipError_tPvRmT2_T3_mT4_T5_T6_T7_T8_P12ihipStream_tbENKUlT_T0_E_clISt17integral_constantIbLb1EESZ_EEDaSU_SV_EUlSU_E_NS1_11comp_targetILNS1_3genE4ELNS1_11target_archE910ELNS1_3gpuE8ELNS1_3repE0EEENS1_30default_config_static_selectorELNS0_4arch9wavefront6targetE0EEEvT1_.numbered_sgpr, 0
	.set _ZN7rocprim17ROCPRIM_400000_NS6detail17trampoline_kernelINS0_14default_configENS1_33run_length_encode_config_selectorIsjNS0_4plusIjEEEEZZNS1_33reduce_by_key_impl_wrapped_configILNS1_25lookback_scan_determinismE0ES3_S7_PKsNS0_17constant_iteratorIjlEEPsPlSF_S6_NS0_8equal_toIsEEEE10hipError_tPvRmT2_T3_mT4_T5_T6_T7_T8_P12ihipStream_tbENKUlT_T0_E_clISt17integral_constantIbLb1EESZ_EEDaSU_SV_EUlSU_E_NS1_11comp_targetILNS1_3genE4ELNS1_11target_archE910ELNS1_3gpuE8ELNS1_3repE0EEENS1_30default_config_static_selectorELNS0_4arch9wavefront6targetE0EEEvT1_.num_named_barrier, 0
	.set _ZN7rocprim17ROCPRIM_400000_NS6detail17trampoline_kernelINS0_14default_configENS1_33run_length_encode_config_selectorIsjNS0_4plusIjEEEEZZNS1_33reduce_by_key_impl_wrapped_configILNS1_25lookback_scan_determinismE0ES3_S7_PKsNS0_17constant_iteratorIjlEEPsPlSF_S6_NS0_8equal_toIsEEEE10hipError_tPvRmT2_T3_mT4_T5_T6_T7_T8_P12ihipStream_tbENKUlT_T0_E_clISt17integral_constantIbLb1EESZ_EEDaSU_SV_EUlSU_E_NS1_11comp_targetILNS1_3genE4ELNS1_11target_archE910ELNS1_3gpuE8ELNS1_3repE0EEENS1_30default_config_static_selectorELNS0_4arch9wavefront6targetE0EEEvT1_.private_seg_size, 0
	.set _ZN7rocprim17ROCPRIM_400000_NS6detail17trampoline_kernelINS0_14default_configENS1_33run_length_encode_config_selectorIsjNS0_4plusIjEEEEZZNS1_33reduce_by_key_impl_wrapped_configILNS1_25lookback_scan_determinismE0ES3_S7_PKsNS0_17constant_iteratorIjlEEPsPlSF_S6_NS0_8equal_toIsEEEE10hipError_tPvRmT2_T3_mT4_T5_T6_T7_T8_P12ihipStream_tbENKUlT_T0_E_clISt17integral_constantIbLb1EESZ_EEDaSU_SV_EUlSU_E_NS1_11comp_targetILNS1_3genE4ELNS1_11target_archE910ELNS1_3gpuE8ELNS1_3repE0EEENS1_30default_config_static_selectorELNS0_4arch9wavefront6targetE0EEEvT1_.uses_vcc, 0
	.set _ZN7rocprim17ROCPRIM_400000_NS6detail17trampoline_kernelINS0_14default_configENS1_33run_length_encode_config_selectorIsjNS0_4plusIjEEEEZZNS1_33reduce_by_key_impl_wrapped_configILNS1_25lookback_scan_determinismE0ES3_S7_PKsNS0_17constant_iteratorIjlEEPsPlSF_S6_NS0_8equal_toIsEEEE10hipError_tPvRmT2_T3_mT4_T5_T6_T7_T8_P12ihipStream_tbENKUlT_T0_E_clISt17integral_constantIbLb1EESZ_EEDaSU_SV_EUlSU_E_NS1_11comp_targetILNS1_3genE4ELNS1_11target_archE910ELNS1_3gpuE8ELNS1_3repE0EEENS1_30default_config_static_selectorELNS0_4arch9wavefront6targetE0EEEvT1_.uses_flat_scratch, 0
	.set _ZN7rocprim17ROCPRIM_400000_NS6detail17trampoline_kernelINS0_14default_configENS1_33run_length_encode_config_selectorIsjNS0_4plusIjEEEEZZNS1_33reduce_by_key_impl_wrapped_configILNS1_25lookback_scan_determinismE0ES3_S7_PKsNS0_17constant_iteratorIjlEEPsPlSF_S6_NS0_8equal_toIsEEEE10hipError_tPvRmT2_T3_mT4_T5_T6_T7_T8_P12ihipStream_tbENKUlT_T0_E_clISt17integral_constantIbLb1EESZ_EEDaSU_SV_EUlSU_E_NS1_11comp_targetILNS1_3genE4ELNS1_11target_archE910ELNS1_3gpuE8ELNS1_3repE0EEENS1_30default_config_static_selectorELNS0_4arch9wavefront6targetE0EEEvT1_.has_dyn_sized_stack, 0
	.set _ZN7rocprim17ROCPRIM_400000_NS6detail17trampoline_kernelINS0_14default_configENS1_33run_length_encode_config_selectorIsjNS0_4plusIjEEEEZZNS1_33reduce_by_key_impl_wrapped_configILNS1_25lookback_scan_determinismE0ES3_S7_PKsNS0_17constant_iteratorIjlEEPsPlSF_S6_NS0_8equal_toIsEEEE10hipError_tPvRmT2_T3_mT4_T5_T6_T7_T8_P12ihipStream_tbENKUlT_T0_E_clISt17integral_constantIbLb1EESZ_EEDaSU_SV_EUlSU_E_NS1_11comp_targetILNS1_3genE4ELNS1_11target_archE910ELNS1_3gpuE8ELNS1_3repE0EEENS1_30default_config_static_selectorELNS0_4arch9wavefront6targetE0EEEvT1_.has_recursion, 0
	.set _ZN7rocprim17ROCPRIM_400000_NS6detail17trampoline_kernelINS0_14default_configENS1_33run_length_encode_config_selectorIsjNS0_4plusIjEEEEZZNS1_33reduce_by_key_impl_wrapped_configILNS1_25lookback_scan_determinismE0ES3_S7_PKsNS0_17constant_iteratorIjlEEPsPlSF_S6_NS0_8equal_toIsEEEE10hipError_tPvRmT2_T3_mT4_T5_T6_T7_T8_P12ihipStream_tbENKUlT_T0_E_clISt17integral_constantIbLb1EESZ_EEDaSU_SV_EUlSU_E_NS1_11comp_targetILNS1_3genE4ELNS1_11target_archE910ELNS1_3gpuE8ELNS1_3repE0EEENS1_30default_config_static_selectorELNS0_4arch9wavefront6targetE0EEEvT1_.has_indirect_call, 0
	.section	.AMDGPU.csdata,"",@progbits
; Kernel info:
; codeLenInByte = 0
; TotalNumSgprs: 0
; NumVgprs: 0
; ScratchSize: 0
; MemoryBound: 0
; FloatMode: 240
; IeeeMode: 1
; LDSByteSize: 0 bytes/workgroup (compile time only)
; SGPRBlocks: 0
; VGPRBlocks: 0
; NumSGPRsForWavesPerEU: 1
; NumVGPRsForWavesPerEU: 1
; NamedBarCnt: 0
; Occupancy: 16
; WaveLimiterHint : 0
; COMPUTE_PGM_RSRC2:SCRATCH_EN: 0
; COMPUTE_PGM_RSRC2:USER_SGPR: 2
; COMPUTE_PGM_RSRC2:TRAP_HANDLER: 0
; COMPUTE_PGM_RSRC2:TGID_X_EN: 1
; COMPUTE_PGM_RSRC2:TGID_Y_EN: 0
; COMPUTE_PGM_RSRC2:TGID_Z_EN: 0
; COMPUTE_PGM_RSRC2:TIDIG_COMP_CNT: 0
	.section	.text._ZN7rocprim17ROCPRIM_400000_NS6detail17trampoline_kernelINS0_14default_configENS1_33run_length_encode_config_selectorIsjNS0_4plusIjEEEEZZNS1_33reduce_by_key_impl_wrapped_configILNS1_25lookback_scan_determinismE0ES3_S7_PKsNS0_17constant_iteratorIjlEEPsPlSF_S6_NS0_8equal_toIsEEEE10hipError_tPvRmT2_T3_mT4_T5_T6_T7_T8_P12ihipStream_tbENKUlT_T0_E_clISt17integral_constantIbLb1EESZ_EEDaSU_SV_EUlSU_E_NS1_11comp_targetILNS1_3genE3ELNS1_11target_archE908ELNS1_3gpuE7ELNS1_3repE0EEENS1_30default_config_static_selectorELNS0_4arch9wavefront6targetE0EEEvT1_,"axG",@progbits,_ZN7rocprim17ROCPRIM_400000_NS6detail17trampoline_kernelINS0_14default_configENS1_33run_length_encode_config_selectorIsjNS0_4plusIjEEEEZZNS1_33reduce_by_key_impl_wrapped_configILNS1_25lookback_scan_determinismE0ES3_S7_PKsNS0_17constant_iteratorIjlEEPsPlSF_S6_NS0_8equal_toIsEEEE10hipError_tPvRmT2_T3_mT4_T5_T6_T7_T8_P12ihipStream_tbENKUlT_T0_E_clISt17integral_constantIbLb1EESZ_EEDaSU_SV_EUlSU_E_NS1_11comp_targetILNS1_3genE3ELNS1_11target_archE908ELNS1_3gpuE7ELNS1_3repE0EEENS1_30default_config_static_selectorELNS0_4arch9wavefront6targetE0EEEvT1_,comdat
	.protected	_ZN7rocprim17ROCPRIM_400000_NS6detail17trampoline_kernelINS0_14default_configENS1_33run_length_encode_config_selectorIsjNS0_4plusIjEEEEZZNS1_33reduce_by_key_impl_wrapped_configILNS1_25lookback_scan_determinismE0ES3_S7_PKsNS0_17constant_iteratorIjlEEPsPlSF_S6_NS0_8equal_toIsEEEE10hipError_tPvRmT2_T3_mT4_T5_T6_T7_T8_P12ihipStream_tbENKUlT_T0_E_clISt17integral_constantIbLb1EESZ_EEDaSU_SV_EUlSU_E_NS1_11comp_targetILNS1_3genE3ELNS1_11target_archE908ELNS1_3gpuE7ELNS1_3repE0EEENS1_30default_config_static_selectorELNS0_4arch9wavefront6targetE0EEEvT1_ ; -- Begin function _ZN7rocprim17ROCPRIM_400000_NS6detail17trampoline_kernelINS0_14default_configENS1_33run_length_encode_config_selectorIsjNS0_4plusIjEEEEZZNS1_33reduce_by_key_impl_wrapped_configILNS1_25lookback_scan_determinismE0ES3_S7_PKsNS0_17constant_iteratorIjlEEPsPlSF_S6_NS0_8equal_toIsEEEE10hipError_tPvRmT2_T3_mT4_T5_T6_T7_T8_P12ihipStream_tbENKUlT_T0_E_clISt17integral_constantIbLb1EESZ_EEDaSU_SV_EUlSU_E_NS1_11comp_targetILNS1_3genE3ELNS1_11target_archE908ELNS1_3gpuE7ELNS1_3repE0EEENS1_30default_config_static_selectorELNS0_4arch9wavefront6targetE0EEEvT1_
	.globl	_ZN7rocprim17ROCPRIM_400000_NS6detail17trampoline_kernelINS0_14default_configENS1_33run_length_encode_config_selectorIsjNS0_4plusIjEEEEZZNS1_33reduce_by_key_impl_wrapped_configILNS1_25lookback_scan_determinismE0ES3_S7_PKsNS0_17constant_iteratorIjlEEPsPlSF_S6_NS0_8equal_toIsEEEE10hipError_tPvRmT2_T3_mT4_T5_T6_T7_T8_P12ihipStream_tbENKUlT_T0_E_clISt17integral_constantIbLb1EESZ_EEDaSU_SV_EUlSU_E_NS1_11comp_targetILNS1_3genE3ELNS1_11target_archE908ELNS1_3gpuE7ELNS1_3repE0EEENS1_30default_config_static_selectorELNS0_4arch9wavefront6targetE0EEEvT1_
	.p2align	8
	.type	_ZN7rocprim17ROCPRIM_400000_NS6detail17trampoline_kernelINS0_14default_configENS1_33run_length_encode_config_selectorIsjNS0_4plusIjEEEEZZNS1_33reduce_by_key_impl_wrapped_configILNS1_25lookback_scan_determinismE0ES3_S7_PKsNS0_17constant_iteratorIjlEEPsPlSF_S6_NS0_8equal_toIsEEEE10hipError_tPvRmT2_T3_mT4_T5_T6_T7_T8_P12ihipStream_tbENKUlT_T0_E_clISt17integral_constantIbLb1EESZ_EEDaSU_SV_EUlSU_E_NS1_11comp_targetILNS1_3genE3ELNS1_11target_archE908ELNS1_3gpuE7ELNS1_3repE0EEENS1_30default_config_static_selectorELNS0_4arch9wavefront6targetE0EEEvT1_,@function
_ZN7rocprim17ROCPRIM_400000_NS6detail17trampoline_kernelINS0_14default_configENS1_33run_length_encode_config_selectorIsjNS0_4plusIjEEEEZZNS1_33reduce_by_key_impl_wrapped_configILNS1_25lookback_scan_determinismE0ES3_S7_PKsNS0_17constant_iteratorIjlEEPsPlSF_S6_NS0_8equal_toIsEEEE10hipError_tPvRmT2_T3_mT4_T5_T6_T7_T8_P12ihipStream_tbENKUlT_T0_E_clISt17integral_constantIbLb1EESZ_EEDaSU_SV_EUlSU_E_NS1_11comp_targetILNS1_3genE3ELNS1_11target_archE908ELNS1_3gpuE7ELNS1_3repE0EEENS1_30default_config_static_selectorELNS0_4arch9wavefront6targetE0EEEvT1_: ; @_ZN7rocprim17ROCPRIM_400000_NS6detail17trampoline_kernelINS0_14default_configENS1_33run_length_encode_config_selectorIsjNS0_4plusIjEEEEZZNS1_33reduce_by_key_impl_wrapped_configILNS1_25lookback_scan_determinismE0ES3_S7_PKsNS0_17constant_iteratorIjlEEPsPlSF_S6_NS0_8equal_toIsEEEE10hipError_tPvRmT2_T3_mT4_T5_T6_T7_T8_P12ihipStream_tbENKUlT_T0_E_clISt17integral_constantIbLb1EESZ_EEDaSU_SV_EUlSU_E_NS1_11comp_targetILNS1_3genE3ELNS1_11target_archE908ELNS1_3gpuE7ELNS1_3repE0EEENS1_30default_config_static_selectorELNS0_4arch9wavefront6targetE0EEEvT1_
; %bb.0:
	.section	.rodata,"a",@progbits
	.p2align	6, 0x0
	.amdhsa_kernel _ZN7rocprim17ROCPRIM_400000_NS6detail17trampoline_kernelINS0_14default_configENS1_33run_length_encode_config_selectorIsjNS0_4plusIjEEEEZZNS1_33reduce_by_key_impl_wrapped_configILNS1_25lookback_scan_determinismE0ES3_S7_PKsNS0_17constant_iteratorIjlEEPsPlSF_S6_NS0_8equal_toIsEEEE10hipError_tPvRmT2_T3_mT4_T5_T6_T7_T8_P12ihipStream_tbENKUlT_T0_E_clISt17integral_constantIbLb1EESZ_EEDaSU_SV_EUlSU_E_NS1_11comp_targetILNS1_3genE3ELNS1_11target_archE908ELNS1_3gpuE7ELNS1_3repE0EEENS1_30default_config_static_selectorELNS0_4arch9wavefront6targetE0EEEvT1_
		.amdhsa_group_segment_fixed_size 0
		.amdhsa_private_segment_fixed_size 0
		.amdhsa_kernarg_size 128
		.amdhsa_user_sgpr_count 2
		.amdhsa_user_sgpr_dispatch_ptr 0
		.amdhsa_user_sgpr_queue_ptr 0
		.amdhsa_user_sgpr_kernarg_segment_ptr 1
		.amdhsa_user_sgpr_dispatch_id 0
		.amdhsa_user_sgpr_kernarg_preload_length 0
		.amdhsa_user_sgpr_kernarg_preload_offset 0
		.amdhsa_user_sgpr_private_segment_size 0
		.amdhsa_wavefront_size32 1
		.amdhsa_uses_dynamic_stack 0
		.amdhsa_enable_private_segment 0
		.amdhsa_system_sgpr_workgroup_id_x 1
		.amdhsa_system_sgpr_workgroup_id_y 0
		.amdhsa_system_sgpr_workgroup_id_z 0
		.amdhsa_system_sgpr_workgroup_info 0
		.amdhsa_system_vgpr_workitem_id 0
		.amdhsa_next_free_vgpr 1
		.amdhsa_next_free_sgpr 1
		.amdhsa_named_barrier_count 0
		.amdhsa_reserve_vcc 0
		.amdhsa_float_round_mode_32 0
		.amdhsa_float_round_mode_16_64 0
		.amdhsa_float_denorm_mode_32 3
		.amdhsa_float_denorm_mode_16_64 3
		.amdhsa_fp16_overflow 0
		.amdhsa_memory_ordered 1
		.amdhsa_forward_progress 1
		.amdhsa_inst_pref_size 0
		.amdhsa_round_robin_scheduling 0
		.amdhsa_exception_fp_ieee_invalid_op 0
		.amdhsa_exception_fp_denorm_src 0
		.amdhsa_exception_fp_ieee_div_zero 0
		.amdhsa_exception_fp_ieee_overflow 0
		.amdhsa_exception_fp_ieee_underflow 0
		.amdhsa_exception_fp_ieee_inexact 0
		.amdhsa_exception_int_div_zero 0
	.end_amdhsa_kernel
	.section	.text._ZN7rocprim17ROCPRIM_400000_NS6detail17trampoline_kernelINS0_14default_configENS1_33run_length_encode_config_selectorIsjNS0_4plusIjEEEEZZNS1_33reduce_by_key_impl_wrapped_configILNS1_25lookback_scan_determinismE0ES3_S7_PKsNS0_17constant_iteratorIjlEEPsPlSF_S6_NS0_8equal_toIsEEEE10hipError_tPvRmT2_T3_mT4_T5_T6_T7_T8_P12ihipStream_tbENKUlT_T0_E_clISt17integral_constantIbLb1EESZ_EEDaSU_SV_EUlSU_E_NS1_11comp_targetILNS1_3genE3ELNS1_11target_archE908ELNS1_3gpuE7ELNS1_3repE0EEENS1_30default_config_static_selectorELNS0_4arch9wavefront6targetE0EEEvT1_,"axG",@progbits,_ZN7rocprim17ROCPRIM_400000_NS6detail17trampoline_kernelINS0_14default_configENS1_33run_length_encode_config_selectorIsjNS0_4plusIjEEEEZZNS1_33reduce_by_key_impl_wrapped_configILNS1_25lookback_scan_determinismE0ES3_S7_PKsNS0_17constant_iteratorIjlEEPsPlSF_S6_NS0_8equal_toIsEEEE10hipError_tPvRmT2_T3_mT4_T5_T6_T7_T8_P12ihipStream_tbENKUlT_T0_E_clISt17integral_constantIbLb1EESZ_EEDaSU_SV_EUlSU_E_NS1_11comp_targetILNS1_3genE3ELNS1_11target_archE908ELNS1_3gpuE7ELNS1_3repE0EEENS1_30default_config_static_selectorELNS0_4arch9wavefront6targetE0EEEvT1_,comdat
.Lfunc_end592:
	.size	_ZN7rocprim17ROCPRIM_400000_NS6detail17trampoline_kernelINS0_14default_configENS1_33run_length_encode_config_selectorIsjNS0_4plusIjEEEEZZNS1_33reduce_by_key_impl_wrapped_configILNS1_25lookback_scan_determinismE0ES3_S7_PKsNS0_17constant_iteratorIjlEEPsPlSF_S6_NS0_8equal_toIsEEEE10hipError_tPvRmT2_T3_mT4_T5_T6_T7_T8_P12ihipStream_tbENKUlT_T0_E_clISt17integral_constantIbLb1EESZ_EEDaSU_SV_EUlSU_E_NS1_11comp_targetILNS1_3genE3ELNS1_11target_archE908ELNS1_3gpuE7ELNS1_3repE0EEENS1_30default_config_static_selectorELNS0_4arch9wavefront6targetE0EEEvT1_, .Lfunc_end592-_ZN7rocprim17ROCPRIM_400000_NS6detail17trampoline_kernelINS0_14default_configENS1_33run_length_encode_config_selectorIsjNS0_4plusIjEEEEZZNS1_33reduce_by_key_impl_wrapped_configILNS1_25lookback_scan_determinismE0ES3_S7_PKsNS0_17constant_iteratorIjlEEPsPlSF_S6_NS0_8equal_toIsEEEE10hipError_tPvRmT2_T3_mT4_T5_T6_T7_T8_P12ihipStream_tbENKUlT_T0_E_clISt17integral_constantIbLb1EESZ_EEDaSU_SV_EUlSU_E_NS1_11comp_targetILNS1_3genE3ELNS1_11target_archE908ELNS1_3gpuE7ELNS1_3repE0EEENS1_30default_config_static_selectorELNS0_4arch9wavefront6targetE0EEEvT1_
                                        ; -- End function
	.set _ZN7rocprim17ROCPRIM_400000_NS6detail17trampoline_kernelINS0_14default_configENS1_33run_length_encode_config_selectorIsjNS0_4plusIjEEEEZZNS1_33reduce_by_key_impl_wrapped_configILNS1_25lookback_scan_determinismE0ES3_S7_PKsNS0_17constant_iteratorIjlEEPsPlSF_S6_NS0_8equal_toIsEEEE10hipError_tPvRmT2_T3_mT4_T5_T6_T7_T8_P12ihipStream_tbENKUlT_T0_E_clISt17integral_constantIbLb1EESZ_EEDaSU_SV_EUlSU_E_NS1_11comp_targetILNS1_3genE3ELNS1_11target_archE908ELNS1_3gpuE7ELNS1_3repE0EEENS1_30default_config_static_selectorELNS0_4arch9wavefront6targetE0EEEvT1_.num_vgpr, 0
	.set _ZN7rocprim17ROCPRIM_400000_NS6detail17trampoline_kernelINS0_14default_configENS1_33run_length_encode_config_selectorIsjNS0_4plusIjEEEEZZNS1_33reduce_by_key_impl_wrapped_configILNS1_25lookback_scan_determinismE0ES3_S7_PKsNS0_17constant_iteratorIjlEEPsPlSF_S6_NS0_8equal_toIsEEEE10hipError_tPvRmT2_T3_mT4_T5_T6_T7_T8_P12ihipStream_tbENKUlT_T0_E_clISt17integral_constantIbLb1EESZ_EEDaSU_SV_EUlSU_E_NS1_11comp_targetILNS1_3genE3ELNS1_11target_archE908ELNS1_3gpuE7ELNS1_3repE0EEENS1_30default_config_static_selectorELNS0_4arch9wavefront6targetE0EEEvT1_.num_agpr, 0
	.set _ZN7rocprim17ROCPRIM_400000_NS6detail17trampoline_kernelINS0_14default_configENS1_33run_length_encode_config_selectorIsjNS0_4plusIjEEEEZZNS1_33reduce_by_key_impl_wrapped_configILNS1_25lookback_scan_determinismE0ES3_S7_PKsNS0_17constant_iteratorIjlEEPsPlSF_S6_NS0_8equal_toIsEEEE10hipError_tPvRmT2_T3_mT4_T5_T6_T7_T8_P12ihipStream_tbENKUlT_T0_E_clISt17integral_constantIbLb1EESZ_EEDaSU_SV_EUlSU_E_NS1_11comp_targetILNS1_3genE3ELNS1_11target_archE908ELNS1_3gpuE7ELNS1_3repE0EEENS1_30default_config_static_selectorELNS0_4arch9wavefront6targetE0EEEvT1_.numbered_sgpr, 0
	.set _ZN7rocprim17ROCPRIM_400000_NS6detail17trampoline_kernelINS0_14default_configENS1_33run_length_encode_config_selectorIsjNS0_4plusIjEEEEZZNS1_33reduce_by_key_impl_wrapped_configILNS1_25lookback_scan_determinismE0ES3_S7_PKsNS0_17constant_iteratorIjlEEPsPlSF_S6_NS0_8equal_toIsEEEE10hipError_tPvRmT2_T3_mT4_T5_T6_T7_T8_P12ihipStream_tbENKUlT_T0_E_clISt17integral_constantIbLb1EESZ_EEDaSU_SV_EUlSU_E_NS1_11comp_targetILNS1_3genE3ELNS1_11target_archE908ELNS1_3gpuE7ELNS1_3repE0EEENS1_30default_config_static_selectorELNS0_4arch9wavefront6targetE0EEEvT1_.num_named_barrier, 0
	.set _ZN7rocprim17ROCPRIM_400000_NS6detail17trampoline_kernelINS0_14default_configENS1_33run_length_encode_config_selectorIsjNS0_4plusIjEEEEZZNS1_33reduce_by_key_impl_wrapped_configILNS1_25lookback_scan_determinismE0ES3_S7_PKsNS0_17constant_iteratorIjlEEPsPlSF_S6_NS0_8equal_toIsEEEE10hipError_tPvRmT2_T3_mT4_T5_T6_T7_T8_P12ihipStream_tbENKUlT_T0_E_clISt17integral_constantIbLb1EESZ_EEDaSU_SV_EUlSU_E_NS1_11comp_targetILNS1_3genE3ELNS1_11target_archE908ELNS1_3gpuE7ELNS1_3repE0EEENS1_30default_config_static_selectorELNS0_4arch9wavefront6targetE0EEEvT1_.private_seg_size, 0
	.set _ZN7rocprim17ROCPRIM_400000_NS6detail17trampoline_kernelINS0_14default_configENS1_33run_length_encode_config_selectorIsjNS0_4plusIjEEEEZZNS1_33reduce_by_key_impl_wrapped_configILNS1_25lookback_scan_determinismE0ES3_S7_PKsNS0_17constant_iteratorIjlEEPsPlSF_S6_NS0_8equal_toIsEEEE10hipError_tPvRmT2_T3_mT4_T5_T6_T7_T8_P12ihipStream_tbENKUlT_T0_E_clISt17integral_constantIbLb1EESZ_EEDaSU_SV_EUlSU_E_NS1_11comp_targetILNS1_3genE3ELNS1_11target_archE908ELNS1_3gpuE7ELNS1_3repE0EEENS1_30default_config_static_selectorELNS0_4arch9wavefront6targetE0EEEvT1_.uses_vcc, 0
	.set _ZN7rocprim17ROCPRIM_400000_NS6detail17trampoline_kernelINS0_14default_configENS1_33run_length_encode_config_selectorIsjNS0_4plusIjEEEEZZNS1_33reduce_by_key_impl_wrapped_configILNS1_25lookback_scan_determinismE0ES3_S7_PKsNS0_17constant_iteratorIjlEEPsPlSF_S6_NS0_8equal_toIsEEEE10hipError_tPvRmT2_T3_mT4_T5_T6_T7_T8_P12ihipStream_tbENKUlT_T0_E_clISt17integral_constantIbLb1EESZ_EEDaSU_SV_EUlSU_E_NS1_11comp_targetILNS1_3genE3ELNS1_11target_archE908ELNS1_3gpuE7ELNS1_3repE0EEENS1_30default_config_static_selectorELNS0_4arch9wavefront6targetE0EEEvT1_.uses_flat_scratch, 0
	.set _ZN7rocprim17ROCPRIM_400000_NS6detail17trampoline_kernelINS0_14default_configENS1_33run_length_encode_config_selectorIsjNS0_4plusIjEEEEZZNS1_33reduce_by_key_impl_wrapped_configILNS1_25lookback_scan_determinismE0ES3_S7_PKsNS0_17constant_iteratorIjlEEPsPlSF_S6_NS0_8equal_toIsEEEE10hipError_tPvRmT2_T3_mT4_T5_T6_T7_T8_P12ihipStream_tbENKUlT_T0_E_clISt17integral_constantIbLb1EESZ_EEDaSU_SV_EUlSU_E_NS1_11comp_targetILNS1_3genE3ELNS1_11target_archE908ELNS1_3gpuE7ELNS1_3repE0EEENS1_30default_config_static_selectorELNS0_4arch9wavefront6targetE0EEEvT1_.has_dyn_sized_stack, 0
	.set _ZN7rocprim17ROCPRIM_400000_NS6detail17trampoline_kernelINS0_14default_configENS1_33run_length_encode_config_selectorIsjNS0_4plusIjEEEEZZNS1_33reduce_by_key_impl_wrapped_configILNS1_25lookback_scan_determinismE0ES3_S7_PKsNS0_17constant_iteratorIjlEEPsPlSF_S6_NS0_8equal_toIsEEEE10hipError_tPvRmT2_T3_mT4_T5_T6_T7_T8_P12ihipStream_tbENKUlT_T0_E_clISt17integral_constantIbLb1EESZ_EEDaSU_SV_EUlSU_E_NS1_11comp_targetILNS1_3genE3ELNS1_11target_archE908ELNS1_3gpuE7ELNS1_3repE0EEENS1_30default_config_static_selectorELNS0_4arch9wavefront6targetE0EEEvT1_.has_recursion, 0
	.set _ZN7rocprim17ROCPRIM_400000_NS6detail17trampoline_kernelINS0_14default_configENS1_33run_length_encode_config_selectorIsjNS0_4plusIjEEEEZZNS1_33reduce_by_key_impl_wrapped_configILNS1_25lookback_scan_determinismE0ES3_S7_PKsNS0_17constant_iteratorIjlEEPsPlSF_S6_NS0_8equal_toIsEEEE10hipError_tPvRmT2_T3_mT4_T5_T6_T7_T8_P12ihipStream_tbENKUlT_T0_E_clISt17integral_constantIbLb1EESZ_EEDaSU_SV_EUlSU_E_NS1_11comp_targetILNS1_3genE3ELNS1_11target_archE908ELNS1_3gpuE7ELNS1_3repE0EEENS1_30default_config_static_selectorELNS0_4arch9wavefront6targetE0EEEvT1_.has_indirect_call, 0
	.section	.AMDGPU.csdata,"",@progbits
; Kernel info:
; codeLenInByte = 0
; TotalNumSgprs: 0
; NumVgprs: 0
; ScratchSize: 0
; MemoryBound: 0
; FloatMode: 240
; IeeeMode: 1
; LDSByteSize: 0 bytes/workgroup (compile time only)
; SGPRBlocks: 0
; VGPRBlocks: 0
; NumSGPRsForWavesPerEU: 1
; NumVGPRsForWavesPerEU: 1
; NamedBarCnt: 0
; Occupancy: 16
; WaveLimiterHint : 0
; COMPUTE_PGM_RSRC2:SCRATCH_EN: 0
; COMPUTE_PGM_RSRC2:USER_SGPR: 2
; COMPUTE_PGM_RSRC2:TRAP_HANDLER: 0
; COMPUTE_PGM_RSRC2:TGID_X_EN: 1
; COMPUTE_PGM_RSRC2:TGID_Y_EN: 0
; COMPUTE_PGM_RSRC2:TGID_Z_EN: 0
; COMPUTE_PGM_RSRC2:TIDIG_COMP_CNT: 0
	.section	.text._ZN7rocprim17ROCPRIM_400000_NS6detail17trampoline_kernelINS0_14default_configENS1_33run_length_encode_config_selectorIsjNS0_4plusIjEEEEZZNS1_33reduce_by_key_impl_wrapped_configILNS1_25lookback_scan_determinismE0ES3_S7_PKsNS0_17constant_iteratorIjlEEPsPlSF_S6_NS0_8equal_toIsEEEE10hipError_tPvRmT2_T3_mT4_T5_T6_T7_T8_P12ihipStream_tbENKUlT_T0_E_clISt17integral_constantIbLb1EESZ_EEDaSU_SV_EUlSU_E_NS1_11comp_targetILNS1_3genE2ELNS1_11target_archE906ELNS1_3gpuE6ELNS1_3repE0EEENS1_30default_config_static_selectorELNS0_4arch9wavefront6targetE0EEEvT1_,"axG",@progbits,_ZN7rocprim17ROCPRIM_400000_NS6detail17trampoline_kernelINS0_14default_configENS1_33run_length_encode_config_selectorIsjNS0_4plusIjEEEEZZNS1_33reduce_by_key_impl_wrapped_configILNS1_25lookback_scan_determinismE0ES3_S7_PKsNS0_17constant_iteratorIjlEEPsPlSF_S6_NS0_8equal_toIsEEEE10hipError_tPvRmT2_T3_mT4_T5_T6_T7_T8_P12ihipStream_tbENKUlT_T0_E_clISt17integral_constantIbLb1EESZ_EEDaSU_SV_EUlSU_E_NS1_11comp_targetILNS1_3genE2ELNS1_11target_archE906ELNS1_3gpuE6ELNS1_3repE0EEENS1_30default_config_static_selectorELNS0_4arch9wavefront6targetE0EEEvT1_,comdat
	.protected	_ZN7rocprim17ROCPRIM_400000_NS6detail17trampoline_kernelINS0_14default_configENS1_33run_length_encode_config_selectorIsjNS0_4plusIjEEEEZZNS1_33reduce_by_key_impl_wrapped_configILNS1_25lookback_scan_determinismE0ES3_S7_PKsNS0_17constant_iteratorIjlEEPsPlSF_S6_NS0_8equal_toIsEEEE10hipError_tPvRmT2_T3_mT4_T5_T6_T7_T8_P12ihipStream_tbENKUlT_T0_E_clISt17integral_constantIbLb1EESZ_EEDaSU_SV_EUlSU_E_NS1_11comp_targetILNS1_3genE2ELNS1_11target_archE906ELNS1_3gpuE6ELNS1_3repE0EEENS1_30default_config_static_selectorELNS0_4arch9wavefront6targetE0EEEvT1_ ; -- Begin function _ZN7rocprim17ROCPRIM_400000_NS6detail17trampoline_kernelINS0_14default_configENS1_33run_length_encode_config_selectorIsjNS0_4plusIjEEEEZZNS1_33reduce_by_key_impl_wrapped_configILNS1_25lookback_scan_determinismE0ES3_S7_PKsNS0_17constant_iteratorIjlEEPsPlSF_S6_NS0_8equal_toIsEEEE10hipError_tPvRmT2_T3_mT4_T5_T6_T7_T8_P12ihipStream_tbENKUlT_T0_E_clISt17integral_constantIbLb1EESZ_EEDaSU_SV_EUlSU_E_NS1_11comp_targetILNS1_3genE2ELNS1_11target_archE906ELNS1_3gpuE6ELNS1_3repE0EEENS1_30default_config_static_selectorELNS0_4arch9wavefront6targetE0EEEvT1_
	.globl	_ZN7rocprim17ROCPRIM_400000_NS6detail17trampoline_kernelINS0_14default_configENS1_33run_length_encode_config_selectorIsjNS0_4plusIjEEEEZZNS1_33reduce_by_key_impl_wrapped_configILNS1_25lookback_scan_determinismE0ES3_S7_PKsNS0_17constant_iteratorIjlEEPsPlSF_S6_NS0_8equal_toIsEEEE10hipError_tPvRmT2_T3_mT4_T5_T6_T7_T8_P12ihipStream_tbENKUlT_T0_E_clISt17integral_constantIbLb1EESZ_EEDaSU_SV_EUlSU_E_NS1_11comp_targetILNS1_3genE2ELNS1_11target_archE906ELNS1_3gpuE6ELNS1_3repE0EEENS1_30default_config_static_selectorELNS0_4arch9wavefront6targetE0EEEvT1_
	.p2align	8
	.type	_ZN7rocprim17ROCPRIM_400000_NS6detail17trampoline_kernelINS0_14default_configENS1_33run_length_encode_config_selectorIsjNS0_4plusIjEEEEZZNS1_33reduce_by_key_impl_wrapped_configILNS1_25lookback_scan_determinismE0ES3_S7_PKsNS0_17constant_iteratorIjlEEPsPlSF_S6_NS0_8equal_toIsEEEE10hipError_tPvRmT2_T3_mT4_T5_T6_T7_T8_P12ihipStream_tbENKUlT_T0_E_clISt17integral_constantIbLb1EESZ_EEDaSU_SV_EUlSU_E_NS1_11comp_targetILNS1_3genE2ELNS1_11target_archE906ELNS1_3gpuE6ELNS1_3repE0EEENS1_30default_config_static_selectorELNS0_4arch9wavefront6targetE0EEEvT1_,@function
_ZN7rocprim17ROCPRIM_400000_NS6detail17trampoline_kernelINS0_14default_configENS1_33run_length_encode_config_selectorIsjNS0_4plusIjEEEEZZNS1_33reduce_by_key_impl_wrapped_configILNS1_25lookback_scan_determinismE0ES3_S7_PKsNS0_17constant_iteratorIjlEEPsPlSF_S6_NS0_8equal_toIsEEEE10hipError_tPvRmT2_T3_mT4_T5_T6_T7_T8_P12ihipStream_tbENKUlT_T0_E_clISt17integral_constantIbLb1EESZ_EEDaSU_SV_EUlSU_E_NS1_11comp_targetILNS1_3genE2ELNS1_11target_archE906ELNS1_3gpuE6ELNS1_3repE0EEENS1_30default_config_static_selectorELNS0_4arch9wavefront6targetE0EEEvT1_: ; @_ZN7rocprim17ROCPRIM_400000_NS6detail17trampoline_kernelINS0_14default_configENS1_33run_length_encode_config_selectorIsjNS0_4plusIjEEEEZZNS1_33reduce_by_key_impl_wrapped_configILNS1_25lookback_scan_determinismE0ES3_S7_PKsNS0_17constant_iteratorIjlEEPsPlSF_S6_NS0_8equal_toIsEEEE10hipError_tPvRmT2_T3_mT4_T5_T6_T7_T8_P12ihipStream_tbENKUlT_T0_E_clISt17integral_constantIbLb1EESZ_EEDaSU_SV_EUlSU_E_NS1_11comp_targetILNS1_3genE2ELNS1_11target_archE906ELNS1_3gpuE6ELNS1_3repE0EEENS1_30default_config_static_selectorELNS0_4arch9wavefront6targetE0EEEvT1_
; %bb.0:
	.section	.rodata,"a",@progbits
	.p2align	6, 0x0
	.amdhsa_kernel _ZN7rocprim17ROCPRIM_400000_NS6detail17trampoline_kernelINS0_14default_configENS1_33run_length_encode_config_selectorIsjNS0_4plusIjEEEEZZNS1_33reduce_by_key_impl_wrapped_configILNS1_25lookback_scan_determinismE0ES3_S7_PKsNS0_17constant_iteratorIjlEEPsPlSF_S6_NS0_8equal_toIsEEEE10hipError_tPvRmT2_T3_mT4_T5_T6_T7_T8_P12ihipStream_tbENKUlT_T0_E_clISt17integral_constantIbLb1EESZ_EEDaSU_SV_EUlSU_E_NS1_11comp_targetILNS1_3genE2ELNS1_11target_archE906ELNS1_3gpuE6ELNS1_3repE0EEENS1_30default_config_static_selectorELNS0_4arch9wavefront6targetE0EEEvT1_
		.amdhsa_group_segment_fixed_size 0
		.amdhsa_private_segment_fixed_size 0
		.amdhsa_kernarg_size 128
		.amdhsa_user_sgpr_count 2
		.amdhsa_user_sgpr_dispatch_ptr 0
		.amdhsa_user_sgpr_queue_ptr 0
		.amdhsa_user_sgpr_kernarg_segment_ptr 1
		.amdhsa_user_sgpr_dispatch_id 0
		.amdhsa_user_sgpr_kernarg_preload_length 0
		.amdhsa_user_sgpr_kernarg_preload_offset 0
		.amdhsa_user_sgpr_private_segment_size 0
		.amdhsa_wavefront_size32 1
		.amdhsa_uses_dynamic_stack 0
		.amdhsa_enable_private_segment 0
		.amdhsa_system_sgpr_workgroup_id_x 1
		.amdhsa_system_sgpr_workgroup_id_y 0
		.amdhsa_system_sgpr_workgroup_id_z 0
		.amdhsa_system_sgpr_workgroup_info 0
		.amdhsa_system_vgpr_workitem_id 0
		.amdhsa_next_free_vgpr 1
		.amdhsa_next_free_sgpr 1
		.amdhsa_named_barrier_count 0
		.amdhsa_reserve_vcc 0
		.amdhsa_float_round_mode_32 0
		.amdhsa_float_round_mode_16_64 0
		.amdhsa_float_denorm_mode_32 3
		.amdhsa_float_denorm_mode_16_64 3
		.amdhsa_fp16_overflow 0
		.amdhsa_memory_ordered 1
		.amdhsa_forward_progress 1
		.amdhsa_inst_pref_size 0
		.amdhsa_round_robin_scheduling 0
		.amdhsa_exception_fp_ieee_invalid_op 0
		.amdhsa_exception_fp_denorm_src 0
		.amdhsa_exception_fp_ieee_div_zero 0
		.amdhsa_exception_fp_ieee_overflow 0
		.amdhsa_exception_fp_ieee_underflow 0
		.amdhsa_exception_fp_ieee_inexact 0
		.amdhsa_exception_int_div_zero 0
	.end_amdhsa_kernel
	.section	.text._ZN7rocprim17ROCPRIM_400000_NS6detail17trampoline_kernelINS0_14default_configENS1_33run_length_encode_config_selectorIsjNS0_4plusIjEEEEZZNS1_33reduce_by_key_impl_wrapped_configILNS1_25lookback_scan_determinismE0ES3_S7_PKsNS0_17constant_iteratorIjlEEPsPlSF_S6_NS0_8equal_toIsEEEE10hipError_tPvRmT2_T3_mT4_T5_T6_T7_T8_P12ihipStream_tbENKUlT_T0_E_clISt17integral_constantIbLb1EESZ_EEDaSU_SV_EUlSU_E_NS1_11comp_targetILNS1_3genE2ELNS1_11target_archE906ELNS1_3gpuE6ELNS1_3repE0EEENS1_30default_config_static_selectorELNS0_4arch9wavefront6targetE0EEEvT1_,"axG",@progbits,_ZN7rocprim17ROCPRIM_400000_NS6detail17trampoline_kernelINS0_14default_configENS1_33run_length_encode_config_selectorIsjNS0_4plusIjEEEEZZNS1_33reduce_by_key_impl_wrapped_configILNS1_25lookback_scan_determinismE0ES3_S7_PKsNS0_17constant_iteratorIjlEEPsPlSF_S6_NS0_8equal_toIsEEEE10hipError_tPvRmT2_T3_mT4_T5_T6_T7_T8_P12ihipStream_tbENKUlT_T0_E_clISt17integral_constantIbLb1EESZ_EEDaSU_SV_EUlSU_E_NS1_11comp_targetILNS1_3genE2ELNS1_11target_archE906ELNS1_3gpuE6ELNS1_3repE0EEENS1_30default_config_static_selectorELNS0_4arch9wavefront6targetE0EEEvT1_,comdat
.Lfunc_end593:
	.size	_ZN7rocprim17ROCPRIM_400000_NS6detail17trampoline_kernelINS0_14default_configENS1_33run_length_encode_config_selectorIsjNS0_4plusIjEEEEZZNS1_33reduce_by_key_impl_wrapped_configILNS1_25lookback_scan_determinismE0ES3_S7_PKsNS0_17constant_iteratorIjlEEPsPlSF_S6_NS0_8equal_toIsEEEE10hipError_tPvRmT2_T3_mT4_T5_T6_T7_T8_P12ihipStream_tbENKUlT_T0_E_clISt17integral_constantIbLb1EESZ_EEDaSU_SV_EUlSU_E_NS1_11comp_targetILNS1_3genE2ELNS1_11target_archE906ELNS1_3gpuE6ELNS1_3repE0EEENS1_30default_config_static_selectorELNS0_4arch9wavefront6targetE0EEEvT1_, .Lfunc_end593-_ZN7rocprim17ROCPRIM_400000_NS6detail17trampoline_kernelINS0_14default_configENS1_33run_length_encode_config_selectorIsjNS0_4plusIjEEEEZZNS1_33reduce_by_key_impl_wrapped_configILNS1_25lookback_scan_determinismE0ES3_S7_PKsNS0_17constant_iteratorIjlEEPsPlSF_S6_NS0_8equal_toIsEEEE10hipError_tPvRmT2_T3_mT4_T5_T6_T7_T8_P12ihipStream_tbENKUlT_T0_E_clISt17integral_constantIbLb1EESZ_EEDaSU_SV_EUlSU_E_NS1_11comp_targetILNS1_3genE2ELNS1_11target_archE906ELNS1_3gpuE6ELNS1_3repE0EEENS1_30default_config_static_selectorELNS0_4arch9wavefront6targetE0EEEvT1_
                                        ; -- End function
	.set _ZN7rocprim17ROCPRIM_400000_NS6detail17trampoline_kernelINS0_14default_configENS1_33run_length_encode_config_selectorIsjNS0_4plusIjEEEEZZNS1_33reduce_by_key_impl_wrapped_configILNS1_25lookback_scan_determinismE0ES3_S7_PKsNS0_17constant_iteratorIjlEEPsPlSF_S6_NS0_8equal_toIsEEEE10hipError_tPvRmT2_T3_mT4_T5_T6_T7_T8_P12ihipStream_tbENKUlT_T0_E_clISt17integral_constantIbLb1EESZ_EEDaSU_SV_EUlSU_E_NS1_11comp_targetILNS1_3genE2ELNS1_11target_archE906ELNS1_3gpuE6ELNS1_3repE0EEENS1_30default_config_static_selectorELNS0_4arch9wavefront6targetE0EEEvT1_.num_vgpr, 0
	.set _ZN7rocprim17ROCPRIM_400000_NS6detail17trampoline_kernelINS0_14default_configENS1_33run_length_encode_config_selectorIsjNS0_4plusIjEEEEZZNS1_33reduce_by_key_impl_wrapped_configILNS1_25lookback_scan_determinismE0ES3_S7_PKsNS0_17constant_iteratorIjlEEPsPlSF_S6_NS0_8equal_toIsEEEE10hipError_tPvRmT2_T3_mT4_T5_T6_T7_T8_P12ihipStream_tbENKUlT_T0_E_clISt17integral_constantIbLb1EESZ_EEDaSU_SV_EUlSU_E_NS1_11comp_targetILNS1_3genE2ELNS1_11target_archE906ELNS1_3gpuE6ELNS1_3repE0EEENS1_30default_config_static_selectorELNS0_4arch9wavefront6targetE0EEEvT1_.num_agpr, 0
	.set _ZN7rocprim17ROCPRIM_400000_NS6detail17trampoline_kernelINS0_14default_configENS1_33run_length_encode_config_selectorIsjNS0_4plusIjEEEEZZNS1_33reduce_by_key_impl_wrapped_configILNS1_25lookback_scan_determinismE0ES3_S7_PKsNS0_17constant_iteratorIjlEEPsPlSF_S6_NS0_8equal_toIsEEEE10hipError_tPvRmT2_T3_mT4_T5_T6_T7_T8_P12ihipStream_tbENKUlT_T0_E_clISt17integral_constantIbLb1EESZ_EEDaSU_SV_EUlSU_E_NS1_11comp_targetILNS1_3genE2ELNS1_11target_archE906ELNS1_3gpuE6ELNS1_3repE0EEENS1_30default_config_static_selectorELNS0_4arch9wavefront6targetE0EEEvT1_.numbered_sgpr, 0
	.set _ZN7rocprim17ROCPRIM_400000_NS6detail17trampoline_kernelINS0_14default_configENS1_33run_length_encode_config_selectorIsjNS0_4plusIjEEEEZZNS1_33reduce_by_key_impl_wrapped_configILNS1_25lookback_scan_determinismE0ES3_S7_PKsNS0_17constant_iteratorIjlEEPsPlSF_S6_NS0_8equal_toIsEEEE10hipError_tPvRmT2_T3_mT4_T5_T6_T7_T8_P12ihipStream_tbENKUlT_T0_E_clISt17integral_constantIbLb1EESZ_EEDaSU_SV_EUlSU_E_NS1_11comp_targetILNS1_3genE2ELNS1_11target_archE906ELNS1_3gpuE6ELNS1_3repE0EEENS1_30default_config_static_selectorELNS0_4arch9wavefront6targetE0EEEvT1_.num_named_barrier, 0
	.set _ZN7rocprim17ROCPRIM_400000_NS6detail17trampoline_kernelINS0_14default_configENS1_33run_length_encode_config_selectorIsjNS0_4plusIjEEEEZZNS1_33reduce_by_key_impl_wrapped_configILNS1_25lookback_scan_determinismE0ES3_S7_PKsNS0_17constant_iteratorIjlEEPsPlSF_S6_NS0_8equal_toIsEEEE10hipError_tPvRmT2_T3_mT4_T5_T6_T7_T8_P12ihipStream_tbENKUlT_T0_E_clISt17integral_constantIbLb1EESZ_EEDaSU_SV_EUlSU_E_NS1_11comp_targetILNS1_3genE2ELNS1_11target_archE906ELNS1_3gpuE6ELNS1_3repE0EEENS1_30default_config_static_selectorELNS0_4arch9wavefront6targetE0EEEvT1_.private_seg_size, 0
	.set _ZN7rocprim17ROCPRIM_400000_NS6detail17trampoline_kernelINS0_14default_configENS1_33run_length_encode_config_selectorIsjNS0_4plusIjEEEEZZNS1_33reduce_by_key_impl_wrapped_configILNS1_25lookback_scan_determinismE0ES3_S7_PKsNS0_17constant_iteratorIjlEEPsPlSF_S6_NS0_8equal_toIsEEEE10hipError_tPvRmT2_T3_mT4_T5_T6_T7_T8_P12ihipStream_tbENKUlT_T0_E_clISt17integral_constantIbLb1EESZ_EEDaSU_SV_EUlSU_E_NS1_11comp_targetILNS1_3genE2ELNS1_11target_archE906ELNS1_3gpuE6ELNS1_3repE0EEENS1_30default_config_static_selectorELNS0_4arch9wavefront6targetE0EEEvT1_.uses_vcc, 0
	.set _ZN7rocprim17ROCPRIM_400000_NS6detail17trampoline_kernelINS0_14default_configENS1_33run_length_encode_config_selectorIsjNS0_4plusIjEEEEZZNS1_33reduce_by_key_impl_wrapped_configILNS1_25lookback_scan_determinismE0ES3_S7_PKsNS0_17constant_iteratorIjlEEPsPlSF_S6_NS0_8equal_toIsEEEE10hipError_tPvRmT2_T3_mT4_T5_T6_T7_T8_P12ihipStream_tbENKUlT_T0_E_clISt17integral_constantIbLb1EESZ_EEDaSU_SV_EUlSU_E_NS1_11comp_targetILNS1_3genE2ELNS1_11target_archE906ELNS1_3gpuE6ELNS1_3repE0EEENS1_30default_config_static_selectorELNS0_4arch9wavefront6targetE0EEEvT1_.uses_flat_scratch, 0
	.set _ZN7rocprim17ROCPRIM_400000_NS6detail17trampoline_kernelINS0_14default_configENS1_33run_length_encode_config_selectorIsjNS0_4plusIjEEEEZZNS1_33reduce_by_key_impl_wrapped_configILNS1_25lookback_scan_determinismE0ES3_S7_PKsNS0_17constant_iteratorIjlEEPsPlSF_S6_NS0_8equal_toIsEEEE10hipError_tPvRmT2_T3_mT4_T5_T6_T7_T8_P12ihipStream_tbENKUlT_T0_E_clISt17integral_constantIbLb1EESZ_EEDaSU_SV_EUlSU_E_NS1_11comp_targetILNS1_3genE2ELNS1_11target_archE906ELNS1_3gpuE6ELNS1_3repE0EEENS1_30default_config_static_selectorELNS0_4arch9wavefront6targetE0EEEvT1_.has_dyn_sized_stack, 0
	.set _ZN7rocprim17ROCPRIM_400000_NS6detail17trampoline_kernelINS0_14default_configENS1_33run_length_encode_config_selectorIsjNS0_4plusIjEEEEZZNS1_33reduce_by_key_impl_wrapped_configILNS1_25lookback_scan_determinismE0ES3_S7_PKsNS0_17constant_iteratorIjlEEPsPlSF_S6_NS0_8equal_toIsEEEE10hipError_tPvRmT2_T3_mT4_T5_T6_T7_T8_P12ihipStream_tbENKUlT_T0_E_clISt17integral_constantIbLb1EESZ_EEDaSU_SV_EUlSU_E_NS1_11comp_targetILNS1_3genE2ELNS1_11target_archE906ELNS1_3gpuE6ELNS1_3repE0EEENS1_30default_config_static_selectorELNS0_4arch9wavefront6targetE0EEEvT1_.has_recursion, 0
	.set _ZN7rocprim17ROCPRIM_400000_NS6detail17trampoline_kernelINS0_14default_configENS1_33run_length_encode_config_selectorIsjNS0_4plusIjEEEEZZNS1_33reduce_by_key_impl_wrapped_configILNS1_25lookback_scan_determinismE0ES3_S7_PKsNS0_17constant_iteratorIjlEEPsPlSF_S6_NS0_8equal_toIsEEEE10hipError_tPvRmT2_T3_mT4_T5_T6_T7_T8_P12ihipStream_tbENKUlT_T0_E_clISt17integral_constantIbLb1EESZ_EEDaSU_SV_EUlSU_E_NS1_11comp_targetILNS1_3genE2ELNS1_11target_archE906ELNS1_3gpuE6ELNS1_3repE0EEENS1_30default_config_static_selectorELNS0_4arch9wavefront6targetE0EEEvT1_.has_indirect_call, 0
	.section	.AMDGPU.csdata,"",@progbits
; Kernel info:
; codeLenInByte = 0
; TotalNumSgprs: 0
; NumVgprs: 0
; ScratchSize: 0
; MemoryBound: 0
; FloatMode: 240
; IeeeMode: 1
; LDSByteSize: 0 bytes/workgroup (compile time only)
; SGPRBlocks: 0
; VGPRBlocks: 0
; NumSGPRsForWavesPerEU: 1
; NumVGPRsForWavesPerEU: 1
; NamedBarCnt: 0
; Occupancy: 16
; WaveLimiterHint : 0
; COMPUTE_PGM_RSRC2:SCRATCH_EN: 0
; COMPUTE_PGM_RSRC2:USER_SGPR: 2
; COMPUTE_PGM_RSRC2:TRAP_HANDLER: 0
; COMPUTE_PGM_RSRC2:TGID_X_EN: 1
; COMPUTE_PGM_RSRC2:TGID_Y_EN: 0
; COMPUTE_PGM_RSRC2:TGID_Z_EN: 0
; COMPUTE_PGM_RSRC2:TIDIG_COMP_CNT: 0
	.section	.text._ZN7rocprim17ROCPRIM_400000_NS6detail17trampoline_kernelINS0_14default_configENS1_33run_length_encode_config_selectorIsjNS0_4plusIjEEEEZZNS1_33reduce_by_key_impl_wrapped_configILNS1_25lookback_scan_determinismE0ES3_S7_PKsNS0_17constant_iteratorIjlEEPsPlSF_S6_NS0_8equal_toIsEEEE10hipError_tPvRmT2_T3_mT4_T5_T6_T7_T8_P12ihipStream_tbENKUlT_T0_E_clISt17integral_constantIbLb1EESZ_EEDaSU_SV_EUlSU_E_NS1_11comp_targetILNS1_3genE10ELNS1_11target_archE1201ELNS1_3gpuE5ELNS1_3repE0EEENS1_30default_config_static_selectorELNS0_4arch9wavefront6targetE0EEEvT1_,"axG",@progbits,_ZN7rocprim17ROCPRIM_400000_NS6detail17trampoline_kernelINS0_14default_configENS1_33run_length_encode_config_selectorIsjNS0_4plusIjEEEEZZNS1_33reduce_by_key_impl_wrapped_configILNS1_25lookback_scan_determinismE0ES3_S7_PKsNS0_17constant_iteratorIjlEEPsPlSF_S6_NS0_8equal_toIsEEEE10hipError_tPvRmT2_T3_mT4_T5_T6_T7_T8_P12ihipStream_tbENKUlT_T0_E_clISt17integral_constantIbLb1EESZ_EEDaSU_SV_EUlSU_E_NS1_11comp_targetILNS1_3genE10ELNS1_11target_archE1201ELNS1_3gpuE5ELNS1_3repE0EEENS1_30default_config_static_selectorELNS0_4arch9wavefront6targetE0EEEvT1_,comdat
	.protected	_ZN7rocprim17ROCPRIM_400000_NS6detail17trampoline_kernelINS0_14default_configENS1_33run_length_encode_config_selectorIsjNS0_4plusIjEEEEZZNS1_33reduce_by_key_impl_wrapped_configILNS1_25lookback_scan_determinismE0ES3_S7_PKsNS0_17constant_iteratorIjlEEPsPlSF_S6_NS0_8equal_toIsEEEE10hipError_tPvRmT2_T3_mT4_T5_T6_T7_T8_P12ihipStream_tbENKUlT_T0_E_clISt17integral_constantIbLb1EESZ_EEDaSU_SV_EUlSU_E_NS1_11comp_targetILNS1_3genE10ELNS1_11target_archE1201ELNS1_3gpuE5ELNS1_3repE0EEENS1_30default_config_static_selectorELNS0_4arch9wavefront6targetE0EEEvT1_ ; -- Begin function _ZN7rocprim17ROCPRIM_400000_NS6detail17trampoline_kernelINS0_14default_configENS1_33run_length_encode_config_selectorIsjNS0_4plusIjEEEEZZNS1_33reduce_by_key_impl_wrapped_configILNS1_25lookback_scan_determinismE0ES3_S7_PKsNS0_17constant_iteratorIjlEEPsPlSF_S6_NS0_8equal_toIsEEEE10hipError_tPvRmT2_T3_mT4_T5_T6_T7_T8_P12ihipStream_tbENKUlT_T0_E_clISt17integral_constantIbLb1EESZ_EEDaSU_SV_EUlSU_E_NS1_11comp_targetILNS1_3genE10ELNS1_11target_archE1201ELNS1_3gpuE5ELNS1_3repE0EEENS1_30default_config_static_selectorELNS0_4arch9wavefront6targetE0EEEvT1_
	.globl	_ZN7rocprim17ROCPRIM_400000_NS6detail17trampoline_kernelINS0_14default_configENS1_33run_length_encode_config_selectorIsjNS0_4plusIjEEEEZZNS1_33reduce_by_key_impl_wrapped_configILNS1_25lookback_scan_determinismE0ES3_S7_PKsNS0_17constant_iteratorIjlEEPsPlSF_S6_NS0_8equal_toIsEEEE10hipError_tPvRmT2_T3_mT4_T5_T6_T7_T8_P12ihipStream_tbENKUlT_T0_E_clISt17integral_constantIbLb1EESZ_EEDaSU_SV_EUlSU_E_NS1_11comp_targetILNS1_3genE10ELNS1_11target_archE1201ELNS1_3gpuE5ELNS1_3repE0EEENS1_30default_config_static_selectorELNS0_4arch9wavefront6targetE0EEEvT1_
	.p2align	8
	.type	_ZN7rocprim17ROCPRIM_400000_NS6detail17trampoline_kernelINS0_14default_configENS1_33run_length_encode_config_selectorIsjNS0_4plusIjEEEEZZNS1_33reduce_by_key_impl_wrapped_configILNS1_25lookback_scan_determinismE0ES3_S7_PKsNS0_17constant_iteratorIjlEEPsPlSF_S6_NS0_8equal_toIsEEEE10hipError_tPvRmT2_T3_mT4_T5_T6_T7_T8_P12ihipStream_tbENKUlT_T0_E_clISt17integral_constantIbLb1EESZ_EEDaSU_SV_EUlSU_E_NS1_11comp_targetILNS1_3genE10ELNS1_11target_archE1201ELNS1_3gpuE5ELNS1_3repE0EEENS1_30default_config_static_selectorELNS0_4arch9wavefront6targetE0EEEvT1_,@function
_ZN7rocprim17ROCPRIM_400000_NS6detail17trampoline_kernelINS0_14default_configENS1_33run_length_encode_config_selectorIsjNS0_4plusIjEEEEZZNS1_33reduce_by_key_impl_wrapped_configILNS1_25lookback_scan_determinismE0ES3_S7_PKsNS0_17constant_iteratorIjlEEPsPlSF_S6_NS0_8equal_toIsEEEE10hipError_tPvRmT2_T3_mT4_T5_T6_T7_T8_P12ihipStream_tbENKUlT_T0_E_clISt17integral_constantIbLb1EESZ_EEDaSU_SV_EUlSU_E_NS1_11comp_targetILNS1_3genE10ELNS1_11target_archE1201ELNS1_3gpuE5ELNS1_3repE0EEENS1_30default_config_static_selectorELNS0_4arch9wavefront6targetE0EEEvT1_: ; @_ZN7rocprim17ROCPRIM_400000_NS6detail17trampoline_kernelINS0_14default_configENS1_33run_length_encode_config_selectorIsjNS0_4plusIjEEEEZZNS1_33reduce_by_key_impl_wrapped_configILNS1_25lookback_scan_determinismE0ES3_S7_PKsNS0_17constant_iteratorIjlEEPsPlSF_S6_NS0_8equal_toIsEEEE10hipError_tPvRmT2_T3_mT4_T5_T6_T7_T8_P12ihipStream_tbENKUlT_T0_E_clISt17integral_constantIbLb1EESZ_EEDaSU_SV_EUlSU_E_NS1_11comp_targetILNS1_3genE10ELNS1_11target_archE1201ELNS1_3gpuE5ELNS1_3repE0EEENS1_30default_config_static_selectorELNS0_4arch9wavefront6targetE0EEEvT1_
; %bb.0:
	.section	.rodata,"a",@progbits
	.p2align	6, 0x0
	.amdhsa_kernel _ZN7rocprim17ROCPRIM_400000_NS6detail17trampoline_kernelINS0_14default_configENS1_33run_length_encode_config_selectorIsjNS0_4plusIjEEEEZZNS1_33reduce_by_key_impl_wrapped_configILNS1_25lookback_scan_determinismE0ES3_S7_PKsNS0_17constant_iteratorIjlEEPsPlSF_S6_NS0_8equal_toIsEEEE10hipError_tPvRmT2_T3_mT4_T5_T6_T7_T8_P12ihipStream_tbENKUlT_T0_E_clISt17integral_constantIbLb1EESZ_EEDaSU_SV_EUlSU_E_NS1_11comp_targetILNS1_3genE10ELNS1_11target_archE1201ELNS1_3gpuE5ELNS1_3repE0EEENS1_30default_config_static_selectorELNS0_4arch9wavefront6targetE0EEEvT1_
		.amdhsa_group_segment_fixed_size 0
		.amdhsa_private_segment_fixed_size 0
		.amdhsa_kernarg_size 128
		.amdhsa_user_sgpr_count 2
		.amdhsa_user_sgpr_dispatch_ptr 0
		.amdhsa_user_sgpr_queue_ptr 0
		.amdhsa_user_sgpr_kernarg_segment_ptr 1
		.amdhsa_user_sgpr_dispatch_id 0
		.amdhsa_user_sgpr_kernarg_preload_length 0
		.amdhsa_user_sgpr_kernarg_preload_offset 0
		.amdhsa_user_sgpr_private_segment_size 0
		.amdhsa_wavefront_size32 1
		.amdhsa_uses_dynamic_stack 0
		.amdhsa_enable_private_segment 0
		.amdhsa_system_sgpr_workgroup_id_x 1
		.amdhsa_system_sgpr_workgroup_id_y 0
		.amdhsa_system_sgpr_workgroup_id_z 0
		.amdhsa_system_sgpr_workgroup_info 0
		.amdhsa_system_vgpr_workitem_id 0
		.amdhsa_next_free_vgpr 1
		.amdhsa_next_free_sgpr 1
		.amdhsa_named_barrier_count 0
		.amdhsa_reserve_vcc 0
		.amdhsa_float_round_mode_32 0
		.amdhsa_float_round_mode_16_64 0
		.amdhsa_float_denorm_mode_32 3
		.amdhsa_float_denorm_mode_16_64 3
		.amdhsa_fp16_overflow 0
		.amdhsa_memory_ordered 1
		.amdhsa_forward_progress 1
		.amdhsa_inst_pref_size 0
		.amdhsa_round_robin_scheduling 0
		.amdhsa_exception_fp_ieee_invalid_op 0
		.amdhsa_exception_fp_denorm_src 0
		.amdhsa_exception_fp_ieee_div_zero 0
		.amdhsa_exception_fp_ieee_overflow 0
		.amdhsa_exception_fp_ieee_underflow 0
		.amdhsa_exception_fp_ieee_inexact 0
		.amdhsa_exception_int_div_zero 0
	.end_amdhsa_kernel
	.section	.text._ZN7rocprim17ROCPRIM_400000_NS6detail17trampoline_kernelINS0_14default_configENS1_33run_length_encode_config_selectorIsjNS0_4plusIjEEEEZZNS1_33reduce_by_key_impl_wrapped_configILNS1_25lookback_scan_determinismE0ES3_S7_PKsNS0_17constant_iteratorIjlEEPsPlSF_S6_NS0_8equal_toIsEEEE10hipError_tPvRmT2_T3_mT4_T5_T6_T7_T8_P12ihipStream_tbENKUlT_T0_E_clISt17integral_constantIbLb1EESZ_EEDaSU_SV_EUlSU_E_NS1_11comp_targetILNS1_3genE10ELNS1_11target_archE1201ELNS1_3gpuE5ELNS1_3repE0EEENS1_30default_config_static_selectorELNS0_4arch9wavefront6targetE0EEEvT1_,"axG",@progbits,_ZN7rocprim17ROCPRIM_400000_NS6detail17trampoline_kernelINS0_14default_configENS1_33run_length_encode_config_selectorIsjNS0_4plusIjEEEEZZNS1_33reduce_by_key_impl_wrapped_configILNS1_25lookback_scan_determinismE0ES3_S7_PKsNS0_17constant_iteratorIjlEEPsPlSF_S6_NS0_8equal_toIsEEEE10hipError_tPvRmT2_T3_mT4_T5_T6_T7_T8_P12ihipStream_tbENKUlT_T0_E_clISt17integral_constantIbLb1EESZ_EEDaSU_SV_EUlSU_E_NS1_11comp_targetILNS1_3genE10ELNS1_11target_archE1201ELNS1_3gpuE5ELNS1_3repE0EEENS1_30default_config_static_selectorELNS0_4arch9wavefront6targetE0EEEvT1_,comdat
.Lfunc_end594:
	.size	_ZN7rocprim17ROCPRIM_400000_NS6detail17trampoline_kernelINS0_14default_configENS1_33run_length_encode_config_selectorIsjNS0_4plusIjEEEEZZNS1_33reduce_by_key_impl_wrapped_configILNS1_25lookback_scan_determinismE0ES3_S7_PKsNS0_17constant_iteratorIjlEEPsPlSF_S6_NS0_8equal_toIsEEEE10hipError_tPvRmT2_T3_mT4_T5_T6_T7_T8_P12ihipStream_tbENKUlT_T0_E_clISt17integral_constantIbLb1EESZ_EEDaSU_SV_EUlSU_E_NS1_11comp_targetILNS1_3genE10ELNS1_11target_archE1201ELNS1_3gpuE5ELNS1_3repE0EEENS1_30default_config_static_selectorELNS0_4arch9wavefront6targetE0EEEvT1_, .Lfunc_end594-_ZN7rocprim17ROCPRIM_400000_NS6detail17trampoline_kernelINS0_14default_configENS1_33run_length_encode_config_selectorIsjNS0_4plusIjEEEEZZNS1_33reduce_by_key_impl_wrapped_configILNS1_25lookback_scan_determinismE0ES3_S7_PKsNS0_17constant_iteratorIjlEEPsPlSF_S6_NS0_8equal_toIsEEEE10hipError_tPvRmT2_T3_mT4_T5_T6_T7_T8_P12ihipStream_tbENKUlT_T0_E_clISt17integral_constantIbLb1EESZ_EEDaSU_SV_EUlSU_E_NS1_11comp_targetILNS1_3genE10ELNS1_11target_archE1201ELNS1_3gpuE5ELNS1_3repE0EEENS1_30default_config_static_selectorELNS0_4arch9wavefront6targetE0EEEvT1_
                                        ; -- End function
	.set _ZN7rocprim17ROCPRIM_400000_NS6detail17trampoline_kernelINS0_14default_configENS1_33run_length_encode_config_selectorIsjNS0_4plusIjEEEEZZNS1_33reduce_by_key_impl_wrapped_configILNS1_25lookback_scan_determinismE0ES3_S7_PKsNS0_17constant_iteratorIjlEEPsPlSF_S6_NS0_8equal_toIsEEEE10hipError_tPvRmT2_T3_mT4_T5_T6_T7_T8_P12ihipStream_tbENKUlT_T0_E_clISt17integral_constantIbLb1EESZ_EEDaSU_SV_EUlSU_E_NS1_11comp_targetILNS1_3genE10ELNS1_11target_archE1201ELNS1_3gpuE5ELNS1_3repE0EEENS1_30default_config_static_selectorELNS0_4arch9wavefront6targetE0EEEvT1_.num_vgpr, 0
	.set _ZN7rocprim17ROCPRIM_400000_NS6detail17trampoline_kernelINS0_14default_configENS1_33run_length_encode_config_selectorIsjNS0_4plusIjEEEEZZNS1_33reduce_by_key_impl_wrapped_configILNS1_25lookback_scan_determinismE0ES3_S7_PKsNS0_17constant_iteratorIjlEEPsPlSF_S6_NS0_8equal_toIsEEEE10hipError_tPvRmT2_T3_mT4_T5_T6_T7_T8_P12ihipStream_tbENKUlT_T0_E_clISt17integral_constantIbLb1EESZ_EEDaSU_SV_EUlSU_E_NS1_11comp_targetILNS1_3genE10ELNS1_11target_archE1201ELNS1_3gpuE5ELNS1_3repE0EEENS1_30default_config_static_selectorELNS0_4arch9wavefront6targetE0EEEvT1_.num_agpr, 0
	.set _ZN7rocprim17ROCPRIM_400000_NS6detail17trampoline_kernelINS0_14default_configENS1_33run_length_encode_config_selectorIsjNS0_4plusIjEEEEZZNS1_33reduce_by_key_impl_wrapped_configILNS1_25lookback_scan_determinismE0ES3_S7_PKsNS0_17constant_iteratorIjlEEPsPlSF_S6_NS0_8equal_toIsEEEE10hipError_tPvRmT2_T3_mT4_T5_T6_T7_T8_P12ihipStream_tbENKUlT_T0_E_clISt17integral_constantIbLb1EESZ_EEDaSU_SV_EUlSU_E_NS1_11comp_targetILNS1_3genE10ELNS1_11target_archE1201ELNS1_3gpuE5ELNS1_3repE0EEENS1_30default_config_static_selectorELNS0_4arch9wavefront6targetE0EEEvT1_.numbered_sgpr, 0
	.set _ZN7rocprim17ROCPRIM_400000_NS6detail17trampoline_kernelINS0_14default_configENS1_33run_length_encode_config_selectorIsjNS0_4plusIjEEEEZZNS1_33reduce_by_key_impl_wrapped_configILNS1_25lookback_scan_determinismE0ES3_S7_PKsNS0_17constant_iteratorIjlEEPsPlSF_S6_NS0_8equal_toIsEEEE10hipError_tPvRmT2_T3_mT4_T5_T6_T7_T8_P12ihipStream_tbENKUlT_T0_E_clISt17integral_constantIbLb1EESZ_EEDaSU_SV_EUlSU_E_NS1_11comp_targetILNS1_3genE10ELNS1_11target_archE1201ELNS1_3gpuE5ELNS1_3repE0EEENS1_30default_config_static_selectorELNS0_4arch9wavefront6targetE0EEEvT1_.num_named_barrier, 0
	.set _ZN7rocprim17ROCPRIM_400000_NS6detail17trampoline_kernelINS0_14default_configENS1_33run_length_encode_config_selectorIsjNS0_4plusIjEEEEZZNS1_33reduce_by_key_impl_wrapped_configILNS1_25lookback_scan_determinismE0ES3_S7_PKsNS0_17constant_iteratorIjlEEPsPlSF_S6_NS0_8equal_toIsEEEE10hipError_tPvRmT2_T3_mT4_T5_T6_T7_T8_P12ihipStream_tbENKUlT_T0_E_clISt17integral_constantIbLb1EESZ_EEDaSU_SV_EUlSU_E_NS1_11comp_targetILNS1_3genE10ELNS1_11target_archE1201ELNS1_3gpuE5ELNS1_3repE0EEENS1_30default_config_static_selectorELNS0_4arch9wavefront6targetE0EEEvT1_.private_seg_size, 0
	.set _ZN7rocprim17ROCPRIM_400000_NS6detail17trampoline_kernelINS0_14default_configENS1_33run_length_encode_config_selectorIsjNS0_4plusIjEEEEZZNS1_33reduce_by_key_impl_wrapped_configILNS1_25lookback_scan_determinismE0ES3_S7_PKsNS0_17constant_iteratorIjlEEPsPlSF_S6_NS0_8equal_toIsEEEE10hipError_tPvRmT2_T3_mT4_T5_T6_T7_T8_P12ihipStream_tbENKUlT_T0_E_clISt17integral_constantIbLb1EESZ_EEDaSU_SV_EUlSU_E_NS1_11comp_targetILNS1_3genE10ELNS1_11target_archE1201ELNS1_3gpuE5ELNS1_3repE0EEENS1_30default_config_static_selectorELNS0_4arch9wavefront6targetE0EEEvT1_.uses_vcc, 0
	.set _ZN7rocprim17ROCPRIM_400000_NS6detail17trampoline_kernelINS0_14default_configENS1_33run_length_encode_config_selectorIsjNS0_4plusIjEEEEZZNS1_33reduce_by_key_impl_wrapped_configILNS1_25lookback_scan_determinismE0ES3_S7_PKsNS0_17constant_iteratorIjlEEPsPlSF_S6_NS0_8equal_toIsEEEE10hipError_tPvRmT2_T3_mT4_T5_T6_T7_T8_P12ihipStream_tbENKUlT_T0_E_clISt17integral_constantIbLb1EESZ_EEDaSU_SV_EUlSU_E_NS1_11comp_targetILNS1_3genE10ELNS1_11target_archE1201ELNS1_3gpuE5ELNS1_3repE0EEENS1_30default_config_static_selectorELNS0_4arch9wavefront6targetE0EEEvT1_.uses_flat_scratch, 0
	.set _ZN7rocprim17ROCPRIM_400000_NS6detail17trampoline_kernelINS0_14default_configENS1_33run_length_encode_config_selectorIsjNS0_4plusIjEEEEZZNS1_33reduce_by_key_impl_wrapped_configILNS1_25lookback_scan_determinismE0ES3_S7_PKsNS0_17constant_iteratorIjlEEPsPlSF_S6_NS0_8equal_toIsEEEE10hipError_tPvRmT2_T3_mT4_T5_T6_T7_T8_P12ihipStream_tbENKUlT_T0_E_clISt17integral_constantIbLb1EESZ_EEDaSU_SV_EUlSU_E_NS1_11comp_targetILNS1_3genE10ELNS1_11target_archE1201ELNS1_3gpuE5ELNS1_3repE0EEENS1_30default_config_static_selectorELNS0_4arch9wavefront6targetE0EEEvT1_.has_dyn_sized_stack, 0
	.set _ZN7rocprim17ROCPRIM_400000_NS6detail17trampoline_kernelINS0_14default_configENS1_33run_length_encode_config_selectorIsjNS0_4plusIjEEEEZZNS1_33reduce_by_key_impl_wrapped_configILNS1_25lookback_scan_determinismE0ES3_S7_PKsNS0_17constant_iteratorIjlEEPsPlSF_S6_NS0_8equal_toIsEEEE10hipError_tPvRmT2_T3_mT4_T5_T6_T7_T8_P12ihipStream_tbENKUlT_T0_E_clISt17integral_constantIbLb1EESZ_EEDaSU_SV_EUlSU_E_NS1_11comp_targetILNS1_3genE10ELNS1_11target_archE1201ELNS1_3gpuE5ELNS1_3repE0EEENS1_30default_config_static_selectorELNS0_4arch9wavefront6targetE0EEEvT1_.has_recursion, 0
	.set _ZN7rocprim17ROCPRIM_400000_NS6detail17trampoline_kernelINS0_14default_configENS1_33run_length_encode_config_selectorIsjNS0_4plusIjEEEEZZNS1_33reduce_by_key_impl_wrapped_configILNS1_25lookback_scan_determinismE0ES3_S7_PKsNS0_17constant_iteratorIjlEEPsPlSF_S6_NS0_8equal_toIsEEEE10hipError_tPvRmT2_T3_mT4_T5_T6_T7_T8_P12ihipStream_tbENKUlT_T0_E_clISt17integral_constantIbLb1EESZ_EEDaSU_SV_EUlSU_E_NS1_11comp_targetILNS1_3genE10ELNS1_11target_archE1201ELNS1_3gpuE5ELNS1_3repE0EEENS1_30default_config_static_selectorELNS0_4arch9wavefront6targetE0EEEvT1_.has_indirect_call, 0
	.section	.AMDGPU.csdata,"",@progbits
; Kernel info:
; codeLenInByte = 0
; TotalNumSgprs: 0
; NumVgprs: 0
; ScratchSize: 0
; MemoryBound: 0
; FloatMode: 240
; IeeeMode: 1
; LDSByteSize: 0 bytes/workgroup (compile time only)
; SGPRBlocks: 0
; VGPRBlocks: 0
; NumSGPRsForWavesPerEU: 1
; NumVGPRsForWavesPerEU: 1
; NamedBarCnt: 0
; Occupancy: 16
; WaveLimiterHint : 0
; COMPUTE_PGM_RSRC2:SCRATCH_EN: 0
; COMPUTE_PGM_RSRC2:USER_SGPR: 2
; COMPUTE_PGM_RSRC2:TRAP_HANDLER: 0
; COMPUTE_PGM_RSRC2:TGID_X_EN: 1
; COMPUTE_PGM_RSRC2:TGID_Y_EN: 0
; COMPUTE_PGM_RSRC2:TGID_Z_EN: 0
; COMPUTE_PGM_RSRC2:TIDIG_COMP_CNT: 0
	.section	.text._ZN7rocprim17ROCPRIM_400000_NS6detail17trampoline_kernelINS0_14default_configENS1_33run_length_encode_config_selectorIsjNS0_4plusIjEEEEZZNS1_33reduce_by_key_impl_wrapped_configILNS1_25lookback_scan_determinismE0ES3_S7_PKsNS0_17constant_iteratorIjlEEPsPlSF_S6_NS0_8equal_toIsEEEE10hipError_tPvRmT2_T3_mT4_T5_T6_T7_T8_P12ihipStream_tbENKUlT_T0_E_clISt17integral_constantIbLb1EESZ_EEDaSU_SV_EUlSU_E_NS1_11comp_targetILNS1_3genE10ELNS1_11target_archE1200ELNS1_3gpuE4ELNS1_3repE0EEENS1_30default_config_static_selectorELNS0_4arch9wavefront6targetE0EEEvT1_,"axG",@progbits,_ZN7rocprim17ROCPRIM_400000_NS6detail17trampoline_kernelINS0_14default_configENS1_33run_length_encode_config_selectorIsjNS0_4plusIjEEEEZZNS1_33reduce_by_key_impl_wrapped_configILNS1_25lookback_scan_determinismE0ES3_S7_PKsNS0_17constant_iteratorIjlEEPsPlSF_S6_NS0_8equal_toIsEEEE10hipError_tPvRmT2_T3_mT4_T5_T6_T7_T8_P12ihipStream_tbENKUlT_T0_E_clISt17integral_constantIbLb1EESZ_EEDaSU_SV_EUlSU_E_NS1_11comp_targetILNS1_3genE10ELNS1_11target_archE1200ELNS1_3gpuE4ELNS1_3repE0EEENS1_30default_config_static_selectorELNS0_4arch9wavefront6targetE0EEEvT1_,comdat
	.protected	_ZN7rocprim17ROCPRIM_400000_NS6detail17trampoline_kernelINS0_14default_configENS1_33run_length_encode_config_selectorIsjNS0_4plusIjEEEEZZNS1_33reduce_by_key_impl_wrapped_configILNS1_25lookback_scan_determinismE0ES3_S7_PKsNS0_17constant_iteratorIjlEEPsPlSF_S6_NS0_8equal_toIsEEEE10hipError_tPvRmT2_T3_mT4_T5_T6_T7_T8_P12ihipStream_tbENKUlT_T0_E_clISt17integral_constantIbLb1EESZ_EEDaSU_SV_EUlSU_E_NS1_11comp_targetILNS1_3genE10ELNS1_11target_archE1200ELNS1_3gpuE4ELNS1_3repE0EEENS1_30default_config_static_selectorELNS0_4arch9wavefront6targetE0EEEvT1_ ; -- Begin function _ZN7rocprim17ROCPRIM_400000_NS6detail17trampoline_kernelINS0_14default_configENS1_33run_length_encode_config_selectorIsjNS0_4plusIjEEEEZZNS1_33reduce_by_key_impl_wrapped_configILNS1_25lookback_scan_determinismE0ES3_S7_PKsNS0_17constant_iteratorIjlEEPsPlSF_S6_NS0_8equal_toIsEEEE10hipError_tPvRmT2_T3_mT4_T5_T6_T7_T8_P12ihipStream_tbENKUlT_T0_E_clISt17integral_constantIbLb1EESZ_EEDaSU_SV_EUlSU_E_NS1_11comp_targetILNS1_3genE10ELNS1_11target_archE1200ELNS1_3gpuE4ELNS1_3repE0EEENS1_30default_config_static_selectorELNS0_4arch9wavefront6targetE0EEEvT1_
	.globl	_ZN7rocprim17ROCPRIM_400000_NS6detail17trampoline_kernelINS0_14default_configENS1_33run_length_encode_config_selectorIsjNS0_4plusIjEEEEZZNS1_33reduce_by_key_impl_wrapped_configILNS1_25lookback_scan_determinismE0ES3_S7_PKsNS0_17constant_iteratorIjlEEPsPlSF_S6_NS0_8equal_toIsEEEE10hipError_tPvRmT2_T3_mT4_T5_T6_T7_T8_P12ihipStream_tbENKUlT_T0_E_clISt17integral_constantIbLb1EESZ_EEDaSU_SV_EUlSU_E_NS1_11comp_targetILNS1_3genE10ELNS1_11target_archE1200ELNS1_3gpuE4ELNS1_3repE0EEENS1_30default_config_static_selectorELNS0_4arch9wavefront6targetE0EEEvT1_
	.p2align	8
	.type	_ZN7rocprim17ROCPRIM_400000_NS6detail17trampoline_kernelINS0_14default_configENS1_33run_length_encode_config_selectorIsjNS0_4plusIjEEEEZZNS1_33reduce_by_key_impl_wrapped_configILNS1_25lookback_scan_determinismE0ES3_S7_PKsNS0_17constant_iteratorIjlEEPsPlSF_S6_NS0_8equal_toIsEEEE10hipError_tPvRmT2_T3_mT4_T5_T6_T7_T8_P12ihipStream_tbENKUlT_T0_E_clISt17integral_constantIbLb1EESZ_EEDaSU_SV_EUlSU_E_NS1_11comp_targetILNS1_3genE10ELNS1_11target_archE1200ELNS1_3gpuE4ELNS1_3repE0EEENS1_30default_config_static_selectorELNS0_4arch9wavefront6targetE0EEEvT1_,@function
_ZN7rocprim17ROCPRIM_400000_NS6detail17trampoline_kernelINS0_14default_configENS1_33run_length_encode_config_selectorIsjNS0_4plusIjEEEEZZNS1_33reduce_by_key_impl_wrapped_configILNS1_25lookback_scan_determinismE0ES3_S7_PKsNS0_17constant_iteratorIjlEEPsPlSF_S6_NS0_8equal_toIsEEEE10hipError_tPvRmT2_T3_mT4_T5_T6_T7_T8_P12ihipStream_tbENKUlT_T0_E_clISt17integral_constantIbLb1EESZ_EEDaSU_SV_EUlSU_E_NS1_11comp_targetILNS1_3genE10ELNS1_11target_archE1200ELNS1_3gpuE4ELNS1_3repE0EEENS1_30default_config_static_selectorELNS0_4arch9wavefront6targetE0EEEvT1_: ; @_ZN7rocprim17ROCPRIM_400000_NS6detail17trampoline_kernelINS0_14default_configENS1_33run_length_encode_config_selectorIsjNS0_4plusIjEEEEZZNS1_33reduce_by_key_impl_wrapped_configILNS1_25lookback_scan_determinismE0ES3_S7_PKsNS0_17constant_iteratorIjlEEPsPlSF_S6_NS0_8equal_toIsEEEE10hipError_tPvRmT2_T3_mT4_T5_T6_T7_T8_P12ihipStream_tbENKUlT_T0_E_clISt17integral_constantIbLb1EESZ_EEDaSU_SV_EUlSU_E_NS1_11comp_targetILNS1_3genE10ELNS1_11target_archE1200ELNS1_3gpuE4ELNS1_3repE0EEENS1_30default_config_static_selectorELNS0_4arch9wavefront6targetE0EEEvT1_
; %bb.0:
	.section	.rodata,"a",@progbits
	.p2align	6, 0x0
	.amdhsa_kernel _ZN7rocprim17ROCPRIM_400000_NS6detail17trampoline_kernelINS0_14default_configENS1_33run_length_encode_config_selectorIsjNS0_4plusIjEEEEZZNS1_33reduce_by_key_impl_wrapped_configILNS1_25lookback_scan_determinismE0ES3_S7_PKsNS0_17constant_iteratorIjlEEPsPlSF_S6_NS0_8equal_toIsEEEE10hipError_tPvRmT2_T3_mT4_T5_T6_T7_T8_P12ihipStream_tbENKUlT_T0_E_clISt17integral_constantIbLb1EESZ_EEDaSU_SV_EUlSU_E_NS1_11comp_targetILNS1_3genE10ELNS1_11target_archE1200ELNS1_3gpuE4ELNS1_3repE0EEENS1_30default_config_static_selectorELNS0_4arch9wavefront6targetE0EEEvT1_
		.amdhsa_group_segment_fixed_size 0
		.amdhsa_private_segment_fixed_size 0
		.amdhsa_kernarg_size 128
		.amdhsa_user_sgpr_count 2
		.amdhsa_user_sgpr_dispatch_ptr 0
		.amdhsa_user_sgpr_queue_ptr 0
		.amdhsa_user_sgpr_kernarg_segment_ptr 1
		.amdhsa_user_sgpr_dispatch_id 0
		.amdhsa_user_sgpr_kernarg_preload_length 0
		.amdhsa_user_sgpr_kernarg_preload_offset 0
		.amdhsa_user_sgpr_private_segment_size 0
		.amdhsa_wavefront_size32 1
		.amdhsa_uses_dynamic_stack 0
		.amdhsa_enable_private_segment 0
		.amdhsa_system_sgpr_workgroup_id_x 1
		.amdhsa_system_sgpr_workgroup_id_y 0
		.amdhsa_system_sgpr_workgroup_id_z 0
		.amdhsa_system_sgpr_workgroup_info 0
		.amdhsa_system_vgpr_workitem_id 0
		.amdhsa_next_free_vgpr 1
		.amdhsa_next_free_sgpr 1
		.amdhsa_named_barrier_count 0
		.amdhsa_reserve_vcc 0
		.amdhsa_float_round_mode_32 0
		.amdhsa_float_round_mode_16_64 0
		.amdhsa_float_denorm_mode_32 3
		.amdhsa_float_denorm_mode_16_64 3
		.amdhsa_fp16_overflow 0
		.amdhsa_memory_ordered 1
		.amdhsa_forward_progress 1
		.amdhsa_inst_pref_size 0
		.amdhsa_round_robin_scheduling 0
		.amdhsa_exception_fp_ieee_invalid_op 0
		.amdhsa_exception_fp_denorm_src 0
		.amdhsa_exception_fp_ieee_div_zero 0
		.amdhsa_exception_fp_ieee_overflow 0
		.amdhsa_exception_fp_ieee_underflow 0
		.amdhsa_exception_fp_ieee_inexact 0
		.amdhsa_exception_int_div_zero 0
	.end_amdhsa_kernel
	.section	.text._ZN7rocprim17ROCPRIM_400000_NS6detail17trampoline_kernelINS0_14default_configENS1_33run_length_encode_config_selectorIsjNS0_4plusIjEEEEZZNS1_33reduce_by_key_impl_wrapped_configILNS1_25lookback_scan_determinismE0ES3_S7_PKsNS0_17constant_iteratorIjlEEPsPlSF_S6_NS0_8equal_toIsEEEE10hipError_tPvRmT2_T3_mT4_T5_T6_T7_T8_P12ihipStream_tbENKUlT_T0_E_clISt17integral_constantIbLb1EESZ_EEDaSU_SV_EUlSU_E_NS1_11comp_targetILNS1_3genE10ELNS1_11target_archE1200ELNS1_3gpuE4ELNS1_3repE0EEENS1_30default_config_static_selectorELNS0_4arch9wavefront6targetE0EEEvT1_,"axG",@progbits,_ZN7rocprim17ROCPRIM_400000_NS6detail17trampoline_kernelINS0_14default_configENS1_33run_length_encode_config_selectorIsjNS0_4plusIjEEEEZZNS1_33reduce_by_key_impl_wrapped_configILNS1_25lookback_scan_determinismE0ES3_S7_PKsNS0_17constant_iteratorIjlEEPsPlSF_S6_NS0_8equal_toIsEEEE10hipError_tPvRmT2_T3_mT4_T5_T6_T7_T8_P12ihipStream_tbENKUlT_T0_E_clISt17integral_constantIbLb1EESZ_EEDaSU_SV_EUlSU_E_NS1_11comp_targetILNS1_3genE10ELNS1_11target_archE1200ELNS1_3gpuE4ELNS1_3repE0EEENS1_30default_config_static_selectorELNS0_4arch9wavefront6targetE0EEEvT1_,comdat
.Lfunc_end595:
	.size	_ZN7rocprim17ROCPRIM_400000_NS6detail17trampoline_kernelINS0_14default_configENS1_33run_length_encode_config_selectorIsjNS0_4plusIjEEEEZZNS1_33reduce_by_key_impl_wrapped_configILNS1_25lookback_scan_determinismE0ES3_S7_PKsNS0_17constant_iteratorIjlEEPsPlSF_S6_NS0_8equal_toIsEEEE10hipError_tPvRmT2_T3_mT4_T5_T6_T7_T8_P12ihipStream_tbENKUlT_T0_E_clISt17integral_constantIbLb1EESZ_EEDaSU_SV_EUlSU_E_NS1_11comp_targetILNS1_3genE10ELNS1_11target_archE1200ELNS1_3gpuE4ELNS1_3repE0EEENS1_30default_config_static_selectorELNS0_4arch9wavefront6targetE0EEEvT1_, .Lfunc_end595-_ZN7rocprim17ROCPRIM_400000_NS6detail17trampoline_kernelINS0_14default_configENS1_33run_length_encode_config_selectorIsjNS0_4plusIjEEEEZZNS1_33reduce_by_key_impl_wrapped_configILNS1_25lookback_scan_determinismE0ES3_S7_PKsNS0_17constant_iteratorIjlEEPsPlSF_S6_NS0_8equal_toIsEEEE10hipError_tPvRmT2_T3_mT4_T5_T6_T7_T8_P12ihipStream_tbENKUlT_T0_E_clISt17integral_constantIbLb1EESZ_EEDaSU_SV_EUlSU_E_NS1_11comp_targetILNS1_3genE10ELNS1_11target_archE1200ELNS1_3gpuE4ELNS1_3repE0EEENS1_30default_config_static_selectorELNS0_4arch9wavefront6targetE0EEEvT1_
                                        ; -- End function
	.set _ZN7rocprim17ROCPRIM_400000_NS6detail17trampoline_kernelINS0_14default_configENS1_33run_length_encode_config_selectorIsjNS0_4plusIjEEEEZZNS1_33reduce_by_key_impl_wrapped_configILNS1_25lookback_scan_determinismE0ES3_S7_PKsNS0_17constant_iteratorIjlEEPsPlSF_S6_NS0_8equal_toIsEEEE10hipError_tPvRmT2_T3_mT4_T5_T6_T7_T8_P12ihipStream_tbENKUlT_T0_E_clISt17integral_constantIbLb1EESZ_EEDaSU_SV_EUlSU_E_NS1_11comp_targetILNS1_3genE10ELNS1_11target_archE1200ELNS1_3gpuE4ELNS1_3repE0EEENS1_30default_config_static_selectorELNS0_4arch9wavefront6targetE0EEEvT1_.num_vgpr, 0
	.set _ZN7rocprim17ROCPRIM_400000_NS6detail17trampoline_kernelINS0_14default_configENS1_33run_length_encode_config_selectorIsjNS0_4plusIjEEEEZZNS1_33reduce_by_key_impl_wrapped_configILNS1_25lookback_scan_determinismE0ES3_S7_PKsNS0_17constant_iteratorIjlEEPsPlSF_S6_NS0_8equal_toIsEEEE10hipError_tPvRmT2_T3_mT4_T5_T6_T7_T8_P12ihipStream_tbENKUlT_T0_E_clISt17integral_constantIbLb1EESZ_EEDaSU_SV_EUlSU_E_NS1_11comp_targetILNS1_3genE10ELNS1_11target_archE1200ELNS1_3gpuE4ELNS1_3repE0EEENS1_30default_config_static_selectorELNS0_4arch9wavefront6targetE0EEEvT1_.num_agpr, 0
	.set _ZN7rocprim17ROCPRIM_400000_NS6detail17trampoline_kernelINS0_14default_configENS1_33run_length_encode_config_selectorIsjNS0_4plusIjEEEEZZNS1_33reduce_by_key_impl_wrapped_configILNS1_25lookback_scan_determinismE0ES3_S7_PKsNS0_17constant_iteratorIjlEEPsPlSF_S6_NS0_8equal_toIsEEEE10hipError_tPvRmT2_T3_mT4_T5_T6_T7_T8_P12ihipStream_tbENKUlT_T0_E_clISt17integral_constantIbLb1EESZ_EEDaSU_SV_EUlSU_E_NS1_11comp_targetILNS1_3genE10ELNS1_11target_archE1200ELNS1_3gpuE4ELNS1_3repE0EEENS1_30default_config_static_selectorELNS0_4arch9wavefront6targetE0EEEvT1_.numbered_sgpr, 0
	.set _ZN7rocprim17ROCPRIM_400000_NS6detail17trampoline_kernelINS0_14default_configENS1_33run_length_encode_config_selectorIsjNS0_4plusIjEEEEZZNS1_33reduce_by_key_impl_wrapped_configILNS1_25lookback_scan_determinismE0ES3_S7_PKsNS0_17constant_iteratorIjlEEPsPlSF_S6_NS0_8equal_toIsEEEE10hipError_tPvRmT2_T3_mT4_T5_T6_T7_T8_P12ihipStream_tbENKUlT_T0_E_clISt17integral_constantIbLb1EESZ_EEDaSU_SV_EUlSU_E_NS1_11comp_targetILNS1_3genE10ELNS1_11target_archE1200ELNS1_3gpuE4ELNS1_3repE0EEENS1_30default_config_static_selectorELNS0_4arch9wavefront6targetE0EEEvT1_.num_named_barrier, 0
	.set _ZN7rocprim17ROCPRIM_400000_NS6detail17trampoline_kernelINS0_14default_configENS1_33run_length_encode_config_selectorIsjNS0_4plusIjEEEEZZNS1_33reduce_by_key_impl_wrapped_configILNS1_25lookback_scan_determinismE0ES3_S7_PKsNS0_17constant_iteratorIjlEEPsPlSF_S6_NS0_8equal_toIsEEEE10hipError_tPvRmT2_T3_mT4_T5_T6_T7_T8_P12ihipStream_tbENKUlT_T0_E_clISt17integral_constantIbLb1EESZ_EEDaSU_SV_EUlSU_E_NS1_11comp_targetILNS1_3genE10ELNS1_11target_archE1200ELNS1_3gpuE4ELNS1_3repE0EEENS1_30default_config_static_selectorELNS0_4arch9wavefront6targetE0EEEvT1_.private_seg_size, 0
	.set _ZN7rocprim17ROCPRIM_400000_NS6detail17trampoline_kernelINS0_14default_configENS1_33run_length_encode_config_selectorIsjNS0_4plusIjEEEEZZNS1_33reduce_by_key_impl_wrapped_configILNS1_25lookback_scan_determinismE0ES3_S7_PKsNS0_17constant_iteratorIjlEEPsPlSF_S6_NS0_8equal_toIsEEEE10hipError_tPvRmT2_T3_mT4_T5_T6_T7_T8_P12ihipStream_tbENKUlT_T0_E_clISt17integral_constantIbLb1EESZ_EEDaSU_SV_EUlSU_E_NS1_11comp_targetILNS1_3genE10ELNS1_11target_archE1200ELNS1_3gpuE4ELNS1_3repE0EEENS1_30default_config_static_selectorELNS0_4arch9wavefront6targetE0EEEvT1_.uses_vcc, 0
	.set _ZN7rocprim17ROCPRIM_400000_NS6detail17trampoline_kernelINS0_14default_configENS1_33run_length_encode_config_selectorIsjNS0_4plusIjEEEEZZNS1_33reduce_by_key_impl_wrapped_configILNS1_25lookback_scan_determinismE0ES3_S7_PKsNS0_17constant_iteratorIjlEEPsPlSF_S6_NS0_8equal_toIsEEEE10hipError_tPvRmT2_T3_mT4_T5_T6_T7_T8_P12ihipStream_tbENKUlT_T0_E_clISt17integral_constantIbLb1EESZ_EEDaSU_SV_EUlSU_E_NS1_11comp_targetILNS1_3genE10ELNS1_11target_archE1200ELNS1_3gpuE4ELNS1_3repE0EEENS1_30default_config_static_selectorELNS0_4arch9wavefront6targetE0EEEvT1_.uses_flat_scratch, 0
	.set _ZN7rocprim17ROCPRIM_400000_NS6detail17trampoline_kernelINS0_14default_configENS1_33run_length_encode_config_selectorIsjNS0_4plusIjEEEEZZNS1_33reduce_by_key_impl_wrapped_configILNS1_25lookback_scan_determinismE0ES3_S7_PKsNS0_17constant_iteratorIjlEEPsPlSF_S6_NS0_8equal_toIsEEEE10hipError_tPvRmT2_T3_mT4_T5_T6_T7_T8_P12ihipStream_tbENKUlT_T0_E_clISt17integral_constantIbLb1EESZ_EEDaSU_SV_EUlSU_E_NS1_11comp_targetILNS1_3genE10ELNS1_11target_archE1200ELNS1_3gpuE4ELNS1_3repE0EEENS1_30default_config_static_selectorELNS0_4arch9wavefront6targetE0EEEvT1_.has_dyn_sized_stack, 0
	.set _ZN7rocprim17ROCPRIM_400000_NS6detail17trampoline_kernelINS0_14default_configENS1_33run_length_encode_config_selectorIsjNS0_4plusIjEEEEZZNS1_33reduce_by_key_impl_wrapped_configILNS1_25lookback_scan_determinismE0ES3_S7_PKsNS0_17constant_iteratorIjlEEPsPlSF_S6_NS0_8equal_toIsEEEE10hipError_tPvRmT2_T3_mT4_T5_T6_T7_T8_P12ihipStream_tbENKUlT_T0_E_clISt17integral_constantIbLb1EESZ_EEDaSU_SV_EUlSU_E_NS1_11comp_targetILNS1_3genE10ELNS1_11target_archE1200ELNS1_3gpuE4ELNS1_3repE0EEENS1_30default_config_static_selectorELNS0_4arch9wavefront6targetE0EEEvT1_.has_recursion, 0
	.set _ZN7rocprim17ROCPRIM_400000_NS6detail17trampoline_kernelINS0_14default_configENS1_33run_length_encode_config_selectorIsjNS0_4plusIjEEEEZZNS1_33reduce_by_key_impl_wrapped_configILNS1_25lookback_scan_determinismE0ES3_S7_PKsNS0_17constant_iteratorIjlEEPsPlSF_S6_NS0_8equal_toIsEEEE10hipError_tPvRmT2_T3_mT4_T5_T6_T7_T8_P12ihipStream_tbENKUlT_T0_E_clISt17integral_constantIbLb1EESZ_EEDaSU_SV_EUlSU_E_NS1_11comp_targetILNS1_3genE10ELNS1_11target_archE1200ELNS1_3gpuE4ELNS1_3repE0EEENS1_30default_config_static_selectorELNS0_4arch9wavefront6targetE0EEEvT1_.has_indirect_call, 0
	.section	.AMDGPU.csdata,"",@progbits
; Kernel info:
; codeLenInByte = 0
; TotalNumSgprs: 0
; NumVgprs: 0
; ScratchSize: 0
; MemoryBound: 0
; FloatMode: 240
; IeeeMode: 1
; LDSByteSize: 0 bytes/workgroup (compile time only)
; SGPRBlocks: 0
; VGPRBlocks: 0
; NumSGPRsForWavesPerEU: 1
; NumVGPRsForWavesPerEU: 1
; NamedBarCnt: 0
; Occupancy: 16
; WaveLimiterHint : 0
; COMPUTE_PGM_RSRC2:SCRATCH_EN: 0
; COMPUTE_PGM_RSRC2:USER_SGPR: 2
; COMPUTE_PGM_RSRC2:TRAP_HANDLER: 0
; COMPUTE_PGM_RSRC2:TGID_X_EN: 1
; COMPUTE_PGM_RSRC2:TGID_Y_EN: 0
; COMPUTE_PGM_RSRC2:TGID_Z_EN: 0
; COMPUTE_PGM_RSRC2:TIDIG_COMP_CNT: 0
	.section	.text._ZN7rocprim17ROCPRIM_400000_NS6detail17trampoline_kernelINS0_14default_configENS1_33run_length_encode_config_selectorIsjNS0_4plusIjEEEEZZNS1_33reduce_by_key_impl_wrapped_configILNS1_25lookback_scan_determinismE0ES3_S7_PKsNS0_17constant_iteratorIjlEEPsPlSF_S6_NS0_8equal_toIsEEEE10hipError_tPvRmT2_T3_mT4_T5_T6_T7_T8_P12ihipStream_tbENKUlT_T0_E_clISt17integral_constantIbLb1EESZ_EEDaSU_SV_EUlSU_E_NS1_11comp_targetILNS1_3genE9ELNS1_11target_archE1100ELNS1_3gpuE3ELNS1_3repE0EEENS1_30default_config_static_selectorELNS0_4arch9wavefront6targetE0EEEvT1_,"axG",@progbits,_ZN7rocprim17ROCPRIM_400000_NS6detail17trampoline_kernelINS0_14default_configENS1_33run_length_encode_config_selectorIsjNS0_4plusIjEEEEZZNS1_33reduce_by_key_impl_wrapped_configILNS1_25lookback_scan_determinismE0ES3_S7_PKsNS0_17constant_iteratorIjlEEPsPlSF_S6_NS0_8equal_toIsEEEE10hipError_tPvRmT2_T3_mT4_T5_T6_T7_T8_P12ihipStream_tbENKUlT_T0_E_clISt17integral_constantIbLb1EESZ_EEDaSU_SV_EUlSU_E_NS1_11comp_targetILNS1_3genE9ELNS1_11target_archE1100ELNS1_3gpuE3ELNS1_3repE0EEENS1_30default_config_static_selectorELNS0_4arch9wavefront6targetE0EEEvT1_,comdat
	.protected	_ZN7rocprim17ROCPRIM_400000_NS6detail17trampoline_kernelINS0_14default_configENS1_33run_length_encode_config_selectorIsjNS0_4plusIjEEEEZZNS1_33reduce_by_key_impl_wrapped_configILNS1_25lookback_scan_determinismE0ES3_S7_PKsNS0_17constant_iteratorIjlEEPsPlSF_S6_NS0_8equal_toIsEEEE10hipError_tPvRmT2_T3_mT4_T5_T6_T7_T8_P12ihipStream_tbENKUlT_T0_E_clISt17integral_constantIbLb1EESZ_EEDaSU_SV_EUlSU_E_NS1_11comp_targetILNS1_3genE9ELNS1_11target_archE1100ELNS1_3gpuE3ELNS1_3repE0EEENS1_30default_config_static_selectorELNS0_4arch9wavefront6targetE0EEEvT1_ ; -- Begin function _ZN7rocprim17ROCPRIM_400000_NS6detail17trampoline_kernelINS0_14default_configENS1_33run_length_encode_config_selectorIsjNS0_4plusIjEEEEZZNS1_33reduce_by_key_impl_wrapped_configILNS1_25lookback_scan_determinismE0ES3_S7_PKsNS0_17constant_iteratorIjlEEPsPlSF_S6_NS0_8equal_toIsEEEE10hipError_tPvRmT2_T3_mT4_T5_T6_T7_T8_P12ihipStream_tbENKUlT_T0_E_clISt17integral_constantIbLb1EESZ_EEDaSU_SV_EUlSU_E_NS1_11comp_targetILNS1_3genE9ELNS1_11target_archE1100ELNS1_3gpuE3ELNS1_3repE0EEENS1_30default_config_static_selectorELNS0_4arch9wavefront6targetE0EEEvT1_
	.globl	_ZN7rocprim17ROCPRIM_400000_NS6detail17trampoline_kernelINS0_14default_configENS1_33run_length_encode_config_selectorIsjNS0_4plusIjEEEEZZNS1_33reduce_by_key_impl_wrapped_configILNS1_25lookback_scan_determinismE0ES3_S7_PKsNS0_17constant_iteratorIjlEEPsPlSF_S6_NS0_8equal_toIsEEEE10hipError_tPvRmT2_T3_mT4_T5_T6_T7_T8_P12ihipStream_tbENKUlT_T0_E_clISt17integral_constantIbLb1EESZ_EEDaSU_SV_EUlSU_E_NS1_11comp_targetILNS1_3genE9ELNS1_11target_archE1100ELNS1_3gpuE3ELNS1_3repE0EEENS1_30default_config_static_selectorELNS0_4arch9wavefront6targetE0EEEvT1_
	.p2align	8
	.type	_ZN7rocprim17ROCPRIM_400000_NS6detail17trampoline_kernelINS0_14default_configENS1_33run_length_encode_config_selectorIsjNS0_4plusIjEEEEZZNS1_33reduce_by_key_impl_wrapped_configILNS1_25lookback_scan_determinismE0ES3_S7_PKsNS0_17constant_iteratorIjlEEPsPlSF_S6_NS0_8equal_toIsEEEE10hipError_tPvRmT2_T3_mT4_T5_T6_T7_T8_P12ihipStream_tbENKUlT_T0_E_clISt17integral_constantIbLb1EESZ_EEDaSU_SV_EUlSU_E_NS1_11comp_targetILNS1_3genE9ELNS1_11target_archE1100ELNS1_3gpuE3ELNS1_3repE0EEENS1_30default_config_static_selectorELNS0_4arch9wavefront6targetE0EEEvT1_,@function
_ZN7rocprim17ROCPRIM_400000_NS6detail17trampoline_kernelINS0_14default_configENS1_33run_length_encode_config_selectorIsjNS0_4plusIjEEEEZZNS1_33reduce_by_key_impl_wrapped_configILNS1_25lookback_scan_determinismE0ES3_S7_PKsNS0_17constant_iteratorIjlEEPsPlSF_S6_NS0_8equal_toIsEEEE10hipError_tPvRmT2_T3_mT4_T5_T6_T7_T8_P12ihipStream_tbENKUlT_T0_E_clISt17integral_constantIbLb1EESZ_EEDaSU_SV_EUlSU_E_NS1_11comp_targetILNS1_3genE9ELNS1_11target_archE1100ELNS1_3gpuE3ELNS1_3repE0EEENS1_30default_config_static_selectorELNS0_4arch9wavefront6targetE0EEEvT1_: ; @_ZN7rocprim17ROCPRIM_400000_NS6detail17trampoline_kernelINS0_14default_configENS1_33run_length_encode_config_selectorIsjNS0_4plusIjEEEEZZNS1_33reduce_by_key_impl_wrapped_configILNS1_25lookback_scan_determinismE0ES3_S7_PKsNS0_17constant_iteratorIjlEEPsPlSF_S6_NS0_8equal_toIsEEEE10hipError_tPvRmT2_T3_mT4_T5_T6_T7_T8_P12ihipStream_tbENKUlT_T0_E_clISt17integral_constantIbLb1EESZ_EEDaSU_SV_EUlSU_E_NS1_11comp_targetILNS1_3genE9ELNS1_11target_archE1100ELNS1_3gpuE3ELNS1_3repE0EEENS1_30default_config_static_selectorELNS0_4arch9wavefront6targetE0EEEvT1_
; %bb.0:
	.section	.rodata,"a",@progbits
	.p2align	6, 0x0
	.amdhsa_kernel _ZN7rocprim17ROCPRIM_400000_NS6detail17trampoline_kernelINS0_14default_configENS1_33run_length_encode_config_selectorIsjNS0_4plusIjEEEEZZNS1_33reduce_by_key_impl_wrapped_configILNS1_25lookback_scan_determinismE0ES3_S7_PKsNS0_17constant_iteratorIjlEEPsPlSF_S6_NS0_8equal_toIsEEEE10hipError_tPvRmT2_T3_mT4_T5_T6_T7_T8_P12ihipStream_tbENKUlT_T0_E_clISt17integral_constantIbLb1EESZ_EEDaSU_SV_EUlSU_E_NS1_11comp_targetILNS1_3genE9ELNS1_11target_archE1100ELNS1_3gpuE3ELNS1_3repE0EEENS1_30default_config_static_selectorELNS0_4arch9wavefront6targetE0EEEvT1_
		.amdhsa_group_segment_fixed_size 0
		.amdhsa_private_segment_fixed_size 0
		.amdhsa_kernarg_size 128
		.amdhsa_user_sgpr_count 2
		.amdhsa_user_sgpr_dispatch_ptr 0
		.amdhsa_user_sgpr_queue_ptr 0
		.amdhsa_user_sgpr_kernarg_segment_ptr 1
		.amdhsa_user_sgpr_dispatch_id 0
		.amdhsa_user_sgpr_kernarg_preload_length 0
		.amdhsa_user_sgpr_kernarg_preload_offset 0
		.amdhsa_user_sgpr_private_segment_size 0
		.amdhsa_wavefront_size32 1
		.amdhsa_uses_dynamic_stack 0
		.amdhsa_enable_private_segment 0
		.amdhsa_system_sgpr_workgroup_id_x 1
		.amdhsa_system_sgpr_workgroup_id_y 0
		.amdhsa_system_sgpr_workgroup_id_z 0
		.amdhsa_system_sgpr_workgroup_info 0
		.amdhsa_system_vgpr_workitem_id 0
		.amdhsa_next_free_vgpr 1
		.amdhsa_next_free_sgpr 1
		.amdhsa_named_barrier_count 0
		.amdhsa_reserve_vcc 0
		.amdhsa_float_round_mode_32 0
		.amdhsa_float_round_mode_16_64 0
		.amdhsa_float_denorm_mode_32 3
		.amdhsa_float_denorm_mode_16_64 3
		.amdhsa_fp16_overflow 0
		.amdhsa_memory_ordered 1
		.amdhsa_forward_progress 1
		.amdhsa_inst_pref_size 0
		.amdhsa_round_robin_scheduling 0
		.amdhsa_exception_fp_ieee_invalid_op 0
		.amdhsa_exception_fp_denorm_src 0
		.amdhsa_exception_fp_ieee_div_zero 0
		.amdhsa_exception_fp_ieee_overflow 0
		.amdhsa_exception_fp_ieee_underflow 0
		.amdhsa_exception_fp_ieee_inexact 0
		.amdhsa_exception_int_div_zero 0
	.end_amdhsa_kernel
	.section	.text._ZN7rocprim17ROCPRIM_400000_NS6detail17trampoline_kernelINS0_14default_configENS1_33run_length_encode_config_selectorIsjNS0_4plusIjEEEEZZNS1_33reduce_by_key_impl_wrapped_configILNS1_25lookback_scan_determinismE0ES3_S7_PKsNS0_17constant_iteratorIjlEEPsPlSF_S6_NS0_8equal_toIsEEEE10hipError_tPvRmT2_T3_mT4_T5_T6_T7_T8_P12ihipStream_tbENKUlT_T0_E_clISt17integral_constantIbLb1EESZ_EEDaSU_SV_EUlSU_E_NS1_11comp_targetILNS1_3genE9ELNS1_11target_archE1100ELNS1_3gpuE3ELNS1_3repE0EEENS1_30default_config_static_selectorELNS0_4arch9wavefront6targetE0EEEvT1_,"axG",@progbits,_ZN7rocprim17ROCPRIM_400000_NS6detail17trampoline_kernelINS0_14default_configENS1_33run_length_encode_config_selectorIsjNS0_4plusIjEEEEZZNS1_33reduce_by_key_impl_wrapped_configILNS1_25lookback_scan_determinismE0ES3_S7_PKsNS0_17constant_iteratorIjlEEPsPlSF_S6_NS0_8equal_toIsEEEE10hipError_tPvRmT2_T3_mT4_T5_T6_T7_T8_P12ihipStream_tbENKUlT_T0_E_clISt17integral_constantIbLb1EESZ_EEDaSU_SV_EUlSU_E_NS1_11comp_targetILNS1_3genE9ELNS1_11target_archE1100ELNS1_3gpuE3ELNS1_3repE0EEENS1_30default_config_static_selectorELNS0_4arch9wavefront6targetE0EEEvT1_,comdat
.Lfunc_end596:
	.size	_ZN7rocprim17ROCPRIM_400000_NS6detail17trampoline_kernelINS0_14default_configENS1_33run_length_encode_config_selectorIsjNS0_4plusIjEEEEZZNS1_33reduce_by_key_impl_wrapped_configILNS1_25lookback_scan_determinismE0ES3_S7_PKsNS0_17constant_iteratorIjlEEPsPlSF_S6_NS0_8equal_toIsEEEE10hipError_tPvRmT2_T3_mT4_T5_T6_T7_T8_P12ihipStream_tbENKUlT_T0_E_clISt17integral_constantIbLb1EESZ_EEDaSU_SV_EUlSU_E_NS1_11comp_targetILNS1_3genE9ELNS1_11target_archE1100ELNS1_3gpuE3ELNS1_3repE0EEENS1_30default_config_static_selectorELNS0_4arch9wavefront6targetE0EEEvT1_, .Lfunc_end596-_ZN7rocprim17ROCPRIM_400000_NS6detail17trampoline_kernelINS0_14default_configENS1_33run_length_encode_config_selectorIsjNS0_4plusIjEEEEZZNS1_33reduce_by_key_impl_wrapped_configILNS1_25lookback_scan_determinismE0ES3_S7_PKsNS0_17constant_iteratorIjlEEPsPlSF_S6_NS0_8equal_toIsEEEE10hipError_tPvRmT2_T3_mT4_T5_T6_T7_T8_P12ihipStream_tbENKUlT_T0_E_clISt17integral_constantIbLb1EESZ_EEDaSU_SV_EUlSU_E_NS1_11comp_targetILNS1_3genE9ELNS1_11target_archE1100ELNS1_3gpuE3ELNS1_3repE0EEENS1_30default_config_static_selectorELNS0_4arch9wavefront6targetE0EEEvT1_
                                        ; -- End function
	.set _ZN7rocprim17ROCPRIM_400000_NS6detail17trampoline_kernelINS0_14default_configENS1_33run_length_encode_config_selectorIsjNS0_4plusIjEEEEZZNS1_33reduce_by_key_impl_wrapped_configILNS1_25lookback_scan_determinismE0ES3_S7_PKsNS0_17constant_iteratorIjlEEPsPlSF_S6_NS0_8equal_toIsEEEE10hipError_tPvRmT2_T3_mT4_T5_T6_T7_T8_P12ihipStream_tbENKUlT_T0_E_clISt17integral_constantIbLb1EESZ_EEDaSU_SV_EUlSU_E_NS1_11comp_targetILNS1_3genE9ELNS1_11target_archE1100ELNS1_3gpuE3ELNS1_3repE0EEENS1_30default_config_static_selectorELNS0_4arch9wavefront6targetE0EEEvT1_.num_vgpr, 0
	.set _ZN7rocprim17ROCPRIM_400000_NS6detail17trampoline_kernelINS0_14default_configENS1_33run_length_encode_config_selectorIsjNS0_4plusIjEEEEZZNS1_33reduce_by_key_impl_wrapped_configILNS1_25lookback_scan_determinismE0ES3_S7_PKsNS0_17constant_iteratorIjlEEPsPlSF_S6_NS0_8equal_toIsEEEE10hipError_tPvRmT2_T3_mT4_T5_T6_T7_T8_P12ihipStream_tbENKUlT_T0_E_clISt17integral_constantIbLb1EESZ_EEDaSU_SV_EUlSU_E_NS1_11comp_targetILNS1_3genE9ELNS1_11target_archE1100ELNS1_3gpuE3ELNS1_3repE0EEENS1_30default_config_static_selectorELNS0_4arch9wavefront6targetE0EEEvT1_.num_agpr, 0
	.set _ZN7rocprim17ROCPRIM_400000_NS6detail17trampoline_kernelINS0_14default_configENS1_33run_length_encode_config_selectorIsjNS0_4plusIjEEEEZZNS1_33reduce_by_key_impl_wrapped_configILNS1_25lookback_scan_determinismE0ES3_S7_PKsNS0_17constant_iteratorIjlEEPsPlSF_S6_NS0_8equal_toIsEEEE10hipError_tPvRmT2_T3_mT4_T5_T6_T7_T8_P12ihipStream_tbENKUlT_T0_E_clISt17integral_constantIbLb1EESZ_EEDaSU_SV_EUlSU_E_NS1_11comp_targetILNS1_3genE9ELNS1_11target_archE1100ELNS1_3gpuE3ELNS1_3repE0EEENS1_30default_config_static_selectorELNS0_4arch9wavefront6targetE0EEEvT1_.numbered_sgpr, 0
	.set _ZN7rocprim17ROCPRIM_400000_NS6detail17trampoline_kernelINS0_14default_configENS1_33run_length_encode_config_selectorIsjNS0_4plusIjEEEEZZNS1_33reduce_by_key_impl_wrapped_configILNS1_25lookback_scan_determinismE0ES3_S7_PKsNS0_17constant_iteratorIjlEEPsPlSF_S6_NS0_8equal_toIsEEEE10hipError_tPvRmT2_T3_mT4_T5_T6_T7_T8_P12ihipStream_tbENKUlT_T0_E_clISt17integral_constantIbLb1EESZ_EEDaSU_SV_EUlSU_E_NS1_11comp_targetILNS1_3genE9ELNS1_11target_archE1100ELNS1_3gpuE3ELNS1_3repE0EEENS1_30default_config_static_selectorELNS0_4arch9wavefront6targetE0EEEvT1_.num_named_barrier, 0
	.set _ZN7rocprim17ROCPRIM_400000_NS6detail17trampoline_kernelINS0_14default_configENS1_33run_length_encode_config_selectorIsjNS0_4plusIjEEEEZZNS1_33reduce_by_key_impl_wrapped_configILNS1_25lookback_scan_determinismE0ES3_S7_PKsNS0_17constant_iteratorIjlEEPsPlSF_S6_NS0_8equal_toIsEEEE10hipError_tPvRmT2_T3_mT4_T5_T6_T7_T8_P12ihipStream_tbENKUlT_T0_E_clISt17integral_constantIbLb1EESZ_EEDaSU_SV_EUlSU_E_NS1_11comp_targetILNS1_3genE9ELNS1_11target_archE1100ELNS1_3gpuE3ELNS1_3repE0EEENS1_30default_config_static_selectorELNS0_4arch9wavefront6targetE0EEEvT1_.private_seg_size, 0
	.set _ZN7rocprim17ROCPRIM_400000_NS6detail17trampoline_kernelINS0_14default_configENS1_33run_length_encode_config_selectorIsjNS0_4plusIjEEEEZZNS1_33reduce_by_key_impl_wrapped_configILNS1_25lookback_scan_determinismE0ES3_S7_PKsNS0_17constant_iteratorIjlEEPsPlSF_S6_NS0_8equal_toIsEEEE10hipError_tPvRmT2_T3_mT4_T5_T6_T7_T8_P12ihipStream_tbENKUlT_T0_E_clISt17integral_constantIbLb1EESZ_EEDaSU_SV_EUlSU_E_NS1_11comp_targetILNS1_3genE9ELNS1_11target_archE1100ELNS1_3gpuE3ELNS1_3repE0EEENS1_30default_config_static_selectorELNS0_4arch9wavefront6targetE0EEEvT1_.uses_vcc, 0
	.set _ZN7rocprim17ROCPRIM_400000_NS6detail17trampoline_kernelINS0_14default_configENS1_33run_length_encode_config_selectorIsjNS0_4plusIjEEEEZZNS1_33reduce_by_key_impl_wrapped_configILNS1_25lookback_scan_determinismE0ES3_S7_PKsNS0_17constant_iteratorIjlEEPsPlSF_S6_NS0_8equal_toIsEEEE10hipError_tPvRmT2_T3_mT4_T5_T6_T7_T8_P12ihipStream_tbENKUlT_T0_E_clISt17integral_constantIbLb1EESZ_EEDaSU_SV_EUlSU_E_NS1_11comp_targetILNS1_3genE9ELNS1_11target_archE1100ELNS1_3gpuE3ELNS1_3repE0EEENS1_30default_config_static_selectorELNS0_4arch9wavefront6targetE0EEEvT1_.uses_flat_scratch, 0
	.set _ZN7rocprim17ROCPRIM_400000_NS6detail17trampoline_kernelINS0_14default_configENS1_33run_length_encode_config_selectorIsjNS0_4plusIjEEEEZZNS1_33reduce_by_key_impl_wrapped_configILNS1_25lookback_scan_determinismE0ES3_S7_PKsNS0_17constant_iteratorIjlEEPsPlSF_S6_NS0_8equal_toIsEEEE10hipError_tPvRmT2_T3_mT4_T5_T6_T7_T8_P12ihipStream_tbENKUlT_T0_E_clISt17integral_constantIbLb1EESZ_EEDaSU_SV_EUlSU_E_NS1_11comp_targetILNS1_3genE9ELNS1_11target_archE1100ELNS1_3gpuE3ELNS1_3repE0EEENS1_30default_config_static_selectorELNS0_4arch9wavefront6targetE0EEEvT1_.has_dyn_sized_stack, 0
	.set _ZN7rocprim17ROCPRIM_400000_NS6detail17trampoline_kernelINS0_14default_configENS1_33run_length_encode_config_selectorIsjNS0_4plusIjEEEEZZNS1_33reduce_by_key_impl_wrapped_configILNS1_25lookback_scan_determinismE0ES3_S7_PKsNS0_17constant_iteratorIjlEEPsPlSF_S6_NS0_8equal_toIsEEEE10hipError_tPvRmT2_T3_mT4_T5_T6_T7_T8_P12ihipStream_tbENKUlT_T0_E_clISt17integral_constantIbLb1EESZ_EEDaSU_SV_EUlSU_E_NS1_11comp_targetILNS1_3genE9ELNS1_11target_archE1100ELNS1_3gpuE3ELNS1_3repE0EEENS1_30default_config_static_selectorELNS0_4arch9wavefront6targetE0EEEvT1_.has_recursion, 0
	.set _ZN7rocprim17ROCPRIM_400000_NS6detail17trampoline_kernelINS0_14default_configENS1_33run_length_encode_config_selectorIsjNS0_4plusIjEEEEZZNS1_33reduce_by_key_impl_wrapped_configILNS1_25lookback_scan_determinismE0ES3_S7_PKsNS0_17constant_iteratorIjlEEPsPlSF_S6_NS0_8equal_toIsEEEE10hipError_tPvRmT2_T3_mT4_T5_T6_T7_T8_P12ihipStream_tbENKUlT_T0_E_clISt17integral_constantIbLb1EESZ_EEDaSU_SV_EUlSU_E_NS1_11comp_targetILNS1_3genE9ELNS1_11target_archE1100ELNS1_3gpuE3ELNS1_3repE0EEENS1_30default_config_static_selectorELNS0_4arch9wavefront6targetE0EEEvT1_.has_indirect_call, 0
	.section	.AMDGPU.csdata,"",@progbits
; Kernel info:
; codeLenInByte = 0
; TotalNumSgprs: 0
; NumVgprs: 0
; ScratchSize: 0
; MemoryBound: 0
; FloatMode: 240
; IeeeMode: 1
; LDSByteSize: 0 bytes/workgroup (compile time only)
; SGPRBlocks: 0
; VGPRBlocks: 0
; NumSGPRsForWavesPerEU: 1
; NumVGPRsForWavesPerEU: 1
; NamedBarCnt: 0
; Occupancy: 16
; WaveLimiterHint : 0
; COMPUTE_PGM_RSRC2:SCRATCH_EN: 0
; COMPUTE_PGM_RSRC2:USER_SGPR: 2
; COMPUTE_PGM_RSRC2:TRAP_HANDLER: 0
; COMPUTE_PGM_RSRC2:TGID_X_EN: 1
; COMPUTE_PGM_RSRC2:TGID_Y_EN: 0
; COMPUTE_PGM_RSRC2:TGID_Z_EN: 0
; COMPUTE_PGM_RSRC2:TIDIG_COMP_CNT: 0
	.section	.text._ZN7rocprim17ROCPRIM_400000_NS6detail17trampoline_kernelINS0_14default_configENS1_33run_length_encode_config_selectorIsjNS0_4plusIjEEEEZZNS1_33reduce_by_key_impl_wrapped_configILNS1_25lookback_scan_determinismE0ES3_S7_PKsNS0_17constant_iteratorIjlEEPsPlSF_S6_NS0_8equal_toIsEEEE10hipError_tPvRmT2_T3_mT4_T5_T6_T7_T8_P12ihipStream_tbENKUlT_T0_E_clISt17integral_constantIbLb1EESZ_EEDaSU_SV_EUlSU_E_NS1_11comp_targetILNS1_3genE8ELNS1_11target_archE1030ELNS1_3gpuE2ELNS1_3repE0EEENS1_30default_config_static_selectorELNS0_4arch9wavefront6targetE0EEEvT1_,"axG",@progbits,_ZN7rocprim17ROCPRIM_400000_NS6detail17trampoline_kernelINS0_14default_configENS1_33run_length_encode_config_selectorIsjNS0_4plusIjEEEEZZNS1_33reduce_by_key_impl_wrapped_configILNS1_25lookback_scan_determinismE0ES3_S7_PKsNS0_17constant_iteratorIjlEEPsPlSF_S6_NS0_8equal_toIsEEEE10hipError_tPvRmT2_T3_mT4_T5_T6_T7_T8_P12ihipStream_tbENKUlT_T0_E_clISt17integral_constantIbLb1EESZ_EEDaSU_SV_EUlSU_E_NS1_11comp_targetILNS1_3genE8ELNS1_11target_archE1030ELNS1_3gpuE2ELNS1_3repE0EEENS1_30default_config_static_selectorELNS0_4arch9wavefront6targetE0EEEvT1_,comdat
	.protected	_ZN7rocprim17ROCPRIM_400000_NS6detail17trampoline_kernelINS0_14default_configENS1_33run_length_encode_config_selectorIsjNS0_4plusIjEEEEZZNS1_33reduce_by_key_impl_wrapped_configILNS1_25lookback_scan_determinismE0ES3_S7_PKsNS0_17constant_iteratorIjlEEPsPlSF_S6_NS0_8equal_toIsEEEE10hipError_tPvRmT2_T3_mT4_T5_T6_T7_T8_P12ihipStream_tbENKUlT_T0_E_clISt17integral_constantIbLb1EESZ_EEDaSU_SV_EUlSU_E_NS1_11comp_targetILNS1_3genE8ELNS1_11target_archE1030ELNS1_3gpuE2ELNS1_3repE0EEENS1_30default_config_static_selectorELNS0_4arch9wavefront6targetE0EEEvT1_ ; -- Begin function _ZN7rocprim17ROCPRIM_400000_NS6detail17trampoline_kernelINS0_14default_configENS1_33run_length_encode_config_selectorIsjNS0_4plusIjEEEEZZNS1_33reduce_by_key_impl_wrapped_configILNS1_25lookback_scan_determinismE0ES3_S7_PKsNS0_17constant_iteratorIjlEEPsPlSF_S6_NS0_8equal_toIsEEEE10hipError_tPvRmT2_T3_mT4_T5_T6_T7_T8_P12ihipStream_tbENKUlT_T0_E_clISt17integral_constantIbLb1EESZ_EEDaSU_SV_EUlSU_E_NS1_11comp_targetILNS1_3genE8ELNS1_11target_archE1030ELNS1_3gpuE2ELNS1_3repE0EEENS1_30default_config_static_selectorELNS0_4arch9wavefront6targetE0EEEvT1_
	.globl	_ZN7rocprim17ROCPRIM_400000_NS6detail17trampoline_kernelINS0_14default_configENS1_33run_length_encode_config_selectorIsjNS0_4plusIjEEEEZZNS1_33reduce_by_key_impl_wrapped_configILNS1_25lookback_scan_determinismE0ES3_S7_PKsNS0_17constant_iteratorIjlEEPsPlSF_S6_NS0_8equal_toIsEEEE10hipError_tPvRmT2_T3_mT4_T5_T6_T7_T8_P12ihipStream_tbENKUlT_T0_E_clISt17integral_constantIbLb1EESZ_EEDaSU_SV_EUlSU_E_NS1_11comp_targetILNS1_3genE8ELNS1_11target_archE1030ELNS1_3gpuE2ELNS1_3repE0EEENS1_30default_config_static_selectorELNS0_4arch9wavefront6targetE0EEEvT1_
	.p2align	8
	.type	_ZN7rocprim17ROCPRIM_400000_NS6detail17trampoline_kernelINS0_14default_configENS1_33run_length_encode_config_selectorIsjNS0_4plusIjEEEEZZNS1_33reduce_by_key_impl_wrapped_configILNS1_25lookback_scan_determinismE0ES3_S7_PKsNS0_17constant_iteratorIjlEEPsPlSF_S6_NS0_8equal_toIsEEEE10hipError_tPvRmT2_T3_mT4_T5_T6_T7_T8_P12ihipStream_tbENKUlT_T0_E_clISt17integral_constantIbLb1EESZ_EEDaSU_SV_EUlSU_E_NS1_11comp_targetILNS1_3genE8ELNS1_11target_archE1030ELNS1_3gpuE2ELNS1_3repE0EEENS1_30default_config_static_selectorELNS0_4arch9wavefront6targetE0EEEvT1_,@function
_ZN7rocprim17ROCPRIM_400000_NS6detail17trampoline_kernelINS0_14default_configENS1_33run_length_encode_config_selectorIsjNS0_4plusIjEEEEZZNS1_33reduce_by_key_impl_wrapped_configILNS1_25lookback_scan_determinismE0ES3_S7_PKsNS0_17constant_iteratorIjlEEPsPlSF_S6_NS0_8equal_toIsEEEE10hipError_tPvRmT2_T3_mT4_T5_T6_T7_T8_P12ihipStream_tbENKUlT_T0_E_clISt17integral_constantIbLb1EESZ_EEDaSU_SV_EUlSU_E_NS1_11comp_targetILNS1_3genE8ELNS1_11target_archE1030ELNS1_3gpuE2ELNS1_3repE0EEENS1_30default_config_static_selectorELNS0_4arch9wavefront6targetE0EEEvT1_: ; @_ZN7rocprim17ROCPRIM_400000_NS6detail17trampoline_kernelINS0_14default_configENS1_33run_length_encode_config_selectorIsjNS0_4plusIjEEEEZZNS1_33reduce_by_key_impl_wrapped_configILNS1_25lookback_scan_determinismE0ES3_S7_PKsNS0_17constant_iteratorIjlEEPsPlSF_S6_NS0_8equal_toIsEEEE10hipError_tPvRmT2_T3_mT4_T5_T6_T7_T8_P12ihipStream_tbENKUlT_T0_E_clISt17integral_constantIbLb1EESZ_EEDaSU_SV_EUlSU_E_NS1_11comp_targetILNS1_3genE8ELNS1_11target_archE1030ELNS1_3gpuE2ELNS1_3repE0EEENS1_30default_config_static_selectorELNS0_4arch9wavefront6targetE0EEEvT1_
; %bb.0:
	.section	.rodata,"a",@progbits
	.p2align	6, 0x0
	.amdhsa_kernel _ZN7rocprim17ROCPRIM_400000_NS6detail17trampoline_kernelINS0_14default_configENS1_33run_length_encode_config_selectorIsjNS0_4plusIjEEEEZZNS1_33reduce_by_key_impl_wrapped_configILNS1_25lookback_scan_determinismE0ES3_S7_PKsNS0_17constant_iteratorIjlEEPsPlSF_S6_NS0_8equal_toIsEEEE10hipError_tPvRmT2_T3_mT4_T5_T6_T7_T8_P12ihipStream_tbENKUlT_T0_E_clISt17integral_constantIbLb1EESZ_EEDaSU_SV_EUlSU_E_NS1_11comp_targetILNS1_3genE8ELNS1_11target_archE1030ELNS1_3gpuE2ELNS1_3repE0EEENS1_30default_config_static_selectorELNS0_4arch9wavefront6targetE0EEEvT1_
		.amdhsa_group_segment_fixed_size 0
		.amdhsa_private_segment_fixed_size 0
		.amdhsa_kernarg_size 128
		.amdhsa_user_sgpr_count 2
		.amdhsa_user_sgpr_dispatch_ptr 0
		.amdhsa_user_sgpr_queue_ptr 0
		.amdhsa_user_sgpr_kernarg_segment_ptr 1
		.amdhsa_user_sgpr_dispatch_id 0
		.amdhsa_user_sgpr_kernarg_preload_length 0
		.amdhsa_user_sgpr_kernarg_preload_offset 0
		.amdhsa_user_sgpr_private_segment_size 0
		.amdhsa_wavefront_size32 1
		.amdhsa_uses_dynamic_stack 0
		.amdhsa_enable_private_segment 0
		.amdhsa_system_sgpr_workgroup_id_x 1
		.amdhsa_system_sgpr_workgroup_id_y 0
		.amdhsa_system_sgpr_workgroup_id_z 0
		.amdhsa_system_sgpr_workgroup_info 0
		.amdhsa_system_vgpr_workitem_id 0
		.amdhsa_next_free_vgpr 1
		.amdhsa_next_free_sgpr 1
		.amdhsa_named_barrier_count 0
		.amdhsa_reserve_vcc 0
		.amdhsa_float_round_mode_32 0
		.amdhsa_float_round_mode_16_64 0
		.amdhsa_float_denorm_mode_32 3
		.amdhsa_float_denorm_mode_16_64 3
		.amdhsa_fp16_overflow 0
		.amdhsa_memory_ordered 1
		.amdhsa_forward_progress 1
		.amdhsa_inst_pref_size 0
		.amdhsa_round_robin_scheduling 0
		.amdhsa_exception_fp_ieee_invalid_op 0
		.amdhsa_exception_fp_denorm_src 0
		.amdhsa_exception_fp_ieee_div_zero 0
		.amdhsa_exception_fp_ieee_overflow 0
		.amdhsa_exception_fp_ieee_underflow 0
		.amdhsa_exception_fp_ieee_inexact 0
		.amdhsa_exception_int_div_zero 0
	.end_amdhsa_kernel
	.section	.text._ZN7rocprim17ROCPRIM_400000_NS6detail17trampoline_kernelINS0_14default_configENS1_33run_length_encode_config_selectorIsjNS0_4plusIjEEEEZZNS1_33reduce_by_key_impl_wrapped_configILNS1_25lookback_scan_determinismE0ES3_S7_PKsNS0_17constant_iteratorIjlEEPsPlSF_S6_NS0_8equal_toIsEEEE10hipError_tPvRmT2_T3_mT4_T5_T6_T7_T8_P12ihipStream_tbENKUlT_T0_E_clISt17integral_constantIbLb1EESZ_EEDaSU_SV_EUlSU_E_NS1_11comp_targetILNS1_3genE8ELNS1_11target_archE1030ELNS1_3gpuE2ELNS1_3repE0EEENS1_30default_config_static_selectorELNS0_4arch9wavefront6targetE0EEEvT1_,"axG",@progbits,_ZN7rocprim17ROCPRIM_400000_NS6detail17trampoline_kernelINS0_14default_configENS1_33run_length_encode_config_selectorIsjNS0_4plusIjEEEEZZNS1_33reduce_by_key_impl_wrapped_configILNS1_25lookback_scan_determinismE0ES3_S7_PKsNS0_17constant_iteratorIjlEEPsPlSF_S6_NS0_8equal_toIsEEEE10hipError_tPvRmT2_T3_mT4_T5_T6_T7_T8_P12ihipStream_tbENKUlT_T0_E_clISt17integral_constantIbLb1EESZ_EEDaSU_SV_EUlSU_E_NS1_11comp_targetILNS1_3genE8ELNS1_11target_archE1030ELNS1_3gpuE2ELNS1_3repE0EEENS1_30default_config_static_selectorELNS0_4arch9wavefront6targetE0EEEvT1_,comdat
.Lfunc_end597:
	.size	_ZN7rocprim17ROCPRIM_400000_NS6detail17trampoline_kernelINS0_14default_configENS1_33run_length_encode_config_selectorIsjNS0_4plusIjEEEEZZNS1_33reduce_by_key_impl_wrapped_configILNS1_25lookback_scan_determinismE0ES3_S7_PKsNS0_17constant_iteratorIjlEEPsPlSF_S6_NS0_8equal_toIsEEEE10hipError_tPvRmT2_T3_mT4_T5_T6_T7_T8_P12ihipStream_tbENKUlT_T0_E_clISt17integral_constantIbLb1EESZ_EEDaSU_SV_EUlSU_E_NS1_11comp_targetILNS1_3genE8ELNS1_11target_archE1030ELNS1_3gpuE2ELNS1_3repE0EEENS1_30default_config_static_selectorELNS0_4arch9wavefront6targetE0EEEvT1_, .Lfunc_end597-_ZN7rocprim17ROCPRIM_400000_NS6detail17trampoline_kernelINS0_14default_configENS1_33run_length_encode_config_selectorIsjNS0_4plusIjEEEEZZNS1_33reduce_by_key_impl_wrapped_configILNS1_25lookback_scan_determinismE0ES3_S7_PKsNS0_17constant_iteratorIjlEEPsPlSF_S6_NS0_8equal_toIsEEEE10hipError_tPvRmT2_T3_mT4_T5_T6_T7_T8_P12ihipStream_tbENKUlT_T0_E_clISt17integral_constantIbLb1EESZ_EEDaSU_SV_EUlSU_E_NS1_11comp_targetILNS1_3genE8ELNS1_11target_archE1030ELNS1_3gpuE2ELNS1_3repE0EEENS1_30default_config_static_selectorELNS0_4arch9wavefront6targetE0EEEvT1_
                                        ; -- End function
	.set _ZN7rocprim17ROCPRIM_400000_NS6detail17trampoline_kernelINS0_14default_configENS1_33run_length_encode_config_selectorIsjNS0_4plusIjEEEEZZNS1_33reduce_by_key_impl_wrapped_configILNS1_25lookback_scan_determinismE0ES3_S7_PKsNS0_17constant_iteratorIjlEEPsPlSF_S6_NS0_8equal_toIsEEEE10hipError_tPvRmT2_T3_mT4_T5_T6_T7_T8_P12ihipStream_tbENKUlT_T0_E_clISt17integral_constantIbLb1EESZ_EEDaSU_SV_EUlSU_E_NS1_11comp_targetILNS1_3genE8ELNS1_11target_archE1030ELNS1_3gpuE2ELNS1_3repE0EEENS1_30default_config_static_selectorELNS0_4arch9wavefront6targetE0EEEvT1_.num_vgpr, 0
	.set _ZN7rocprim17ROCPRIM_400000_NS6detail17trampoline_kernelINS0_14default_configENS1_33run_length_encode_config_selectorIsjNS0_4plusIjEEEEZZNS1_33reduce_by_key_impl_wrapped_configILNS1_25lookback_scan_determinismE0ES3_S7_PKsNS0_17constant_iteratorIjlEEPsPlSF_S6_NS0_8equal_toIsEEEE10hipError_tPvRmT2_T3_mT4_T5_T6_T7_T8_P12ihipStream_tbENKUlT_T0_E_clISt17integral_constantIbLb1EESZ_EEDaSU_SV_EUlSU_E_NS1_11comp_targetILNS1_3genE8ELNS1_11target_archE1030ELNS1_3gpuE2ELNS1_3repE0EEENS1_30default_config_static_selectorELNS0_4arch9wavefront6targetE0EEEvT1_.num_agpr, 0
	.set _ZN7rocprim17ROCPRIM_400000_NS6detail17trampoline_kernelINS0_14default_configENS1_33run_length_encode_config_selectorIsjNS0_4plusIjEEEEZZNS1_33reduce_by_key_impl_wrapped_configILNS1_25lookback_scan_determinismE0ES3_S7_PKsNS0_17constant_iteratorIjlEEPsPlSF_S6_NS0_8equal_toIsEEEE10hipError_tPvRmT2_T3_mT4_T5_T6_T7_T8_P12ihipStream_tbENKUlT_T0_E_clISt17integral_constantIbLb1EESZ_EEDaSU_SV_EUlSU_E_NS1_11comp_targetILNS1_3genE8ELNS1_11target_archE1030ELNS1_3gpuE2ELNS1_3repE0EEENS1_30default_config_static_selectorELNS0_4arch9wavefront6targetE0EEEvT1_.numbered_sgpr, 0
	.set _ZN7rocprim17ROCPRIM_400000_NS6detail17trampoline_kernelINS0_14default_configENS1_33run_length_encode_config_selectorIsjNS0_4plusIjEEEEZZNS1_33reduce_by_key_impl_wrapped_configILNS1_25lookback_scan_determinismE0ES3_S7_PKsNS0_17constant_iteratorIjlEEPsPlSF_S6_NS0_8equal_toIsEEEE10hipError_tPvRmT2_T3_mT4_T5_T6_T7_T8_P12ihipStream_tbENKUlT_T0_E_clISt17integral_constantIbLb1EESZ_EEDaSU_SV_EUlSU_E_NS1_11comp_targetILNS1_3genE8ELNS1_11target_archE1030ELNS1_3gpuE2ELNS1_3repE0EEENS1_30default_config_static_selectorELNS0_4arch9wavefront6targetE0EEEvT1_.num_named_barrier, 0
	.set _ZN7rocprim17ROCPRIM_400000_NS6detail17trampoline_kernelINS0_14default_configENS1_33run_length_encode_config_selectorIsjNS0_4plusIjEEEEZZNS1_33reduce_by_key_impl_wrapped_configILNS1_25lookback_scan_determinismE0ES3_S7_PKsNS0_17constant_iteratorIjlEEPsPlSF_S6_NS0_8equal_toIsEEEE10hipError_tPvRmT2_T3_mT4_T5_T6_T7_T8_P12ihipStream_tbENKUlT_T0_E_clISt17integral_constantIbLb1EESZ_EEDaSU_SV_EUlSU_E_NS1_11comp_targetILNS1_3genE8ELNS1_11target_archE1030ELNS1_3gpuE2ELNS1_3repE0EEENS1_30default_config_static_selectorELNS0_4arch9wavefront6targetE0EEEvT1_.private_seg_size, 0
	.set _ZN7rocprim17ROCPRIM_400000_NS6detail17trampoline_kernelINS0_14default_configENS1_33run_length_encode_config_selectorIsjNS0_4plusIjEEEEZZNS1_33reduce_by_key_impl_wrapped_configILNS1_25lookback_scan_determinismE0ES3_S7_PKsNS0_17constant_iteratorIjlEEPsPlSF_S6_NS0_8equal_toIsEEEE10hipError_tPvRmT2_T3_mT4_T5_T6_T7_T8_P12ihipStream_tbENKUlT_T0_E_clISt17integral_constantIbLb1EESZ_EEDaSU_SV_EUlSU_E_NS1_11comp_targetILNS1_3genE8ELNS1_11target_archE1030ELNS1_3gpuE2ELNS1_3repE0EEENS1_30default_config_static_selectorELNS0_4arch9wavefront6targetE0EEEvT1_.uses_vcc, 0
	.set _ZN7rocprim17ROCPRIM_400000_NS6detail17trampoline_kernelINS0_14default_configENS1_33run_length_encode_config_selectorIsjNS0_4plusIjEEEEZZNS1_33reduce_by_key_impl_wrapped_configILNS1_25lookback_scan_determinismE0ES3_S7_PKsNS0_17constant_iteratorIjlEEPsPlSF_S6_NS0_8equal_toIsEEEE10hipError_tPvRmT2_T3_mT4_T5_T6_T7_T8_P12ihipStream_tbENKUlT_T0_E_clISt17integral_constantIbLb1EESZ_EEDaSU_SV_EUlSU_E_NS1_11comp_targetILNS1_3genE8ELNS1_11target_archE1030ELNS1_3gpuE2ELNS1_3repE0EEENS1_30default_config_static_selectorELNS0_4arch9wavefront6targetE0EEEvT1_.uses_flat_scratch, 0
	.set _ZN7rocprim17ROCPRIM_400000_NS6detail17trampoline_kernelINS0_14default_configENS1_33run_length_encode_config_selectorIsjNS0_4plusIjEEEEZZNS1_33reduce_by_key_impl_wrapped_configILNS1_25lookback_scan_determinismE0ES3_S7_PKsNS0_17constant_iteratorIjlEEPsPlSF_S6_NS0_8equal_toIsEEEE10hipError_tPvRmT2_T3_mT4_T5_T6_T7_T8_P12ihipStream_tbENKUlT_T0_E_clISt17integral_constantIbLb1EESZ_EEDaSU_SV_EUlSU_E_NS1_11comp_targetILNS1_3genE8ELNS1_11target_archE1030ELNS1_3gpuE2ELNS1_3repE0EEENS1_30default_config_static_selectorELNS0_4arch9wavefront6targetE0EEEvT1_.has_dyn_sized_stack, 0
	.set _ZN7rocprim17ROCPRIM_400000_NS6detail17trampoline_kernelINS0_14default_configENS1_33run_length_encode_config_selectorIsjNS0_4plusIjEEEEZZNS1_33reduce_by_key_impl_wrapped_configILNS1_25lookback_scan_determinismE0ES3_S7_PKsNS0_17constant_iteratorIjlEEPsPlSF_S6_NS0_8equal_toIsEEEE10hipError_tPvRmT2_T3_mT4_T5_T6_T7_T8_P12ihipStream_tbENKUlT_T0_E_clISt17integral_constantIbLb1EESZ_EEDaSU_SV_EUlSU_E_NS1_11comp_targetILNS1_3genE8ELNS1_11target_archE1030ELNS1_3gpuE2ELNS1_3repE0EEENS1_30default_config_static_selectorELNS0_4arch9wavefront6targetE0EEEvT1_.has_recursion, 0
	.set _ZN7rocprim17ROCPRIM_400000_NS6detail17trampoline_kernelINS0_14default_configENS1_33run_length_encode_config_selectorIsjNS0_4plusIjEEEEZZNS1_33reduce_by_key_impl_wrapped_configILNS1_25lookback_scan_determinismE0ES3_S7_PKsNS0_17constant_iteratorIjlEEPsPlSF_S6_NS0_8equal_toIsEEEE10hipError_tPvRmT2_T3_mT4_T5_T6_T7_T8_P12ihipStream_tbENKUlT_T0_E_clISt17integral_constantIbLb1EESZ_EEDaSU_SV_EUlSU_E_NS1_11comp_targetILNS1_3genE8ELNS1_11target_archE1030ELNS1_3gpuE2ELNS1_3repE0EEENS1_30default_config_static_selectorELNS0_4arch9wavefront6targetE0EEEvT1_.has_indirect_call, 0
	.section	.AMDGPU.csdata,"",@progbits
; Kernel info:
; codeLenInByte = 0
; TotalNumSgprs: 0
; NumVgprs: 0
; ScratchSize: 0
; MemoryBound: 0
; FloatMode: 240
; IeeeMode: 1
; LDSByteSize: 0 bytes/workgroup (compile time only)
; SGPRBlocks: 0
; VGPRBlocks: 0
; NumSGPRsForWavesPerEU: 1
; NumVGPRsForWavesPerEU: 1
; NamedBarCnt: 0
; Occupancy: 16
; WaveLimiterHint : 0
; COMPUTE_PGM_RSRC2:SCRATCH_EN: 0
; COMPUTE_PGM_RSRC2:USER_SGPR: 2
; COMPUTE_PGM_RSRC2:TRAP_HANDLER: 0
; COMPUTE_PGM_RSRC2:TGID_X_EN: 1
; COMPUTE_PGM_RSRC2:TGID_Y_EN: 0
; COMPUTE_PGM_RSRC2:TGID_Z_EN: 0
; COMPUTE_PGM_RSRC2:TIDIG_COMP_CNT: 0
	.section	.text._ZN7rocprim17ROCPRIM_400000_NS6detail17trampoline_kernelINS0_14default_configENS1_33run_length_encode_config_selectorIsjNS0_4plusIjEEEEZZNS1_33reduce_by_key_impl_wrapped_configILNS1_25lookback_scan_determinismE0ES3_S7_PKsNS0_17constant_iteratorIjlEEPsPlSF_S6_NS0_8equal_toIsEEEE10hipError_tPvRmT2_T3_mT4_T5_T6_T7_T8_P12ihipStream_tbENKUlT_T0_E_clISt17integral_constantIbLb1EESY_IbLb0EEEEDaSU_SV_EUlSU_E_NS1_11comp_targetILNS1_3genE0ELNS1_11target_archE4294967295ELNS1_3gpuE0ELNS1_3repE0EEENS1_30default_config_static_selectorELNS0_4arch9wavefront6targetE0EEEvT1_,"axG",@progbits,_ZN7rocprim17ROCPRIM_400000_NS6detail17trampoline_kernelINS0_14default_configENS1_33run_length_encode_config_selectorIsjNS0_4plusIjEEEEZZNS1_33reduce_by_key_impl_wrapped_configILNS1_25lookback_scan_determinismE0ES3_S7_PKsNS0_17constant_iteratorIjlEEPsPlSF_S6_NS0_8equal_toIsEEEE10hipError_tPvRmT2_T3_mT4_T5_T6_T7_T8_P12ihipStream_tbENKUlT_T0_E_clISt17integral_constantIbLb1EESY_IbLb0EEEEDaSU_SV_EUlSU_E_NS1_11comp_targetILNS1_3genE0ELNS1_11target_archE4294967295ELNS1_3gpuE0ELNS1_3repE0EEENS1_30default_config_static_selectorELNS0_4arch9wavefront6targetE0EEEvT1_,comdat
	.protected	_ZN7rocprim17ROCPRIM_400000_NS6detail17trampoline_kernelINS0_14default_configENS1_33run_length_encode_config_selectorIsjNS0_4plusIjEEEEZZNS1_33reduce_by_key_impl_wrapped_configILNS1_25lookback_scan_determinismE0ES3_S7_PKsNS0_17constant_iteratorIjlEEPsPlSF_S6_NS0_8equal_toIsEEEE10hipError_tPvRmT2_T3_mT4_T5_T6_T7_T8_P12ihipStream_tbENKUlT_T0_E_clISt17integral_constantIbLb1EESY_IbLb0EEEEDaSU_SV_EUlSU_E_NS1_11comp_targetILNS1_3genE0ELNS1_11target_archE4294967295ELNS1_3gpuE0ELNS1_3repE0EEENS1_30default_config_static_selectorELNS0_4arch9wavefront6targetE0EEEvT1_ ; -- Begin function _ZN7rocprim17ROCPRIM_400000_NS6detail17trampoline_kernelINS0_14default_configENS1_33run_length_encode_config_selectorIsjNS0_4plusIjEEEEZZNS1_33reduce_by_key_impl_wrapped_configILNS1_25lookback_scan_determinismE0ES3_S7_PKsNS0_17constant_iteratorIjlEEPsPlSF_S6_NS0_8equal_toIsEEEE10hipError_tPvRmT2_T3_mT4_T5_T6_T7_T8_P12ihipStream_tbENKUlT_T0_E_clISt17integral_constantIbLb1EESY_IbLb0EEEEDaSU_SV_EUlSU_E_NS1_11comp_targetILNS1_3genE0ELNS1_11target_archE4294967295ELNS1_3gpuE0ELNS1_3repE0EEENS1_30default_config_static_selectorELNS0_4arch9wavefront6targetE0EEEvT1_
	.globl	_ZN7rocprim17ROCPRIM_400000_NS6detail17trampoline_kernelINS0_14default_configENS1_33run_length_encode_config_selectorIsjNS0_4plusIjEEEEZZNS1_33reduce_by_key_impl_wrapped_configILNS1_25lookback_scan_determinismE0ES3_S7_PKsNS0_17constant_iteratorIjlEEPsPlSF_S6_NS0_8equal_toIsEEEE10hipError_tPvRmT2_T3_mT4_T5_T6_T7_T8_P12ihipStream_tbENKUlT_T0_E_clISt17integral_constantIbLb1EESY_IbLb0EEEEDaSU_SV_EUlSU_E_NS1_11comp_targetILNS1_3genE0ELNS1_11target_archE4294967295ELNS1_3gpuE0ELNS1_3repE0EEENS1_30default_config_static_selectorELNS0_4arch9wavefront6targetE0EEEvT1_
	.p2align	8
	.type	_ZN7rocprim17ROCPRIM_400000_NS6detail17trampoline_kernelINS0_14default_configENS1_33run_length_encode_config_selectorIsjNS0_4plusIjEEEEZZNS1_33reduce_by_key_impl_wrapped_configILNS1_25lookback_scan_determinismE0ES3_S7_PKsNS0_17constant_iteratorIjlEEPsPlSF_S6_NS0_8equal_toIsEEEE10hipError_tPvRmT2_T3_mT4_T5_T6_T7_T8_P12ihipStream_tbENKUlT_T0_E_clISt17integral_constantIbLb1EESY_IbLb0EEEEDaSU_SV_EUlSU_E_NS1_11comp_targetILNS1_3genE0ELNS1_11target_archE4294967295ELNS1_3gpuE0ELNS1_3repE0EEENS1_30default_config_static_selectorELNS0_4arch9wavefront6targetE0EEEvT1_,@function
_ZN7rocprim17ROCPRIM_400000_NS6detail17trampoline_kernelINS0_14default_configENS1_33run_length_encode_config_selectorIsjNS0_4plusIjEEEEZZNS1_33reduce_by_key_impl_wrapped_configILNS1_25lookback_scan_determinismE0ES3_S7_PKsNS0_17constant_iteratorIjlEEPsPlSF_S6_NS0_8equal_toIsEEEE10hipError_tPvRmT2_T3_mT4_T5_T6_T7_T8_P12ihipStream_tbENKUlT_T0_E_clISt17integral_constantIbLb1EESY_IbLb0EEEEDaSU_SV_EUlSU_E_NS1_11comp_targetILNS1_3genE0ELNS1_11target_archE4294967295ELNS1_3gpuE0ELNS1_3repE0EEENS1_30default_config_static_selectorELNS0_4arch9wavefront6targetE0EEEvT1_: ; @_ZN7rocprim17ROCPRIM_400000_NS6detail17trampoline_kernelINS0_14default_configENS1_33run_length_encode_config_selectorIsjNS0_4plusIjEEEEZZNS1_33reduce_by_key_impl_wrapped_configILNS1_25lookback_scan_determinismE0ES3_S7_PKsNS0_17constant_iteratorIjlEEPsPlSF_S6_NS0_8equal_toIsEEEE10hipError_tPvRmT2_T3_mT4_T5_T6_T7_T8_P12ihipStream_tbENKUlT_T0_E_clISt17integral_constantIbLb1EESY_IbLb0EEEEDaSU_SV_EUlSU_E_NS1_11comp_targetILNS1_3genE0ELNS1_11target_archE4294967295ELNS1_3gpuE0ELNS1_3repE0EEENS1_30default_config_static_selectorELNS0_4arch9wavefront6targetE0EEEvT1_
; %bb.0:
	s_endpgm
	.section	.rodata,"a",@progbits
	.p2align	6, 0x0
	.amdhsa_kernel _ZN7rocprim17ROCPRIM_400000_NS6detail17trampoline_kernelINS0_14default_configENS1_33run_length_encode_config_selectorIsjNS0_4plusIjEEEEZZNS1_33reduce_by_key_impl_wrapped_configILNS1_25lookback_scan_determinismE0ES3_S7_PKsNS0_17constant_iteratorIjlEEPsPlSF_S6_NS0_8equal_toIsEEEE10hipError_tPvRmT2_T3_mT4_T5_T6_T7_T8_P12ihipStream_tbENKUlT_T0_E_clISt17integral_constantIbLb1EESY_IbLb0EEEEDaSU_SV_EUlSU_E_NS1_11comp_targetILNS1_3genE0ELNS1_11target_archE4294967295ELNS1_3gpuE0ELNS1_3repE0EEENS1_30default_config_static_selectorELNS0_4arch9wavefront6targetE0EEEvT1_
		.amdhsa_group_segment_fixed_size 0
		.amdhsa_private_segment_fixed_size 0
		.amdhsa_kernarg_size 128
		.amdhsa_user_sgpr_count 2
		.amdhsa_user_sgpr_dispatch_ptr 0
		.amdhsa_user_sgpr_queue_ptr 0
		.amdhsa_user_sgpr_kernarg_segment_ptr 1
		.amdhsa_user_sgpr_dispatch_id 0
		.amdhsa_user_sgpr_kernarg_preload_length 0
		.amdhsa_user_sgpr_kernarg_preload_offset 0
		.amdhsa_user_sgpr_private_segment_size 0
		.amdhsa_wavefront_size32 1
		.amdhsa_uses_dynamic_stack 0
		.amdhsa_enable_private_segment 0
		.amdhsa_system_sgpr_workgroup_id_x 1
		.amdhsa_system_sgpr_workgroup_id_y 0
		.amdhsa_system_sgpr_workgroup_id_z 0
		.amdhsa_system_sgpr_workgroup_info 0
		.amdhsa_system_vgpr_workitem_id 0
		.amdhsa_next_free_vgpr 1
		.amdhsa_next_free_sgpr 1
		.amdhsa_named_barrier_count 0
		.amdhsa_reserve_vcc 0
		.amdhsa_float_round_mode_32 0
		.amdhsa_float_round_mode_16_64 0
		.amdhsa_float_denorm_mode_32 3
		.amdhsa_float_denorm_mode_16_64 3
		.amdhsa_fp16_overflow 0
		.amdhsa_memory_ordered 1
		.amdhsa_forward_progress 1
		.amdhsa_inst_pref_size 1
		.amdhsa_round_robin_scheduling 0
		.amdhsa_exception_fp_ieee_invalid_op 0
		.amdhsa_exception_fp_denorm_src 0
		.amdhsa_exception_fp_ieee_div_zero 0
		.amdhsa_exception_fp_ieee_overflow 0
		.amdhsa_exception_fp_ieee_underflow 0
		.amdhsa_exception_fp_ieee_inexact 0
		.amdhsa_exception_int_div_zero 0
	.end_amdhsa_kernel
	.section	.text._ZN7rocprim17ROCPRIM_400000_NS6detail17trampoline_kernelINS0_14default_configENS1_33run_length_encode_config_selectorIsjNS0_4plusIjEEEEZZNS1_33reduce_by_key_impl_wrapped_configILNS1_25lookback_scan_determinismE0ES3_S7_PKsNS0_17constant_iteratorIjlEEPsPlSF_S6_NS0_8equal_toIsEEEE10hipError_tPvRmT2_T3_mT4_T5_T6_T7_T8_P12ihipStream_tbENKUlT_T0_E_clISt17integral_constantIbLb1EESY_IbLb0EEEEDaSU_SV_EUlSU_E_NS1_11comp_targetILNS1_3genE0ELNS1_11target_archE4294967295ELNS1_3gpuE0ELNS1_3repE0EEENS1_30default_config_static_selectorELNS0_4arch9wavefront6targetE0EEEvT1_,"axG",@progbits,_ZN7rocprim17ROCPRIM_400000_NS6detail17trampoline_kernelINS0_14default_configENS1_33run_length_encode_config_selectorIsjNS0_4plusIjEEEEZZNS1_33reduce_by_key_impl_wrapped_configILNS1_25lookback_scan_determinismE0ES3_S7_PKsNS0_17constant_iteratorIjlEEPsPlSF_S6_NS0_8equal_toIsEEEE10hipError_tPvRmT2_T3_mT4_T5_T6_T7_T8_P12ihipStream_tbENKUlT_T0_E_clISt17integral_constantIbLb1EESY_IbLb0EEEEDaSU_SV_EUlSU_E_NS1_11comp_targetILNS1_3genE0ELNS1_11target_archE4294967295ELNS1_3gpuE0ELNS1_3repE0EEENS1_30default_config_static_selectorELNS0_4arch9wavefront6targetE0EEEvT1_,comdat
.Lfunc_end598:
	.size	_ZN7rocprim17ROCPRIM_400000_NS6detail17trampoline_kernelINS0_14default_configENS1_33run_length_encode_config_selectorIsjNS0_4plusIjEEEEZZNS1_33reduce_by_key_impl_wrapped_configILNS1_25lookback_scan_determinismE0ES3_S7_PKsNS0_17constant_iteratorIjlEEPsPlSF_S6_NS0_8equal_toIsEEEE10hipError_tPvRmT2_T3_mT4_T5_T6_T7_T8_P12ihipStream_tbENKUlT_T0_E_clISt17integral_constantIbLb1EESY_IbLb0EEEEDaSU_SV_EUlSU_E_NS1_11comp_targetILNS1_3genE0ELNS1_11target_archE4294967295ELNS1_3gpuE0ELNS1_3repE0EEENS1_30default_config_static_selectorELNS0_4arch9wavefront6targetE0EEEvT1_, .Lfunc_end598-_ZN7rocprim17ROCPRIM_400000_NS6detail17trampoline_kernelINS0_14default_configENS1_33run_length_encode_config_selectorIsjNS0_4plusIjEEEEZZNS1_33reduce_by_key_impl_wrapped_configILNS1_25lookback_scan_determinismE0ES3_S7_PKsNS0_17constant_iteratorIjlEEPsPlSF_S6_NS0_8equal_toIsEEEE10hipError_tPvRmT2_T3_mT4_T5_T6_T7_T8_P12ihipStream_tbENKUlT_T0_E_clISt17integral_constantIbLb1EESY_IbLb0EEEEDaSU_SV_EUlSU_E_NS1_11comp_targetILNS1_3genE0ELNS1_11target_archE4294967295ELNS1_3gpuE0ELNS1_3repE0EEENS1_30default_config_static_selectorELNS0_4arch9wavefront6targetE0EEEvT1_
                                        ; -- End function
	.set _ZN7rocprim17ROCPRIM_400000_NS6detail17trampoline_kernelINS0_14default_configENS1_33run_length_encode_config_selectorIsjNS0_4plusIjEEEEZZNS1_33reduce_by_key_impl_wrapped_configILNS1_25lookback_scan_determinismE0ES3_S7_PKsNS0_17constant_iteratorIjlEEPsPlSF_S6_NS0_8equal_toIsEEEE10hipError_tPvRmT2_T3_mT4_T5_T6_T7_T8_P12ihipStream_tbENKUlT_T0_E_clISt17integral_constantIbLb1EESY_IbLb0EEEEDaSU_SV_EUlSU_E_NS1_11comp_targetILNS1_3genE0ELNS1_11target_archE4294967295ELNS1_3gpuE0ELNS1_3repE0EEENS1_30default_config_static_selectorELNS0_4arch9wavefront6targetE0EEEvT1_.num_vgpr, 0
	.set _ZN7rocprim17ROCPRIM_400000_NS6detail17trampoline_kernelINS0_14default_configENS1_33run_length_encode_config_selectorIsjNS0_4plusIjEEEEZZNS1_33reduce_by_key_impl_wrapped_configILNS1_25lookback_scan_determinismE0ES3_S7_PKsNS0_17constant_iteratorIjlEEPsPlSF_S6_NS0_8equal_toIsEEEE10hipError_tPvRmT2_T3_mT4_T5_T6_T7_T8_P12ihipStream_tbENKUlT_T0_E_clISt17integral_constantIbLb1EESY_IbLb0EEEEDaSU_SV_EUlSU_E_NS1_11comp_targetILNS1_3genE0ELNS1_11target_archE4294967295ELNS1_3gpuE0ELNS1_3repE0EEENS1_30default_config_static_selectorELNS0_4arch9wavefront6targetE0EEEvT1_.num_agpr, 0
	.set _ZN7rocprim17ROCPRIM_400000_NS6detail17trampoline_kernelINS0_14default_configENS1_33run_length_encode_config_selectorIsjNS0_4plusIjEEEEZZNS1_33reduce_by_key_impl_wrapped_configILNS1_25lookback_scan_determinismE0ES3_S7_PKsNS0_17constant_iteratorIjlEEPsPlSF_S6_NS0_8equal_toIsEEEE10hipError_tPvRmT2_T3_mT4_T5_T6_T7_T8_P12ihipStream_tbENKUlT_T0_E_clISt17integral_constantIbLb1EESY_IbLb0EEEEDaSU_SV_EUlSU_E_NS1_11comp_targetILNS1_3genE0ELNS1_11target_archE4294967295ELNS1_3gpuE0ELNS1_3repE0EEENS1_30default_config_static_selectorELNS0_4arch9wavefront6targetE0EEEvT1_.numbered_sgpr, 0
	.set _ZN7rocprim17ROCPRIM_400000_NS6detail17trampoline_kernelINS0_14default_configENS1_33run_length_encode_config_selectorIsjNS0_4plusIjEEEEZZNS1_33reduce_by_key_impl_wrapped_configILNS1_25lookback_scan_determinismE0ES3_S7_PKsNS0_17constant_iteratorIjlEEPsPlSF_S6_NS0_8equal_toIsEEEE10hipError_tPvRmT2_T3_mT4_T5_T6_T7_T8_P12ihipStream_tbENKUlT_T0_E_clISt17integral_constantIbLb1EESY_IbLb0EEEEDaSU_SV_EUlSU_E_NS1_11comp_targetILNS1_3genE0ELNS1_11target_archE4294967295ELNS1_3gpuE0ELNS1_3repE0EEENS1_30default_config_static_selectorELNS0_4arch9wavefront6targetE0EEEvT1_.num_named_barrier, 0
	.set _ZN7rocprim17ROCPRIM_400000_NS6detail17trampoline_kernelINS0_14default_configENS1_33run_length_encode_config_selectorIsjNS0_4plusIjEEEEZZNS1_33reduce_by_key_impl_wrapped_configILNS1_25lookback_scan_determinismE0ES3_S7_PKsNS0_17constant_iteratorIjlEEPsPlSF_S6_NS0_8equal_toIsEEEE10hipError_tPvRmT2_T3_mT4_T5_T6_T7_T8_P12ihipStream_tbENKUlT_T0_E_clISt17integral_constantIbLb1EESY_IbLb0EEEEDaSU_SV_EUlSU_E_NS1_11comp_targetILNS1_3genE0ELNS1_11target_archE4294967295ELNS1_3gpuE0ELNS1_3repE0EEENS1_30default_config_static_selectorELNS0_4arch9wavefront6targetE0EEEvT1_.private_seg_size, 0
	.set _ZN7rocprim17ROCPRIM_400000_NS6detail17trampoline_kernelINS0_14default_configENS1_33run_length_encode_config_selectorIsjNS0_4plusIjEEEEZZNS1_33reduce_by_key_impl_wrapped_configILNS1_25lookback_scan_determinismE0ES3_S7_PKsNS0_17constant_iteratorIjlEEPsPlSF_S6_NS0_8equal_toIsEEEE10hipError_tPvRmT2_T3_mT4_T5_T6_T7_T8_P12ihipStream_tbENKUlT_T0_E_clISt17integral_constantIbLb1EESY_IbLb0EEEEDaSU_SV_EUlSU_E_NS1_11comp_targetILNS1_3genE0ELNS1_11target_archE4294967295ELNS1_3gpuE0ELNS1_3repE0EEENS1_30default_config_static_selectorELNS0_4arch9wavefront6targetE0EEEvT1_.uses_vcc, 0
	.set _ZN7rocprim17ROCPRIM_400000_NS6detail17trampoline_kernelINS0_14default_configENS1_33run_length_encode_config_selectorIsjNS0_4plusIjEEEEZZNS1_33reduce_by_key_impl_wrapped_configILNS1_25lookback_scan_determinismE0ES3_S7_PKsNS0_17constant_iteratorIjlEEPsPlSF_S6_NS0_8equal_toIsEEEE10hipError_tPvRmT2_T3_mT4_T5_T6_T7_T8_P12ihipStream_tbENKUlT_T0_E_clISt17integral_constantIbLb1EESY_IbLb0EEEEDaSU_SV_EUlSU_E_NS1_11comp_targetILNS1_3genE0ELNS1_11target_archE4294967295ELNS1_3gpuE0ELNS1_3repE0EEENS1_30default_config_static_selectorELNS0_4arch9wavefront6targetE0EEEvT1_.uses_flat_scratch, 0
	.set _ZN7rocprim17ROCPRIM_400000_NS6detail17trampoline_kernelINS0_14default_configENS1_33run_length_encode_config_selectorIsjNS0_4plusIjEEEEZZNS1_33reduce_by_key_impl_wrapped_configILNS1_25lookback_scan_determinismE0ES3_S7_PKsNS0_17constant_iteratorIjlEEPsPlSF_S6_NS0_8equal_toIsEEEE10hipError_tPvRmT2_T3_mT4_T5_T6_T7_T8_P12ihipStream_tbENKUlT_T0_E_clISt17integral_constantIbLb1EESY_IbLb0EEEEDaSU_SV_EUlSU_E_NS1_11comp_targetILNS1_3genE0ELNS1_11target_archE4294967295ELNS1_3gpuE0ELNS1_3repE0EEENS1_30default_config_static_selectorELNS0_4arch9wavefront6targetE0EEEvT1_.has_dyn_sized_stack, 0
	.set _ZN7rocprim17ROCPRIM_400000_NS6detail17trampoline_kernelINS0_14default_configENS1_33run_length_encode_config_selectorIsjNS0_4plusIjEEEEZZNS1_33reduce_by_key_impl_wrapped_configILNS1_25lookback_scan_determinismE0ES3_S7_PKsNS0_17constant_iteratorIjlEEPsPlSF_S6_NS0_8equal_toIsEEEE10hipError_tPvRmT2_T3_mT4_T5_T6_T7_T8_P12ihipStream_tbENKUlT_T0_E_clISt17integral_constantIbLb1EESY_IbLb0EEEEDaSU_SV_EUlSU_E_NS1_11comp_targetILNS1_3genE0ELNS1_11target_archE4294967295ELNS1_3gpuE0ELNS1_3repE0EEENS1_30default_config_static_selectorELNS0_4arch9wavefront6targetE0EEEvT1_.has_recursion, 0
	.set _ZN7rocprim17ROCPRIM_400000_NS6detail17trampoline_kernelINS0_14default_configENS1_33run_length_encode_config_selectorIsjNS0_4plusIjEEEEZZNS1_33reduce_by_key_impl_wrapped_configILNS1_25lookback_scan_determinismE0ES3_S7_PKsNS0_17constant_iteratorIjlEEPsPlSF_S6_NS0_8equal_toIsEEEE10hipError_tPvRmT2_T3_mT4_T5_T6_T7_T8_P12ihipStream_tbENKUlT_T0_E_clISt17integral_constantIbLb1EESY_IbLb0EEEEDaSU_SV_EUlSU_E_NS1_11comp_targetILNS1_3genE0ELNS1_11target_archE4294967295ELNS1_3gpuE0ELNS1_3repE0EEENS1_30default_config_static_selectorELNS0_4arch9wavefront6targetE0EEEvT1_.has_indirect_call, 0
	.section	.AMDGPU.csdata,"",@progbits
; Kernel info:
; codeLenInByte = 4
; TotalNumSgprs: 0
; NumVgprs: 0
; ScratchSize: 0
; MemoryBound: 0
; FloatMode: 240
; IeeeMode: 1
; LDSByteSize: 0 bytes/workgroup (compile time only)
; SGPRBlocks: 0
; VGPRBlocks: 0
; NumSGPRsForWavesPerEU: 1
; NumVGPRsForWavesPerEU: 1
; NamedBarCnt: 0
; Occupancy: 16
; WaveLimiterHint : 0
; COMPUTE_PGM_RSRC2:SCRATCH_EN: 0
; COMPUTE_PGM_RSRC2:USER_SGPR: 2
; COMPUTE_PGM_RSRC2:TRAP_HANDLER: 0
; COMPUTE_PGM_RSRC2:TGID_X_EN: 1
; COMPUTE_PGM_RSRC2:TGID_Y_EN: 0
; COMPUTE_PGM_RSRC2:TGID_Z_EN: 0
; COMPUTE_PGM_RSRC2:TIDIG_COMP_CNT: 0
	.section	.text._ZN7rocprim17ROCPRIM_400000_NS6detail17trampoline_kernelINS0_14default_configENS1_33run_length_encode_config_selectorIsjNS0_4plusIjEEEEZZNS1_33reduce_by_key_impl_wrapped_configILNS1_25lookback_scan_determinismE0ES3_S7_PKsNS0_17constant_iteratorIjlEEPsPlSF_S6_NS0_8equal_toIsEEEE10hipError_tPvRmT2_T3_mT4_T5_T6_T7_T8_P12ihipStream_tbENKUlT_T0_E_clISt17integral_constantIbLb1EESY_IbLb0EEEEDaSU_SV_EUlSU_E_NS1_11comp_targetILNS1_3genE5ELNS1_11target_archE942ELNS1_3gpuE9ELNS1_3repE0EEENS1_30default_config_static_selectorELNS0_4arch9wavefront6targetE0EEEvT1_,"axG",@progbits,_ZN7rocprim17ROCPRIM_400000_NS6detail17trampoline_kernelINS0_14default_configENS1_33run_length_encode_config_selectorIsjNS0_4plusIjEEEEZZNS1_33reduce_by_key_impl_wrapped_configILNS1_25lookback_scan_determinismE0ES3_S7_PKsNS0_17constant_iteratorIjlEEPsPlSF_S6_NS0_8equal_toIsEEEE10hipError_tPvRmT2_T3_mT4_T5_T6_T7_T8_P12ihipStream_tbENKUlT_T0_E_clISt17integral_constantIbLb1EESY_IbLb0EEEEDaSU_SV_EUlSU_E_NS1_11comp_targetILNS1_3genE5ELNS1_11target_archE942ELNS1_3gpuE9ELNS1_3repE0EEENS1_30default_config_static_selectorELNS0_4arch9wavefront6targetE0EEEvT1_,comdat
	.protected	_ZN7rocprim17ROCPRIM_400000_NS6detail17trampoline_kernelINS0_14default_configENS1_33run_length_encode_config_selectorIsjNS0_4plusIjEEEEZZNS1_33reduce_by_key_impl_wrapped_configILNS1_25lookback_scan_determinismE0ES3_S7_PKsNS0_17constant_iteratorIjlEEPsPlSF_S6_NS0_8equal_toIsEEEE10hipError_tPvRmT2_T3_mT4_T5_T6_T7_T8_P12ihipStream_tbENKUlT_T0_E_clISt17integral_constantIbLb1EESY_IbLb0EEEEDaSU_SV_EUlSU_E_NS1_11comp_targetILNS1_3genE5ELNS1_11target_archE942ELNS1_3gpuE9ELNS1_3repE0EEENS1_30default_config_static_selectorELNS0_4arch9wavefront6targetE0EEEvT1_ ; -- Begin function _ZN7rocprim17ROCPRIM_400000_NS6detail17trampoline_kernelINS0_14default_configENS1_33run_length_encode_config_selectorIsjNS0_4plusIjEEEEZZNS1_33reduce_by_key_impl_wrapped_configILNS1_25lookback_scan_determinismE0ES3_S7_PKsNS0_17constant_iteratorIjlEEPsPlSF_S6_NS0_8equal_toIsEEEE10hipError_tPvRmT2_T3_mT4_T5_T6_T7_T8_P12ihipStream_tbENKUlT_T0_E_clISt17integral_constantIbLb1EESY_IbLb0EEEEDaSU_SV_EUlSU_E_NS1_11comp_targetILNS1_3genE5ELNS1_11target_archE942ELNS1_3gpuE9ELNS1_3repE0EEENS1_30default_config_static_selectorELNS0_4arch9wavefront6targetE0EEEvT1_
	.globl	_ZN7rocprim17ROCPRIM_400000_NS6detail17trampoline_kernelINS0_14default_configENS1_33run_length_encode_config_selectorIsjNS0_4plusIjEEEEZZNS1_33reduce_by_key_impl_wrapped_configILNS1_25lookback_scan_determinismE0ES3_S7_PKsNS0_17constant_iteratorIjlEEPsPlSF_S6_NS0_8equal_toIsEEEE10hipError_tPvRmT2_T3_mT4_T5_T6_T7_T8_P12ihipStream_tbENKUlT_T0_E_clISt17integral_constantIbLb1EESY_IbLb0EEEEDaSU_SV_EUlSU_E_NS1_11comp_targetILNS1_3genE5ELNS1_11target_archE942ELNS1_3gpuE9ELNS1_3repE0EEENS1_30default_config_static_selectorELNS0_4arch9wavefront6targetE0EEEvT1_
	.p2align	8
	.type	_ZN7rocprim17ROCPRIM_400000_NS6detail17trampoline_kernelINS0_14default_configENS1_33run_length_encode_config_selectorIsjNS0_4plusIjEEEEZZNS1_33reduce_by_key_impl_wrapped_configILNS1_25lookback_scan_determinismE0ES3_S7_PKsNS0_17constant_iteratorIjlEEPsPlSF_S6_NS0_8equal_toIsEEEE10hipError_tPvRmT2_T3_mT4_T5_T6_T7_T8_P12ihipStream_tbENKUlT_T0_E_clISt17integral_constantIbLb1EESY_IbLb0EEEEDaSU_SV_EUlSU_E_NS1_11comp_targetILNS1_3genE5ELNS1_11target_archE942ELNS1_3gpuE9ELNS1_3repE0EEENS1_30default_config_static_selectorELNS0_4arch9wavefront6targetE0EEEvT1_,@function
_ZN7rocprim17ROCPRIM_400000_NS6detail17trampoline_kernelINS0_14default_configENS1_33run_length_encode_config_selectorIsjNS0_4plusIjEEEEZZNS1_33reduce_by_key_impl_wrapped_configILNS1_25lookback_scan_determinismE0ES3_S7_PKsNS0_17constant_iteratorIjlEEPsPlSF_S6_NS0_8equal_toIsEEEE10hipError_tPvRmT2_T3_mT4_T5_T6_T7_T8_P12ihipStream_tbENKUlT_T0_E_clISt17integral_constantIbLb1EESY_IbLb0EEEEDaSU_SV_EUlSU_E_NS1_11comp_targetILNS1_3genE5ELNS1_11target_archE942ELNS1_3gpuE9ELNS1_3repE0EEENS1_30default_config_static_selectorELNS0_4arch9wavefront6targetE0EEEvT1_: ; @_ZN7rocprim17ROCPRIM_400000_NS6detail17trampoline_kernelINS0_14default_configENS1_33run_length_encode_config_selectorIsjNS0_4plusIjEEEEZZNS1_33reduce_by_key_impl_wrapped_configILNS1_25lookback_scan_determinismE0ES3_S7_PKsNS0_17constant_iteratorIjlEEPsPlSF_S6_NS0_8equal_toIsEEEE10hipError_tPvRmT2_T3_mT4_T5_T6_T7_T8_P12ihipStream_tbENKUlT_T0_E_clISt17integral_constantIbLb1EESY_IbLb0EEEEDaSU_SV_EUlSU_E_NS1_11comp_targetILNS1_3genE5ELNS1_11target_archE942ELNS1_3gpuE9ELNS1_3repE0EEENS1_30default_config_static_selectorELNS0_4arch9wavefront6targetE0EEEvT1_
; %bb.0:
	.section	.rodata,"a",@progbits
	.p2align	6, 0x0
	.amdhsa_kernel _ZN7rocprim17ROCPRIM_400000_NS6detail17trampoline_kernelINS0_14default_configENS1_33run_length_encode_config_selectorIsjNS0_4plusIjEEEEZZNS1_33reduce_by_key_impl_wrapped_configILNS1_25lookback_scan_determinismE0ES3_S7_PKsNS0_17constant_iteratorIjlEEPsPlSF_S6_NS0_8equal_toIsEEEE10hipError_tPvRmT2_T3_mT4_T5_T6_T7_T8_P12ihipStream_tbENKUlT_T0_E_clISt17integral_constantIbLb1EESY_IbLb0EEEEDaSU_SV_EUlSU_E_NS1_11comp_targetILNS1_3genE5ELNS1_11target_archE942ELNS1_3gpuE9ELNS1_3repE0EEENS1_30default_config_static_selectorELNS0_4arch9wavefront6targetE0EEEvT1_
		.amdhsa_group_segment_fixed_size 0
		.amdhsa_private_segment_fixed_size 0
		.amdhsa_kernarg_size 128
		.amdhsa_user_sgpr_count 2
		.amdhsa_user_sgpr_dispatch_ptr 0
		.amdhsa_user_sgpr_queue_ptr 0
		.amdhsa_user_sgpr_kernarg_segment_ptr 1
		.amdhsa_user_sgpr_dispatch_id 0
		.amdhsa_user_sgpr_kernarg_preload_length 0
		.amdhsa_user_sgpr_kernarg_preload_offset 0
		.amdhsa_user_sgpr_private_segment_size 0
		.amdhsa_wavefront_size32 1
		.amdhsa_uses_dynamic_stack 0
		.amdhsa_enable_private_segment 0
		.amdhsa_system_sgpr_workgroup_id_x 1
		.amdhsa_system_sgpr_workgroup_id_y 0
		.amdhsa_system_sgpr_workgroup_id_z 0
		.amdhsa_system_sgpr_workgroup_info 0
		.amdhsa_system_vgpr_workitem_id 0
		.amdhsa_next_free_vgpr 1
		.amdhsa_next_free_sgpr 1
		.amdhsa_named_barrier_count 0
		.amdhsa_reserve_vcc 0
		.amdhsa_float_round_mode_32 0
		.amdhsa_float_round_mode_16_64 0
		.amdhsa_float_denorm_mode_32 3
		.amdhsa_float_denorm_mode_16_64 3
		.amdhsa_fp16_overflow 0
		.amdhsa_memory_ordered 1
		.amdhsa_forward_progress 1
		.amdhsa_inst_pref_size 0
		.amdhsa_round_robin_scheduling 0
		.amdhsa_exception_fp_ieee_invalid_op 0
		.amdhsa_exception_fp_denorm_src 0
		.amdhsa_exception_fp_ieee_div_zero 0
		.amdhsa_exception_fp_ieee_overflow 0
		.amdhsa_exception_fp_ieee_underflow 0
		.amdhsa_exception_fp_ieee_inexact 0
		.amdhsa_exception_int_div_zero 0
	.end_amdhsa_kernel
	.section	.text._ZN7rocprim17ROCPRIM_400000_NS6detail17trampoline_kernelINS0_14default_configENS1_33run_length_encode_config_selectorIsjNS0_4plusIjEEEEZZNS1_33reduce_by_key_impl_wrapped_configILNS1_25lookback_scan_determinismE0ES3_S7_PKsNS0_17constant_iteratorIjlEEPsPlSF_S6_NS0_8equal_toIsEEEE10hipError_tPvRmT2_T3_mT4_T5_T6_T7_T8_P12ihipStream_tbENKUlT_T0_E_clISt17integral_constantIbLb1EESY_IbLb0EEEEDaSU_SV_EUlSU_E_NS1_11comp_targetILNS1_3genE5ELNS1_11target_archE942ELNS1_3gpuE9ELNS1_3repE0EEENS1_30default_config_static_selectorELNS0_4arch9wavefront6targetE0EEEvT1_,"axG",@progbits,_ZN7rocprim17ROCPRIM_400000_NS6detail17trampoline_kernelINS0_14default_configENS1_33run_length_encode_config_selectorIsjNS0_4plusIjEEEEZZNS1_33reduce_by_key_impl_wrapped_configILNS1_25lookback_scan_determinismE0ES3_S7_PKsNS0_17constant_iteratorIjlEEPsPlSF_S6_NS0_8equal_toIsEEEE10hipError_tPvRmT2_T3_mT4_T5_T6_T7_T8_P12ihipStream_tbENKUlT_T0_E_clISt17integral_constantIbLb1EESY_IbLb0EEEEDaSU_SV_EUlSU_E_NS1_11comp_targetILNS1_3genE5ELNS1_11target_archE942ELNS1_3gpuE9ELNS1_3repE0EEENS1_30default_config_static_selectorELNS0_4arch9wavefront6targetE0EEEvT1_,comdat
.Lfunc_end599:
	.size	_ZN7rocprim17ROCPRIM_400000_NS6detail17trampoline_kernelINS0_14default_configENS1_33run_length_encode_config_selectorIsjNS0_4plusIjEEEEZZNS1_33reduce_by_key_impl_wrapped_configILNS1_25lookback_scan_determinismE0ES3_S7_PKsNS0_17constant_iteratorIjlEEPsPlSF_S6_NS0_8equal_toIsEEEE10hipError_tPvRmT2_T3_mT4_T5_T6_T7_T8_P12ihipStream_tbENKUlT_T0_E_clISt17integral_constantIbLb1EESY_IbLb0EEEEDaSU_SV_EUlSU_E_NS1_11comp_targetILNS1_3genE5ELNS1_11target_archE942ELNS1_3gpuE9ELNS1_3repE0EEENS1_30default_config_static_selectorELNS0_4arch9wavefront6targetE0EEEvT1_, .Lfunc_end599-_ZN7rocprim17ROCPRIM_400000_NS6detail17trampoline_kernelINS0_14default_configENS1_33run_length_encode_config_selectorIsjNS0_4plusIjEEEEZZNS1_33reduce_by_key_impl_wrapped_configILNS1_25lookback_scan_determinismE0ES3_S7_PKsNS0_17constant_iteratorIjlEEPsPlSF_S6_NS0_8equal_toIsEEEE10hipError_tPvRmT2_T3_mT4_T5_T6_T7_T8_P12ihipStream_tbENKUlT_T0_E_clISt17integral_constantIbLb1EESY_IbLb0EEEEDaSU_SV_EUlSU_E_NS1_11comp_targetILNS1_3genE5ELNS1_11target_archE942ELNS1_3gpuE9ELNS1_3repE0EEENS1_30default_config_static_selectorELNS0_4arch9wavefront6targetE0EEEvT1_
                                        ; -- End function
	.set _ZN7rocprim17ROCPRIM_400000_NS6detail17trampoline_kernelINS0_14default_configENS1_33run_length_encode_config_selectorIsjNS0_4plusIjEEEEZZNS1_33reduce_by_key_impl_wrapped_configILNS1_25lookback_scan_determinismE0ES3_S7_PKsNS0_17constant_iteratorIjlEEPsPlSF_S6_NS0_8equal_toIsEEEE10hipError_tPvRmT2_T3_mT4_T5_T6_T7_T8_P12ihipStream_tbENKUlT_T0_E_clISt17integral_constantIbLb1EESY_IbLb0EEEEDaSU_SV_EUlSU_E_NS1_11comp_targetILNS1_3genE5ELNS1_11target_archE942ELNS1_3gpuE9ELNS1_3repE0EEENS1_30default_config_static_selectorELNS0_4arch9wavefront6targetE0EEEvT1_.num_vgpr, 0
	.set _ZN7rocprim17ROCPRIM_400000_NS6detail17trampoline_kernelINS0_14default_configENS1_33run_length_encode_config_selectorIsjNS0_4plusIjEEEEZZNS1_33reduce_by_key_impl_wrapped_configILNS1_25lookback_scan_determinismE0ES3_S7_PKsNS0_17constant_iteratorIjlEEPsPlSF_S6_NS0_8equal_toIsEEEE10hipError_tPvRmT2_T3_mT4_T5_T6_T7_T8_P12ihipStream_tbENKUlT_T0_E_clISt17integral_constantIbLb1EESY_IbLb0EEEEDaSU_SV_EUlSU_E_NS1_11comp_targetILNS1_3genE5ELNS1_11target_archE942ELNS1_3gpuE9ELNS1_3repE0EEENS1_30default_config_static_selectorELNS0_4arch9wavefront6targetE0EEEvT1_.num_agpr, 0
	.set _ZN7rocprim17ROCPRIM_400000_NS6detail17trampoline_kernelINS0_14default_configENS1_33run_length_encode_config_selectorIsjNS0_4plusIjEEEEZZNS1_33reduce_by_key_impl_wrapped_configILNS1_25lookback_scan_determinismE0ES3_S7_PKsNS0_17constant_iteratorIjlEEPsPlSF_S6_NS0_8equal_toIsEEEE10hipError_tPvRmT2_T3_mT4_T5_T6_T7_T8_P12ihipStream_tbENKUlT_T0_E_clISt17integral_constantIbLb1EESY_IbLb0EEEEDaSU_SV_EUlSU_E_NS1_11comp_targetILNS1_3genE5ELNS1_11target_archE942ELNS1_3gpuE9ELNS1_3repE0EEENS1_30default_config_static_selectorELNS0_4arch9wavefront6targetE0EEEvT1_.numbered_sgpr, 0
	.set _ZN7rocprim17ROCPRIM_400000_NS6detail17trampoline_kernelINS0_14default_configENS1_33run_length_encode_config_selectorIsjNS0_4plusIjEEEEZZNS1_33reduce_by_key_impl_wrapped_configILNS1_25lookback_scan_determinismE0ES3_S7_PKsNS0_17constant_iteratorIjlEEPsPlSF_S6_NS0_8equal_toIsEEEE10hipError_tPvRmT2_T3_mT4_T5_T6_T7_T8_P12ihipStream_tbENKUlT_T0_E_clISt17integral_constantIbLb1EESY_IbLb0EEEEDaSU_SV_EUlSU_E_NS1_11comp_targetILNS1_3genE5ELNS1_11target_archE942ELNS1_3gpuE9ELNS1_3repE0EEENS1_30default_config_static_selectorELNS0_4arch9wavefront6targetE0EEEvT1_.num_named_barrier, 0
	.set _ZN7rocprim17ROCPRIM_400000_NS6detail17trampoline_kernelINS0_14default_configENS1_33run_length_encode_config_selectorIsjNS0_4plusIjEEEEZZNS1_33reduce_by_key_impl_wrapped_configILNS1_25lookback_scan_determinismE0ES3_S7_PKsNS0_17constant_iteratorIjlEEPsPlSF_S6_NS0_8equal_toIsEEEE10hipError_tPvRmT2_T3_mT4_T5_T6_T7_T8_P12ihipStream_tbENKUlT_T0_E_clISt17integral_constantIbLb1EESY_IbLb0EEEEDaSU_SV_EUlSU_E_NS1_11comp_targetILNS1_3genE5ELNS1_11target_archE942ELNS1_3gpuE9ELNS1_3repE0EEENS1_30default_config_static_selectorELNS0_4arch9wavefront6targetE0EEEvT1_.private_seg_size, 0
	.set _ZN7rocprim17ROCPRIM_400000_NS6detail17trampoline_kernelINS0_14default_configENS1_33run_length_encode_config_selectorIsjNS0_4plusIjEEEEZZNS1_33reduce_by_key_impl_wrapped_configILNS1_25lookback_scan_determinismE0ES3_S7_PKsNS0_17constant_iteratorIjlEEPsPlSF_S6_NS0_8equal_toIsEEEE10hipError_tPvRmT2_T3_mT4_T5_T6_T7_T8_P12ihipStream_tbENKUlT_T0_E_clISt17integral_constantIbLb1EESY_IbLb0EEEEDaSU_SV_EUlSU_E_NS1_11comp_targetILNS1_3genE5ELNS1_11target_archE942ELNS1_3gpuE9ELNS1_3repE0EEENS1_30default_config_static_selectorELNS0_4arch9wavefront6targetE0EEEvT1_.uses_vcc, 0
	.set _ZN7rocprim17ROCPRIM_400000_NS6detail17trampoline_kernelINS0_14default_configENS1_33run_length_encode_config_selectorIsjNS0_4plusIjEEEEZZNS1_33reduce_by_key_impl_wrapped_configILNS1_25lookback_scan_determinismE0ES3_S7_PKsNS0_17constant_iteratorIjlEEPsPlSF_S6_NS0_8equal_toIsEEEE10hipError_tPvRmT2_T3_mT4_T5_T6_T7_T8_P12ihipStream_tbENKUlT_T0_E_clISt17integral_constantIbLb1EESY_IbLb0EEEEDaSU_SV_EUlSU_E_NS1_11comp_targetILNS1_3genE5ELNS1_11target_archE942ELNS1_3gpuE9ELNS1_3repE0EEENS1_30default_config_static_selectorELNS0_4arch9wavefront6targetE0EEEvT1_.uses_flat_scratch, 0
	.set _ZN7rocprim17ROCPRIM_400000_NS6detail17trampoline_kernelINS0_14default_configENS1_33run_length_encode_config_selectorIsjNS0_4plusIjEEEEZZNS1_33reduce_by_key_impl_wrapped_configILNS1_25lookback_scan_determinismE0ES3_S7_PKsNS0_17constant_iteratorIjlEEPsPlSF_S6_NS0_8equal_toIsEEEE10hipError_tPvRmT2_T3_mT4_T5_T6_T7_T8_P12ihipStream_tbENKUlT_T0_E_clISt17integral_constantIbLb1EESY_IbLb0EEEEDaSU_SV_EUlSU_E_NS1_11comp_targetILNS1_3genE5ELNS1_11target_archE942ELNS1_3gpuE9ELNS1_3repE0EEENS1_30default_config_static_selectorELNS0_4arch9wavefront6targetE0EEEvT1_.has_dyn_sized_stack, 0
	.set _ZN7rocprim17ROCPRIM_400000_NS6detail17trampoline_kernelINS0_14default_configENS1_33run_length_encode_config_selectorIsjNS0_4plusIjEEEEZZNS1_33reduce_by_key_impl_wrapped_configILNS1_25lookback_scan_determinismE0ES3_S7_PKsNS0_17constant_iteratorIjlEEPsPlSF_S6_NS0_8equal_toIsEEEE10hipError_tPvRmT2_T3_mT4_T5_T6_T7_T8_P12ihipStream_tbENKUlT_T0_E_clISt17integral_constantIbLb1EESY_IbLb0EEEEDaSU_SV_EUlSU_E_NS1_11comp_targetILNS1_3genE5ELNS1_11target_archE942ELNS1_3gpuE9ELNS1_3repE0EEENS1_30default_config_static_selectorELNS0_4arch9wavefront6targetE0EEEvT1_.has_recursion, 0
	.set _ZN7rocprim17ROCPRIM_400000_NS6detail17trampoline_kernelINS0_14default_configENS1_33run_length_encode_config_selectorIsjNS0_4plusIjEEEEZZNS1_33reduce_by_key_impl_wrapped_configILNS1_25lookback_scan_determinismE0ES3_S7_PKsNS0_17constant_iteratorIjlEEPsPlSF_S6_NS0_8equal_toIsEEEE10hipError_tPvRmT2_T3_mT4_T5_T6_T7_T8_P12ihipStream_tbENKUlT_T0_E_clISt17integral_constantIbLb1EESY_IbLb0EEEEDaSU_SV_EUlSU_E_NS1_11comp_targetILNS1_3genE5ELNS1_11target_archE942ELNS1_3gpuE9ELNS1_3repE0EEENS1_30default_config_static_selectorELNS0_4arch9wavefront6targetE0EEEvT1_.has_indirect_call, 0
	.section	.AMDGPU.csdata,"",@progbits
; Kernel info:
; codeLenInByte = 0
; TotalNumSgprs: 0
; NumVgprs: 0
; ScratchSize: 0
; MemoryBound: 0
; FloatMode: 240
; IeeeMode: 1
; LDSByteSize: 0 bytes/workgroup (compile time only)
; SGPRBlocks: 0
; VGPRBlocks: 0
; NumSGPRsForWavesPerEU: 1
; NumVGPRsForWavesPerEU: 1
; NamedBarCnt: 0
; Occupancy: 16
; WaveLimiterHint : 0
; COMPUTE_PGM_RSRC2:SCRATCH_EN: 0
; COMPUTE_PGM_RSRC2:USER_SGPR: 2
; COMPUTE_PGM_RSRC2:TRAP_HANDLER: 0
; COMPUTE_PGM_RSRC2:TGID_X_EN: 1
; COMPUTE_PGM_RSRC2:TGID_Y_EN: 0
; COMPUTE_PGM_RSRC2:TGID_Z_EN: 0
; COMPUTE_PGM_RSRC2:TIDIG_COMP_CNT: 0
	.section	.text._ZN7rocprim17ROCPRIM_400000_NS6detail17trampoline_kernelINS0_14default_configENS1_33run_length_encode_config_selectorIsjNS0_4plusIjEEEEZZNS1_33reduce_by_key_impl_wrapped_configILNS1_25lookback_scan_determinismE0ES3_S7_PKsNS0_17constant_iteratorIjlEEPsPlSF_S6_NS0_8equal_toIsEEEE10hipError_tPvRmT2_T3_mT4_T5_T6_T7_T8_P12ihipStream_tbENKUlT_T0_E_clISt17integral_constantIbLb1EESY_IbLb0EEEEDaSU_SV_EUlSU_E_NS1_11comp_targetILNS1_3genE4ELNS1_11target_archE910ELNS1_3gpuE8ELNS1_3repE0EEENS1_30default_config_static_selectorELNS0_4arch9wavefront6targetE0EEEvT1_,"axG",@progbits,_ZN7rocprim17ROCPRIM_400000_NS6detail17trampoline_kernelINS0_14default_configENS1_33run_length_encode_config_selectorIsjNS0_4plusIjEEEEZZNS1_33reduce_by_key_impl_wrapped_configILNS1_25lookback_scan_determinismE0ES3_S7_PKsNS0_17constant_iteratorIjlEEPsPlSF_S6_NS0_8equal_toIsEEEE10hipError_tPvRmT2_T3_mT4_T5_T6_T7_T8_P12ihipStream_tbENKUlT_T0_E_clISt17integral_constantIbLb1EESY_IbLb0EEEEDaSU_SV_EUlSU_E_NS1_11comp_targetILNS1_3genE4ELNS1_11target_archE910ELNS1_3gpuE8ELNS1_3repE0EEENS1_30default_config_static_selectorELNS0_4arch9wavefront6targetE0EEEvT1_,comdat
	.protected	_ZN7rocprim17ROCPRIM_400000_NS6detail17trampoline_kernelINS0_14default_configENS1_33run_length_encode_config_selectorIsjNS0_4plusIjEEEEZZNS1_33reduce_by_key_impl_wrapped_configILNS1_25lookback_scan_determinismE0ES3_S7_PKsNS0_17constant_iteratorIjlEEPsPlSF_S6_NS0_8equal_toIsEEEE10hipError_tPvRmT2_T3_mT4_T5_T6_T7_T8_P12ihipStream_tbENKUlT_T0_E_clISt17integral_constantIbLb1EESY_IbLb0EEEEDaSU_SV_EUlSU_E_NS1_11comp_targetILNS1_3genE4ELNS1_11target_archE910ELNS1_3gpuE8ELNS1_3repE0EEENS1_30default_config_static_selectorELNS0_4arch9wavefront6targetE0EEEvT1_ ; -- Begin function _ZN7rocprim17ROCPRIM_400000_NS6detail17trampoline_kernelINS0_14default_configENS1_33run_length_encode_config_selectorIsjNS0_4plusIjEEEEZZNS1_33reduce_by_key_impl_wrapped_configILNS1_25lookback_scan_determinismE0ES3_S7_PKsNS0_17constant_iteratorIjlEEPsPlSF_S6_NS0_8equal_toIsEEEE10hipError_tPvRmT2_T3_mT4_T5_T6_T7_T8_P12ihipStream_tbENKUlT_T0_E_clISt17integral_constantIbLb1EESY_IbLb0EEEEDaSU_SV_EUlSU_E_NS1_11comp_targetILNS1_3genE4ELNS1_11target_archE910ELNS1_3gpuE8ELNS1_3repE0EEENS1_30default_config_static_selectorELNS0_4arch9wavefront6targetE0EEEvT1_
	.globl	_ZN7rocprim17ROCPRIM_400000_NS6detail17trampoline_kernelINS0_14default_configENS1_33run_length_encode_config_selectorIsjNS0_4plusIjEEEEZZNS1_33reduce_by_key_impl_wrapped_configILNS1_25lookback_scan_determinismE0ES3_S7_PKsNS0_17constant_iteratorIjlEEPsPlSF_S6_NS0_8equal_toIsEEEE10hipError_tPvRmT2_T3_mT4_T5_T6_T7_T8_P12ihipStream_tbENKUlT_T0_E_clISt17integral_constantIbLb1EESY_IbLb0EEEEDaSU_SV_EUlSU_E_NS1_11comp_targetILNS1_3genE4ELNS1_11target_archE910ELNS1_3gpuE8ELNS1_3repE0EEENS1_30default_config_static_selectorELNS0_4arch9wavefront6targetE0EEEvT1_
	.p2align	8
	.type	_ZN7rocprim17ROCPRIM_400000_NS6detail17trampoline_kernelINS0_14default_configENS1_33run_length_encode_config_selectorIsjNS0_4plusIjEEEEZZNS1_33reduce_by_key_impl_wrapped_configILNS1_25lookback_scan_determinismE0ES3_S7_PKsNS0_17constant_iteratorIjlEEPsPlSF_S6_NS0_8equal_toIsEEEE10hipError_tPvRmT2_T3_mT4_T5_T6_T7_T8_P12ihipStream_tbENKUlT_T0_E_clISt17integral_constantIbLb1EESY_IbLb0EEEEDaSU_SV_EUlSU_E_NS1_11comp_targetILNS1_3genE4ELNS1_11target_archE910ELNS1_3gpuE8ELNS1_3repE0EEENS1_30default_config_static_selectorELNS0_4arch9wavefront6targetE0EEEvT1_,@function
_ZN7rocprim17ROCPRIM_400000_NS6detail17trampoline_kernelINS0_14default_configENS1_33run_length_encode_config_selectorIsjNS0_4plusIjEEEEZZNS1_33reduce_by_key_impl_wrapped_configILNS1_25lookback_scan_determinismE0ES3_S7_PKsNS0_17constant_iteratorIjlEEPsPlSF_S6_NS0_8equal_toIsEEEE10hipError_tPvRmT2_T3_mT4_T5_T6_T7_T8_P12ihipStream_tbENKUlT_T0_E_clISt17integral_constantIbLb1EESY_IbLb0EEEEDaSU_SV_EUlSU_E_NS1_11comp_targetILNS1_3genE4ELNS1_11target_archE910ELNS1_3gpuE8ELNS1_3repE0EEENS1_30default_config_static_selectorELNS0_4arch9wavefront6targetE0EEEvT1_: ; @_ZN7rocprim17ROCPRIM_400000_NS6detail17trampoline_kernelINS0_14default_configENS1_33run_length_encode_config_selectorIsjNS0_4plusIjEEEEZZNS1_33reduce_by_key_impl_wrapped_configILNS1_25lookback_scan_determinismE0ES3_S7_PKsNS0_17constant_iteratorIjlEEPsPlSF_S6_NS0_8equal_toIsEEEE10hipError_tPvRmT2_T3_mT4_T5_T6_T7_T8_P12ihipStream_tbENKUlT_T0_E_clISt17integral_constantIbLb1EESY_IbLb0EEEEDaSU_SV_EUlSU_E_NS1_11comp_targetILNS1_3genE4ELNS1_11target_archE910ELNS1_3gpuE8ELNS1_3repE0EEENS1_30default_config_static_selectorELNS0_4arch9wavefront6targetE0EEEvT1_
; %bb.0:
	.section	.rodata,"a",@progbits
	.p2align	6, 0x0
	.amdhsa_kernel _ZN7rocprim17ROCPRIM_400000_NS6detail17trampoline_kernelINS0_14default_configENS1_33run_length_encode_config_selectorIsjNS0_4plusIjEEEEZZNS1_33reduce_by_key_impl_wrapped_configILNS1_25lookback_scan_determinismE0ES3_S7_PKsNS0_17constant_iteratorIjlEEPsPlSF_S6_NS0_8equal_toIsEEEE10hipError_tPvRmT2_T3_mT4_T5_T6_T7_T8_P12ihipStream_tbENKUlT_T0_E_clISt17integral_constantIbLb1EESY_IbLb0EEEEDaSU_SV_EUlSU_E_NS1_11comp_targetILNS1_3genE4ELNS1_11target_archE910ELNS1_3gpuE8ELNS1_3repE0EEENS1_30default_config_static_selectorELNS0_4arch9wavefront6targetE0EEEvT1_
		.amdhsa_group_segment_fixed_size 0
		.amdhsa_private_segment_fixed_size 0
		.amdhsa_kernarg_size 128
		.amdhsa_user_sgpr_count 2
		.amdhsa_user_sgpr_dispatch_ptr 0
		.amdhsa_user_sgpr_queue_ptr 0
		.amdhsa_user_sgpr_kernarg_segment_ptr 1
		.amdhsa_user_sgpr_dispatch_id 0
		.amdhsa_user_sgpr_kernarg_preload_length 0
		.amdhsa_user_sgpr_kernarg_preload_offset 0
		.amdhsa_user_sgpr_private_segment_size 0
		.amdhsa_wavefront_size32 1
		.amdhsa_uses_dynamic_stack 0
		.amdhsa_enable_private_segment 0
		.amdhsa_system_sgpr_workgroup_id_x 1
		.amdhsa_system_sgpr_workgroup_id_y 0
		.amdhsa_system_sgpr_workgroup_id_z 0
		.amdhsa_system_sgpr_workgroup_info 0
		.amdhsa_system_vgpr_workitem_id 0
		.amdhsa_next_free_vgpr 1
		.amdhsa_next_free_sgpr 1
		.amdhsa_named_barrier_count 0
		.amdhsa_reserve_vcc 0
		.amdhsa_float_round_mode_32 0
		.amdhsa_float_round_mode_16_64 0
		.amdhsa_float_denorm_mode_32 3
		.amdhsa_float_denorm_mode_16_64 3
		.amdhsa_fp16_overflow 0
		.amdhsa_memory_ordered 1
		.amdhsa_forward_progress 1
		.amdhsa_inst_pref_size 0
		.amdhsa_round_robin_scheduling 0
		.amdhsa_exception_fp_ieee_invalid_op 0
		.amdhsa_exception_fp_denorm_src 0
		.amdhsa_exception_fp_ieee_div_zero 0
		.amdhsa_exception_fp_ieee_overflow 0
		.amdhsa_exception_fp_ieee_underflow 0
		.amdhsa_exception_fp_ieee_inexact 0
		.amdhsa_exception_int_div_zero 0
	.end_amdhsa_kernel
	.section	.text._ZN7rocprim17ROCPRIM_400000_NS6detail17trampoline_kernelINS0_14default_configENS1_33run_length_encode_config_selectorIsjNS0_4plusIjEEEEZZNS1_33reduce_by_key_impl_wrapped_configILNS1_25lookback_scan_determinismE0ES3_S7_PKsNS0_17constant_iteratorIjlEEPsPlSF_S6_NS0_8equal_toIsEEEE10hipError_tPvRmT2_T3_mT4_T5_T6_T7_T8_P12ihipStream_tbENKUlT_T0_E_clISt17integral_constantIbLb1EESY_IbLb0EEEEDaSU_SV_EUlSU_E_NS1_11comp_targetILNS1_3genE4ELNS1_11target_archE910ELNS1_3gpuE8ELNS1_3repE0EEENS1_30default_config_static_selectorELNS0_4arch9wavefront6targetE0EEEvT1_,"axG",@progbits,_ZN7rocprim17ROCPRIM_400000_NS6detail17trampoline_kernelINS0_14default_configENS1_33run_length_encode_config_selectorIsjNS0_4plusIjEEEEZZNS1_33reduce_by_key_impl_wrapped_configILNS1_25lookback_scan_determinismE0ES3_S7_PKsNS0_17constant_iteratorIjlEEPsPlSF_S6_NS0_8equal_toIsEEEE10hipError_tPvRmT2_T3_mT4_T5_T6_T7_T8_P12ihipStream_tbENKUlT_T0_E_clISt17integral_constantIbLb1EESY_IbLb0EEEEDaSU_SV_EUlSU_E_NS1_11comp_targetILNS1_3genE4ELNS1_11target_archE910ELNS1_3gpuE8ELNS1_3repE0EEENS1_30default_config_static_selectorELNS0_4arch9wavefront6targetE0EEEvT1_,comdat
.Lfunc_end600:
	.size	_ZN7rocprim17ROCPRIM_400000_NS6detail17trampoline_kernelINS0_14default_configENS1_33run_length_encode_config_selectorIsjNS0_4plusIjEEEEZZNS1_33reduce_by_key_impl_wrapped_configILNS1_25lookback_scan_determinismE0ES3_S7_PKsNS0_17constant_iteratorIjlEEPsPlSF_S6_NS0_8equal_toIsEEEE10hipError_tPvRmT2_T3_mT4_T5_T6_T7_T8_P12ihipStream_tbENKUlT_T0_E_clISt17integral_constantIbLb1EESY_IbLb0EEEEDaSU_SV_EUlSU_E_NS1_11comp_targetILNS1_3genE4ELNS1_11target_archE910ELNS1_3gpuE8ELNS1_3repE0EEENS1_30default_config_static_selectorELNS0_4arch9wavefront6targetE0EEEvT1_, .Lfunc_end600-_ZN7rocprim17ROCPRIM_400000_NS6detail17trampoline_kernelINS0_14default_configENS1_33run_length_encode_config_selectorIsjNS0_4plusIjEEEEZZNS1_33reduce_by_key_impl_wrapped_configILNS1_25lookback_scan_determinismE0ES3_S7_PKsNS0_17constant_iteratorIjlEEPsPlSF_S6_NS0_8equal_toIsEEEE10hipError_tPvRmT2_T3_mT4_T5_T6_T7_T8_P12ihipStream_tbENKUlT_T0_E_clISt17integral_constantIbLb1EESY_IbLb0EEEEDaSU_SV_EUlSU_E_NS1_11comp_targetILNS1_3genE4ELNS1_11target_archE910ELNS1_3gpuE8ELNS1_3repE0EEENS1_30default_config_static_selectorELNS0_4arch9wavefront6targetE0EEEvT1_
                                        ; -- End function
	.set _ZN7rocprim17ROCPRIM_400000_NS6detail17trampoline_kernelINS0_14default_configENS1_33run_length_encode_config_selectorIsjNS0_4plusIjEEEEZZNS1_33reduce_by_key_impl_wrapped_configILNS1_25lookback_scan_determinismE0ES3_S7_PKsNS0_17constant_iteratorIjlEEPsPlSF_S6_NS0_8equal_toIsEEEE10hipError_tPvRmT2_T3_mT4_T5_T6_T7_T8_P12ihipStream_tbENKUlT_T0_E_clISt17integral_constantIbLb1EESY_IbLb0EEEEDaSU_SV_EUlSU_E_NS1_11comp_targetILNS1_3genE4ELNS1_11target_archE910ELNS1_3gpuE8ELNS1_3repE0EEENS1_30default_config_static_selectorELNS0_4arch9wavefront6targetE0EEEvT1_.num_vgpr, 0
	.set _ZN7rocprim17ROCPRIM_400000_NS6detail17trampoline_kernelINS0_14default_configENS1_33run_length_encode_config_selectorIsjNS0_4plusIjEEEEZZNS1_33reduce_by_key_impl_wrapped_configILNS1_25lookback_scan_determinismE0ES3_S7_PKsNS0_17constant_iteratorIjlEEPsPlSF_S6_NS0_8equal_toIsEEEE10hipError_tPvRmT2_T3_mT4_T5_T6_T7_T8_P12ihipStream_tbENKUlT_T0_E_clISt17integral_constantIbLb1EESY_IbLb0EEEEDaSU_SV_EUlSU_E_NS1_11comp_targetILNS1_3genE4ELNS1_11target_archE910ELNS1_3gpuE8ELNS1_3repE0EEENS1_30default_config_static_selectorELNS0_4arch9wavefront6targetE0EEEvT1_.num_agpr, 0
	.set _ZN7rocprim17ROCPRIM_400000_NS6detail17trampoline_kernelINS0_14default_configENS1_33run_length_encode_config_selectorIsjNS0_4plusIjEEEEZZNS1_33reduce_by_key_impl_wrapped_configILNS1_25lookback_scan_determinismE0ES3_S7_PKsNS0_17constant_iteratorIjlEEPsPlSF_S6_NS0_8equal_toIsEEEE10hipError_tPvRmT2_T3_mT4_T5_T6_T7_T8_P12ihipStream_tbENKUlT_T0_E_clISt17integral_constantIbLb1EESY_IbLb0EEEEDaSU_SV_EUlSU_E_NS1_11comp_targetILNS1_3genE4ELNS1_11target_archE910ELNS1_3gpuE8ELNS1_3repE0EEENS1_30default_config_static_selectorELNS0_4arch9wavefront6targetE0EEEvT1_.numbered_sgpr, 0
	.set _ZN7rocprim17ROCPRIM_400000_NS6detail17trampoline_kernelINS0_14default_configENS1_33run_length_encode_config_selectorIsjNS0_4plusIjEEEEZZNS1_33reduce_by_key_impl_wrapped_configILNS1_25lookback_scan_determinismE0ES3_S7_PKsNS0_17constant_iteratorIjlEEPsPlSF_S6_NS0_8equal_toIsEEEE10hipError_tPvRmT2_T3_mT4_T5_T6_T7_T8_P12ihipStream_tbENKUlT_T0_E_clISt17integral_constantIbLb1EESY_IbLb0EEEEDaSU_SV_EUlSU_E_NS1_11comp_targetILNS1_3genE4ELNS1_11target_archE910ELNS1_3gpuE8ELNS1_3repE0EEENS1_30default_config_static_selectorELNS0_4arch9wavefront6targetE0EEEvT1_.num_named_barrier, 0
	.set _ZN7rocprim17ROCPRIM_400000_NS6detail17trampoline_kernelINS0_14default_configENS1_33run_length_encode_config_selectorIsjNS0_4plusIjEEEEZZNS1_33reduce_by_key_impl_wrapped_configILNS1_25lookback_scan_determinismE0ES3_S7_PKsNS0_17constant_iteratorIjlEEPsPlSF_S6_NS0_8equal_toIsEEEE10hipError_tPvRmT2_T3_mT4_T5_T6_T7_T8_P12ihipStream_tbENKUlT_T0_E_clISt17integral_constantIbLb1EESY_IbLb0EEEEDaSU_SV_EUlSU_E_NS1_11comp_targetILNS1_3genE4ELNS1_11target_archE910ELNS1_3gpuE8ELNS1_3repE0EEENS1_30default_config_static_selectorELNS0_4arch9wavefront6targetE0EEEvT1_.private_seg_size, 0
	.set _ZN7rocprim17ROCPRIM_400000_NS6detail17trampoline_kernelINS0_14default_configENS1_33run_length_encode_config_selectorIsjNS0_4plusIjEEEEZZNS1_33reduce_by_key_impl_wrapped_configILNS1_25lookback_scan_determinismE0ES3_S7_PKsNS0_17constant_iteratorIjlEEPsPlSF_S6_NS0_8equal_toIsEEEE10hipError_tPvRmT2_T3_mT4_T5_T6_T7_T8_P12ihipStream_tbENKUlT_T0_E_clISt17integral_constantIbLb1EESY_IbLb0EEEEDaSU_SV_EUlSU_E_NS1_11comp_targetILNS1_3genE4ELNS1_11target_archE910ELNS1_3gpuE8ELNS1_3repE0EEENS1_30default_config_static_selectorELNS0_4arch9wavefront6targetE0EEEvT1_.uses_vcc, 0
	.set _ZN7rocprim17ROCPRIM_400000_NS6detail17trampoline_kernelINS0_14default_configENS1_33run_length_encode_config_selectorIsjNS0_4plusIjEEEEZZNS1_33reduce_by_key_impl_wrapped_configILNS1_25lookback_scan_determinismE0ES3_S7_PKsNS0_17constant_iteratorIjlEEPsPlSF_S6_NS0_8equal_toIsEEEE10hipError_tPvRmT2_T3_mT4_T5_T6_T7_T8_P12ihipStream_tbENKUlT_T0_E_clISt17integral_constantIbLb1EESY_IbLb0EEEEDaSU_SV_EUlSU_E_NS1_11comp_targetILNS1_3genE4ELNS1_11target_archE910ELNS1_3gpuE8ELNS1_3repE0EEENS1_30default_config_static_selectorELNS0_4arch9wavefront6targetE0EEEvT1_.uses_flat_scratch, 0
	.set _ZN7rocprim17ROCPRIM_400000_NS6detail17trampoline_kernelINS0_14default_configENS1_33run_length_encode_config_selectorIsjNS0_4plusIjEEEEZZNS1_33reduce_by_key_impl_wrapped_configILNS1_25lookback_scan_determinismE0ES3_S7_PKsNS0_17constant_iteratorIjlEEPsPlSF_S6_NS0_8equal_toIsEEEE10hipError_tPvRmT2_T3_mT4_T5_T6_T7_T8_P12ihipStream_tbENKUlT_T0_E_clISt17integral_constantIbLb1EESY_IbLb0EEEEDaSU_SV_EUlSU_E_NS1_11comp_targetILNS1_3genE4ELNS1_11target_archE910ELNS1_3gpuE8ELNS1_3repE0EEENS1_30default_config_static_selectorELNS0_4arch9wavefront6targetE0EEEvT1_.has_dyn_sized_stack, 0
	.set _ZN7rocprim17ROCPRIM_400000_NS6detail17trampoline_kernelINS0_14default_configENS1_33run_length_encode_config_selectorIsjNS0_4plusIjEEEEZZNS1_33reduce_by_key_impl_wrapped_configILNS1_25lookback_scan_determinismE0ES3_S7_PKsNS0_17constant_iteratorIjlEEPsPlSF_S6_NS0_8equal_toIsEEEE10hipError_tPvRmT2_T3_mT4_T5_T6_T7_T8_P12ihipStream_tbENKUlT_T0_E_clISt17integral_constantIbLb1EESY_IbLb0EEEEDaSU_SV_EUlSU_E_NS1_11comp_targetILNS1_3genE4ELNS1_11target_archE910ELNS1_3gpuE8ELNS1_3repE0EEENS1_30default_config_static_selectorELNS0_4arch9wavefront6targetE0EEEvT1_.has_recursion, 0
	.set _ZN7rocprim17ROCPRIM_400000_NS6detail17trampoline_kernelINS0_14default_configENS1_33run_length_encode_config_selectorIsjNS0_4plusIjEEEEZZNS1_33reduce_by_key_impl_wrapped_configILNS1_25lookback_scan_determinismE0ES3_S7_PKsNS0_17constant_iteratorIjlEEPsPlSF_S6_NS0_8equal_toIsEEEE10hipError_tPvRmT2_T3_mT4_T5_T6_T7_T8_P12ihipStream_tbENKUlT_T0_E_clISt17integral_constantIbLb1EESY_IbLb0EEEEDaSU_SV_EUlSU_E_NS1_11comp_targetILNS1_3genE4ELNS1_11target_archE910ELNS1_3gpuE8ELNS1_3repE0EEENS1_30default_config_static_selectorELNS0_4arch9wavefront6targetE0EEEvT1_.has_indirect_call, 0
	.section	.AMDGPU.csdata,"",@progbits
; Kernel info:
; codeLenInByte = 0
; TotalNumSgprs: 0
; NumVgprs: 0
; ScratchSize: 0
; MemoryBound: 0
; FloatMode: 240
; IeeeMode: 1
; LDSByteSize: 0 bytes/workgroup (compile time only)
; SGPRBlocks: 0
; VGPRBlocks: 0
; NumSGPRsForWavesPerEU: 1
; NumVGPRsForWavesPerEU: 1
; NamedBarCnt: 0
; Occupancy: 16
; WaveLimiterHint : 0
; COMPUTE_PGM_RSRC2:SCRATCH_EN: 0
; COMPUTE_PGM_RSRC2:USER_SGPR: 2
; COMPUTE_PGM_RSRC2:TRAP_HANDLER: 0
; COMPUTE_PGM_RSRC2:TGID_X_EN: 1
; COMPUTE_PGM_RSRC2:TGID_Y_EN: 0
; COMPUTE_PGM_RSRC2:TGID_Z_EN: 0
; COMPUTE_PGM_RSRC2:TIDIG_COMP_CNT: 0
	.section	.text._ZN7rocprim17ROCPRIM_400000_NS6detail17trampoline_kernelINS0_14default_configENS1_33run_length_encode_config_selectorIsjNS0_4plusIjEEEEZZNS1_33reduce_by_key_impl_wrapped_configILNS1_25lookback_scan_determinismE0ES3_S7_PKsNS0_17constant_iteratorIjlEEPsPlSF_S6_NS0_8equal_toIsEEEE10hipError_tPvRmT2_T3_mT4_T5_T6_T7_T8_P12ihipStream_tbENKUlT_T0_E_clISt17integral_constantIbLb1EESY_IbLb0EEEEDaSU_SV_EUlSU_E_NS1_11comp_targetILNS1_3genE3ELNS1_11target_archE908ELNS1_3gpuE7ELNS1_3repE0EEENS1_30default_config_static_selectorELNS0_4arch9wavefront6targetE0EEEvT1_,"axG",@progbits,_ZN7rocprim17ROCPRIM_400000_NS6detail17trampoline_kernelINS0_14default_configENS1_33run_length_encode_config_selectorIsjNS0_4plusIjEEEEZZNS1_33reduce_by_key_impl_wrapped_configILNS1_25lookback_scan_determinismE0ES3_S7_PKsNS0_17constant_iteratorIjlEEPsPlSF_S6_NS0_8equal_toIsEEEE10hipError_tPvRmT2_T3_mT4_T5_T6_T7_T8_P12ihipStream_tbENKUlT_T0_E_clISt17integral_constantIbLb1EESY_IbLb0EEEEDaSU_SV_EUlSU_E_NS1_11comp_targetILNS1_3genE3ELNS1_11target_archE908ELNS1_3gpuE7ELNS1_3repE0EEENS1_30default_config_static_selectorELNS0_4arch9wavefront6targetE0EEEvT1_,comdat
	.protected	_ZN7rocprim17ROCPRIM_400000_NS6detail17trampoline_kernelINS0_14default_configENS1_33run_length_encode_config_selectorIsjNS0_4plusIjEEEEZZNS1_33reduce_by_key_impl_wrapped_configILNS1_25lookback_scan_determinismE0ES3_S7_PKsNS0_17constant_iteratorIjlEEPsPlSF_S6_NS0_8equal_toIsEEEE10hipError_tPvRmT2_T3_mT4_T5_T6_T7_T8_P12ihipStream_tbENKUlT_T0_E_clISt17integral_constantIbLb1EESY_IbLb0EEEEDaSU_SV_EUlSU_E_NS1_11comp_targetILNS1_3genE3ELNS1_11target_archE908ELNS1_3gpuE7ELNS1_3repE0EEENS1_30default_config_static_selectorELNS0_4arch9wavefront6targetE0EEEvT1_ ; -- Begin function _ZN7rocprim17ROCPRIM_400000_NS6detail17trampoline_kernelINS0_14default_configENS1_33run_length_encode_config_selectorIsjNS0_4plusIjEEEEZZNS1_33reduce_by_key_impl_wrapped_configILNS1_25lookback_scan_determinismE0ES3_S7_PKsNS0_17constant_iteratorIjlEEPsPlSF_S6_NS0_8equal_toIsEEEE10hipError_tPvRmT2_T3_mT4_T5_T6_T7_T8_P12ihipStream_tbENKUlT_T0_E_clISt17integral_constantIbLb1EESY_IbLb0EEEEDaSU_SV_EUlSU_E_NS1_11comp_targetILNS1_3genE3ELNS1_11target_archE908ELNS1_3gpuE7ELNS1_3repE0EEENS1_30default_config_static_selectorELNS0_4arch9wavefront6targetE0EEEvT1_
	.globl	_ZN7rocprim17ROCPRIM_400000_NS6detail17trampoline_kernelINS0_14default_configENS1_33run_length_encode_config_selectorIsjNS0_4plusIjEEEEZZNS1_33reduce_by_key_impl_wrapped_configILNS1_25lookback_scan_determinismE0ES3_S7_PKsNS0_17constant_iteratorIjlEEPsPlSF_S6_NS0_8equal_toIsEEEE10hipError_tPvRmT2_T3_mT4_T5_T6_T7_T8_P12ihipStream_tbENKUlT_T0_E_clISt17integral_constantIbLb1EESY_IbLb0EEEEDaSU_SV_EUlSU_E_NS1_11comp_targetILNS1_3genE3ELNS1_11target_archE908ELNS1_3gpuE7ELNS1_3repE0EEENS1_30default_config_static_selectorELNS0_4arch9wavefront6targetE0EEEvT1_
	.p2align	8
	.type	_ZN7rocprim17ROCPRIM_400000_NS6detail17trampoline_kernelINS0_14default_configENS1_33run_length_encode_config_selectorIsjNS0_4plusIjEEEEZZNS1_33reduce_by_key_impl_wrapped_configILNS1_25lookback_scan_determinismE0ES3_S7_PKsNS0_17constant_iteratorIjlEEPsPlSF_S6_NS0_8equal_toIsEEEE10hipError_tPvRmT2_T3_mT4_T5_T6_T7_T8_P12ihipStream_tbENKUlT_T0_E_clISt17integral_constantIbLb1EESY_IbLb0EEEEDaSU_SV_EUlSU_E_NS1_11comp_targetILNS1_3genE3ELNS1_11target_archE908ELNS1_3gpuE7ELNS1_3repE0EEENS1_30default_config_static_selectorELNS0_4arch9wavefront6targetE0EEEvT1_,@function
_ZN7rocprim17ROCPRIM_400000_NS6detail17trampoline_kernelINS0_14default_configENS1_33run_length_encode_config_selectorIsjNS0_4plusIjEEEEZZNS1_33reduce_by_key_impl_wrapped_configILNS1_25lookback_scan_determinismE0ES3_S7_PKsNS0_17constant_iteratorIjlEEPsPlSF_S6_NS0_8equal_toIsEEEE10hipError_tPvRmT2_T3_mT4_T5_T6_T7_T8_P12ihipStream_tbENKUlT_T0_E_clISt17integral_constantIbLb1EESY_IbLb0EEEEDaSU_SV_EUlSU_E_NS1_11comp_targetILNS1_3genE3ELNS1_11target_archE908ELNS1_3gpuE7ELNS1_3repE0EEENS1_30default_config_static_selectorELNS0_4arch9wavefront6targetE0EEEvT1_: ; @_ZN7rocprim17ROCPRIM_400000_NS6detail17trampoline_kernelINS0_14default_configENS1_33run_length_encode_config_selectorIsjNS0_4plusIjEEEEZZNS1_33reduce_by_key_impl_wrapped_configILNS1_25lookback_scan_determinismE0ES3_S7_PKsNS0_17constant_iteratorIjlEEPsPlSF_S6_NS0_8equal_toIsEEEE10hipError_tPvRmT2_T3_mT4_T5_T6_T7_T8_P12ihipStream_tbENKUlT_T0_E_clISt17integral_constantIbLb1EESY_IbLb0EEEEDaSU_SV_EUlSU_E_NS1_11comp_targetILNS1_3genE3ELNS1_11target_archE908ELNS1_3gpuE7ELNS1_3repE0EEENS1_30default_config_static_selectorELNS0_4arch9wavefront6targetE0EEEvT1_
; %bb.0:
	.section	.rodata,"a",@progbits
	.p2align	6, 0x0
	.amdhsa_kernel _ZN7rocprim17ROCPRIM_400000_NS6detail17trampoline_kernelINS0_14default_configENS1_33run_length_encode_config_selectorIsjNS0_4plusIjEEEEZZNS1_33reduce_by_key_impl_wrapped_configILNS1_25lookback_scan_determinismE0ES3_S7_PKsNS0_17constant_iteratorIjlEEPsPlSF_S6_NS0_8equal_toIsEEEE10hipError_tPvRmT2_T3_mT4_T5_T6_T7_T8_P12ihipStream_tbENKUlT_T0_E_clISt17integral_constantIbLb1EESY_IbLb0EEEEDaSU_SV_EUlSU_E_NS1_11comp_targetILNS1_3genE3ELNS1_11target_archE908ELNS1_3gpuE7ELNS1_3repE0EEENS1_30default_config_static_selectorELNS0_4arch9wavefront6targetE0EEEvT1_
		.amdhsa_group_segment_fixed_size 0
		.amdhsa_private_segment_fixed_size 0
		.amdhsa_kernarg_size 128
		.amdhsa_user_sgpr_count 2
		.amdhsa_user_sgpr_dispatch_ptr 0
		.amdhsa_user_sgpr_queue_ptr 0
		.amdhsa_user_sgpr_kernarg_segment_ptr 1
		.amdhsa_user_sgpr_dispatch_id 0
		.amdhsa_user_sgpr_kernarg_preload_length 0
		.amdhsa_user_sgpr_kernarg_preload_offset 0
		.amdhsa_user_sgpr_private_segment_size 0
		.amdhsa_wavefront_size32 1
		.amdhsa_uses_dynamic_stack 0
		.amdhsa_enable_private_segment 0
		.amdhsa_system_sgpr_workgroup_id_x 1
		.amdhsa_system_sgpr_workgroup_id_y 0
		.amdhsa_system_sgpr_workgroup_id_z 0
		.amdhsa_system_sgpr_workgroup_info 0
		.amdhsa_system_vgpr_workitem_id 0
		.amdhsa_next_free_vgpr 1
		.amdhsa_next_free_sgpr 1
		.amdhsa_named_barrier_count 0
		.amdhsa_reserve_vcc 0
		.amdhsa_float_round_mode_32 0
		.amdhsa_float_round_mode_16_64 0
		.amdhsa_float_denorm_mode_32 3
		.amdhsa_float_denorm_mode_16_64 3
		.amdhsa_fp16_overflow 0
		.amdhsa_memory_ordered 1
		.amdhsa_forward_progress 1
		.amdhsa_inst_pref_size 0
		.amdhsa_round_robin_scheduling 0
		.amdhsa_exception_fp_ieee_invalid_op 0
		.amdhsa_exception_fp_denorm_src 0
		.amdhsa_exception_fp_ieee_div_zero 0
		.amdhsa_exception_fp_ieee_overflow 0
		.amdhsa_exception_fp_ieee_underflow 0
		.amdhsa_exception_fp_ieee_inexact 0
		.amdhsa_exception_int_div_zero 0
	.end_amdhsa_kernel
	.section	.text._ZN7rocprim17ROCPRIM_400000_NS6detail17trampoline_kernelINS0_14default_configENS1_33run_length_encode_config_selectorIsjNS0_4plusIjEEEEZZNS1_33reduce_by_key_impl_wrapped_configILNS1_25lookback_scan_determinismE0ES3_S7_PKsNS0_17constant_iteratorIjlEEPsPlSF_S6_NS0_8equal_toIsEEEE10hipError_tPvRmT2_T3_mT4_T5_T6_T7_T8_P12ihipStream_tbENKUlT_T0_E_clISt17integral_constantIbLb1EESY_IbLb0EEEEDaSU_SV_EUlSU_E_NS1_11comp_targetILNS1_3genE3ELNS1_11target_archE908ELNS1_3gpuE7ELNS1_3repE0EEENS1_30default_config_static_selectorELNS0_4arch9wavefront6targetE0EEEvT1_,"axG",@progbits,_ZN7rocprim17ROCPRIM_400000_NS6detail17trampoline_kernelINS0_14default_configENS1_33run_length_encode_config_selectorIsjNS0_4plusIjEEEEZZNS1_33reduce_by_key_impl_wrapped_configILNS1_25lookback_scan_determinismE0ES3_S7_PKsNS0_17constant_iteratorIjlEEPsPlSF_S6_NS0_8equal_toIsEEEE10hipError_tPvRmT2_T3_mT4_T5_T6_T7_T8_P12ihipStream_tbENKUlT_T0_E_clISt17integral_constantIbLb1EESY_IbLb0EEEEDaSU_SV_EUlSU_E_NS1_11comp_targetILNS1_3genE3ELNS1_11target_archE908ELNS1_3gpuE7ELNS1_3repE0EEENS1_30default_config_static_selectorELNS0_4arch9wavefront6targetE0EEEvT1_,comdat
.Lfunc_end601:
	.size	_ZN7rocprim17ROCPRIM_400000_NS6detail17trampoline_kernelINS0_14default_configENS1_33run_length_encode_config_selectorIsjNS0_4plusIjEEEEZZNS1_33reduce_by_key_impl_wrapped_configILNS1_25lookback_scan_determinismE0ES3_S7_PKsNS0_17constant_iteratorIjlEEPsPlSF_S6_NS0_8equal_toIsEEEE10hipError_tPvRmT2_T3_mT4_T5_T6_T7_T8_P12ihipStream_tbENKUlT_T0_E_clISt17integral_constantIbLb1EESY_IbLb0EEEEDaSU_SV_EUlSU_E_NS1_11comp_targetILNS1_3genE3ELNS1_11target_archE908ELNS1_3gpuE7ELNS1_3repE0EEENS1_30default_config_static_selectorELNS0_4arch9wavefront6targetE0EEEvT1_, .Lfunc_end601-_ZN7rocprim17ROCPRIM_400000_NS6detail17trampoline_kernelINS0_14default_configENS1_33run_length_encode_config_selectorIsjNS0_4plusIjEEEEZZNS1_33reduce_by_key_impl_wrapped_configILNS1_25lookback_scan_determinismE0ES3_S7_PKsNS0_17constant_iteratorIjlEEPsPlSF_S6_NS0_8equal_toIsEEEE10hipError_tPvRmT2_T3_mT4_T5_T6_T7_T8_P12ihipStream_tbENKUlT_T0_E_clISt17integral_constantIbLb1EESY_IbLb0EEEEDaSU_SV_EUlSU_E_NS1_11comp_targetILNS1_3genE3ELNS1_11target_archE908ELNS1_3gpuE7ELNS1_3repE0EEENS1_30default_config_static_selectorELNS0_4arch9wavefront6targetE0EEEvT1_
                                        ; -- End function
	.set _ZN7rocprim17ROCPRIM_400000_NS6detail17trampoline_kernelINS0_14default_configENS1_33run_length_encode_config_selectorIsjNS0_4plusIjEEEEZZNS1_33reduce_by_key_impl_wrapped_configILNS1_25lookback_scan_determinismE0ES3_S7_PKsNS0_17constant_iteratorIjlEEPsPlSF_S6_NS0_8equal_toIsEEEE10hipError_tPvRmT2_T3_mT4_T5_T6_T7_T8_P12ihipStream_tbENKUlT_T0_E_clISt17integral_constantIbLb1EESY_IbLb0EEEEDaSU_SV_EUlSU_E_NS1_11comp_targetILNS1_3genE3ELNS1_11target_archE908ELNS1_3gpuE7ELNS1_3repE0EEENS1_30default_config_static_selectorELNS0_4arch9wavefront6targetE0EEEvT1_.num_vgpr, 0
	.set _ZN7rocprim17ROCPRIM_400000_NS6detail17trampoline_kernelINS0_14default_configENS1_33run_length_encode_config_selectorIsjNS0_4plusIjEEEEZZNS1_33reduce_by_key_impl_wrapped_configILNS1_25lookback_scan_determinismE0ES3_S7_PKsNS0_17constant_iteratorIjlEEPsPlSF_S6_NS0_8equal_toIsEEEE10hipError_tPvRmT2_T3_mT4_T5_T6_T7_T8_P12ihipStream_tbENKUlT_T0_E_clISt17integral_constantIbLb1EESY_IbLb0EEEEDaSU_SV_EUlSU_E_NS1_11comp_targetILNS1_3genE3ELNS1_11target_archE908ELNS1_3gpuE7ELNS1_3repE0EEENS1_30default_config_static_selectorELNS0_4arch9wavefront6targetE0EEEvT1_.num_agpr, 0
	.set _ZN7rocprim17ROCPRIM_400000_NS6detail17trampoline_kernelINS0_14default_configENS1_33run_length_encode_config_selectorIsjNS0_4plusIjEEEEZZNS1_33reduce_by_key_impl_wrapped_configILNS1_25lookback_scan_determinismE0ES3_S7_PKsNS0_17constant_iteratorIjlEEPsPlSF_S6_NS0_8equal_toIsEEEE10hipError_tPvRmT2_T3_mT4_T5_T6_T7_T8_P12ihipStream_tbENKUlT_T0_E_clISt17integral_constantIbLb1EESY_IbLb0EEEEDaSU_SV_EUlSU_E_NS1_11comp_targetILNS1_3genE3ELNS1_11target_archE908ELNS1_3gpuE7ELNS1_3repE0EEENS1_30default_config_static_selectorELNS0_4arch9wavefront6targetE0EEEvT1_.numbered_sgpr, 0
	.set _ZN7rocprim17ROCPRIM_400000_NS6detail17trampoline_kernelINS0_14default_configENS1_33run_length_encode_config_selectorIsjNS0_4plusIjEEEEZZNS1_33reduce_by_key_impl_wrapped_configILNS1_25lookback_scan_determinismE0ES3_S7_PKsNS0_17constant_iteratorIjlEEPsPlSF_S6_NS0_8equal_toIsEEEE10hipError_tPvRmT2_T3_mT4_T5_T6_T7_T8_P12ihipStream_tbENKUlT_T0_E_clISt17integral_constantIbLb1EESY_IbLb0EEEEDaSU_SV_EUlSU_E_NS1_11comp_targetILNS1_3genE3ELNS1_11target_archE908ELNS1_3gpuE7ELNS1_3repE0EEENS1_30default_config_static_selectorELNS0_4arch9wavefront6targetE0EEEvT1_.num_named_barrier, 0
	.set _ZN7rocprim17ROCPRIM_400000_NS6detail17trampoline_kernelINS0_14default_configENS1_33run_length_encode_config_selectorIsjNS0_4plusIjEEEEZZNS1_33reduce_by_key_impl_wrapped_configILNS1_25lookback_scan_determinismE0ES3_S7_PKsNS0_17constant_iteratorIjlEEPsPlSF_S6_NS0_8equal_toIsEEEE10hipError_tPvRmT2_T3_mT4_T5_T6_T7_T8_P12ihipStream_tbENKUlT_T0_E_clISt17integral_constantIbLb1EESY_IbLb0EEEEDaSU_SV_EUlSU_E_NS1_11comp_targetILNS1_3genE3ELNS1_11target_archE908ELNS1_3gpuE7ELNS1_3repE0EEENS1_30default_config_static_selectorELNS0_4arch9wavefront6targetE0EEEvT1_.private_seg_size, 0
	.set _ZN7rocprim17ROCPRIM_400000_NS6detail17trampoline_kernelINS0_14default_configENS1_33run_length_encode_config_selectorIsjNS0_4plusIjEEEEZZNS1_33reduce_by_key_impl_wrapped_configILNS1_25lookback_scan_determinismE0ES3_S7_PKsNS0_17constant_iteratorIjlEEPsPlSF_S6_NS0_8equal_toIsEEEE10hipError_tPvRmT2_T3_mT4_T5_T6_T7_T8_P12ihipStream_tbENKUlT_T0_E_clISt17integral_constantIbLb1EESY_IbLb0EEEEDaSU_SV_EUlSU_E_NS1_11comp_targetILNS1_3genE3ELNS1_11target_archE908ELNS1_3gpuE7ELNS1_3repE0EEENS1_30default_config_static_selectorELNS0_4arch9wavefront6targetE0EEEvT1_.uses_vcc, 0
	.set _ZN7rocprim17ROCPRIM_400000_NS6detail17trampoline_kernelINS0_14default_configENS1_33run_length_encode_config_selectorIsjNS0_4plusIjEEEEZZNS1_33reduce_by_key_impl_wrapped_configILNS1_25lookback_scan_determinismE0ES3_S7_PKsNS0_17constant_iteratorIjlEEPsPlSF_S6_NS0_8equal_toIsEEEE10hipError_tPvRmT2_T3_mT4_T5_T6_T7_T8_P12ihipStream_tbENKUlT_T0_E_clISt17integral_constantIbLb1EESY_IbLb0EEEEDaSU_SV_EUlSU_E_NS1_11comp_targetILNS1_3genE3ELNS1_11target_archE908ELNS1_3gpuE7ELNS1_3repE0EEENS1_30default_config_static_selectorELNS0_4arch9wavefront6targetE0EEEvT1_.uses_flat_scratch, 0
	.set _ZN7rocprim17ROCPRIM_400000_NS6detail17trampoline_kernelINS0_14default_configENS1_33run_length_encode_config_selectorIsjNS0_4plusIjEEEEZZNS1_33reduce_by_key_impl_wrapped_configILNS1_25lookback_scan_determinismE0ES3_S7_PKsNS0_17constant_iteratorIjlEEPsPlSF_S6_NS0_8equal_toIsEEEE10hipError_tPvRmT2_T3_mT4_T5_T6_T7_T8_P12ihipStream_tbENKUlT_T0_E_clISt17integral_constantIbLb1EESY_IbLb0EEEEDaSU_SV_EUlSU_E_NS1_11comp_targetILNS1_3genE3ELNS1_11target_archE908ELNS1_3gpuE7ELNS1_3repE0EEENS1_30default_config_static_selectorELNS0_4arch9wavefront6targetE0EEEvT1_.has_dyn_sized_stack, 0
	.set _ZN7rocprim17ROCPRIM_400000_NS6detail17trampoline_kernelINS0_14default_configENS1_33run_length_encode_config_selectorIsjNS0_4plusIjEEEEZZNS1_33reduce_by_key_impl_wrapped_configILNS1_25lookback_scan_determinismE0ES3_S7_PKsNS0_17constant_iteratorIjlEEPsPlSF_S6_NS0_8equal_toIsEEEE10hipError_tPvRmT2_T3_mT4_T5_T6_T7_T8_P12ihipStream_tbENKUlT_T0_E_clISt17integral_constantIbLb1EESY_IbLb0EEEEDaSU_SV_EUlSU_E_NS1_11comp_targetILNS1_3genE3ELNS1_11target_archE908ELNS1_3gpuE7ELNS1_3repE0EEENS1_30default_config_static_selectorELNS0_4arch9wavefront6targetE0EEEvT1_.has_recursion, 0
	.set _ZN7rocprim17ROCPRIM_400000_NS6detail17trampoline_kernelINS0_14default_configENS1_33run_length_encode_config_selectorIsjNS0_4plusIjEEEEZZNS1_33reduce_by_key_impl_wrapped_configILNS1_25lookback_scan_determinismE0ES3_S7_PKsNS0_17constant_iteratorIjlEEPsPlSF_S6_NS0_8equal_toIsEEEE10hipError_tPvRmT2_T3_mT4_T5_T6_T7_T8_P12ihipStream_tbENKUlT_T0_E_clISt17integral_constantIbLb1EESY_IbLb0EEEEDaSU_SV_EUlSU_E_NS1_11comp_targetILNS1_3genE3ELNS1_11target_archE908ELNS1_3gpuE7ELNS1_3repE0EEENS1_30default_config_static_selectorELNS0_4arch9wavefront6targetE0EEEvT1_.has_indirect_call, 0
	.section	.AMDGPU.csdata,"",@progbits
; Kernel info:
; codeLenInByte = 0
; TotalNumSgprs: 0
; NumVgprs: 0
; ScratchSize: 0
; MemoryBound: 0
; FloatMode: 240
; IeeeMode: 1
; LDSByteSize: 0 bytes/workgroup (compile time only)
; SGPRBlocks: 0
; VGPRBlocks: 0
; NumSGPRsForWavesPerEU: 1
; NumVGPRsForWavesPerEU: 1
; NamedBarCnt: 0
; Occupancy: 16
; WaveLimiterHint : 0
; COMPUTE_PGM_RSRC2:SCRATCH_EN: 0
; COMPUTE_PGM_RSRC2:USER_SGPR: 2
; COMPUTE_PGM_RSRC2:TRAP_HANDLER: 0
; COMPUTE_PGM_RSRC2:TGID_X_EN: 1
; COMPUTE_PGM_RSRC2:TGID_Y_EN: 0
; COMPUTE_PGM_RSRC2:TGID_Z_EN: 0
; COMPUTE_PGM_RSRC2:TIDIG_COMP_CNT: 0
	.section	.text._ZN7rocprim17ROCPRIM_400000_NS6detail17trampoline_kernelINS0_14default_configENS1_33run_length_encode_config_selectorIsjNS0_4plusIjEEEEZZNS1_33reduce_by_key_impl_wrapped_configILNS1_25lookback_scan_determinismE0ES3_S7_PKsNS0_17constant_iteratorIjlEEPsPlSF_S6_NS0_8equal_toIsEEEE10hipError_tPvRmT2_T3_mT4_T5_T6_T7_T8_P12ihipStream_tbENKUlT_T0_E_clISt17integral_constantIbLb1EESY_IbLb0EEEEDaSU_SV_EUlSU_E_NS1_11comp_targetILNS1_3genE2ELNS1_11target_archE906ELNS1_3gpuE6ELNS1_3repE0EEENS1_30default_config_static_selectorELNS0_4arch9wavefront6targetE0EEEvT1_,"axG",@progbits,_ZN7rocprim17ROCPRIM_400000_NS6detail17trampoline_kernelINS0_14default_configENS1_33run_length_encode_config_selectorIsjNS0_4plusIjEEEEZZNS1_33reduce_by_key_impl_wrapped_configILNS1_25lookback_scan_determinismE0ES3_S7_PKsNS0_17constant_iteratorIjlEEPsPlSF_S6_NS0_8equal_toIsEEEE10hipError_tPvRmT2_T3_mT4_T5_T6_T7_T8_P12ihipStream_tbENKUlT_T0_E_clISt17integral_constantIbLb1EESY_IbLb0EEEEDaSU_SV_EUlSU_E_NS1_11comp_targetILNS1_3genE2ELNS1_11target_archE906ELNS1_3gpuE6ELNS1_3repE0EEENS1_30default_config_static_selectorELNS0_4arch9wavefront6targetE0EEEvT1_,comdat
	.protected	_ZN7rocprim17ROCPRIM_400000_NS6detail17trampoline_kernelINS0_14default_configENS1_33run_length_encode_config_selectorIsjNS0_4plusIjEEEEZZNS1_33reduce_by_key_impl_wrapped_configILNS1_25lookback_scan_determinismE0ES3_S7_PKsNS0_17constant_iteratorIjlEEPsPlSF_S6_NS0_8equal_toIsEEEE10hipError_tPvRmT2_T3_mT4_T5_T6_T7_T8_P12ihipStream_tbENKUlT_T0_E_clISt17integral_constantIbLb1EESY_IbLb0EEEEDaSU_SV_EUlSU_E_NS1_11comp_targetILNS1_3genE2ELNS1_11target_archE906ELNS1_3gpuE6ELNS1_3repE0EEENS1_30default_config_static_selectorELNS0_4arch9wavefront6targetE0EEEvT1_ ; -- Begin function _ZN7rocprim17ROCPRIM_400000_NS6detail17trampoline_kernelINS0_14default_configENS1_33run_length_encode_config_selectorIsjNS0_4plusIjEEEEZZNS1_33reduce_by_key_impl_wrapped_configILNS1_25lookback_scan_determinismE0ES3_S7_PKsNS0_17constant_iteratorIjlEEPsPlSF_S6_NS0_8equal_toIsEEEE10hipError_tPvRmT2_T3_mT4_T5_T6_T7_T8_P12ihipStream_tbENKUlT_T0_E_clISt17integral_constantIbLb1EESY_IbLb0EEEEDaSU_SV_EUlSU_E_NS1_11comp_targetILNS1_3genE2ELNS1_11target_archE906ELNS1_3gpuE6ELNS1_3repE0EEENS1_30default_config_static_selectorELNS0_4arch9wavefront6targetE0EEEvT1_
	.globl	_ZN7rocprim17ROCPRIM_400000_NS6detail17trampoline_kernelINS0_14default_configENS1_33run_length_encode_config_selectorIsjNS0_4plusIjEEEEZZNS1_33reduce_by_key_impl_wrapped_configILNS1_25lookback_scan_determinismE0ES3_S7_PKsNS0_17constant_iteratorIjlEEPsPlSF_S6_NS0_8equal_toIsEEEE10hipError_tPvRmT2_T3_mT4_T5_T6_T7_T8_P12ihipStream_tbENKUlT_T0_E_clISt17integral_constantIbLb1EESY_IbLb0EEEEDaSU_SV_EUlSU_E_NS1_11comp_targetILNS1_3genE2ELNS1_11target_archE906ELNS1_3gpuE6ELNS1_3repE0EEENS1_30default_config_static_selectorELNS0_4arch9wavefront6targetE0EEEvT1_
	.p2align	8
	.type	_ZN7rocprim17ROCPRIM_400000_NS6detail17trampoline_kernelINS0_14default_configENS1_33run_length_encode_config_selectorIsjNS0_4plusIjEEEEZZNS1_33reduce_by_key_impl_wrapped_configILNS1_25lookback_scan_determinismE0ES3_S7_PKsNS0_17constant_iteratorIjlEEPsPlSF_S6_NS0_8equal_toIsEEEE10hipError_tPvRmT2_T3_mT4_T5_T6_T7_T8_P12ihipStream_tbENKUlT_T0_E_clISt17integral_constantIbLb1EESY_IbLb0EEEEDaSU_SV_EUlSU_E_NS1_11comp_targetILNS1_3genE2ELNS1_11target_archE906ELNS1_3gpuE6ELNS1_3repE0EEENS1_30default_config_static_selectorELNS0_4arch9wavefront6targetE0EEEvT1_,@function
_ZN7rocprim17ROCPRIM_400000_NS6detail17trampoline_kernelINS0_14default_configENS1_33run_length_encode_config_selectorIsjNS0_4plusIjEEEEZZNS1_33reduce_by_key_impl_wrapped_configILNS1_25lookback_scan_determinismE0ES3_S7_PKsNS0_17constant_iteratorIjlEEPsPlSF_S6_NS0_8equal_toIsEEEE10hipError_tPvRmT2_T3_mT4_T5_T6_T7_T8_P12ihipStream_tbENKUlT_T0_E_clISt17integral_constantIbLb1EESY_IbLb0EEEEDaSU_SV_EUlSU_E_NS1_11comp_targetILNS1_3genE2ELNS1_11target_archE906ELNS1_3gpuE6ELNS1_3repE0EEENS1_30default_config_static_selectorELNS0_4arch9wavefront6targetE0EEEvT1_: ; @_ZN7rocprim17ROCPRIM_400000_NS6detail17trampoline_kernelINS0_14default_configENS1_33run_length_encode_config_selectorIsjNS0_4plusIjEEEEZZNS1_33reduce_by_key_impl_wrapped_configILNS1_25lookback_scan_determinismE0ES3_S7_PKsNS0_17constant_iteratorIjlEEPsPlSF_S6_NS0_8equal_toIsEEEE10hipError_tPvRmT2_T3_mT4_T5_T6_T7_T8_P12ihipStream_tbENKUlT_T0_E_clISt17integral_constantIbLb1EESY_IbLb0EEEEDaSU_SV_EUlSU_E_NS1_11comp_targetILNS1_3genE2ELNS1_11target_archE906ELNS1_3gpuE6ELNS1_3repE0EEENS1_30default_config_static_selectorELNS0_4arch9wavefront6targetE0EEEvT1_
; %bb.0:
	.section	.rodata,"a",@progbits
	.p2align	6, 0x0
	.amdhsa_kernel _ZN7rocprim17ROCPRIM_400000_NS6detail17trampoline_kernelINS0_14default_configENS1_33run_length_encode_config_selectorIsjNS0_4plusIjEEEEZZNS1_33reduce_by_key_impl_wrapped_configILNS1_25lookback_scan_determinismE0ES3_S7_PKsNS0_17constant_iteratorIjlEEPsPlSF_S6_NS0_8equal_toIsEEEE10hipError_tPvRmT2_T3_mT4_T5_T6_T7_T8_P12ihipStream_tbENKUlT_T0_E_clISt17integral_constantIbLb1EESY_IbLb0EEEEDaSU_SV_EUlSU_E_NS1_11comp_targetILNS1_3genE2ELNS1_11target_archE906ELNS1_3gpuE6ELNS1_3repE0EEENS1_30default_config_static_selectorELNS0_4arch9wavefront6targetE0EEEvT1_
		.amdhsa_group_segment_fixed_size 0
		.amdhsa_private_segment_fixed_size 0
		.amdhsa_kernarg_size 128
		.amdhsa_user_sgpr_count 2
		.amdhsa_user_sgpr_dispatch_ptr 0
		.amdhsa_user_sgpr_queue_ptr 0
		.amdhsa_user_sgpr_kernarg_segment_ptr 1
		.amdhsa_user_sgpr_dispatch_id 0
		.amdhsa_user_sgpr_kernarg_preload_length 0
		.amdhsa_user_sgpr_kernarg_preload_offset 0
		.amdhsa_user_sgpr_private_segment_size 0
		.amdhsa_wavefront_size32 1
		.amdhsa_uses_dynamic_stack 0
		.amdhsa_enable_private_segment 0
		.amdhsa_system_sgpr_workgroup_id_x 1
		.amdhsa_system_sgpr_workgroup_id_y 0
		.amdhsa_system_sgpr_workgroup_id_z 0
		.amdhsa_system_sgpr_workgroup_info 0
		.amdhsa_system_vgpr_workitem_id 0
		.amdhsa_next_free_vgpr 1
		.amdhsa_next_free_sgpr 1
		.amdhsa_named_barrier_count 0
		.amdhsa_reserve_vcc 0
		.amdhsa_float_round_mode_32 0
		.amdhsa_float_round_mode_16_64 0
		.amdhsa_float_denorm_mode_32 3
		.amdhsa_float_denorm_mode_16_64 3
		.amdhsa_fp16_overflow 0
		.amdhsa_memory_ordered 1
		.amdhsa_forward_progress 1
		.amdhsa_inst_pref_size 0
		.amdhsa_round_robin_scheduling 0
		.amdhsa_exception_fp_ieee_invalid_op 0
		.amdhsa_exception_fp_denorm_src 0
		.amdhsa_exception_fp_ieee_div_zero 0
		.amdhsa_exception_fp_ieee_overflow 0
		.amdhsa_exception_fp_ieee_underflow 0
		.amdhsa_exception_fp_ieee_inexact 0
		.amdhsa_exception_int_div_zero 0
	.end_amdhsa_kernel
	.section	.text._ZN7rocprim17ROCPRIM_400000_NS6detail17trampoline_kernelINS0_14default_configENS1_33run_length_encode_config_selectorIsjNS0_4plusIjEEEEZZNS1_33reduce_by_key_impl_wrapped_configILNS1_25lookback_scan_determinismE0ES3_S7_PKsNS0_17constant_iteratorIjlEEPsPlSF_S6_NS0_8equal_toIsEEEE10hipError_tPvRmT2_T3_mT4_T5_T6_T7_T8_P12ihipStream_tbENKUlT_T0_E_clISt17integral_constantIbLb1EESY_IbLb0EEEEDaSU_SV_EUlSU_E_NS1_11comp_targetILNS1_3genE2ELNS1_11target_archE906ELNS1_3gpuE6ELNS1_3repE0EEENS1_30default_config_static_selectorELNS0_4arch9wavefront6targetE0EEEvT1_,"axG",@progbits,_ZN7rocprim17ROCPRIM_400000_NS6detail17trampoline_kernelINS0_14default_configENS1_33run_length_encode_config_selectorIsjNS0_4plusIjEEEEZZNS1_33reduce_by_key_impl_wrapped_configILNS1_25lookback_scan_determinismE0ES3_S7_PKsNS0_17constant_iteratorIjlEEPsPlSF_S6_NS0_8equal_toIsEEEE10hipError_tPvRmT2_T3_mT4_T5_T6_T7_T8_P12ihipStream_tbENKUlT_T0_E_clISt17integral_constantIbLb1EESY_IbLb0EEEEDaSU_SV_EUlSU_E_NS1_11comp_targetILNS1_3genE2ELNS1_11target_archE906ELNS1_3gpuE6ELNS1_3repE0EEENS1_30default_config_static_selectorELNS0_4arch9wavefront6targetE0EEEvT1_,comdat
.Lfunc_end602:
	.size	_ZN7rocprim17ROCPRIM_400000_NS6detail17trampoline_kernelINS0_14default_configENS1_33run_length_encode_config_selectorIsjNS0_4plusIjEEEEZZNS1_33reduce_by_key_impl_wrapped_configILNS1_25lookback_scan_determinismE0ES3_S7_PKsNS0_17constant_iteratorIjlEEPsPlSF_S6_NS0_8equal_toIsEEEE10hipError_tPvRmT2_T3_mT4_T5_T6_T7_T8_P12ihipStream_tbENKUlT_T0_E_clISt17integral_constantIbLb1EESY_IbLb0EEEEDaSU_SV_EUlSU_E_NS1_11comp_targetILNS1_3genE2ELNS1_11target_archE906ELNS1_3gpuE6ELNS1_3repE0EEENS1_30default_config_static_selectorELNS0_4arch9wavefront6targetE0EEEvT1_, .Lfunc_end602-_ZN7rocprim17ROCPRIM_400000_NS6detail17trampoline_kernelINS0_14default_configENS1_33run_length_encode_config_selectorIsjNS0_4plusIjEEEEZZNS1_33reduce_by_key_impl_wrapped_configILNS1_25lookback_scan_determinismE0ES3_S7_PKsNS0_17constant_iteratorIjlEEPsPlSF_S6_NS0_8equal_toIsEEEE10hipError_tPvRmT2_T3_mT4_T5_T6_T7_T8_P12ihipStream_tbENKUlT_T0_E_clISt17integral_constantIbLb1EESY_IbLb0EEEEDaSU_SV_EUlSU_E_NS1_11comp_targetILNS1_3genE2ELNS1_11target_archE906ELNS1_3gpuE6ELNS1_3repE0EEENS1_30default_config_static_selectorELNS0_4arch9wavefront6targetE0EEEvT1_
                                        ; -- End function
	.set _ZN7rocprim17ROCPRIM_400000_NS6detail17trampoline_kernelINS0_14default_configENS1_33run_length_encode_config_selectorIsjNS0_4plusIjEEEEZZNS1_33reduce_by_key_impl_wrapped_configILNS1_25lookback_scan_determinismE0ES3_S7_PKsNS0_17constant_iteratorIjlEEPsPlSF_S6_NS0_8equal_toIsEEEE10hipError_tPvRmT2_T3_mT4_T5_T6_T7_T8_P12ihipStream_tbENKUlT_T0_E_clISt17integral_constantIbLb1EESY_IbLb0EEEEDaSU_SV_EUlSU_E_NS1_11comp_targetILNS1_3genE2ELNS1_11target_archE906ELNS1_3gpuE6ELNS1_3repE0EEENS1_30default_config_static_selectorELNS0_4arch9wavefront6targetE0EEEvT1_.num_vgpr, 0
	.set _ZN7rocprim17ROCPRIM_400000_NS6detail17trampoline_kernelINS0_14default_configENS1_33run_length_encode_config_selectorIsjNS0_4plusIjEEEEZZNS1_33reduce_by_key_impl_wrapped_configILNS1_25lookback_scan_determinismE0ES3_S7_PKsNS0_17constant_iteratorIjlEEPsPlSF_S6_NS0_8equal_toIsEEEE10hipError_tPvRmT2_T3_mT4_T5_T6_T7_T8_P12ihipStream_tbENKUlT_T0_E_clISt17integral_constantIbLb1EESY_IbLb0EEEEDaSU_SV_EUlSU_E_NS1_11comp_targetILNS1_3genE2ELNS1_11target_archE906ELNS1_3gpuE6ELNS1_3repE0EEENS1_30default_config_static_selectorELNS0_4arch9wavefront6targetE0EEEvT1_.num_agpr, 0
	.set _ZN7rocprim17ROCPRIM_400000_NS6detail17trampoline_kernelINS0_14default_configENS1_33run_length_encode_config_selectorIsjNS0_4plusIjEEEEZZNS1_33reduce_by_key_impl_wrapped_configILNS1_25lookback_scan_determinismE0ES3_S7_PKsNS0_17constant_iteratorIjlEEPsPlSF_S6_NS0_8equal_toIsEEEE10hipError_tPvRmT2_T3_mT4_T5_T6_T7_T8_P12ihipStream_tbENKUlT_T0_E_clISt17integral_constantIbLb1EESY_IbLb0EEEEDaSU_SV_EUlSU_E_NS1_11comp_targetILNS1_3genE2ELNS1_11target_archE906ELNS1_3gpuE6ELNS1_3repE0EEENS1_30default_config_static_selectorELNS0_4arch9wavefront6targetE0EEEvT1_.numbered_sgpr, 0
	.set _ZN7rocprim17ROCPRIM_400000_NS6detail17trampoline_kernelINS0_14default_configENS1_33run_length_encode_config_selectorIsjNS0_4plusIjEEEEZZNS1_33reduce_by_key_impl_wrapped_configILNS1_25lookback_scan_determinismE0ES3_S7_PKsNS0_17constant_iteratorIjlEEPsPlSF_S6_NS0_8equal_toIsEEEE10hipError_tPvRmT2_T3_mT4_T5_T6_T7_T8_P12ihipStream_tbENKUlT_T0_E_clISt17integral_constantIbLb1EESY_IbLb0EEEEDaSU_SV_EUlSU_E_NS1_11comp_targetILNS1_3genE2ELNS1_11target_archE906ELNS1_3gpuE6ELNS1_3repE0EEENS1_30default_config_static_selectorELNS0_4arch9wavefront6targetE0EEEvT1_.num_named_barrier, 0
	.set _ZN7rocprim17ROCPRIM_400000_NS6detail17trampoline_kernelINS0_14default_configENS1_33run_length_encode_config_selectorIsjNS0_4plusIjEEEEZZNS1_33reduce_by_key_impl_wrapped_configILNS1_25lookback_scan_determinismE0ES3_S7_PKsNS0_17constant_iteratorIjlEEPsPlSF_S6_NS0_8equal_toIsEEEE10hipError_tPvRmT2_T3_mT4_T5_T6_T7_T8_P12ihipStream_tbENKUlT_T0_E_clISt17integral_constantIbLb1EESY_IbLb0EEEEDaSU_SV_EUlSU_E_NS1_11comp_targetILNS1_3genE2ELNS1_11target_archE906ELNS1_3gpuE6ELNS1_3repE0EEENS1_30default_config_static_selectorELNS0_4arch9wavefront6targetE0EEEvT1_.private_seg_size, 0
	.set _ZN7rocprim17ROCPRIM_400000_NS6detail17trampoline_kernelINS0_14default_configENS1_33run_length_encode_config_selectorIsjNS0_4plusIjEEEEZZNS1_33reduce_by_key_impl_wrapped_configILNS1_25lookback_scan_determinismE0ES3_S7_PKsNS0_17constant_iteratorIjlEEPsPlSF_S6_NS0_8equal_toIsEEEE10hipError_tPvRmT2_T3_mT4_T5_T6_T7_T8_P12ihipStream_tbENKUlT_T0_E_clISt17integral_constantIbLb1EESY_IbLb0EEEEDaSU_SV_EUlSU_E_NS1_11comp_targetILNS1_3genE2ELNS1_11target_archE906ELNS1_3gpuE6ELNS1_3repE0EEENS1_30default_config_static_selectorELNS0_4arch9wavefront6targetE0EEEvT1_.uses_vcc, 0
	.set _ZN7rocprim17ROCPRIM_400000_NS6detail17trampoline_kernelINS0_14default_configENS1_33run_length_encode_config_selectorIsjNS0_4plusIjEEEEZZNS1_33reduce_by_key_impl_wrapped_configILNS1_25lookback_scan_determinismE0ES3_S7_PKsNS0_17constant_iteratorIjlEEPsPlSF_S6_NS0_8equal_toIsEEEE10hipError_tPvRmT2_T3_mT4_T5_T6_T7_T8_P12ihipStream_tbENKUlT_T0_E_clISt17integral_constantIbLb1EESY_IbLb0EEEEDaSU_SV_EUlSU_E_NS1_11comp_targetILNS1_3genE2ELNS1_11target_archE906ELNS1_3gpuE6ELNS1_3repE0EEENS1_30default_config_static_selectorELNS0_4arch9wavefront6targetE0EEEvT1_.uses_flat_scratch, 0
	.set _ZN7rocprim17ROCPRIM_400000_NS6detail17trampoline_kernelINS0_14default_configENS1_33run_length_encode_config_selectorIsjNS0_4plusIjEEEEZZNS1_33reduce_by_key_impl_wrapped_configILNS1_25lookback_scan_determinismE0ES3_S7_PKsNS0_17constant_iteratorIjlEEPsPlSF_S6_NS0_8equal_toIsEEEE10hipError_tPvRmT2_T3_mT4_T5_T6_T7_T8_P12ihipStream_tbENKUlT_T0_E_clISt17integral_constantIbLb1EESY_IbLb0EEEEDaSU_SV_EUlSU_E_NS1_11comp_targetILNS1_3genE2ELNS1_11target_archE906ELNS1_3gpuE6ELNS1_3repE0EEENS1_30default_config_static_selectorELNS0_4arch9wavefront6targetE0EEEvT1_.has_dyn_sized_stack, 0
	.set _ZN7rocprim17ROCPRIM_400000_NS6detail17trampoline_kernelINS0_14default_configENS1_33run_length_encode_config_selectorIsjNS0_4plusIjEEEEZZNS1_33reduce_by_key_impl_wrapped_configILNS1_25lookback_scan_determinismE0ES3_S7_PKsNS0_17constant_iteratorIjlEEPsPlSF_S6_NS0_8equal_toIsEEEE10hipError_tPvRmT2_T3_mT4_T5_T6_T7_T8_P12ihipStream_tbENKUlT_T0_E_clISt17integral_constantIbLb1EESY_IbLb0EEEEDaSU_SV_EUlSU_E_NS1_11comp_targetILNS1_3genE2ELNS1_11target_archE906ELNS1_3gpuE6ELNS1_3repE0EEENS1_30default_config_static_selectorELNS0_4arch9wavefront6targetE0EEEvT1_.has_recursion, 0
	.set _ZN7rocprim17ROCPRIM_400000_NS6detail17trampoline_kernelINS0_14default_configENS1_33run_length_encode_config_selectorIsjNS0_4plusIjEEEEZZNS1_33reduce_by_key_impl_wrapped_configILNS1_25lookback_scan_determinismE0ES3_S7_PKsNS0_17constant_iteratorIjlEEPsPlSF_S6_NS0_8equal_toIsEEEE10hipError_tPvRmT2_T3_mT4_T5_T6_T7_T8_P12ihipStream_tbENKUlT_T0_E_clISt17integral_constantIbLb1EESY_IbLb0EEEEDaSU_SV_EUlSU_E_NS1_11comp_targetILNS1_3genE2ELNS1_11target_archE906ELNS1_3gpuE6ELNS1_3repE0EEENS1_30default_config_static_selectorELNS0_4arch9wavefront6targetE0EEEvT1_.has_indirect_call, 0
	.section	.AMDGPU.csdata,"",@progbits
; Kernel info:
; codeLenInByte = 0
; TotalNumSgprs: 0
; NumVgprs: 0
; ScratchSize: 0
; MemoryBound: 0
; FloatMode: 240
; IeeeMode: 1
; LDSByteSize: 0 bytes/workgroup (compile time only)
; SGPRBlocks: 0
; VGPRBlocks: 0
; NumSGPRsForWavesPerEU: 1
; NumVGPRsForWavesPerEU: 1
; NamedBarCnt: 0
; Occupancy: 16
; WaveLimiterHint : 0
; COMPUTE_PGM_RSRC2:SCRATCH_EN: 0
; COMPUTE_PGM_RSRC2:USER_SGPR: 2
; COMPUTE_PGM_RSRC2:TRAP_HANDLER: 0
; COMPUTE_PGM_RSRC2:TGID_X_EN: 1
; COMPUTE_PGM_RSRC2:TGID_Y_EN: 0
; COMPUTE_PGM_RSRC2:TGID_Z_EN: 0
; COMPUTE_PGM_RSRC2:TIDIG_COMP_CNT: 0
	.section	.text._ZN7rocprim17ROCPRIM_400000_NS6detail17trampoline_kernelINS0_14default_configENS1_33run_length_encode_config_selectorIsjNS0_4plusIjEEEEZZNS1_33reduce_by_key_impl_wrapped_configILNS1_25lookback_scan_determinismE0ES3_S7_PKsNS0_17constant_iteratorIjlEEPsPlSF_S6_NS0_8equal_toIsEEEE10hipError_tPvRmT2_T3_mT4_T5_T6_T7_T8_P12ihipStream_tbENKUlT_T0_E_clISt17integral_constantIbLb1EESY_IbLb0EEEEDaSU_SV_EUlSU_E_NS1_11comp_targetILNS1_3genE10ELNS1_11target_archE1201ELNS1_3gpuE5ELNS1_3repE0EEENS1_30default_config_static_selectorELNS0_4arch9wavefront6targetE0EEEvT1_,"axG",@progbits,_ZN7rocprim17ROCPRIM_400000_NS6detail17trampoline_kernelINS0_14default_configENS1_33run_length_encode_config_selectorIsjNS0_4plusIjEEEEZZNS1_33reduce_by_key_impl_wrapped_configILNS1_25lookback_scan_determinismE0ES3_S7_PKsNS0_17constant_iteratorIjlEEPsPlSF_S6_NS0_8equal_toIsEEEE10hipError_tPvRmT2_T3_mT4_T5_T6_T7_T8_P12ihipStream_tbENKUlT_T0_E_clISt17integral_constantIbLb1EESY_IbLb0EEEEDaSU_SV_EUlSU_E_NS1_11comp_targetILNS1_3genE10ELNS1_11target_archE1201ELNS1_3gpuE5ELNS1_3repE0EEENS1_30default_config_static_selectorELNS0_4arch9wavefront6targetE0EEEvT1_,comdat
	.protected	_ZN7rocprim17ROCPRIM_400000_NS6detail17trampoline_kernelINS0_14default_configENS1_33run_length_encode_config_selectorIsjNS0_4plusIjEEEEZZNS1_33reduce_by_key_impl_wrapped_configILNS1_25lookback_scan_determinismE0ES3_S7_PKsNS0_17constant_iteratorIjlEEPsPlSF_S6_NS0_8equal_toIsEEEE10hipError_tPvRmT2_T3_mT4_T5_T6_T7_T8_P12ihipStream_tbENKUlT_T0_E_clISt17integral_constantIbLb1EESY_IbLb0EEEEDaSU_SV_EUlSU_E_NS1_11comp_targetILNS1_3genE10ELNS1_11target_archE1201ELNS1_3gpuE5ELNS1_3repE0EEENS1_30default_config_static_selectorELNS0_4arch9wavefront6targetE0EEEvT1_ ; -- Begin function _ZN7rocprim17ROCPRIM_400000_NS6detail17trampoline_kernelINS0_14default_configENS1_33run_length_encode_config_selectorIsjNS0_4plusIjEEEEZZNS1_33reduce_by_key_impl_wrapped_configILNS1_25lookback_scan_determinismE0ES3_S7_PKsNS0_17constant_iteratorIjlEEPsPlSF_S6_NS0_8equal_toIsEEEE10hipError_tPvRmT2_T3_mT4_T5_T6_T7_T8_P12ihipStream_tbENKUlT_T0_E_clISt17integral_constantIbLb1EESY_IbLb0EEEEDaSU_SV_EUlSU_E_NS1_11comp_targetILNS1_3genE10ELNS1_11target_archE1201ELNS1_3gpuE5ELNS1_3repE0EEENS1_30default_config_static_selectorELNS0_4arch9wavefront6targetE0EEEvT1_
	.globl	_ZN7rocprim17ROCPRIM_400000_NS6detail17trampoline_kernelINS0_14default_configENS1_33run_length_encode_config_selectorIsjNS0_4plusIjEEEEZZNS1_33reduce_by_key_impl_wrapped_configILNS1_25lookback_scan_determinismE0ES3_S7_PKsNS0_17constant_iteratorIjlEEPsPlSF_S6_NS0_8equal_toIsEEEE10hipError_tPvRmT2_T3_mT4_T5_T6_T7_T8_P12ihipStream_tbENKUlT_T0_E_clISt17integral_constantIbLb1EESY_IbLb0EEEEDaSU_SV_EUlSU_E_NS1_11comp_targetILNS1_3genE10ELNS1_11target_archE1201ELNS1_3gpuE5ELNS1_3repE0EEENS1_30default_config_static_selectorELNS0_4arch9wavefront6targetE0EEEvT1_
	.p2align	8
	.type	_ZN7rocprim17ROCPRIM_400000_NS6detail17trampoline_kernelINS0_14default_configENS1_33run_length_encode_config_selectorIsjNS0_4plusIjEEEEZZNS1_33reduce_by_key_impl_wrapped_configILNS1_25lookback_scan_determinismE0ES3_S7_PKsNS0_17constant_iteratorIjlEEPsPlSF_S6_NS0_8equal_toIsEEEE10hipError_tPvRmT2_T3_mT4_T5_T6_T7_T8_P12ihipStream_tbENKUlT_T0_E_clISt17integral_constantIbLb1EESY_IbLb0EEEEDaSU_SV_EUlSU_E_NS1_11comp_targetILNS1_3genE10ELNS1_11target_archE1201ELNS1_3gpuE5ELNS1_3repE0EEENS1_30default_config_static_selectorELNS0_4arch9wavefront6targetE0EEEvT1_,@function
_ZN7rocprim17ROCPRIM_400000_NS6detail17trampoline_kernelINS0_14default_configENS1_33run_length_encode_config_selectorIsjNS0_4plusIjEEEEZZNS1_33reduce_by_key_impl_wrapped_configILNS1_25lookback_scan_determinismE0ES3_S7_PKsNS0_17constant_iteratorIjlEEPsPlSF_S6_NS0_8equal_toIsEEEE10hipError_tPvRmT2_T3_mT4_T5_T6_T7_T8_P12ihipStream_tbENKUlT_T0_E_clISt17integral_constantIbLb1EESY_IbLb0EEEEDaSU_SV_EUlSU_E_NS1_11comp_targetILNS1_3genE10ELNS1_11target_archE1201ELNS1_3gpuE5ELNS1_3repE0EEENS1_30default_config_static_selectorELNS0_4arch9wavefront6targetE0EEEvT1_: ; @_ZN7rocprim17ROCPRIM_400000_NS6detail17trampoline_kernelINS0_14default_configENS1_33run_length_encode_config_selectorIsjNS0_4plusIjEEEEZZNS1_33reduce_by_key_impl_wrapped_configILNS1_25lookback_scan_determinismE0ES3_S7_PKsNS0_17constant_iteratorIjlEEPsPlSF_S6_NS0_8equal_toIsEEEE10hipError_tPvRmT2_T3_mT4_T5_T6_T7_T8_P12ihipStream_tbENKUlT_T0_E_clISt17integral_constantIbLb1EESY_IbLb0EEEEDaSU_SV_EUlSU_E_NS1_11comp_targetILNS1_3genE10ELNS1_11target_archE1201ELNS1_3gpuE5ELNS1_3repE0EEENS1_30default_config_static_selectorELNS0_4arch9wavefront6targetE0EEEvT1_
; %bb.0:
	.section	.rodata,"a",@progbits
	.p2align	6, 0x0
	.amdhsa_kernel _ZN7rocprim17ROCPRIM_400000_NS6detail17trampoline_kernelINS0_14default_configENS1_33run_length_encode_config_selectorIsjNS0_4plusIjEEEEZZNS1_33reduce_by_key_impl_wrapped_configILNS1_25lookback_scan_determinismE0ES3_S7_PKsNS0_17constant_iteratorIjlEEPsPlSF_S6_NS0_8equal_toIsEEEE10hipError_tPvRmT2_T3_mT4_T5_T6_T7_T8_P12ihipStream_tbENKUlT_T0_E_clISt17integral_constantIbLb1EESY_IbLb0EEEEDaSU_SV_EUlSU_E_NS1_11comp_targetILNS1_3genE10ELNS1_11target_archE1201ELNS1_3gpuE5ELNS1_3repE0EEENS1_30default_config_static_selectorELNS0_4arch9wavefront6targetE0EEEvT1_
		.amdhsa_group_segment_fixed_size 0
		.amdhsa_private_segment_fixed_size 0
		.amdhsa_kernarg_size 128
		.amdhsa_user_sgpr_count 2
		.amdhsa_user_sgpr_dispatch_ptr 0
		.amdhsa_user_sgpr_queue_ptr 0
		.amdhsa_user_sgpr_kernarg_segment_ptr 1
		.amdhsa_user_sgpr_dispatch_id 0
		.amdhsa_user_sgpr_kernarg_preload_length 0
		.amdhsa_user_sgpr_kernarg_preload_offset 0
		.amdhsa_user_sgpr_private_segment_size 0
		.amdhsa_wavefront_size32 1
		.amdhsa_uses_dynamic_stack 0
		.amdhsa_enable_private_segment 0
		.amdhsa_system_sgpr_workgroup_id_x 1
		.amdhsa_system_sgpr_workgroup_id_y 0
		.amdhsa_system_sgpr_workgroup_id_z 0
		.amdhsa_system_sgpr_workgroup_info 0
		.amdhsa_system_vgpr_workitem_id 0
		.amdhsa_next_free_vgpr 1
		.amdhsa_next_free_sgpr 1
		.amdhsa_named_barrier_count 0
		.amdhsa_reserve_vcc 0
		.amdhsa_float_round_mode_32 0
		.amdhsa_float_round_mode_16_64 0
		.amdhsa_float_denorm_mode_32 3
		.amdhsa_float_denorm_mode_16_64 3
		.amdhsa_fp16_overflow 0
		.amdhsa_memory_ordered 1
		.amdhsa_forward_progress 1
		.amdhsa_inst_pref_size 0
		.amdhsa_round_robin_scheduling 0
		.amdhsa_exception_fp_ieee_invalid_op 0
		.amdhsa_exception_fp_denorm_src 0
		.amdhsa_exception_fp_ieee_div_zero 0
		.amdhsa_exception_fp_ieee_overflow 0
		.amdhsa_exception_fp_ieee_underflow 0
		.amdhsa_exception_fp_ieee_inexact 0
		.amdhsa_exception_int_div_zero 0
	.end_amdhsa_kernel
	.section	.text._ZN7rocprim17ROCPRIM_400000_NS6detail17trampoline_kernelINS0_14default_configENS1_33run_length_encode_config_selectorIsjNS0_4plusIjEEEEZZNS1_33reduce_by_key_impl_wrapped_configILNS1_25lookback_scan_determinismE0ES3_S7_PKsNS0_17constant_iteratorIjlEEPsPlSF_S6_NS0_8equal_toIsEEEE10hipError_tPvRmT2_T3_mT4_T5_T6_T7_T8_P12ihipStream_tbENKUlT_T0_E_clISt17integral_constantIbLb1EESY_IbLb0EEEEDaSU_SV_EUlSU_E_NS1_11comp_targetILNS1_3genE10ELNS1_11target_archE1201ELNS1_3gpuE5ELNS1_3repE0EEENS1_30default_config_static_selectorELNS0_4arch9wavefront6targetE0EEEvT1_,"axG",@progbits,_ZN7rocprim17ROCPRIM_400000_NS6detail17trampoline_kernelINS0_14default_configENS1_33run_length_encode_config_selectorIsjNS0_4plusIjEEEEZZNS1_33reduce_by_key_impl_wrapped_configILNS1_25lookback_scan_determinismE0ES3_S7_PKsNS0_17constant_iteratorIjlEEPsPlSF_S6_NS0_8equal_toIsEEEE10hipError_tPvRmT2_T3_mT4_T5_T6_T7_T8_P12ihipStream_tbENKUlT_T0_E_clISt17integral_constantIbLb1EESY_IbLb0EEEEDaSU_SV_EUlSU_E_NS1_11comp_targetILNS1_3genE10ELNS1_11target_archE1201ELNS1_3gpuE5ELNS1_3repE0EEENS1_30default_config_static_selectorELNS0_4arch9wavefront6targetE0EEEvT1_,comdat
.Lfunc_end603:
	.size	_ZN7rocprim17ROCPRIM_400000_NS6detail17trampoline_kernelINS0_14default_configENS1_33run_length_encode_config_selectorIsjNS0_4plusIjEEEEZZNS1_33reduce_by_key_impl_wrapped_configILNS1_25lookback_scan_determinismE0ES3_S7_PKsNS0_17constant_iteratorIjlEEPsPlSF_S6_NS0_8equal_toIsEEEE10hipError_tPvRmT2_T3_mT4_T5_T6_T7_T8_P12ihipStream_tbENKUlT_T0_E_clISt17integral_constantIbLb1EESY_IbLb0EEEEDaSU_SV_EUlSU_E_NS1_11comp_targetILNS1_3genE10ELNS1_11target_archE1201ELNS1_3gpuE5ELNS1_3repE0EEENS1_30default_config_static_selectorELNS0_4arch9wavefront6targetE0EEEvT1_, .Lfunc_end603-_ZN7rocprim17ROCPRIM_400000_NS6detail17trampoline_kernelINS0_14default_configENS1_33run_length_encode_config_selectorIsjNS0_4plusIjEEEEZZNS1_33reduce_by_key_impl_wrapped_configILNS1_25lookback_scan_determinismE0ES3_S7_PKsNS0_17constant_iteratorIjlEEPsPlSF_S6_NS0_8equal_toIsEEEE10hipError_tPvRmT2_T3_mT4_T5_T6_T7_T8_P12ihipStream_tbENKUlT_T0_E_clISt17integral_constantIbLb1EESY_IbLb0EEEEDaSU_SV_EUlSU_E_NS1_11comp_targetILNS1_3genE10ELNS1_11target_archE1201ELNS1_3gpuE5ELNS1_3repE0EEENS1_30default_config_static_selectorELNS0_4arch9wavefront6targetE0EEEvT1_
                                        ; -- End function
	.set _ZN7rocprim17ROCPRIM_400000_NS6detail17trampoline_kernelINS0_14default_configENS1_33run_length_encode_config_selectorIsjNS0_4plusIjEEEEZZNS1_33reduce_by_key_impl_wrapped_configILNS1_25lookback_scan_determinismE0ES3_S7_PKsNS0_17constant_iteratorIjlEEPsPlSF_S6_NS0_8equal_toIsEEEE10hipError_tPvRmT2_T3_mT4_T5_T6_T7_T8_P12ihipStream_tbENKUlT_T0_E_clISt17integral_constantIbLb1EESY_IbLb0EEEEDaSU_SV_EUlSU_E_NS1_11comp_targetILNS1_3genE10ELNS1_11target_archE1201ELNS1_3gpuE5ELNS1_3repE0EEENS1_30default_config_static_selectorELNS0_4arch9wavefront6targetE0EEEvT1_.num_vgpr, 0
	.set _ZN7rocprim17ROCPRIM_400000_NS6detail17trampoline_kernelINS0_14default_configENS1_33run_length_encode_config_selectorIsjNS0_4plusIjEEEEZZNS1_33reduce_by_key_impl_wrapped_configILNS1_25lookback_scan_determinismE0ES3_S7_PKsNS0_17constant_iteratorIjlEEPsPlSF_S6_NS0_8equal_toIsEEEE10hipError_tPvRmT2_T3_mT4_T5_T6_T7_T8_P12ihipStream_tbENKUlT_T0_E_clISt17integral_constantIbLb1EESY_IbLb0EEEEDaSU_SV_EUlSU_E_NS1_11comp_targetILNS1_3genE10ELNS1_11target_archE1201ELNS1_3gpuE5ELNS1_3repE0EEENS1_30default_config_static_selectorELNS0_4arch9wavefront6targetE0EEEvT1_.num_agpr, 0
	.set _ZN7rocprim17ROCPRIM_400000_NS6detail17trampoline_kernelINS0_14default_configENS1_33run_length_encode_config_selectorIsjNS0_4plusIjEEEEZZNS1_33reduce_by_key_impl_wrapped_configILNS1_25lookback_scan_determinismE0ES3_S7_PKsNS0_17constant_iteratorIjlEEPsPlSF_S6_NS0_8equal_toIsEEEE10hipError_tPvRmT2_T3_mT4_T5_T6_T7_T8_P12ihipStream_tbENKUlT_T0_E_clISt17integral_constantIbLb1EESY_IbLb0EEEEDaSU_SV_EUlSU_E_NS1_11comp_targetILNS1_3genE10ELNS1_11target_archE1201ELNS1_3gpuE5ELNS1_3repE0EEENS1_30default_config_static_selectorELNS0_4arch9wavefront6targetE0EEEvT1_.numbered_sgpr, 0
	.set _ZN7rocprim17ROCPRIM_400000_NS6detail17trampoline_kernelINS0_14default_configENS1_33run_length_encode_config_selectorIsjNS0_4plusIjEEEEZZNS1_33reduce_by_key_impl_wrapped_configILNS1_25lookback_scan_determinismE0ES3_S7_PKsNS0_17constant_iteratorIjlEEPsPlSF_S6_NS0_8equal_toIsEEEE10hipError_tPvRmT2_T3_mT4_T5_T6_T7_T8_P12ihipStream_tbENKUlT_T0_E_clISt17integral_constantIbLb1EESY_IbLb0EEEEDaSU_SV_EUlSU_E_NS1_11comp_targetILNS1_3genE10ELNS1_11target_archE1201ELNS1_3gpuE5ELNS1_3repE0EEENS1_30default_config_static_selectorELNS0_4arch9wavefront6targetE0EEEvT1_.num_named_barrier, 0
	.set _ZN7rocprim17ROCPRIM_400000_NS6detail17trampoline_kernelINS0_14default_configENS1_33run_length_encode_config_selectorIsjNS0_4plusIjEEEEZZNS1_33reduce_by_key_impl_wrapped_configILNS1_25lookback_scan_determinismE0ES3_S7_PKsNS0_17constant_iteratorIjlEEPsPlSF_S6_NS0_8equal_toIsEEEE10hipError_tPvRmT2_T3_mT4_T5_T6_T7_T8_P12ihipStream_tbENKUlT_T0_E_clISt17integral_constantIbLb1EESY_IbLb0EEEEDaSU_SV_EUlSU_E_NS1_11comp_targetILNS1_3genE10ELNS1_11target_archE1201ELNS1_3gpuE5ELNS1_3repE0EEENS1_30default_config_static_selectorELNS0_4arch9wavefront6targetE0EEEvT1_.private_seg_size, 0
	.set _ZN7rocprim17ROCPRIM_400000_NS6detail17trampoline_kernelINS0_14default_configENS1_33run_length_encode_config_selectorIsjNS0_4plusIjEEEEZZNS1_33reduce_by_key_impl_wrapped_configILNS1_25lookback_scan_determinismE0ES3_S7_PKsNS0_17constant_iteratorIjlEEPsPlSF_S6_NS0_8equal_toIsEEEE10hipError_tPvRmT2_T3_mT4_T5_T6_T7_T8_P12ihipStream_tbENKUlT_T0_E_clISt17integral_constantIbLb1EESY_IbLb0EEEEDaSU_SV_EUlSU_E_NS1_11comp_targetILNS1_3genE10ELNS1_11target_archE1201ELNS1_3gpuE5ELNS1_3repE0EEENS1_30default_config_static_selectorELNS0_4arch9wavefront6targetE0EEEvT1_.uses_vcc, 0
	.set _ZN7rocprim17ROCPRIM_400000_NS6detail17trampoline_kernelINS0_14default_configENS1_33run_length_encode_config_selectorIsjNS0_4plusIjEEEEZZNS1_33reduce_by_key_impl_wrapped_configILNS1_25lookback_scan_determinismE0ES3_S7_PKsNS0_17constant_iteratorIjlEEPsPlSF_S6_NS0_8equal_toIsEEEE10hipError_tPvRmT2_T3_mT4_T5_T6_T7_T8_P12ihipStream_tbENKUlT_T0_E_clISt17integral_constantIbLb1EESY_IbLb0EEEEDaSU_SV_EUlSU_E_NS1_11comp_targetILNS1_3genE10ELNS1_11target_archE1201ELNS1_3gpuE5ELNS1_3repE0EEENS1_30default_config_static_selectorELNS0_4arch9wavefront6targetE0EEEvT1_.uses_flat_scratch, 0
	.set _ZN7rocprim17ROCPRIM_400000_NS6detail17trampoline_kernelINS0_14default_configENS1_33run_length_encode_config_selectorIsjNS0_4plusIjEEEEZZNS1_33reduce_by_key_impl_wrapped_configILNS1_25lookback_scan_determinismE0ES3_S7_PKsNS0_17constant_iteratorIjlEEPsPlSF_S6_NS0_8equal_toIsEEEE10hipError_tPvRmT2_T3_mT4_T5_T6_T7_T8_P12ihipStream_tbENKUlT_T0_E_clISt17integral_constantIbLb1EESY_IbLb0EEEEDaSU_SV_EUlSU_E_NS1_11comp_targetILNS1_3genE10ELNS1_11target_archE1201ELNS1_3gpuE5ELNS1_3repE0EEENS1_30default_config_static_selectorELNS0_4arch9wavefront6targetE0EEEvT1_.has_dyn_sized_stack, 0
	.set _ZN7rocprim17ROCPRIM_400000_NS6detail17trampoline_kernelINS0_14default_configENS1_33run_length_encode_config_selectorIsjNS0_4plusIjEEEEZZNS1_33reduce_by_key_impl_wrapped_configILNS1_25lookback_scan_determinismE0ES3_S7_PKsNS0_17constant_iteratorIjlEEPsPlSF_S6_NS0_8equal_toIsEEEE10hipError_tPvRmT2_T3_mT4_T5_T6_T7_T8_P12ihipStream_tbENKUlT_T0_E_clISt17integral_constantIbLb1EESY_IbLb0EEEEDaSU_SV_EUlSU_E_NS1_11comp_targetILNS1_3genE10ELNS1_11target_archE1201ELNS1_3gpuE5ELNS1_3repE0EEENS1_30default_config_static_selectorELNS0_4arch9wavefront6targetE0EEEvT1_.has_recursion, 0
	.set _ZN7rocprim17ROCPRIM_400000_NS6detail17trampoline_kernelINS0_14default_configENS1_33run_length_encode_config_selectorIsjNS0_4plusIjEEEEZZNS1_33reduce_by_key_impl_wrapped_configILNS1_25lookback_scan_determinismE0ES3_S7_PKsNS0_17constant_iteratorIjlEEPsPlSF_S6_NS0_8equal_toIsEEEE10hipError_tPvRmT2_T3_mT4_T5_T6_T7_T8_P12ihipStream_tbENKUlT_T0_E_clISt17integral_constantIbLb1EESY_IbLb0EEEEDaSU_SV_EUlSU_E_NS1_11comp_targetILNS1_3genE10ELNS1_11target_archE1201ELNS1_3gpuE5ELNS1_3repE0EEENS1_30default_config_static_selectorELNS0_4arch9wavefront6targetE0EEEvT1_.has_indirect_call, 0
	.section	.AMDGPU.csdata,"",@progbits
; Kernel info:
; codeLenInByte = 0
; TotalNumSgprs: 0
; NumVgprs: 0
; ScratchSize: 0
; MemoryBound: 0
; FloatMode: 240
; IeeeMode: 1
; LDSByteSize: 0 bytes/workgroup (compile time only)
; SGPRBlocks: 0
; VGPRBlocks: 0
; NumSGPRsForWavesPerEU: 1
; NumVGPRsForWavesPerEU: 1
; NamedBarCnt: 0
; Occupancy: 16
; WaveLimiterHint : 0
; COMPUTE_PGM_RSRC2:SCRATCH_EN: 0
; COMPUTE_PGM_RSRC2:USER_SGPR: 2
; COMPUTE_PGM_RSRC2:TRAP_HANDLER: 0
; COMPUTE_PGM_RSRC2:TGID_X_EN: 1
; COMPUTE_PGM_RSRC2:TGID_Y_EN: 0
; COMPUTE_PGM_RSRC2:TGID_Z_EN: 0
; COMPUTE_PGM_RSRC2:TIDIG_COMP_CNT: 0
	.section	.text._ZN7rocprim17ROCPRIM_400000_NS6detail17trampoline_kernelINS0_14default_configENS1_33run_length_encode_config_selectorIsjNS0_4plusIjEEEEZZNS1_33reduce_by_key_impl_wrapped_configILNS1_25lookback_scan_determinismE0ES3_S7_PKsNS0_17constant_iteratorIjlEEPsPlSF_S6_NS0_8equal_toIsEEEE10hipError_tPvRmT2_T3_mT4_T5_T6_T7_T8_P12ihipStream_tbENKUlT_T0_E_clISt17integral_constantIbLb1EESY_IbLb0EEEEDaSU_SV_EUlSU_E_NS1_11comp_targetILNS1_3genE10ELNS1_11target_archE1200ELNS1_3gpuE4ELNS1_3repE0EEENS1_30default_config_static_selectorELNS0_4arch9wavefront6targetE0EEEvT1_,"axG",@progbits,_ZN7rocprim17ROCPRIM_400000_NS6detail17trampoline_kernelINS0_14default_configENS1_33run_length_encode_config_selectorIsjNS0_4plusIjEEEEZZNS1_33reduce_by_key_impl_wrapped_configILNS1_25lookback_scan_determinismE0ES3_S7_PKsNS0_17constant_iteratorIjlEEPsPlSF_S6_NS0_8equal_toIsEEEE10hipError_tPvRmT2_T3_mT4_T5_T6_T7_T8_P12ihipStream_tbENKUlT_T0_E_clISt17integral_constantIbLb1EESY_IbLb0EEEEDaSU_SV_EUlSU_E_NS1_11comp_targetILNS1_3genE10ELNS1_11target_archE1200ELNS1_3gpuE4ELNS1_3repE0EEENS1_30default_config_static_selectorELNS0_4arch9wavefront6targetE0EEEvT1_,comdat
	.protected	_ZN7rocprim17ROCPRIM_400000_NS6detail17trampoline_kernelINS0_14default_configENS1_33run_length_encode_config_selectorIsjNS0_4plusIjEEEEZZNS1_33reduce_by_key_impl_wrapped_configILNS1_25lookback_scan_determinismE0ES3_S7_PKsNS0_17constant_iteratorIjlEEPsPlSF_S6_NS0_8equal_toIsEEEE10hipError_tPvRmT2_T3_mT4_T5_T6_T7_T8_P12ihipStream_tbENKUlT_T0_E_clISt17integral_constantIbLb1EESY_IbLb0EEEEDaSU_SV_EUlSU_E_NS1_11comp_targetILNS1_3genE10ELNS1_11target_archE1200ELNS1_3gpuE4ELNS1_3repE0EEENS1_30default_config_static_selectorELNS0_4arch9wavefront6targetE0EEEvT1_ ; -- Begin function _ZN7rocprim17ROCPRIM_400000_NS6detail17trampoline_kernelINS0_14default_configENS1_33run_length_encode_config_selectorIsjNS0_4plusIjEEEEZZNS1_33reduce_by_key_impl_wrapped_configILNS1_25lookback_scan_determinismE0ES3_S7_PKsNS0_17constant_iteratorIjlEEPsPlSF_S6_NS0_8equal_toIsEEEE10hipError_tPvRmT2_T3_mT4_T5_T6_T7_T8_P12ihipStream_tbENKUlT_T0_E_clISt17integral_constantIbLb1EESY_IbLb0EEEEDaSU_SV_EUlSU_E_NS1_11comp_targetILNS1_3genE10ELNS1_11target_archE1200ELNS1_3gpuE4ELNS1_3repE0EEENS1_30default_config_static_selectorELNS0_4arch9wavefront6targetE0EEEvT1_
	.globl	_ZN7rocprim17ROCPRIM_400000_NS6detail17trampoline_kernelINS0_14default_configENS1_33run_length_encode_config_selectorIsjNS0_4plusIjEEEEZZNS1_33reduce_by_key_impl_wrapped_configILNS1_25lookback_scan_determinismE0ES3_S7_PKsNS0_17constant_iteratorIjlEEPsPlSF_S6_NS0_8equal_toIsEEEE10hipError_tPvRmT2_T3_mT4_T5_T6_T7_T8_P12ihipStream_tbENKUlT_T0_E_clISt17integral_constantIbLb1EESY_IbLb0EEEEDaSU_SV_EUlSU_E_NS1_11comp_targetILNS1_3genE10ELNS1_11target_archE1200ELNS1_3gpuE4ELNS1_3repE0EEENS1_30default_config_static_selectorELNS0_4arch9wavefront6targetE0EEEvT1_
	.p2align	8
	.type	_ZN7rocprim17ROCPRIM_400000_NS6detail17trampoline_kernelINS0_14default_configENS1_33run_length_encode_config_selectorIsjNS0_4plusIjEEEEZZNS1_33reduce_by_key_impl_wrapped_configILNS1_25lookback_scan_determinismE0ES3_S7_PKsNS0_17constant_iteratorIjlEEPsPlSF_S6_NS0_8equal_toIsEEEE10hipError_tPvRmT2_T3_mT4_T5_T6_T7_T8_P12ihipStream_tbENKUlT_T0_E_clISt17integral_constantIbLb1EESY_IbLb0EEEEDaSU_SV_EUlSU_E_NS1_11comp_targetILNS1_3genE10ELNS1_11target_archE1200ELNS1_3gpuE4ELNS1_3repE0EEENS1_30default_config_static_selectorELNS0_4arch9wavefront6targetE0EEEvT1_,@function
_ZN7rocprim17ROCPRIM_400000_NS6detail17trampoline_kernelINS0_14default_configENS1_33run_length_encode_config_selectorIsjNS0_4plusIjEEEEZZNS1_33reduce_by_key_impl_wrapped_configILNS1_25lookback_scan_determinismE0ES3_S7_PKsNS0_17constant_iteratorIjlEEPsPlSF_S6_NS0_8equal_toIsEEEE10hipError_tPvRmT2_T3_mT4_T5_T6_T7_T8_P12ihipStream_tbENKUlT_T0_E_clISt17integral_constantIbLb1EESY_IbLb0EEEEDaSU_SV_EUlSU_E_NS1_11comp_targetILNS1_3genE10ELNS1_11target_archE1200ELNS1_3gpuE4ELNS1_3repE0EEENS1_30default_config_static_selectorELNS0_4arch9wavefront6targetE0EEEvT1_: ; @_ZN7rocprim17ROCPRIM_400000_NS6detail17trampoline_kernelINS0_14default_configENS1_33run_length_encode_config_selectorIsjNS0_4plusIjEEEEZZNS1_33reduce_by_key_impl_wrapped_configILNS1_25lookback_scan_determinismE0ES3_S7_PKsNS0_17constant_iteratorIjlEEPsPlSF_S6_NS0_8equal_toIsEEEE10hipError_tPvRmT2_T3_mT4_T5_T6_T7_T8_P12ihipStream_tbENKUlT_T0_E_clISt17integral_constantIbLb1EESY_IbLb0EEEEDaSU_SV_EUlSU_E_NS1_11comp_targetILNS1_3genE10ELNS1_11target_archE1200ELNS1_3gpuE4ELNS1_3repE0EEENS1_30default_config_static_selectorELNS0_4arch9wavefront6targetE0EEEvT1_
; %bb.0:
	.section	.rodata,"a",@progbits
	.p2align	6, 0x0
	.amdhsa_kernel _ZN7rocprim17ROCPRIM_400000_NS6detail17trampoline_kernelINS0_14default_configENS1_33run_length_encode_config_selectorIsjNS0_4plusIjEEEEZZNS1_33reduce_by_key_impl_wrapped_configILNS1_25lookback_scan_determinismE0ES3_S7_PKsNS0_17constant_iteratorIjlEEPsPlSF_S6_NS0_8equal_toIsEEEE10hipError_tPvRmT2_T3_mT4_T5_T6_T7_T8_P12ihipStream_tbENKUlT_T0_E_clISt17integral_constantIbLb1EESY_IbLb0EEEEDaSU_SV_EUlSU_E_NS1_11comp_targetILNS1_3genE10ELNS1_11target_archE1200ELNS1_3gpuE4ELNS1_3repE0EEENS1_30default_config_static_selectorELNS0_4arch9wavefront6targetE0EEEvT1_
		.amdhsa_group_segment_fixed_size 0
		.amdhsa_private_segment_fixed_size 0
		.amdhsa_kernarg_size 128
		.amdhsa_user_sgpr_count 2
		.amdhsa_user_sgpr_dispatch_ptr 0
		.amdhsa_user_sgpr_queue_ptr 0
		.amdhsa_user_sgpr_kernarg_segment_ptr 1
		.amdhsa_user_sgpr_dispatch_id 0
		.amdhsa_user_sgpr_kernarg_preload_length 0
		.amdhsa_user_sgpr_kernarg_preload_offset 0
		.amdhsa_user_sgpr_private_segment_size 0
		.amdhsa_wavefront_size32 1
		.amdhsa_uses_dynamic_stack 0
		.amdhsa_enable_private_segment 0
		.amdhsa_system_sgpr_workgroup_id_x 1
		.amdhsa_system_sgpr_workgroup_id_y 0
		.amdhsa_system_sgpr_workgroup_id_z 0
		.amdhsa_system_sgpr_workgroup_info 0
		.amdhsa_system_vgpr_workitem_id 0
		.amdhsa_next_free_vgpr 1
		.amdhsa_next_free_sgpr 1
		.amdhsa_named_barrier_count 0
		.amdhsa_reserve_vcc 0
		.amdhsa_float_round_mode_32 0
		.amdhsa_float_round_mode_16_64 0
		.amdhsa_float_denorm_mode_32 3
		.amdhsa_float_denorm_mode_16_64 3
		.amdhsa_fp16_overflow 0
		.amdhsa_memory_ordered 1
		.amdhsa_forward_progress 1
		.amdhsa_inst_pref_size 0
		.amdhsa_round_robin_scheduling 0
		.amdhsa_exception_fp_ieee_invalid_op 0
		.amdhsa_exception_fp_denorm_src 0
		.amdhsa_exception_fp_ieee_div_zero 0
		.amdhsa_exception_fp_ieee_overflow 0
		.amdhsa_exception_fp_ieee_underflow 0
		.amdhsa_exception_fp_ieee_inexact 0
		.amdhsa_exception_int_div_zero 0
	.end_amdhsa_kernel
	.section	.text._ZN7rocprim17ROCPRIM_400000_NS6detail17trampoline_kernelINS0_14default_configENS1_33run_length_encode_config_selectorIsjNS0_4plusIjEEEEZZNS1_33reduce_by_key_impl_wrapped_configILNS1_25lookback_scan_determinismE0ES3_S7_PKsNS0_17constant_iteratorIjlEEPsPlSF_S6_NS0_8equal_toIsEEEE10hipError_tPvRmT2_T3_mT4_T5_T6_T7_T8_P12ihipStream_tbENKUlT_T0_E_clISt17integral_constantIbLb1EESY_IbLb0EEEEDaSU_SV_EUlSU_E_NS1_11comp_targetILNS1_3genE10ELNS1_11target_archE1200ELNS1_3gpuE4ELNS1_3repE0EEENS1_30default_config_static_selectorELNS0_4arch9wavefront6targetE0EEEvT1_,"axG",@progbits,_ZN7rocprim17ROCPRIM_400000_NS6detail17trampoline_kernelINS0_14default_configENS1_33run_length_encode_config_selectorIsjNS0_4plusIjEEEEZZNS1_33reduce_by_key_impl_wrapped_configILNS1_25lookback_scan_determinismE0ES3_S7_PKsNS0_17constant_iteratorIjlEEPsPlSF_S6_NS0_8equal_toIsEEEE10hipError_tPvRmT2_T3_mT4_T5_T6_T7_T8_P12ihipStream_tbENKUlT_T0_E_clISt17integral_constantIbLb1EESY_IbLb0EEEEDaSU_SV_EUlSU_E_NS1_11comp_targetILNS1_3genE10ELNS1_11target_archE1200ELNS1_3gpuE4ELNS1_3repE0EEENS1_30default_config_static_selectorELNS0_4arch9wavefront6targetE0EEEvT1_,comdat
.Lfunc_end604:
	.size	_ZN7rocprim17ROCPRIM_400000_NS6detail17trampoline_kernelINS0_14default_configENS1_33run_length_encode_config_selectorIsjNS0_4plusIjEEEEZZNS1_33reduce_by_key_impl_wrapped_configILNS1_25lookback_scan_determinismE0ES3_S7_PKsNS0_17constant_iteratorIjlEEPsPlSF_S6_NS0_8equal_toIsEEEE10hipError_tPvRmT2_T3_mT4_T5_T6_T7_T8_P12ihipStream_tbENKUlT_T0_E_clISt17integral_constantIbLb1EESY_IbLb0EEEEDaSU_SV_EUlSU_E_NS1_11comp_targetILNS1_3genE10ELNS1_11target_archE1200ELNS1_3gpuE4ELNS1_3repE0EEENS1_30default_config_static_selectorELNS0_4arch9wavefront6targetE0EEEvT1_, .Lfunc_end604-_ZN7rocprim17ROCPRIM_400000_NS6detail17trampoline_kernelINS0_14default_configENS1_33run_length_encode_config_selectorIsjNS0_4plusIjEEEEZZNS1_33reduce_by_key_impl_wrapped_configILNS1_25lookback_scan_determinismE0ES3_S7_PKsNS0_17constant_iteratorIjlEEPsPlSF_S6_NS0_8equal_toIsEEEE10hipError_tPvRmT2_T3_mT4_T5_T6_T7_T8_P12ihipStream_tbENKUlT_T0_E_clISt17integral_constantIbLb1EESY_IbLb0EEEEDaSU_SV_EUlSU_E_NS1_11comp_targetILNS1_3genE10ELNS1_11target_archE1200ELNS1_3gpuE4ELNS1_3repE0EEENS1_30default_config_static_selectorELNS0_4arch9wavefront6targetE0EEEvT1_
                                        ; -- End function
	.set _ZN7rocprim17ROCPRIM_400000_NS6detail17trampoline_kernelINS0_14default_configENS1_33run_length_encode_config_selectorIsjNS0_4plusIjEEEEZZNS1_33reduce_by_key_impl_wrapped_configILNS1_25lookback_scan_determinismE0ES3_S7_PKsNS0_17constant_iteratorIjlEEPsPlSF_S6_NS0_8equal_toIsEEEE10hipError_tPvRmT2_T3_mT4_T5_T6_T7_T8_P12ihipStream_tbENKUlT_T0_E_clISt17integral_constantIbLb1EESY_IbLb0EEEEDaSU_SV_EUlSU_E_NS1_11comp_targetILNS1_3genE10ELNS1_11target_archE1200ELNS1_3gpuE4ELNS1_3repE0EEENS1_30default_config_static_selectorELNS0_4arch9wavefront6targetE0EEEvT1_.num_vgpr, 0
	.set _ZN7rocprim17ROCPRIM_400000_NS6detail17trampoline_kernelINS0_14default_configENS1_33run_length_encode_config_selectorIsjNS0_4plusIjEEEEZZNS1_33reduce_by_key_impl_wrapped_configILNS1_25lookback_scan_determinismE0ES3_S7_PKsNS0_17constant_iteratorIjlEEPsPlSF_S6_NS0_8equal_toIsEEEE10hipError_tPvRmT2_T3_mT4_T5_T6_T7_T8_P12ihipStream_tbENKUlT_T0_E_clISt17integral_constantIbLb1EESY_IbLb0EEEEDaSU_SV_EUlSU_E_NS1_11comp_targetILNS1_3genE10ELNS1_11target_archE1200ELNS1_3gpuE4ELNS1_3repE0EEENS1_30default_config_static_selectorELNS0_4arch9wavefront6targetE0EEEvT1_.num_agpr, 0
	.set _ZN7rocprim17ROCPRIM_400000_NS6detail17trampoline_kernelINS0_14default_configENS1_33run_length_encode_config_selectorIsjNS0_4plusIjEEEEZZNS1_33reduce_by_key_impl_wrapped_configILNS1_25lookback_scan_determinismE0ES3_S7_PKsNS0_17constant_iteratorIjlEEPsPlSF_S6_NS0_8equal_toIsEEEE10hipError_tPvRmT2_T3_mT4_T5_T6_T7_T8_P12ihipStream_tbENKUlT_T0_E_clISt17integral_constantIbLb1EESY_IbLb0EEEEDaSU_SV_EUlSU_E_NS1_11comp_targetILNS1_3genE10ELNS1_11target_archE1200ELNS1_3gpuE4ELNS1_3repE0EEENS1_30default_config_static_selectorELNS0_4arch9wavefront6targetE0EEEvT1_.numbered_sgpr, 0
	.set _ZN7rocprim17ROCPRIM_400000_NS6detail17trampoline_kernelINS0_14default_configENS1_33run_length_encode_config_selectorIsjNS0_4plusIjEEEEZZNS1_33reduce_by_key_impl_wrapped_configILNS1_25lookback_scan_determinismE0ES3_S7_PKsNS0_17constant_iteratorIjlEEPsPlSF_S6_NS0_8equal_toIsEEEE10hipError_tPvRmT2_T3_mT4_T5_T6_T7_T8_P12ihipStream_tbENKUlT_T0_E_clISt17integral_constantIbLb1EESY_IbLb0EEEEDaSU_SV_EUlSU_E_NS1_11comp_targetILNS1_3genE10ELNS1_11target_archE1200ELNS1_3gpuE4ELNS1_3repE0EEENS1_30default_config_static_selectorELNS0_4arch9wavefront6targetE0EEEvT1_.num_named_barrier, 0
	.set _ZN7rocprim17ROCPRIM_400000_NS6detail17trampoline_kernelINS0_14default_configENS1_33run_length_encode_config_selectorIsjNS0_4plusIjEEEEZZNS1_33reduce_by_key_impl_wrapped_configILNS1_25lookback_scan_determinismE0ES3_S7_PKsNS0_17constant_iteratorIjlEEPsPlSF_S6_NS0_8equal_toIsEEEE10hipError_tPvRmT2_T3_mT4_T5_T6_T7_T8_P12ihipStream_tbENKUlT_T0_E_clISt17integral_constantIbLb1EESY_IbLb0EEEEDaSU_SV_EUlSU_E_NS1_11comp_targetILNS1_3genE10ELNS1_11target_archE1200ELNS1_3gpuE4ELNS1_3repE0EEENS1_30default_config_static_selectorELNS0_4arch9wavefront6targetE0EEEvT1_.private_seg_size, 0
	.set _ZN7rocprim17ROCPRIM_400000_NS6detail17trampoline_kernelINS0_14default_configENS1_33run_length_encode_config_selectorIsjNS0_4plusIjEEEEZZNS1_33reduce_by_key_impl_wrapped_configILNS1_25lookback_scan_determinismE0ES3_S7_PKsNS0_17constant_iteratorIjlEEPsPlSF_S6_NS0_8equal_toIsEEEE10hipError_tPvRmT2_T3_mT4_T5_T6_T7_T8_P12ihipStream_tbENKUlT_T0_E_clISt17integral_constantIbLb1EESY_IbLb0EEEEDaSU_SV_EUlSU_E_NS1_11comp_targetILNS1_3genE10ELNS1_11target_archE1200ELNS1_3gpuE4ELNS1_3repE0EEENS1_30default_config_static_selectorELNS0_4arch9wavefront6targetE0EEEvT1_.uses_vcc, 0
	.set _ZN7rocprim17ROCPRIM_400000_NS6detail17trampoline_kernelINS0_14default_configENS1_33run_length_encode_config_selectorIsjNS0_4plusIjEEEEZZNS1_33reduce_by_key_impl_wrapped_configILNS1_25lookback_scan_determinismE0ES3_S7_PKsNS0_17constant_iteratorIjlEEPsPlSF_S6_NS0_8equal_toIsEEEE10hipError_tPvRmT2_T3_mT4_T5_T6_T7_T8_P12ihipStream_tbENKUlT_T0_E_clISt17integral_constantIbLb1EESY_IbLb0EEEEDaSU_SV_EUlSU_E_NS1_11comp_targetILNS1_3genE10ELNS1_11target_archE1200ELNS1_3gpuE4ELNS1_3repE0EEENS1_30default_config_static_selectorELNS0_4arch9wavefront6targetE0EEEvT1_.uses_flat_scratch, 0
	.set _ZN7rocprim17ROCPRIM_400000_NS6detail17trampoline_kernelINS0_14default_configENS1_33run_length_encode_config_selectorIsjNS0_4plusIjEEEEZZNS1_33reduce_by_key_impl_wrapped_configILNS1_25lookback_scan_determinismE0ES3_S7_PKsNS0_17constant_iteratorIjlEEPsPlSF_S6_NS0_8equal_toIsEEEE10hipError_tPvRmT2_T3_mT4_T5_T6_T7_T8_P12ihipStream_tbENKUlT_T0_E_clISt17integral_constantIbLb1EESY_IbLb0EEEEDaSU_SV_EUlSU_E_NS1_11comp_targetILNS1_3genE10ELNS1_11target_archE1200ELNS1_3gpuE4ELNS1_3repE0EEENS1_30default_config_static_selectorELNS0_4arch9wavefront6targetE0EEEvT1_.has_dyn_sized_stack, 0
	.set _ZN7rocprim17ROCPRIM_400000_NS6detail17trampoline_kernelINS0_14default_configENS1_33run_length_encode_config_selectorIsjNS0_4plusIjEEEEZZNS1_33reduce_by_key_impl_wrapped_configILNS1_25lookback_scan_determinismE0ES3_S7_PKsNS0_17constant_iteratorIjlEEPsPlSF_S6_NS0_8equal_toIsEEEE10hipError_tPvRmT2_T3_mT4_T5_T6_T7_T8_P12ihipStream_tbENKUlT_T0_E_clISt17integral_constantIbLb1EESY_IbLb0EEEEDaSU_SV_EUlSU_E_NS1_11comp_targetILNS1_3genE10ELNS1_11target_archE1200ELNS1_3gpuE4ELNS1_3repE0EEENS1_30default_config_static_selectorELNS0_4arch9wavefront6targetE0EEEvT1_.has_recursion, 0
	.set _ZN7rocprim17ROCPRIM_400000_NS6detail17trampoline_kernelINS0_14default_configENS1_33run_length_encode_config_selectorIsjNS0_4plusIjEEEEZZNS1_33reduce_by_key_impl_wrapped_configILNS1_25lookback_scan_determinismE0ES3_S7_PKsNS0_17constant_iteratorIjlEEPsPlSF_S6_NS0_8equal_toIsEEEE10hipError_tPvRmT2_T3_mT4_T5_T6_T7_T8_P12ihipStream_tbENKUlT_T0_E_clISt17integral_constantIbLb1EESY_IbLb0EEEEDaSU_SV_EUlSU_E_NS1_11comp_targetILNS1_3genE10ELNS1_11target_archE1200ELNS1_3gpuE4ELNS1_3repE0EEENS1_30default_config_static_selectorELNS0_4arch9wavefront6targetE0EEEvT1_.has_indirect_call, 0
	.section	.AMDGPU.csdata,"",@progbits
; Kernel info:
; codeLenInByte = 0
; TotalNumSgprs: 0
; NumVgprs: 0
; ScratchSize: 0
; MemoryBound: 0
; FloatMode: 240
; IeeeMode: 1
; LDSByteSize: 0 bytes/workgroup (compile time only)
; SGPRBlocks: 0
; VGPRBlocks: 0
; NumSGPRsForWavesPerEU: 1
; NumVGPRsForWavesPerEU: 1
; NamedBarCnt: 0
; Occupancy: 16
; WaveLimiterHint : 0
; COMPUTE_PGM_RSRC2:SCRATCH_EN: 0
; COMPUTE_PGM_RSRC2:USER_SGPR: 2
; COMPUTE_PGM_RSRC2:TRAP_HANDLER: 0
; COMPUTE_PGM_RSRC2:TGID_X_EN: 1
; COMPUTE_PGM_RSRC2:TGID_Y_EN: 0
; COMPUTE_PGM_RSRC2:TGID_Z_EN: 0
; COMPUTE_PGM_RSRC2:TIDIG_COMP_CNT: 0
	.section	.text._ZN7rocprim17ROCPRIM_400000_NS6detail17trampoline_kernelINS0_14default_configENS1_33run_length_encode_config_selectorIsjNS0_4plusIjEEEEZZNS1_33reduce_by_key_impl_wrapped_configILNS1_25lookback_scan_determinismE0ES3_S7_PKsNS0_17constant_iteratorIjlEEPsPlSF_S6_NS0_8equal_toIsEEEE10hipError_tPvRmT2_T3_mT4_T5_T6_T7_T8_P12ihipStream_tbENKUlT_T0_E_clISt17integral_constantIbLb1EESY_IbLb0EEEEDaSU_SV_EUlSU_E_NS1_11comp_targetILNS1_3genE9ELNS1_11target_archE1100ELNS1_3gpuE3ELNS1_3repE0EEENS1_30default_config_static_selectorELNS0_4arch9wavefront6targetE0EEEvT1_,"axG",@progbits,_ZN7rocprim17ROCPRIM_400000_NS6detail17trampoline_kernelINS0_14default_configENS1_33run_length_encode_config_selectorIsjNS0_4plusIjEEEEZZNS1_33reduce_by_key_impl_wrapped_configILNS1_25lookback_scan_determinismE0ES3_S7_PKsNS0_17constant_iteratorIjlEEPsPlSF_S6_NS0_8equal_toIsEEEE10hipError_tPvRmT2_T3_mT4_T5_T6_T7_T8_P12ihipStream_tbENKUlT_T0_E_clISt17integral_constantIbLb1EESY_IbLb0EEEEDaSU_SV_EUlSU_E_NS1_11comp_targetILNS1_3genE9ELNS1_11target_archE1100ELNS1_3gpuE3ELNS1_3repE0EEENS1_30default_config_static_selectorELNS0_4arch9wavefront6targetE0EEEvT1_,comdat
	.protected	_ZN7rocprim17ROCPRIM_400000_NS6detail17trampoline_kernelINS0_14default_configENS1_33run_length_encode_config_selectorIsjNS0_4plusIjEEEEZZNS1_33reduce_by_key_impl_wrapped_configILNS1_25lookback_scan_determinismE0ES3_S7_PKsNS0_17constant_iteratorIjlEEPsPlSF_S6_NS0_8equal_toIsEEEE10hipError_tPvRmT2_T3_mT4_T5_T6_T7_T8_P12ihipStream_tbENKUlT_T0_E_clISt17integral_constantIbLb1EESY_IbLb0EEEEDaSU_SV_EUlSU_E_NS1_11comp_targetILNS1_3genE9ELNS1_11target_archE1100ELNS1_3gpuE3ELNS1_3repE0EEENS1_30default_config_static_selectorELNS0_4arch9wavefront6targetE0EEEvT1_ ; -- Begin function _ZN7rocprim17ROCPRIM_400000_NS6detail17trampoline_kernelINS0_14default_configENS1_33run_length_encode_config_selectorIsjNS0_4plusIjEEEEZZNS1_33reduce_by_key_impl_wrapped_configILNS1_25lookback_scan_determinismE0ES3_S7_PKsNS0_17constant_iteratorIjlEEPsPlSF_S6_NS0_8equal_toIsEEEE10hipError_tPvRmT2_T3_mT4_T5_T6_T7_T8_P12ihipStream_tbENKUlT_T0_E_clISt17integral_constantIbLb1EESY_IbLb0EEEEDaSU_SV_EUlSU_E_NS1_11comp_targetILNS1_3genE9ELNS1_11target_archE1100ELNS1_3gpuE3ELNS1_3repE0EEENS1_30default_config_static_selectorELNS0_4arch9wavefront6targetE0EEEvT1_
	.globl	_ZN7rocprim17ROCPRIM_400000_NS6detail17trampoline_kernelINS0_14default_configENS1_33run_length_encode_config_selectorIsjNS0_4plusIjEEEEZZNS1_33reduce_by_key_impl_wrapped_configILNS1_25lookback_scan_determinismE0ES3_S7_PKsNS0_17constant_iteratorIjlEEPsPlSF_S6_NS0_8equal_toIsEEEE10hipError_tPvRmT2_T3_mT4_T5_T6_T7_T8_P12ihipStream_tbENKUlT_T0_E_clISt17integral_constantIbLb1EESY_IbLb0EEEEDaSU_SV_EUlSU_E_NS1_11comp_targetILNS1_3genE9ELNS1_11target_archE1100ELNS1_3gpuE3ELNS1_3repE0EEENS1_30default_config_static_selectorELNS0_4arch9wavefront6targetE0EEEvT1_
	.p2align	8
	.type	_ZN7rocprim17ROCPRIM_400000_NS6detail17trampoline_kernelINS0_14default_configENS1_33run_length_encode_config_selectorIsjNS0_4plusIjEEEEZZNS1_33reduce_by_key_impl_wrapped_configILNS1_25lookback_scan_determinismE0ES3_S7_PKsNS0_17constant_iteratorIjlEEPsPlSF_S6_NS0_8equal_toIsEEEE10hipError_tPvRmT2_T3_mT4_T5_T6_T7_T8_P12ihipStream_tbENKUlT_T0_E_clISt17integral_constantIbLb1EESY_IbLb0EEEEDaSU_SV_EUlSU_E_NS1_11comp_targetILNS1_3genE9ELNS1_11target_archE1100ELNS1_3gpuE3ELNS1_3repE0EEENS1_30default_config_static_selectorELNS0_4arch9wavefront6targetE0EEEvT1_,@function
_ZN7rocprim17ROCPRIM_400000_NS6detail17trampoline_kernelINS0_14default_configENS1_33run_length_encode_config_selectorIsjNS0_4plusIjEEEEZZNS1_33reduce_by_key_impl_wrapped_configILNS1_25lookback_scan_determinismE0ES3_S7_PKsNS0_17constant_iteratorIjlEEPsPlSF_S6_NS0_8equal_toIsEEEE10hipError_tPvRmT2_T3_mT4_T5_T6_T7_T8_P12ihipStream_tbENKUlT_T0_E_clISt17integral_constantIbLb1EESY_IbLb0EEEEDaSU_SV_EUlSU_E_NS1_11comp_targetILNS1_3genE9ELNS1_11target_archE1100ELNS1_3gpuE3ELNS1_3repE0EEENS1_30default_config_static_selectorELNS0_4arch9wavefront6targetE0EEEvT1_: ; @_ZN7rocprim17ROCPRIM_400000_NS6detail17trampoline_kernelINS0_14default_configENS1_33run_length_encode_config_selectorIsjNS0_4plusIjEEEEZZNS1_33reduce_by_key_impl_wrapped_configILNS1_25lookback_scan_determinismE0ES3_S7_PKsNS0_17constant_iteratorIjlEEPsPlSF_S6_NS0_8equal_toIsEEEE10hipError_tPvRmT2_T3_mT4_T5_T6_T7_T8_P12ihipStream_tbENKUlT_T0_E_clISt17integral_constantIbLb1EESY_IbLb0EEEEDaSU_SV_EUlSU_E_NS1_11comp_targetILNS1_3genE9ELNS1_11target_archE1100ELNS1_3gpuE3ELNS1_3repE0EEENS1_30default_config_static_selectorELNS0_4arch9wavefront6targetE0EEEvT1_
; %bb.0:
	.section	.rodata,"a",@progbits
	.p2align	6, 0x0
	.amdhsa_kernel _ZN7rocprim17ROCPRIM_400000_NS6detail17trampoline_kernelINS0_14default_configENS1_33run_length_encode_config_selectorIsjNS0_4plusIjEEEEZZNS1_33reduce_by_key_impl_wrapped_configILNS1_25lookback_scan_determinismE0ES3_S7_PKsNS0_17constant_iteratorIjlEEPsPlSF_S6_NS0_8equal_toIsEEEE10hipError_tPvRmT2_T3_mT4_T5_T6_T7_T8_P12ihipStream_tbENKUlT_T0_E_clISt17integral_constantIbLb1EESY_IbLb0EEEEDaSU_SV_EUlSU_E_NS1_11comp_targetILNS1_3genE9ELNS1_11target_archE1100ELNS1_3gpuE3ELNS1_3repE0EEENS1_30default_config_static_selectorELNS0_4arch9wavefront6targetE0EEEvT1_
		.amdhsa_group_segment_fixed_size 0
		.amdhsa_private_segment_fixed_size 0
		.amdhsa_kernarg_size 128
		.amdhsa_user_sgpr_count 2
		.amdhsa_user_sgpr_dispatch_ptr 0
		.amdhsa_user_sgpr_queue_ptr 0
		.amdhsa_user_sgpr_kernarg_segment_ptr 1
		.amdhsa_user_sgpr_dispatch_id 0
		.amdhsa_user_sgpr_kernarg_preload_length 0
		.amdhsa_user_sgpr_kernarg_preload_offset 0
		.amdhsa_user_sgpr_private_segment_size 0
		.amdhsa_wavefront_size32 1
		.amdhsa_uses_dynamic_stack 0
		.amdhsa_enable_private_segment 0
		.amdhsa_system_sgpr_workgroup_id_x 1
		.amdhsa_system_sgpr_workgroup_id_y 0
		.amdhsa_system_sgpr_workgroup_id_z 0
		.amdhsa_system_sgpr_workgroup_info 0
		.amdhsa_system_vgpr_workitem_id 0
		.amdhsa_next_free_vgpr 1
		.amdhsa_next_free_sgpr 1
		.amdhsa_named_barrier_count 0
		.amdhsa_reserve_vcc 0
		.amdhsa_float_round_mode_32 0
		.amdhsa_float_round_mode_16_64 0
		.amdhsa_float_denorm_mode_32 3
		.amdhsa_float_denorm_mode_16_64 3
		.amdhsa_fp16_overflow 0
		.amdhsa_memory_ordered 1
		.amdhsa_forward_progress 1
		.amdhsa_inst_pref_size 0
		.amdhsa_round_robin_scheduling 0
		.amdhsa_exception_fp_ieee_invalid_op 0
		.amdhsa_exception_fp_denorm_src 0
		.amdhsa_exception_fp_ieee_div_zero 0
		.amdhsa_exception_fp_ieee_overflow 0
		.amdhsa_exception_fp_ieee_underflow 0
		.amdhsa_exception_fp_ieee_inexact 0
		.amdhsa_exception_int_div_zero 0
	.end_amdhsa_kernel
	.section	.text._ZN7rocprim17ROCPRIM_400000_NS6detail17trampoline_kernelINS0_14default_configENS1_33run_length_encode_config_selectorIsjNS0_4plusIjEEEEZZNS1_33reduce_by_key_impl_wrapped_configILNS1_25lookback_scan_determinismE0ES3_S7_PKsNS0_17constant_iteratorIjlEEPsPlSF_S6_NS0_8equal_toIsEEEE10hipError_tPvRmT2_T3_mT4_T5_T6_T7_T8_P12ihipStream_tbENKUlT_T0_E_clISt17integral_constantIbLb1EESY_IbLb0EEEEDaSU_SV_EUlSU_E_NS1_11comp_targetILNS1_3genE9ELNS1_11target_archE1100ELNS1_3gpuE3ELNS1_3repE0EEENS1_30default_config_static_selectorELNS0_4arch9wavefront6targetE0EEEvT1_,"axG",@progbits,_ZN7rocprim17ROCPRIM_400000_NS6detail17trampoline_kernelINS0_14default_configENS1_33run_length_encode_config_selectorIsjNS0_4plusIjEEEEZZNS1_33reduce_by_key_impl_wrapped_configILNS1_25lookback_scan_determinismE0ES3_S7_PKsNS0_17constant_iteratorIjlEEPsPlSF_S6_NS0_8equal_toIsEEEE10hipError_tPvRmT2_T3_mT4_T5_T6_T7_T8_P12ihipStream_tbENKUlT_T0_E_clISt17integral_constantIbLb1EESY_IbLb0EEEEDaSU_SV_EUlSU_E_NS1_11comp_targetILNS1_3genE9ELNS1_11target_archE1100ELNS1_3gpuE3ELNS1_3repE0EEENS1_30default_config_static_selectorELNS0_4arch9wavefront6targetE0EEEvT1_,comdat
.Lfunc_end605:
	.size	_ZN7rocprim17ROCPRIM_400000_NS6detail17trampoline_kernelINS0_14default_configENS1_33run_length_encode_config_selectorIsjNS0_4plusIjEEEEZZNS1_33reduce_by_key_impl_wrapped_configILNS1_25lookback_scan_determinismE0ES3_S7_PKsNS0_17constant_iteratorIjlEEPsPlSF_S6_NS0_8equal_toIsEEEE10hipError_tPvRmT2_T3_mT4_T5_T6_T7_T8_P12ihipStream_tbENKUlT_T0_E_clISt17integral_constantIbLb1EESY_IbLb0EEEEDaSU_SV_EUlSU_E_NS1_11comp_targetILNS1_3genE9ELNS1_11target_archE1100ELNS1_3gpuE3ELNS1_3repE0EEENS1_30default_config_static_selectorELNS0_4arch9wavefront6targetE0EEEvT1_, .Lfunc_end605-_ZN7rocprim17ROCPRIM_400000_NS6detail17trampoline_kernelINS0_14default_configENS1_33run_length_encode_config_selectorIsjNS0_4plusIjEEEEZZNS1_33reduce_by_key_impl_wrapped_configILNS1_25lookback_scan_determinismE0ES3_S7_PKsNS0_17constant_iteratorIjlEEPsPlSF_S6_NS0_8equal_toIsEEEE10hipError_tPvRmT2_T3_mT4_T5_T6_T7_T8_P12ihipStream_tbENKUlT_T0_E_clISt17integral_constantIbLb1EESY_IbLb0EEEEDaSU_SV_EUlSU_E_NS1_11comp_targetILNS1_3genE9ELNS1_11target_archE1100ELNS1_3gpuE3ELNS1_3repE0EEENS1_30default_config_static_selectorELNS0_4arch9wavefront6targetE0EEEvT1_
                                        ; -- End function
	.set _ZN7rocprim17ROCPRIM_400000_NS6detail17trampoline_kernelINS0_14default_configENS1_33run_length_encode_config_selectorIsjNS0_4plusIjEEEEZZNS1_33reduce_by_key_impl_wrapped_configILNS1_25lookback_scan_determinismE0ES3_S7_PKsNS0_17constant_iteratorIjlEEPsPlSF_S6_NS0_8equal_toIsEEEE10hipError_tPvRmT2_T3_mT4_T5_T6_T7_T8_P12ihipStream_tbENKUlT_T0_E_clISt17integral_constantIbLb1EESY_IbLb0EEEEDaSU_SV_EUlSU_E_NS1_11comp_targetILNS1_3genE9ELNS1_11target_archE1100ELNS1_3gpuE3ELNS1_3repE0EEENS1_30default_config_static_selectorELNS0_4arch9wavefront6targetE0EEEvT1_.num_vgpr, 0
	.set _ZN7rocprim17ROCPRIM_400000_NS6detail17trampoline_kernelINS0_14default_configENS1_33run_length_encode_config_selectorIsjNS0_4plusIjEEEEZZNS1_33reduce_by_key_impl_wrapped_configILNS1_25lookback_scan_determinismE0ES3_S7_PKsNS0_17constant_iteratorIjlEEPsPlSF_S6_NS0_8equal_toIsEEEE10hipError_tPvRmT2_T3_mT4_T5_T6_T7_T8_P12ihipStream_tbENKUlT_T0_E_clISt17integral_constantIbLb1EESY_IbLb0EEEEDaSU_SV_EUlSU_E_NS1_11comp_targetILNS1_3genE9ELNS1_11target_archE1100ELNS1_3gpuE3ELNS1_3repE0EEENS1_30default_config_static_selectorELNS0_4arch9wavefront6targetE0EEEvT1_.num_agpr, 0
	.set _ZN7rocprim17ROCPRIM_400000_NS6detail17trampoline_kernelINS0_14default_configENS1_33run_length_encode_config_selectorIsjNS0_4plusIjEEEEZZNS1_33reduce_by_key_impl_wrapped_configILNS1_25lookback_scan_determinismE0ES3_S7_PKsNS0_17constant_iteratorIjlEEPsPlSF_S6_NS0_8equal_toIsEEEE10hipError_tPvRmT2_T3_mT4_T5_T6_T7_T8_P12ihipStream_tbENKUlT_T0_E_clISt17integral_constantIbLb1EESY_IbLb0EEEEDaSU_SV_EUlSU_E_NS1_11comp_targetILNS1_3genE9ELNS1_11target_archE1100ELNS1_3gpuE3ELNS1_3repE0EEENS1_30default_config_static_selectorELNS0_4arch9wavefront6targetE0EEEvT1_.numbered_sgpr, 0
	.set _ZN7rocprim17ROCPRIM_400000_NS6detail17trampoline_kernelINS0_14default_configENS1_33run_length_encode_config_selectorIsjNS0_4plusIjEEEEZZNS1_33reduce_by_key_impl_wrapped_configILNS1_25lookback_scan_determinismE0ES3_S7_PKsNS0_17constant_iteratorIjlEEPsPlSF_S6_NS0_8equal_toIsEEEE10hipError_tPvRmT2_T3_mT4_T5_T6_T7_T8_P12ihipStream_tbENKUlT_T0_E_clISt17integral_constantIbLb1EESY_IbLb0EEEEDaSU_SV_EUlSU_E_NS1_11comp_targetILNS1_3genE9ELNS1_11target_archE1100ELNS1_3gpuE3ELNS1_3repE0EEENS1_30default_config_static_selectorELNS0_4arch9wavefront6targetE0EEEvT1_.num_named_barrier, 0
	.set _ZN7rocprim17ROCPRIM_400000_NS6detail17trampoline_kernelINS0_14default_configENS1_33run_length_encode_config_selectorIsjNS0_4plusIjEEEEZZNS1_33reduce_by_key_impl_wrapped_configILNS1_25lookback_scan_determinismE0ES3_S7_PKsNS0_17constant_iteratorIjlEEPsPlSF_S6_NS0_8equal_toIsEEEE10hipError_tPvRmT2_T3_mT4_T5_T6_T7_T8_P12ihipStream_tbENKUlT_T0_E_clISt17integral_constantIbLb1EESY_IbLb0EEEEDaSU_SV_EUlSU_E_NS1_11comp_targetILNS1_3genE9ELNS1_11target_archE1100ELNS1_3gpuE3ELNS1_3repE0EEENS1_30default_config_static_selectorELNS0_4arch9wavefront6targetE0EEEvT1_.private_seg_size, 0
	.set _ZN7rocprim17ROCPRIM_400000_NS6detail17trampoline_kernelINS0_14default_configENS1_33run_length_encode_config_selectorIsjNS0_4plusIjEEEEZZNS1_33reduce_by_key_impl_wrapped_configILNS1_25lookback_scan_determinismE0ES3_S7_PKsNS0_17constant_iteratorIjlEEPsPlSF_S6_NS0_8equal_toIsEEEE10hipError_tPvRmT2_T3_mT4_T5_T6_T7_T8_P12ihipStream_tbENKUlT_T0_E_clISt17integral_constantIbLb1EESY_IbLb0EEEEDaSU_SV_EUlSU_E_NS1_11comp_targetILNS1_3genE9ELNS1_11target_archE1100ELNS1_3gpuE3ELNS1_3repE0EEENS1_30default_config_static_selectorELNS0_4arch9wavefront6targetE0EEEvT1_.uses_vcc, 0
	.set _ZN7rocprim17ROCPRIM_400000_NS6detail17trampoline_kernelINS0_14default_configENS1_33run_length_encode_config_selectorIsjNS0_4plusIjEEEEZZNS1_33reduce_by_key_impl_wrapped_configILNS1_25lookback_scan_determinismE0ES3_S7_PKsNS0_17constant_iteratorIjlEEPsPlSF_S6_NS0_8equal_toIsEEEE10hipError_tPvRmT2_T3_mT4_T5_T6_T7_T8_P12ihipStream_tbENKUlT_T0_E_clISt17integral_constantIbLb1EESY_IbLb0EEEEDaSU_SV_EUlSU_E_NS1_11comp_targetILNS1_3genE9ELNS1_11target_archE1100ELNS1_3gpuE3ELNS1_3repE0EEENS1_30default_config_static_selectorELNS0_4arch9wavefront6targetE0EEEvT1_.uses_flat_scratch, 0
	.set _ZN7rocprim17ROCPRIM_400000_NS6detail17trampoline_kernelINS0_14default_configENS1_33run_length_encode_config_selectorIsjNS0_4plusIjEEEEZZNS1_33reduce_by_key_impl_wrapped_configILNS1_25lookback_scan_determinismE0ES3_S7_PKsNS0_17constant_iteratorIjlEEPsPlSF_S6_NS0_8equal_toIsEEEE10hipError_tPvRmT2_T3_mT4_T5_T6_T7_T8_P12ihipStream_tbENKUlT_T0_E_clISt17integral_constantIbLb1EESY_IbLb0EEEEDaSU_SV_EUlSU_E_NS1_11comp_targetILNS1_3genE9ELNS1_11target_archE1100ELNS1_3gpuE3ELNS1_3repE0EEENS1_30default_config_static_selectorELNS0_4arch9wavefront6targetE0EEEvT1_.has_dyn_sized_stack, 0
	.set _ZN7rocprim17ROCPRIM_400000_NS6detail17trampoline_kernelINS0_14default_configENS1_33run_length_encode_config_selectorIsjNS0_4plusIjEEEEZZNS1_33reduce_by_key_impl_wrapped_configILNS1_25lookback_scan_determinismE0ES3_S7_PKsNS0_17constant_iteratorIjlEEPsPlSF_S6_NS0_8equal_toIsEEEE10hipError_tPvRmT2_T3_mT4_T5_T6_T7_T8_P12ihipStream_tbENKUlT_T0_E_clISt17integral_constantIbLb1EESY_IbLb0EEEEDaSU_SV_EUlSU_E_NS1_11comp_targetILNS1_3genE9ELNS1_11target_archE1100ELNS1_3gpuE3ELNS1_3repE0EEENS1_30default_config_static_selectorELNS0_4arch9wavefront6targetE0EEEvT1_.has_recursion, 0
	.set _ZN7rocprim17ROCPRIM_400000_NS6detail17trampoline_kernelINS0_14default_configENS1_33run_length_encode_config_selectorIsjNS0_4plusIjEEEEZZNS1_33reduce_by_key_impl_wrapped_configILNS1_25lookback_scan_determinismE0ES3_S7_PKsNS0_17constant_iteratorIjlEEPsPlSF_S6_NS0_8equal_toIsEEEE10hipError_tPvRmT2_T3_mT4_T5_T6_T7_T8_P12ihipStream_tbENKUlT_T0_E_clISt17integral_constantIbLb1EESY_IbLb0EEEEDaSU_SV_EUlSU_E_NS1_11comp_targetILNS1_3genE9ELNS1_11target_archE1100ELNS1_3gpuE3ELNS1_3repE0EEENS1_30default_config_static_selectorELNS0_4arch9wavefront6targetE0EEEvT1_.has_indirect_call, 0
	.section	.AMDGPU.csdata,"",@progbits
; Kernel info:
; codeLenInByte = 0
; TotalNumSgprs: 0
; NumVgprs: 0
; ScratchSize: 0
; MemoryBound: 0
; FloatMode: 240
; IeeeMode: 1
; LDSByteSize: 0 bytes/workgroup (compile time only)
; SGPRBlocks: 0
; VGPRBlocks: 0
; NumSGPRsForWavesPerEU: 1
; NumVGPRsForWavesPerEU: 1
; NamedBarCnt: 0
; Occupancy: 16
; WaveLimiterHint : 0
; COMPUTE_PGM_RSRC2:SCRATCH_EN: 0
; COMPUTE_PGM_RSRC2:USER_SGPR: 2
; COMPUTE_PGM_RSRC2:TRAP_HANDLER: 0
; COMPUTE_PGM_RSRC2:TGID_X_EN: 1
; COMPUTE_PGM_RSRC2:TGID_Y_EN: 0
; COMPUTE_PGM_RSRC2:TGID_Z_EN: 0
; COMPUTE_PGM_RSRC2:TIDIG_COMP_CNT: 0
	.section	.text._ZN7rocprim17ROCPRIM_400000_NS6detail17trampoline_kernelINS0_14default_configENS1_33run_length_encode_config_selectorIsjNS0_4plusIjEEEEZZNS1_33reduce_by_key_impl_wrapped_configILNS1_25lookback_scan_determinismE0ES3_S7_PKsNS0_17constant_iteratorIjlEEPsPlSF_S6_NS0_8equal_toIsEEEE10hipError_tPvRmT2_T3_mT4_T5_T6_T7_T8_P12ihipStream_tbENKUlT_T0_E_clISt17integral_constantIbLb1EESY_IbLb0EEEEDaSU_SV_EUlSU_E_NS1_11comp_targetILNS1_3genE8ELNS1_11target_archE1030ELNS1_3gpuE2ELNS1_3repE0EEENS1_30default_config_static_selectorELNS0_4arch9wavefront6targetE0EEEvT1_,"axG",@progbits,_ZN7rocprim17ROCPRIM_400000_NS6detail17trampoline_kernelINS0_14default_configENS1_33run_length_encode_config_selectorIsjNS0_4plusIjEEEEZZNS1_33reduce_by_key_impl_wrapped_configILNS1_25lookback_scan_determinismE0ES3_S7_PKsNS0_17constant_iteratorIjlEEPsPlSF_S6_NS0_8equal_toIsEEEE10hipError_tPvRmT2_T3_mT4_T5_T6_T7_T8_P12ihipStream_tbENKUlT_T0_E_clISt17integral_constantIbLb1EESY_IbLb0EEEEDaSU_SV_EUlSU_E_NS1_11comp_targetILNS1_3genE8ELNS1_11target_archE1030ELNS1_3gpuE2ELNS1_3repE0EEENS1_30default_config_static_selectorELNS0_4arch9wavefront6targetE0EEEvT1_,comdat
	.protected	_ZN7rocprim17ROCPRIM_400000_NS6detail17trampoline_kernelINS0_14default_configENS1_33run_length_encode_config_selectorIsjNS0_4plusIjEEEEZZNS1_33reduce_by_key_impl_wrapped_configILNS1_25lookback_scan_determinismE0ES3_S7_PKsNS0_17constant_iteratorIjlEEPsPlSF_S6_NS0_8equal_toIsEEEE10hipError_tPvRmT2_T3_mT4_T5_T6_T7_T8_P12ihipStream_tbENKUlT_T0_E_clISt17integral_constantIbLb1EESY_IbLb0EEEEDaSU_SV_EUlSU_E_NS1_11comp_targetILNS1_3genE8ELNS1_11target_archE1030ELNS1_3gpuE2ELNS1_3repE0EEENS1_30default_config_static_selectorELNS0_4arch9wavefront6targetE0EEEvT1_ ; -- Begin function _ZN7rocprim17ROCPRIM_400000_NS6detail17trampoline_kernelINS0_14default_configENS1_33run_length_encode_config_selectorIsjNS0_4plusIjEEEEZZNS1_33reduce_by_key_impl_wrapped_configILNS1_25lookback_scan_determinismE0ES3_S7_PKsNS0_17constant_iteratorIjlEEPsPlSF_S6_NS0_8equal_toIsEEEE10hipError_tPvRmT2_T3_mT4_T5_T6_T7_T8_P12ihipStream_tbENKUlT_T0_E_clISt17integral_constantIbLb1EESY_IbLb0EEEEDaSU_SV_EUlSU_E_NS1_11comp_targetILNS1_3genE8ELNS1_11target_archE1030ELNS1_3gpuE2ELNS1_3repE0EEENS1_30default_config_static_selectorELNS0_4arch9wavefront6targetE0EEEvT1_
	.globl	_ZN7rocprim17ROCPRIM_400000_NS6detail17trampoline_kernelINS0_14default_configENS1_33run_length_encode_config_selectorIsjNS0_4plusIjEEEEZZNS1_33reduce_by_key_impl_wrapped_configILNS1_25lookback_scan_determinismE0ES3_S7_PKsNS0_17constant_iteratorIjlEEPsPlSF_S6_NS0_8equal_toIsEEEE10hipError_tPvRmT2_T3_mT4_T5_T6_T7_T8_P12ihipStream_tbENKUlT_T0_E_clISt17integral_constantIbLb1EESY_IbLb0EEEEDaSU_SV_EUlSU_E_NS1_11comp_targetILNS1_3genE8ELNS1_11target_archE1030ELNS1_3gpuE2ELNS1_3repE0EEENS1_30default_config_static_selectorELNS0_4arch9wavefront6targetE0EEEvT1_
	.p2align	8
	.type	_ZN7rocprim17ROCPRIM_400000_NS6detail17trampoline_kernelINS0_14default_configENS1_33run_length_encode_config_selectorIsjNS0_4plusIjEEEEZZNS1_33reduce_by_key_impl_wrapped_configILNS1_25lookback_scan_determinismE0ES3_S7_PKsNS0_17constant_iteratorIjlEEPsPlSF_S6_NS0_8equal_toIsEEEE10hipError_tPvRmT2_T3_mT4_T5_T6_T7_T8_P12ihipStream_tbENKUlT_T0_E_clISt17integral_constantIbLb1EESY_IbLb0EEEEDaSU_SV_EUlSU_E_NS1_11comp_targetILNS1_3genE8ELNS1_11target_archE1030ELNS1_3gpuE2ELNS1_3repE0EEENS1_30default_config_static_selectorELNS0_4arch9wavefront6targetE0EEEvT1_,@function
_ZN7rocprim17ROCPRIM_400000_NS6detail17trampoline_kernelINS0_14default_configENS1_33run_length_encode_config_selectorIsjNS0_4plusIjEEEEZZNS1_33reduce_by_key_impl_wrapped_configILNS1_25lookback_scan_determinismE0ES3_S7_PKsNS0_17constant_iteratorIjlEEPsPlSF_S6_NS0_8equal_toIsEEEE10hipError_tPvRmT2_T3_mT4_T5_T6_T7_T8_P12ihipStream_tbENKUlT_T0_E_clISt17integral_constantIbLb1EESY_IbLb0EEEEDaSU_SV_EUlSU_E_NS1_11comp_targetILNS1_3genE8ELNS1_11target_archE1030ELNS1_3gpuE2ELNS1_3repE0EEENS1_30default_config_static_selectorELNS0_4arch9wavefront6targetE0EEEvT1_: ; @_ZN7rocprim17ROCPRIM_400000_NS6detail17trampoline_kernelINS0_14default_configENS1_33run_length_encode_config_selectorIsjNS0_4plusIjEEEEZZNS1_33reduce_by_key_impl_wrapped_configILNS1_25lookback_scan_determinismE0ES3_S7_PKsNS0_17constant_iteratorIjlEEPsPlSF_S6_NS0_8equal_toIsEEEE10hipError_tPvRmT2_T3_mT4_T5_T6_T7_T8_P12ihipStream_tbENKUlT_T0_E_clISt17integral_constantIbLb1EESY_IbLb0EEEEDaSU_SV_EUlSU_E_NS1_11comp_targetILNS1_3genE8ELNS1_11target_archE1030ELNS1_3gpuE2ELNS1_3repE0EEENS1_30default_config_static_selectorELNS0_4arch9wavefront6targetE0EEEvT1_
; %bb.0:
	.section	.rodata,"a",@progbits
	.p2align	6, 0x0
	.amdhsa_kernel _ZN7rocprim17ROCPRIM_400000_NS6detail17trampoline_kernelINS0_14default_configENS1_33run_length_encode_config_selectorIsjNS0_4plusIjEEEEZZNS1_33reduce_by_key_impl_wrapped_configILNS1_25lookback_scan_determinismE0ES3_S7_PKsNS0_17constant_iteratorIjlEEPsPlSF_S6_NS0_8equal_toIsEEEE10hipError_tPvRmT2_T3_mT4_T5_T6_T7_T8_P12ihipStream_tbENKUlT_T0_E_clISt17integral_constantIbLb1EESY_IbLb0EEEEDaSU_SV_EUlSU_E_NS1_11comp_targetILNS1_3genE8ELNS1_11target_archE1030ELNS1_3gpuE2ELNS1_3repE0EEENS1_30default_config_static_selectorELNS0_4arch9wavefront6targetE0EEEvT1_
		.amdhsa_group_segment_fixed_size 0
		.amdhsa_private_segment_fixed_size 0
		.amdhsa_kernarg_size 128
		.amdhsa_user_sgpr_count 2
		.amdhsa_user_sgpr_dispatch_ptr 0
		.amdhsa_user_sgpr_queue_ptr 0
		.amdhsa_user_sgpr_kernarg_segment_ptr 1
		.amdhsa_user_sgpr_dispatch_id 0
		.amdhsa_user_sgpr_kernarg_preload_length 0
		.amdhsa_user_sgpr_kernarg_preload_offset 0
		.amdhsa_user_sgpr_private_segment_size 0
		.amdhsa_wavefront_size32 1
		.amdhsa_uses_dynamic_stack 0
		.amdhsa_enable_private_segment 0
		.amdhsa_system_sgpr_workgroup_id_x 1
		.amdhsa_system_sgpr_workgroup_id_y 0
		.amdhsa_system_sgpr_workgroup_id_z 0
		.amdhsa_system_sgpr_workgroup_info 0
		.amdhsa_system_vgpr_workitem_id 0
		.amdhsa_next_free_vgpr 1
		.amdhsa_next_free_sgpr 1
		.amdhsa_named_barrier_count 0
		.amdhsa_reserve_vcc 0
		.amdhsa_float_round_mode_32 0
		.amdhsa_float_round_mode_16_64 0
		.amdhsa_float_denorm_mode_32 3
		.amdhsa_float_denorm_mode_16_64 3
		.amdhsa_fp16_overflow 0
		.amdhsa_memory_ordered 1
		.amdhsa_forward_progress 1
		.amdhsa_inst_pref_size 0
		.amdhsa_round_robin_scheduling 0
		.amdhsa_exception_fp_ieee_invalid_op 0
		.amdhsa_exception_fp_denorm_src 0
		.amdhsa_exception_fp_ieee_div_zero 0
		.amdhsa_exception_fp_ieee_overflow 0
		.amdhsa_exception_fp_ieee_underflow 0
		.amdhsa_exception_fp_ieee_inexact 0
		.amdhsa_exception_int_div_zero 0
	.end_amdhsa_kernel
	.section	.text._ZN7rocprim17ROCPRIM_400000_NS6detail17trampoline_kernelINS0_14default_configENS1_33run_length_encode_config_selectorIsjNS0_4plusIjEEEEZZNS1_33reduce_by_key_impl_wrapped_configILNS1_25lookback_scan_determinismE0ES3_S7_PKsNS0_17constant_iteratorIjlEEPsPlSF_S6_NS0_8equal_toIsEEEE10hipError_tPvRmT2_T3_mT4_T5_T6_T7_T8_P12ihipStream_tbENKUlT_T0_E_clISt17integral_constantIbLb1EESY_IbLb0EEEEDaSU_SV_EUlSU_E_NS1_11comp_targetILNS1_3genE8ELNS1_11target_archE1030ELNS1_3gpuE2ELNS1_3repE0EEENS1_30default_config_static_selectorELNS0_4arch9wavefront6targetE0EEEvT1_,"axG",@progbits,_ZN7rocprim17ROCPRIM_400000_NS6detail17trampoline_kernelINS0_14default_configENS1_33run_length_encode_config_selectorIsjNS0_4plusIjEEEEZZNS1_33reduce_by_key_impl_wrapped_configILNS1_25lookback_scan_determinismE0ES3_S7_PKsNS0_17constant_iteratorIjlEEPsPlSF_S6_NS0_8equal_toIsEEEE10hipError_tPvRmT2_T3_mT4_T5_T6_T7_T8_P12ihipStream_tbENKUlT_T0_E_clISt17integral_constantIbLb1EESY_IbLb0EEEEDaSU_SV_EUlSU_E_NS1_11comp_targetILNS1_3genE8ELNS1_11target_archE1030ELNS1_3gpuE2ELNS1_3repE0EEENS1_30default_config_static_selectorELNS0_4arch9wavefront6targetE0EEEvT1_,comdat
.Lfunc_end606:
	.size	_ZN7rocprim17ROCPRIM_400000_NS6detail17trampoline_kernelINS0_14default_configENS1_33run_length_encode_config_selectorIsjNS0_4plusIjEEEEZZNS1_33reduce_by_key_impl_wrapped_configILNS1_25lookback_scan_determinismE0ES3_S7_PKsNS0_17constant_iteratorIjlEEPsPlSF_S6_NS0_8equal_toIsEEEE10hipError_tPvRmT2_T3_mT4_T5_T6_T7_T8_P12ihipStream_tbENKUlT_T0_E_clISt17integral_constantIbLb1EESY_IbLb0EEEEDaSU_SV_EUlSU_E_NS1_11comp_targetILNS1_3genE8ELNS1_11target_archE1030ELNS1_3gpuE2ELNS1_3repE0EEENS1_30default_config_static_selectorELNS0_4arch9wavefront6targetE0EEEvT1_, .Lfunc_end606-_ZN7rocprim17ROCPRIM_400000_NS6detail17trampoline_kernelINS0_14default_configENS1_33run_length_encode_config_selectorIsjNS0_4plusIjEEEEZZNS1_33reduce_by_key_impl_wrapped_configILNS1_25lookback_scan_determinismE0ES3_S7_PKsNS0_17constant_iteratorIjlEEPsPlSF_S6_NS0_8equal_toIsEEEE10hipError_tPvRmT2_T3_mT4_T5_T6_T7_T8_P12ihipStream_tbENKUlT_T0_E_clISt17integral_constantIbLb1EESY_IbLb0EEEEDaSU_SV_EUlSU_E_NS1_11comp_targetILNS1_3genE8ELNS1_11target_archE1030ELNS1_3gpuE2ELNS1_3repE0EEENS1_30default_config_static_selectorELNS0_4arch9wavefront6targetE0EEEvT1_
                                        ; -- End function
	.set _ZN7rocprim17ROCPRIM_400000_NS6detail17trampoline_kernelINS0_14default_configENS1_33run_length_encode_config_selectorIsjNS0_4plusIjEEEEZZNS1_33reduce_by_key_impl_wrapped_configILNS1_25lookback_scan_determinismE0ES3_S7_PKsNS0_17constant_iteratorIjlEEPsPlSF_S6_NS0_8equal_toIsEEEE10hipError_tPvRmT2_T3_mT4_T5_T6_T7_T8_P12ihipStream_tbENKUlT_T0_E_clISt17integral_constantIbLb1EESY_IbLb0EEEEDaSU_SV_EUlSU_E_NS1_11comp_targetILNS1_3genE8ELNS1_11target_archE1030ELNS1_3gpuE2ELNS1_3repE0EEENS1_30default_config_static_selectorELNS0_4arch9wavefront6targetE0EEEvT1_.num_vgpr, 0
	.set _ZN7rocprim17ROCPRIM_400000_NS6detail17trampoline_kernelINS0_14default_configENS1_33run_length_encode_config_selectorIsjNS0_4plusIjEEEEZZNS1_33reduce_by_key_impl_wrapped_configILNS1_25lookback_scan_determinismE0ES3_S7_PKsNS0_17constant_iteratorIjlEEPsPlSF_S6_NS0_8equal_toIsEEEE10hipError_tPvRmT2_T3_mT4_T5_T6_T7_T8_P12ihipStream_tbENKUlT_T0_E_clISt17integral_constantIbLb1EESY_IbLb0EEEEDaSU_SV_EUlSU_E_NS1_11comp_targetILNS1_3genE8ELNS1_11target_archE1030ELNS1_3gpuE2ELNS1_3repE0EEENS1_30default_config_static_selectorELNS0_4arch9wavefront6targetE0EEEvT1_.num_agpr, 0
	.set _ZN7rocprim17ROCPRIM_400000_NS6detail17trampoline_kernelINS0_14default_configENS1_33run_length_encode_config_selectorIsjNS0_4plusIjEEEEZZNS1_33reduce_by_key_impl_wrapped_configILNS1_25lookback_scan_determinismE0ES3_S7_PKsNS0_17constant_iteratorIjlEEPsPlSF_S6_NS0_8equal_toIsEEEE10hipError_tPvRmT2_T3_mT4_T5_T6_T7_T8_P12ihipStream_tbENKUlT_T0_E_clISt17integral_constantIbLb1EESY_IbLb0EEEEDaSU_SV_EUlSU_E_NS1_11comp_targetILNS1_3genE8ELNS1_11target_archE1030ELNS1_3gpuE2ELNS1_3repE0EEENS1_30default_config_static_selectorELNS0_4arch9wavefront6targetE0EEEvT1_.numbered_sgpr, 0
	.set _ZN7rocprim17ROCPRIM_400000_NS6detail17trampoline_kernelINS0_14default_configENS1_33run_length_encode_config_selectorIsjNS0_4plusIjEEEEZZNS1_33reduce_by_key_impl_wrapped_configILNS1_25lookback_scan_determinismE0ES3_S7_PKsNS0_17constant_iteratorIjlEEPsPlSF_S6_NS0_8equal_toIsEEEE10hipError_tPvRmT2_T3_mT4_T5_T6_T7_T8_P12ihipStream_tbENKUlT_T0_E_clISt17integral_constantIbLb1EESY_IbLb0EEEEDaSU_SV_EUlSU_E_NS1_11comp_targetILNS1_3genE8ELNS1_11target_archE1030ELNS1_3gpuE2ELNS1_3repE0EEENS1_30default_config_static_selectorELNS0_4arch9wavefront6targetE0EEEvT1_.num_named_barrier, 0
	.set _ZN7rocprim17ROCPRIM_400000_NS6detail17trampoline_kernelINS0_14default_configENS1_33run_length_encode_config_selectorIsjNS0_4plusIjEEEEZZNS1_33reduce_by_key_impl_wrapped_configILNS1_25lookback_scan_determinismE0ES3_S7_PKsNS0_17constant_iteratorIjlEEPsPlSF_S6_NS0_8equal_toIsEEEE10hipError_tPvRmT2_T3_mT4_T5_T6_T7_T8_P12ihipStream_tbENKUlT_T0_E_clISt17integral_constantIbLb1EESY_IbLb0EEEEDaSU_SV_EUlSU_E_NS1_11comp_targetILNS1_3genE8ELNS1_11target_archE1030ELNS1_3gpuE2ELNS1_3repE0EEENS1_30default_config_static_selectorELNS0_4arch9wavefront6targetE0EEEvT1_.private_seg_size, 0
	.set _ZN7rocprim17ROCPRIM_400000_NS6detail17trampoline_kernelINS0_14default_configENS1_33run_length_encode_config_selectorIsjNS0_4plusIjEEEEZZNS1_33reduce_by_key_impl_wrapped_configILNS1_25lookback_scan_determinismE0ES3_S7_PKsNS0_17constant_iteratorIjlEEPsPlSF_S6_NS0_8equal_toIsEEEE10hipError_tPvRmT2_T3_mT4_T5_T6_T7_T8_P12ihipStream_tbENKUlT_T0_E_clISt17integral_constantIbLb1EESY_IbLb0EEEEDaSU_SV_EUlSU_E_NS1_11comp_targetILNS1_3genE8ELNS1_11target_archE1030ELNS1_3gpuE2ELNS1_3repE0EEENS1_30default_config_static_selectorELNS0_4arch9wavefront6targetE0EEEvT1_.uses_vcc, 0
	.set _ZN7rocprim17ROCPRIM_400000_NS6detail17trampoline_kernelINS0_14default_configENS1_33run_length_encode_config_selectorIsjNS0_4plusIjEEEEZZNS1_33reduce_by_key_impl_wrapped_configILNS1_25lookback_scan_determinismE0ES3_S7_PKsNS0_17constant_iteratorIjlEEPsPlSF_S6_NS0_8equal_toIsEEEE10hipError_tPvRmT2_T3_mT4_T5_T6_T7_T8_P12ihipStream_tbENKUlT_T0_E_clISt17integral_constantIbLb1EESY_IbLb0EEEEDaSU_SV_EUlSU_E_NS1_11comp_targetILNS1_3genE8ELNS1_11target_archE1030ELNS1_3gpuE2ELNS1_3repE0EEENS1_30default_config_static_selectorELNS0_4arch9wavefront6targetE0EEEvT1_.uses_flat_scratch, 0
	.set _ZN7rocprim17ROCPRIM_400000_NS6detail17trampoline_kernelINS0_14default_configENS1_33run_length_encode_config_selectorIsjNS0_4plusIjEEEEZZNS1_33reduce_by_key_impl_wrapped_configILNS1_25lookback_scan_determinismE0ES3_S7_PKsNS0_17constant_iteratorIjlEEPsPlSF_S6_NS0_8equal_toIsEEEE10hipError_tPvRmT2_T3_mT4_T5_T6_T7_T8_P12ihipStream_tbENKUlT_T0_E_clISt17integral_constantIbLb1EESY_IbLb0EEEEDaSU_SV_EUlSU_E_NS1_11comp_targetILNS1_3genE8ELNS1_11target_archE1030ELNS1_3gpuE2ELNS1_3repE0EEENS1_30default_config_static_selectorELNS0_4arch9wavefront6targetE0EEEvT1_.has_dyn_sized_stack, 0
	.set _ZN7rocprim17ROCPRIM_400000_NS6detail17trampoline_kernelINS0_14default_configENS1_33run_length_encode_config_selectorIsjNS0_4plusIjEEEEZZNS1_33reduce_by_key_impl_wrapped_configILNS1_25lookback_scan_determinismE0ES3_S7_PKsNS0_17constant_iteratorIjlEEPsPlSF_S6_NS0_8equal_toIsEEEE10hipError_tPvRmT2_T3_mT4_T5_T6_T7_T8_P12ihipStream_tbENKUlT_T0_E_clISt17integral_constantIbLb1EESY_IbLb0EEEEDaSU_SV_EUlSU_E_NS1_11comp_targetILNS1_3genE8ELNS1_11target_archE1030ELNS1_3gpuE2ELNS1_3repE0EEENS1_30default_config_static_selectorELNS0_4arch9wavefront6targetE0EEEvT1_.has_recursion, 0
	.set _ZN7rocprim17ROCPRIM_400000_NS6detail17trampoline_kernelINS0_14default_configENS1_33run_length_encode_config_selectorIsjNS0_4plusIjEEEEZZNS1_33reduce_by_key_impl_wrapped_configILNS1_25lookback_scan_determinismE0ES3_S7_PKsNS0_17constant_iteratorIjlEEPsPlSF_S6_NS0_8equal_toIsEEEE10hipError_tPvRmT2_T3_mT4_T5_T6_T7_T8_P12ihipStream_tbENKUlT_T0_E_clISt17integral_constantIbLb1EESY_IbLb0EEEEDaSU_SV_EUlSU_E_NS1_11comp_targetILNS1_3genE8ELNS1_11target_archE1030ELNS1_3gpuE2ELNS1_3repE0EEENS1_30default_config_static_selectorELNS0_4arch9wavefront6targetE0EEEvT1_.has_indirect_call, 0
	.section	.AMDGPU.csdata,"",@progbits
; Kernel info:
; codeLenInByte = 0
; TotalNumSgprs: 0
; NumVgprs: 0
; ScratchSize: 0
; MemoryBound: 0
; FloatMode: 240
; IeeeMode: 1
; LDSByteSize: 0 bytes/workgroup (compile time only)
; SGPRBlocks: 0
; VGPRBlocks: 0
; NumSGPRsForWavesPerEU: 1
; NumVGPRsForWavesPerEU: 1
; NamedBarCnt: 0
; Occupancy: 16
; WaveLimiterHint : 0
; COMPUTE_PGM_RSRC2:SCRATCH_EN: 0
; COMPUTE_PGM_RSRC2:USER_SGPR: 2
; COMPUTE_PGM_RSRC2:TRAP_HANDLER: 0
; COMPUTE_PGM_RSRC2:TGID_X_EN: 1
; COMPUTE_PGM_RSRC2:TGID_Y_EN: 0
; COMPUTE_PGM_RSRC2:TGID_Z_EN: 0
; COMPUTE_PGM_RSRC2:TIDIG_COMP_CNT: 0
	.section	.text._ZN7rocprim17ROCPRIM_400000_NS6detail17trampoline_kernelINS0_14default_configENS1_33run_length_encode_config_selectorIsjNS0_4plusIjEEEEZZNS1_33reduce_by_key_impl_wrapped_configILNS1_25lookback_scan_determinismE0ES3_S7_PKsNS0_17constant_iteratorIjlEEPsPlSF_S6_NS0_8equal_toIsEEEE10hipError_tPvRmT2_T3_mT4_T5_T6_T7_T8_P12ihipStream_tbENKUlT_T0_E_clISt17integral_constantIbLb0EESY_IbLb1EEEEDaSU_SV_EUlSU_E_NS1_11comp_targetILNS1_3genE0ELNS1_11target_archE4294967295ELNS1_3gpuE0ELNS1_3repE0EEENS1_30default_config_static_selectorELNS0_4arch9wavefront6targetE0EEEvT1_,"axG",@progbits,_ZN7rocprim17ROCPRIM_400000_NS6detail17trampoline_kernelINS0_14default_configENS1_33run_length_encode_config_selectorIsjNS0_4plusIjEEEEZZNS1_33reduce_by_key_impl_wrapped_configILNS1_25lookback_scan_determinismE0ES3_S7_PKsNS0_17constant_iteratorIjlEEPsPlSF_S6_NS0_8equal_toIsEEEE10hipError_tPvRmT2_T3_mT4_T5_T6_T7_T8_P12ihipStream_tbENKUlT_T0_E_clISt17integral_constantIbLb0EESY_IbLb1EEEEDaSU_SV_EUlSU_E_NS1_11comp_targetILNS1_3genE0ELNS1_11target_archE4294967295ELNS1_3gpuE0ELNS1_3repE0EEENS1_30default_config_static_selectorELNS0_4arch9wavefront6targetE0EEEvT1_,comdat
	.protected	_ZN7rocprim17ROCPRIM_400000_NS6detail17trampoline_kernelINS0_14default_configENS1_33run_length_encode_config_selectorIsjNS0_4plusIjEEEEZZNS1_33reduce_by_key_impl_wrapped_configILNS1_25lookback_scan_determinismE0ES3_S7_PKsNS0_17constant_iteratorIjlEEPsPlSF_S6_NS0_8equal_toIsEEEE10hipError_tPvRmT2_T3_mT4_T5_T6_T7_T8_P12ihipStream_tbENKUlT_T0_E_clISt17integral_constantIbLb0EESY_IbLb1EEEEDaSU_SV_EUlSU_E_NS1_11comp_targetILNS1_3genE0ELNS1_11target_archE4294967295ELNS1_3gpuE0ELNS1_3repE0EEENS1_30default_config_static_selectorELNS0_4arch9wavefront6targetE0EEEvT1_ ; -- Begin function _ZN7rocprim17ROCPRIM_400000_NS6detail17trampoline_kernelINS0_14default_configENS1_33run_length_encode_config_selectorIsjNS0_4plusIjEEEEZZNS1_33reduce_by_key_impl_wrapped_configILNS1_25lookback_scan_determinismE0ES3_S7_PKsNS0_17constant_iteratorIjlEEPsPlSF_S6_NS0_8equal_toIsEEEE10hipError_tPvRmT2_T3_mT4_T5_T6_T7_T8_P12ihipStream_tbENKUlT_T0_E_clISt17integral_constantIbLb0EESY_IbLb1EEEEDaSU_SV_EUlSU_E_NS1_11comp_targetILNS1_3genE0ELNS1_11target_archE4294967295ELNS1_3gpuE0ELNS1_3repE0EEENS1_30default_config_static_selectorELNS0_4arch9wavefront6targetE0EEEvT1_
	.globl	_ZN7rocprim17ROCPRIM_400000_NS6detail17trampoline_kernelINS0_14default_configENS1_33run_length_encode_config_selectorIsjNS0_4plusIjEEEEZZNS1_33reduce_by_key_impl_wrapped_configILNS1_25lookback_scan_determinismE0ES3_S7_PKsNS0_17constant_iteratorIjlEEPsPlSF_S6_NS0_8equal_toIsEEEE10hipError_tPvRmT2_T3_mT4_T5_T6_T7_T8_P12ihipStream_tbENKUlT_T0_E_clISt17integral_constantIbLb0EESY_IbLb1EEEEDaSU_SV_EUlSU_E_NS1_11comp_targetILNS1_3genE0ELNS1_11target_archE4294967295ELNS1_3gpuE0ELNS1_3repE0EEENS1_30default_config_static_selectorELNS0_4arch9wavefront6targetE0EEEvT1_
	.p2align	8
	.type	_ZN7rocprim17ROCPRIM_400000_NS6detail17trampoline_kernelINS0_14default_configENS1_33run_length_encode_config_selectorIsjNS0_4plusIjEEEEZZNS1_33reduce_by_key_impl_wrapped_configILNS1_25lookback_scan_determinismE0ES3_S7_PKsNS0_17constant_iteratorIjlEEPsPlSF_S6_NS0_8equal_toIsEEEE10hipError_tPvRmT2_T3_mT4_T5_T6_T7_T8_P12ihipStream_tbENKUlT_T0_E_clISt17integral_constantIbLb0EESY_IbLb1EEEEDaSU_SV_EUlSU_E_NS1_11comp_targetILNS1_3genE0ELNS1_11target_archE4294967295ELNS1_3gpuE0ELNS1_3repE0EEENS1_30default_config_static_selectorELNS0_4arch9wavefront6targetE0EEEvT1_,@function
_ZN7rocprim17ROCPRIM_400000_NS6detail17trampoline_kernelINS0_14default_configENS1_33run_length_encode_config_selectorIsjNS0_4plusIjEEEEZZNS1_33reduce_by_key_impl_wrapped_configILNS1_25lookback_scan_determinismE0ES3_S7_PKsNS0_17constant_iteratorIjlEEPsPlSF_S6_NS0_8equal_toIsEEEE10hipError_tPvRmT2_T3_mT4_T5_T6_T7_T8_P12ihipStream_tbENKUlT_T0_E_clISt17integral_constantIbLb0EESY_IbLb1EEEEDaSU_SV_EUlSU_E_NS1_11comp_targetILNS1_3genE0ELNS1_11target_archE4294967295ELNS1_3gpuE0ELNS1_3repE0EEENS1_30default_config_static_selectorELNS0_4arch9wavefront6targetE0EEEvT1_: ; @_ZN7rocprim17ROCPRIM_400000_NS6detail17trampoline_kernelINS0_14default_configENS1_33run_length_encode_config_selectorIsjNS0_4plusIjEEEEZZNS1_33reduce_by_key_impl_wrapped_configILNS1_25lookback_scan_determinismE0ES3_S7_PKsNS0_17constant_iteratorIjlEEPsPlSF_S6_NS0_8equal_toIsEEEE10hipError_tPvRmT2_T3_mT4_T5_T6_T7_T8_P12ihipStream_tbENKUlT_T0_E_clISt17integral_constantIbLb0EESY_IbLb1EEEEDaSU_SV_EUlSU_E_NS1_11comp_targetILNS1_3genE0ELNS1_11target_archE4294967295ELNS1_3gpuE0ELNS1_3repE0EEENS1_30default_config_static_selectorELNS0_4arch9wavefront6targetE0EEEvT1_
; %bb.0:
	s_clause 0x5
	s_load_b32 s8, s[0:1], 0x10
	s_load_b128 s[24:27], s[0:1], 0x20
	s_load_b64 s[34:35], s[0:1], 0x30
	s_load_b64 s[36:37], s[0:1], 0x70
	s_load_b128 s[28:31], s[0:1], 0x60
	s_load_b256 s[16:23], s[0:1], 0x40
	v_cmp_ne_u32_e64 s3, 0, v0
	v_cmp_eq_u32_e64 s2, 0, v0
	s_and_saveexec_b32 s4, s2
	s_cbranch_execz .LBB607_4
; %bb.1:
	s_mov_b32 s6, exec_lo
	s_mov_b32 s5, exec_lo
	v_mbcnt_lo_u32_b32 v1, s6, 0
                                        ; implicit-def: $vgpr2
	s_delay_alu instid0(VALU_DEP_1)
	v_cmpx_eq_u32_e32 0, v1
	s_cbranch_execz .LBB607_3
; %bb.2:
	s_load_b64 s[10:11], s[0:1], 0x78
	s_bcnt1_i32_b32 s6, s6
	s_delay_alu instid0(SALU_CYCLE_1)
	v_dual_mov_b32 v2, 0 :: v_dual_mov_b32 v3, s6
	s_wait_xcnt 0x0
	s_wait_kmcnt 0x0
	global_atomic_add_u32 v2, v2, v3, s[10:11] th:TH_ATOMIC_RETURN scope:SCOPE_DEV
.LBB607_3:
	s_wait_xcnt 0x0
	s_or_b32 exec_lo, exec_lo, s5
	s_wait_loadcnt 0x0
	v_readfirstlane_b32 s5, v2
	s_delay_alu instid0(VALU_DEP_1)
	v_dual_mov_b32 v2, 0 :: v_dual_add_nc_u32 v1, s5, v1
	ds_store_b32 v2, v1
.LBB607_4:
	s_or_b32 exec_lo, exec_lo, s4
	v_mov_b32_e32 v3, 0
	s_wait_dscnt 0x0
	s_barrier_signal -1
	s_barrier_wait -1
	ds_load_b32 v1, v3
	s_load_b128 s[4:7], s[0:1], 0x0
	s_wait_kmcnt 0x0
	s_mul_u64 s[0:1], s[20:21], s[18:19]
	s_mov_b32 s21, 0
	s_wait_dscnt 0x0
	s_barrier_signal -1
	s_barrier_wait -1
	v_mul_lo_u32 v2, 0x1400, v1
	v_readfirstlane_b32 s20, v1
	s_lshl_b64 s[6:7], s[6:7], 1
	s_delay_alu instid0(SALU_CYCLE_1)
	s_add_nc_u64 s[4:5], s[4:5], s[6:7]
	s_add_nc_u64 s[6:7], s[22:23], -1
	s_add_nc_u64 s[10:11], s[0:1], s[20:21]
	s_mul_i32 s33, s6, 0xffffec00
	s_cmp_eq_u64 s[10:11], s[6:7]
	s_cselect_b32 s15, -1, 0
	v_lshlrev_b64_e32 v[2:3], 1, v[2:3]
	s_cmp_lg_u64 s[10:11], s[6:7]
	s_cselect_b32 s0, -1, 0
	s_and_b32 vcc_lo, exec_lo, s15
	s_delay_alu instid0(VALU_DEP_1)
	v_add_nc_u64_e32 v[2:3], s[4:5], v[2:3]
	s_cbranch_vccnz .LBB607_6
; %bb.5:
	s_delay_alu instid0(VALU_DEP_1) | instskip(NEXT) | instid1(VALU_DEP_2)
	v_readfirstlane_b32 s4, v2
	v_readfirstlane_b32 s5, v3
	v_lshlrev_b32_e32 v13, 1, v0
	s_mov_b32 s1, 0
	s_mov_b32 s21, -1
	s_clause 0x9
	global_load_u16 v1, v0, s[4:5] scale_offset
	global_load_u16 v4, v0, s[4:5] offset:1024 scale_offset
	global_load_u16 v5, v0, s[4:5] offset:2048 scale_offset
	;; [unrolled: 1-line block ×9, first 2 shown]
	v_mad_u32_u24 v14, v0, 18, v13
	s_wait_loadcnt 0x9
	ds_store_b16 v13, v1
	s_wait_loadcnt 0x8
	ds_store_b16 v13, v4 offset:1024
	s_wait_loadcnt 0x7
	ds_store_b16 v13, v5 offset:2048
	;; [unrolled: 2-line block ×9, first 2 shown]
	s_wait_dscnt 0x0
	s_barrier_signal -1
	s_barrier_wait -1
	ds_load_2addr_b32 v[12:13], v14 offset1:1
	ds_load_2addr_b32 v[10:11], v14 offset0:2 offset1:3
	ds_load_b32 v1, v14 offset:16
	s_branch .LBB607_7
.LBB607_6:
	s_mov_b32 s1, -1
                                        ; implicit-def: $vgpr12
                                        ; implicit-def: $vgpr10
                                        ; implicit-def: $vgpr1
.LBB607_7:
	v_dual_mov_b32 v36, s8 :: v_dual_mov_b32 v37, s8
	v_dual_mov_b32 v38, s8 :: v_dual_mov_b32 v40, s8
	;; [unrolled: 1-line block ×4, first 2 shown]
	v_mov_b32_e32 v39, s8
	s_and_not1_b32 vcc_lo, exec_lo, s1
	s_add_co_i32 s33, s33, s28
                                        ; implicit-def: $vgpr60
	s_cbranch_vccnz .LBB607_29
; %bb.8:
	s_mov_b32 s1, exec_lo
                                        ; implicit-def: $vgpr1
	v_cmpx_gt_u32_e64 s33, v0
	s_cbranch_execz .LBB607_10
; %bb.9:
	v_readfirstlane_b32 s4, v2
	v_readfirstlane_b32 s5, v3
	s_wait_dscnt 0x0
	global_load_u16 v1, v0, s[4:5] scale_offset
.LBB607_10:
	s_wait_xcnt 0x0
	s_or_b32 exec_lo, exec_lo, s1
	v_or_b32_e32 v4, 0x200, v0
	s_delay_alu instid0(VALU_DEP_1)
	v_cmp_gt_u32_e32 vcc_lo, s33, v4
                                        ; implicit-def: $vgpr4
	s_and_saveexec_b32 s1, vcc_lo
	s_cbranch_execz .LBB607_12
; %bb.11:
	v_readfirstlane_b32 s4, v2
	v_readfirstlane_b32 s5, v3
	global_load_u16 v4, v0, s[4:5] offset:1024 scale_offset
.LBB607_12:
	s_wait_xcnt 0x0
	s_or_b32 exec_lo, exec_lo, s1
	v_or_b32_e32 v5, 0x400, v0
	s_delay_alu instid0(VALU_DEP_1)
	v_cmp_gt_u32_e32 vcc_lo, s33, v5
                                        ; implicit-def: $vgpr5
	s_and_saveexec_b32 s1, vcc_lo
	s_cbranch_execz .LBB607_14
; %bb.13:
	v_readfirstlane_b32 s4, v2
	v_readfirstlane_b32 s5, v3
	global_load_u16 v5, v0, s[4:5] offset:2048 scale_offset
.LBB607_14:
	s_wait_xcnt 0x0
	s_or_b32 exec_lo, exec_lo, s1
	v_or_b32_e32 v6, 0x600, v0
	s_delay_alu instid0(VALU_DEP_1)
	v_cmp_gt_u32_e32 vcc_lo, s33, v6
                                        ; implicit-def: $vgpr6
	s_and_saveexec_b32 s1, vcc_lo
	s_cbranch_execz .LBB607_16
; %bb.15:
	v_readfirstlane_b32 s4, v2
	v_readfirstlane_b32 s5, v3
	global_load_u16 v6, v0, s[4:5] offset:3072 scale_offset
.LBB607_16:
	s_wait_xcnt 0x0
	s_or_b32 exec_lo, exec_lo, s1
	v_or_b32_e32 v7, 0x800, v0
	s_delay_alu instid0(VALU_DEP_1)
	v_cmp_gt_u32_e32 vcc_lo, s33, v7
                                        ; implicit-def: $vgpr7
	s_and_saveexec_b32 s1, vcc_lo
	s_cbranch_execz .LBB607_18
; %bb.17:
	v_readfirstlane_b32 s4, v2
	v_readfirstlane_b32 s5, v3
	global_load_u16 v7, v0, s[4:5] offset:4096 scale_offset
.LBB607_18:
	s_wait_xcnt 0x0
	s_or_b32 exec_lo, exec_lo, s1
	v_or_b32_e32 v8, 0xa00, v0
	s_delay_alu instid0(VALU_DEP_1)
	v_cmp_gt_u32_e32 vcc_lo, s33, v8
                                        ; implicit-def: $vgpr8
	s_and_saveexec_b32 s1, vcc_lo
	s_cbranch_execz .LBB607_20
; %bb.19:
	v_readfirstlane_b32 s4, v2
	v_readfirstlane_b32 s5, v3
	global_load_u16 v8, v0, s[4:5] offset:5120 scale_offset
.LBB607_20:
	s_wait_xcnt 0x0
	s_or_b32 exec_lo, exec_lo, s1
	v_or_b32_e32 v9, 0xc00, v0
	s_delay_alu instid0(VALU_DEP_1)
	v_cmp_gt_u32_e32 vcc_lo, s33, v9
                                        ; implicit-def: $vgpr9
	s_and_saveexec_b32 s1, vcc_lo
	s_cbranch_execz .LBB607_22
; %bb.21:
	v_readfirstlane_b32 s4, v2
	v_readfirstlane_b32 s5, v3
	global_load_u16 v9, v0, s[4:5] offset:6144 scale_offset
.LBB607_22:
	s_wait_xcnt 0x0
	s_or_b32 exec_lo, exec_lo, s1
	s_wait_dscnt 0x1
	v_or_b32_e32 v10, 0xe00, v0
	s_delay_alu instid0(VALU_DEP_1)
	v_cmp_gt_u32_e32 vcc_lo, s33, v10
                                        ; implicit-def: $vgpr10
	s_and_saveexec_b32 s1, vcc_lo
	s_cbranch_execz .LBB607_24
; %bb.23:
	v_readfirstlane_b32 s4, v2
	v_readfirstlane_b32 s5, v3
	global_load_u16 v10, v0, s[4:5] offset:7168 scale_offset
.LBB607_24:
	s_wait_xcnt 0x0
	s_or_b32 exec_lo, exec_lo, s1
	v_or_b32_e32 v11, 0x1000, v0
	s_delay_alu instid0(VALU_DEP_1)
	v_cmp_gt_u32_e32 vcc_lo, s33, v11
                                        ; implicit-def: $vgpr11
	s_and_saveexec_b32 s1, vcc_lo
	s_cbranch_execz .LBB607_26
; %bb.25:
	v_readfirstlane_b32 s4, v2
	v_readfirstlane_b32 s5, v3
	global_load_u16 v11, v0, s[4:5] offset:8192 scale_offset
.LBB607_26:
	s_wait_xcnt 0x0
	s_or_b32 exec_lo, exec_lo, s1
	v_or_b32_e32 v12, 0x1200, v0
	s_delay_alu instid0(VALU_DEP_1)
	v_cmp_gt_u32_e32 vcc_lo, s33, v12
                                        ; implicit-def: $vgpr12
	s_and_saveexec_b32 s1, vcc_lo
	s_cbranch_execz .LBB607_28
; %bb.27:
	v_readfirstlane_b32 s4, v2
	v_readfirstlane_b32 s5, v3
	global_load_u16 v12, v0, s[4:5] offset:9216 scale_offset
.LBB607_28:
	s_wait_xcnt 0x0
	s_or_b32 exec_lo, exec_lo, s1
	v_dual_mov_b32 v60, 0 :: v_dual_lshlrev_b32 v13, 1, v0
	s_wait_loadcnt_dscnt 0x0
	ds_store_b16 v13, v1
	ds_store_b16 v13, v4 offset:1024
	ds_store_b16 v13, v5 offset:2048
	;; [unrolled: 1-line block ×9, first 2 shown]
	v_mul_u32_u24_e32 v4, 10, v0
	v_mad_u32_u24 v6, v0, 10, 4
	v_mad_u32_u24 v1, v0, 18, v13
	s_wait_dscnt 0x0
	s_barrier_signal -1
	v_or_b32_e32 v5, 1, v4
	v_cmp_gt_u32_e32 vcc_lo, s33, v4
	v_mad_u32_u24 v4, v0, 10, 2
	s_barrier_wait -1
	ds_load_2addr_b32 v[12:13], v1 offset1:1
	ds_load_2addr_b32 v[10:11], v1 offset0:2 offset1:3
	ds_load_b32 v1, v1 offset:16
	v_cndmask_b32_e64 v39, 0, s8, vcc_lo
	v_cmp_gt_u32_e32 vcc_lo, s33, v5
	v_mad_u32_u24 v5, v0, 10, 3
	v_cndmask_b32_e64 v41, 0, s8, vcc_lo
	v_cmp_gt_u32_e32 vcc_lo, s33, v4
	v_mad_u32_u24 v4, v0, 10, 5
	;; [unrolled: 3-line block ×6, first 2 shown]
	v_cndmask_b32_e64 v38, 0, s8, vcc_lo
	v_cmp_gt_u32_e32 vcc_lo, s33, v4
	s_delay_alu instid0(VALU_DEP_3)
	v_cmp_gt_u32_e64 s21, s33, v5
	v_cndmask_b32_e64 v37, 0, s8, vcc_lo
	v_cmp_gt_u32_e32 vcc_lo, s33, v6
	v_cndmask_b32_e64 v36, 0, s8, vcc_lo
.LBB607_29:
	s_delay_alu instid0(VALU_DEP_4)
	s_and_saveexec_b32 s1, s21
; %bb.30:
	v_mov_b32_e32 v60, s8
; %bb.31:
	s_or_b32 exec_lo, exec_lo, s1
	s_cmp_eq_u64 s[10:11], 0
	s_wait_dscnt 0x2
	v_dual_lshrrev_b32 v57, 16, v12 :: v_dual_lshrrev_b32 v56, 16, v13
	s_wait_dscnt 0x1
	v_dual_lshrrev_b32 v55, 16, v10 :: v_dual_lshrrev_b32 v54, 16, v11
	s_wait_dscnt 0x0
	v_lshrrev_b32_e32 v53, 16, v1
	s_cselect_b32 s21, -1, 0
	s_cmp_lg_u64 s[10:11], 0
	s_cselect_b32 s14, -1, 0
	s_and_b32 vcc_lo, exec_lo, s0
	s_barrier_signal -1
	s_barrier_wait -1
	s_cbranch_vccz .LBB607_36
; %bb.32:
	s_and_b32 vcc_lo, exec_lo, s14
	s_cbranch_vccz .LBB607_37
; %bb.33:
	global_load_u16 v4, v[2:3], off offset:-2
	v_lshlrev_b32_e32 v5, 1, v0
	v_cmp_ne_u16_e64 s0, v54, v1
	v_cmp_ne_u16_e64 s1, v11, v54
	v_cmp_ne_u16_e64 s4, v55, v11
	v_cmp_ne_u16_e64 s5, v10, v55
	v_cmp_ne_u16_e64 s6, v56, v10
	v_cmp_ne_u16_e64 s7, v13, v56
	v_cmp_ne_u16_e64 s8, v57, v13
	v_cmp_ne_u16_e64 s9, v12, v57
	ds_store_b16 v5, v53
	v_cmp_ne_u16_e32 vcc_lo, v1, v53
	s_wait_loadcnt_dscnt 0x0
	s_barrier_signal -1
	s_barrier_wait -1
	s_and_saveexec_b32 s12, s3
; %bb.34:
	v_add_nc_u32_e32 v4, -2, v5
	ds_load_u16 v4, v4
; %bb.35:
	s_or_b32 exec_lo, exec_lo, s12
	v_cndmask_b32_e64 v49, 0, 1, vcc_lo
	v_cndmask_b32_e64 v46, 0, 1, s0
	v_cndmask_b32_e64 v44, 0, 1, s1
	;; [unrolled: 1-line block ×8, first 2 shown]
	s_wait_dscnt 0x0
	v_cmp_ne_u16_e64 s13, v4, v12
	s_mov_b32 s12, -1
	s_branch .LBB607_41
.LBB607_36:
	s_mov_b32 s12, 0
                                        ; implicit-def: $sgpr13
                                        ; implicit-def: $vgpr49
                                        ; implicit-def: $vgpr46
                                        ; implicit-def: $vgpr44
                                        ; implicit-def: $vgpr45
                                        ; implicit-def: $vgpr47
                                        ; implicit-def: $vgpr48
                                        ; implicit-def: $vgpr50
                                        ; implicit-def: $vgpr51
                                        ; implicit-def: $vgpr52
	s_cbranch_execnz .LBB607_42
	s_branch .LBB607_50
.LBB607_37:
	s_mov_b32 s12, 0
                                        ; implicit-def: $sgpr13
                                        ; implicit-def: $vgpr49
                                        ; implicit-def: $vgpr46
                                        ; implicit-def: $vgpr44
                                        ; implicit-def: $vgpr45
                                        ; implicit-def: $vgpr47
                                        ; implicit-def: $vgpr48
                                        ; implicit-def: $vgpr50
                                        ; implicit-def: $vgpr51
                                        ; implicit-def: $vgpr52
	s_cbranch_execz .LBB607_41
; %bb.38:
	v_lshlrev_b32_e32 v4, 1, v0
	v_cmp_ne_u16_e64 s0, v54, v1
	v_cmp_ne_u16_e64 s1, v11, v54
	;; [unrolled: 1-line block ×8, first 2 shown]
	v_cmp_ne_u16_e32 vcc_lo, v1, v53
	ds_store_b16 v4, v53
	s_wait_dscnt 0x0
	s_barrier_signal -1
	s_barrier_wait -1
                                        ; implicit-def: $sgpr13
	s_and_saveexec_b32 s22, s3
	s_delay_alu instid0(SALU_CYCLE_1)
	s_xor_b32 s22, exec_lo, s22
	s_cbranch_execz .LBB607_40
; %bb.39:
	v_add_nc_u32_e32 v4, -2, v4
	s_or_b32 s12, s12, exec_lo
	ds_load_u16 v4, v4
	s_wait_dscnt 0x0
	v_cmp_ne_u16_e64 s13, v4, v12
.LBB607_40:
	s_or_b32 exec_lo, exec_lo, s22
	v_cndmask_b32_e64 v49, 0, 1, vcc_lo
	v_cndmask_b32_e64 v46, 0, 1, s0
	v_cndmask_b32_e64 v44, 0, 1, s1
	;; [unrolled: 1-line block ×8, first 2 shown]
.LBB607_41:
	s_branch .LBB607_50
.LBB607_42:
	s_mov_b64 s[0:1], 0xffffffffffffec00
	v_cmp_ne_u16_e64 s9, v1, v53
	s_mul_u64 s[22:23], s[10:11], s[0:1]
	v_cmp_ne_u16_e64 s10, v54, v1
	v_cmp_ne_u16_e64 s0, v11, v54
	;; [unrolled: 1-line block ×8, first 2 shown]
	v_mul_u32_u24_e32 v4, 10, v0
	v_mad_u32_u24 v6, v0, 10, 9
	v_mad_u32_u24 v24, v0, 10, 8
	;; [unrolled: 1-line block ×8, first 2 shown]
	s_and_b32 vcc_lo, exec_lo, s14
	s_add_nc_u64 s[22:23], s[22:23], s[28:29]
	s_cbranch_vccz .LBB607_46
; %bb.43:
	global_load_u16 v2, v[2:3], off offset:-2
	s_wait_xcnt 0x0
	v_dual_mov_b32 v7, 0 :: v_dual_lshlrev_b32 v3, 1, v0
	s_delay_alu instid0(VALU_DEP_1) | instskip(SKIP_3) | instid1(VALU_DEP_3)
	v_dual_mov_b32 v9, v7 :: v_dual_bitop2_b32 v26, 1, v4 bitop3:0x54
	v_dual_mov_b32 v25, v7 :: v_dual_mov_b32 v23, v7
	v_cmp_gt_u64_e32 vcc_lo, s[22:23], v[6:7]
	v_dual_mov_b32 v21, v7 :: v_dual_mov_b32 v19, v7
	v_cmp_gt_u64_e64 s11, s[22:23], v[24:25]
	v_dual_mov_b32 v17, v7 :: v_dual_mov_b32 v15, v7
	v_mov_b32_e32 v27, v7
	s_and_b32 s28, vcc_lo, s9
	v_cmp_gt_u64_e32 vcc_lo, s[22:23], v[22:23]
	v_cmp_gt_u64_e64 s9, s[22:23], v[20:21]
	s_and_b32 s29, s11, s10
	v_cmp_gt_u64_e64 s10, s[22:23], v[18:19]
	v_cmp_gt_u64_e64 s11, s[22:23], v[16:17]
	;; [unrolled: 1-line block ×5, first 2 shown]
	s_and_b32 s38, vcc_lo, s0
	s_and_b32 s9, s9, s1
	s_and_b32 s0, s10, s4
	;; [unrolled: 1-line block ×6, first 2 shown]
	ds_store_b16 v3, v53
	s_wait_loadcnt_dscnt 0x0
	s_barrier_signal -1
	s_barrier_wait -1
	s_and_saveexec_b32 s7, s3
; %bb.44:
	v_add_nc_u32_e32 v2, -2, v3
	ds_load_u16 v2, v2
; %bb.45:
	s_or_b32 exec_lo, exec_lo, s7
	v_mov_b32_e32 v5, v7
	v_cndmask_b32_e64 v47, 0, 1, s0
	s_wait_dscnt 0x0
	v_cmp_ne_u16_e64 s0, v2, v12
	v_cndmask_b32_e64 v49, 0, 1, s28
	v_cndmask_b32_e64 v46, 0, 1, s29
	v_cmp_gt_u64_e32 vcc_lo, s[22:23], v[4:5]
	v_cndmask_b32_e64 v44, 0, 1, s38
	v_cndmask_b32_e64 v45, 0, 1, s9
	;; [unrolled: 1-line block ×6, first 2 shown]
	s_and_b32 s13, vcc_lo, s0
	s_mov_b32 s12, -1
	s_branch .LBB607_50
.LBB607_46:
                                        ; implicit-def: $sgpr13
                                        ; implicit-def: $vgpr49
                                        ; implicit-def: $vgpr46
                                        ; implicit-def: $vgpr44
                                        ; implicit-def: $vgpr45
                                        ; implicit-def: $vgpr47
                                        ; implicit-def: $vgpr48
                                        ; implicit-def: $vgpr50
                                        ; implicit-def: $vgpr51
                                        ; implicit-def: $vgpr52
	s_cbranch_execz .LBB607_50
; %bb.47:
	v_dual_mov_b32 v7, 0 :: v_dual_lshlrev_b32 v2, 1, v0
	v_cmp_ne_u16_e32 vcc_lo, v1, v53
	v_cmp_ne_u16_e64 s0, v54, v1
	v_cmp_ne_u16_e64 s1, v11, v54
	s_delay_alu instid0(VALU_DEP_4) | instskip(SKIP_2) | instid1(VALU_DEP_3)
	v_dual_mov_b32 v25, v7 :: v_dual_mov_b32 v23, v7
	v_dual_mov_b32 v21, v7 :: v_dual_mov_b32 v19, v7
	v_cmp_gt_u64_e64 s4, s[22:23], v[6:7]
	v_cmp_gt_u64_e64 s5, s[22:23], v[24:25]
	s_delay_alu instid0(VALU_DEP_4) | instskip(NEXT) | instid1(VALU_DEP_4)
	v_cmp_gt_u64_e64 s6, s[22:23], v[22:23]
	v_cmp_gt_u64_e64 s8, s[22:23], v[20:21]
	v_cmp_ne_u16_e64 s7, v55, v11
	v_dual_mov_b32 v17, v7 :: v_dual_mov_b32 v15, v7
	v_dual_mov_b32 v9, v7 :: v_dual_bitop2_b32 v6, 1, v4 bitop3:0x54
	s_and_b32 s11, s4, vcc_lo
	s_and_b32 s14, s5, s0
	s_and_b32 s28, s6, s1
	;; [unrolled: 1-line block ×3, first 2 shown]
	v_cmp_gt_u64_e32 vcc_lo, s[22:23], v[18:19]
	v_cmp_gt_u64_e64 s1, s[22:23], v[16:17]
	v_cmp_gt_u64_e64 s5, s[22:23], v[14:15]
	;; [unrolled: 1-line block ×4, first 2 shown]
	v_cmp_ne_u16_e64 s0, v10, v55
	v_cmp_ne_u16_e64 s4, v56, v10
	;; [unrolled: 1-line block ×5, first 2 shown]
	s_and_b32 s38, vcc_lo, s0
	s_and_b32 s1, s1, s4
	s_and_b32 s4, s5, s6
	;; [unrolled: 1-line block ×4, first 2 shown]
	ds_store_b16 v2, v53
	s_wait_dscnt 0x0
	s_barrier_signal -1
	s_barrier_wait -1
                                        ; implicit-def: $sgpr13
	s_and_saveexec_b32 s7, s3
	s_cbranch_execz .LBB607_49
; %bb.48:
	v_dual_mov_b32 v5, v7 :: v_dual_add_nc_u32 v2, -2, v2
	s_or_b32 s12, s12, exec_lo
	ds_load_u16 v2, v2
	v_cmp_gt_u64_e32 vcc_lo, s[22:23], v[4:5]
	s_wait_dscnt 0x0
	v_cmp_ne_u16_e64 s0, v2, v12
	s_and_b32 s13, vcc_lo, s0
.LBB607_49:
	s_or_b32 exec_lo, exec_lo, s7
	v_cndmask_b32_e64 v49, 0, 1, s11
	v_cndmask_b32_e64 v46, 0, 1, s14
	;; [unrolled: 1-line block ×9, first 2 shown]
.LBB607_50:
	v_mov_b32_e32 v58, 1
	s_and_saveexec_b32 s0, s12
; %bb.51:
	v_cndmask_b32_e64 v58, 0, 1, s13
; %bb.52:
	s_or_b32 exec_lo, exec_lo, s0
	s_delay_alu instid0(VALU_DEP_1) | instskip(SKIP_3) | instid1(VALU_DEP_4)
	v_dual_add_nc_u32 v2, v52, v58 :: v_dual_lshrrev_b32 v62, 5, v0
	v_cmp_eq_u32_e64 s8, 0, v52
	v_cmp_eq_u32_e64 s7, 0, v51
	;; [unrolled: 1-line block ×3, first 2 shown]
	v_add3_u32 v64, v2, v51, v50
	v_cmp_eq_u32_e64 s5, 0, v48
	v_cmp_eq_u32_e64 s4, 0, v47
	;; [unrolled: 1-line block ×5, first 2 shown]
	v_mbcnt_lo_u32_b32 v61, -1, 0
	v_or_b32_e32 v63, 31, v0
	s_cmp_eq_u64 s[18:19], 0
	v_cmp_eq_u32_e32 vcc_lo, 0, v49
	s_cselect_b32 s13, -1, 0
	s_cmp_lg_u32 s20, 0
	s_cbranch_scc0 .LBB607_73
; %bb.53:
	v_add3_u32 v3, v64, v48, v47
	v_dual_cndmask_b32 v2, 0, v39, s8 :: v_dual_bitop2_b32 v5, 15, v61 bitop3:0x40
	s_mov_b32 s14, exec_lo
	s_delay_alu instid0(VALU_DEP_2) | instskip(NEXT) | instid1(VALU_DEP_2)
	v_add3_u32 v3, v3, v45, v44
	v_add_nc_u32_e32 v2, v2, v41
	s_delay_alu instid0(VALU_DEP_3) | instskip(NEXT) | instid1(VALU_DEP_3)
	v_cmp_eq_u32_e64 s10, 0, v5
	v_add3_u32 v3, v3, v46, v49
	s_delay_alu instid0(VALU_DEP_1) | instskip(NEXT) | instid1(VALU_DEP_1)
	v_mov_b32_dpp v6, v3 row_shr:1 row_mask:0xf bank_mask:0xf
	v_cndmask_b32_e64 v6, v6, 0, s10
	v_cndmask_b32_e64 v2, 0, v2, s7
	s_delay_alu instid0(VALU_DEP_1) | instskip(NEXT) | instid1(VALU_DEP_1)
	v_add_nc_u32_e32 v2, v2, v43
	v_cndmask_b32_e64 v2, 0, v2, s6
	s_delay_alu instid0(VALU_DEP_1) | instskip(NEXT) | instid1(VALU_DEP_1)
	v_add_nc_u32_e32 v2, v2, v59
	;; [unrolled: 3-line block ×7, first 2 shown]
	v_cndmask_b32_e32 v2, 0, v2, vcc_lo
	v_cmp_eq_u32_e32 vcc_lo, 0, v3
	v_add_nc_u32_e32 v3, v6, v3
	s_delay_alu instid0(VALU_DEP_3) | instskip(NEXT) | instid1(VALU_DEP_2)
	v_add_nc_u32_e32 v2, v2, v60
	v_cmp_eq_u32_e64 s9, 0, v3
	s_delay_alu instid0(VALU_DEP_2) | instskip(NEXT) | instid1(VALU_DEP_1)
	v_mov_b32_dpp v4, v2 row_shr:1 row_mask:0xf bank_mask:0xf
	v_cndmask_b32_e32 v4, 0, v4, vcc_lo
	v_cmp_lt_u32_e32 vcc_lo, 1, v5
	s_delay_alu instid0(VALU_DEP_2) | instskip(SKIP_1) | instid1(VALU_DEP_1)
	v_cndmask_b32_e64 v4, v4, 0, s10
	s_and_b32 s9, vcc_lo, s9
	v_add_nc_u32_e32 v2, v4, v2
	v_mov_b32_dpp v4, v3 row_shr:2 row_mask:0xf bank_mask:0xf
	s_delay_alu instid0(VALU_DEP_2) | instskip(NEXT) | instid1(VALU_DEP_1)
	v_mov_b32_dpp v6, v2 row_shr:2 row_mask:0xf bank_mask:0xf
	v_dual_cndmask_b32 v4, 0, v4, vcc_lo :: v_dual_cndmask_b32 v6, 0, v6, s9
	s_delay_alu instid0(VALU_DEP_1) | instskip(SKIP_1) | instid1(VALU_DEP_3)
	v_add_nc_u32_e32 v3, v3, v4
	v_cmp_lt_u32_e64 s9, 3, v5
	v_add_nc_u32_e32 v2, v6, v2
	s_delay_alu instid0(VALU_DEP_3) | instskip(SKIP_1) | instid1(VALU_DEP_3)
	v_mov_b32_dpp v4, v3 row_shr:4 row_mask:0xf bank_mask:0xf
	v_cmp_eq_u32_e64 s11, 0, v3
	v_mov_b32_dpp v6, v2 row_shr:4 row_mask:0xf bank_mask:0xf
	s_delay_alu instid0(VALU_DEP_3)
	v_cndmask_b32_e64 v4, 0, v4, s9
	s_and_b32 s11, s9, s11
	s_delay_alu instid0(VALU_DEP_1) | instid1(SALU_CYCLE_1)
	v_dual_cndmask_b32 v6, 0, v6, s11 :: v_dual_add_nc_u32 v3, v4, v3
	v_cmp_lt_u32_e64 s11, 7, v5
	s_delay_alu instid0(VALU_DEP_2) | instskip(NEXT) | instid1(VALU_DEP_3)
	v_add_nc_u32_e32 v2, v2, v6
	v_cmp_eq_u32_e64 s12, 0, v3
	v_mov_b32_dpp v4, v3 row_shr:8 row_mask:0xf bank_mask:0xf
	v_bfe_i32 v6, v61, 4, 1
	s_delay_alu instid0(VALU_DEP_4)
	v_mov_b32_dpp v5, v2 row_shr:8 row_mask:0xf bank_mask:0xf
	s_and_b32 s12, s11, s12
	s_delay_alu instid0(VALU_DEP_1) | instid1(SALU_CYCLE_1)
	v_dual_cndmask_b32 v4, 0, v4, s11 :: v_dual_cndmask_b32 v5, 0, v5, s12
	s_delay_alu instid0(VALU_DEP_1) | instskip(SKIP_4) | instid1(VALU_DEP_1)
	v_dual_add_nc_u32 v5, v5, v2 :: v_dual_add_nc_u32 v2, v4, v3
	ds_swizzle_b32 v3, v5 offset:swizzle(BROADCAST,32,15)
	ds_swizzle_b32 v4, v2 offset:swizzle(BROADCAST,32,15)
	v_cmp_eq_u32_e64 s12, 0, v2
	s_wait_dscnt 0x0
	v_dual_cndmask_b32 v3, 0, v3, s12 :: v_dual_bitop2_b32 v4, v6, v4 bitop3:0x40
	s_delay_alu instid0(VALU_DEP_1) | instskip(NEXT) | instid1(VALU_DEP_1)
	v_dual_add_nc_u32 v2, v4, v2 :: v_dual_bitop2_b32 v3, v6, v3 bitop3:0x40
	v_dual_lshlrev_b32 v4, 3, v62 :: v_dual_add_nc_u32 v3, v3, v5
	v_cmpx_eq_u32_e64 v0, v63
; %bb.54:
	ds_store_b64 v4, v[2:3] offset:2064
; %bb.55:
	s_or_b32 exec_lo, exec_lo, s14
	s_delay_alu instid0(SALU_CYCLE_1)
	s_mov_b32 s14, exec_lo
	s_wait_dscnt 0x0
	s_barrier_signal -1
	s_barrier_wait -1
	v_cmpx_gt_u32_e32 16, v0
	s_cbranch_execz .LBB607_57
; %bb.56:
	v_lshlrev_b32_e32 v5, 3, v0
	ds_load_b64 v[6:7], v5 offset:2064
	s_wait_dscnt 0x0
	v_mov_b32_dpp v8, v7 row_shr:1 row_mask:0xf bank_mask:0xf
	v_mov_b32_dpp v9, v6 row_shr:1 row_mask:0xf bank_mask:0xf
	v_cmp_eq_u32_e64 s12, 0, v6
	s_delay_alu instid0(VALU_DEP_2) | instskip(NEXT) | instid1(VALU_DEP_1)
	v_cndmask_b32_e64 v9, v9, 0, s10
	v_dual_cndmask_b32 v8, 0, v8, s12 :: v_dual_add_nc_u32 v6, v9, v6
	s_delay_alu instid0(VALU_DEP_1) | instskip(NEXT) | instid1(VALU_DEP_2)
	v_cndmask_b32_e64 v8, v8, 0, s10
	v_cmp_eq_u32_e64 s10, 0, v6
	s_delay_alu instid0(VALU_DEP_2) | instskip(SKIP_1) | instid1(VALU_DEP_1)
	v_add_nc_u32_e32 v7, v8, v7
	v_mov_b32_dpp v8, v6 row_shr:2 row_mask:0xf bank_mask:0xf
	v_cndmask_b32_e32 v8, 0, v8, vcc_lo
	s_delay_alu instid0(VALU_DEP_3) | instskip(SKIP_1) | instid1(VALU_DEP_1)
	v_mov_b32_dpp v9, v7 row_shr:2 row_mask:0xf bank_mask:0xf
	s_and_b32 vcc_lo, vcc_lo, s10
	v_dual_cndmask_b32 v9, 0, v9 :: v_dual_add_nc_u32 v6, v8, v6
	s_delay_alu instid0(VALU_DEP_1) | instskip(NEXT) | instid1(VALU_DEP_2)
	v_add_nc_u32_e32 v7, v9, v7
	v_mov_b32_dpp v8, v6 row_shr:4 row_mask:0xf bank_mask:0xf
	v_cmp_eq_u32_e32 vcc_lo, 0, v6
	s_delay_alu instid0(VALU_DEP_3)
	v_mov_b32_dpp v9, v7 row_shr:4 row_mask:0xf bank_mask:0xf
	s_and_b32 vcc_lo, s9, vcc_lo
	s_delay_alu instid0(VALU_DEP_1) | instid1(SALU_CYCLE_1)
	v_dual_cndmask_b32 v8, 0, v8, s9 :: v_dual_cndmask_b32 v9, 0, v9, vcc_lo
	s_delay_alu instid0(VALU_DEP_1) | instskip(NEXT) | instid1(VALU_DEP_1)
	v_dual_add_nc_u32 v6, v8, v6 :: v_dual_add_nc_u32 v7, v9, v7
	v_cmp_eq_u32_e32 vcc_lo, 0, v6
	v_mov_b32_dpp v8, v6 row_shr:8 row_mask:0xf bank_mask:0xf
	s_delay_alu instid0(VALU_DEP_3)
	v_mov_b32_dpp v9, v7 row_shr:8 row_mask:0xf bank_mask:0xf
	s_and_b32 vcc_lo, s11, vcc_lo
	s_delay_alu instid0(VALU_DEP_1) | instid1(SALU_CYCLE_1)
	v_dual_cndmask_b32 v8, 0, v8, s11 :: v_dual_cndmask_b32 v9, 0, v9, vcc_lo
	s_delay_alu instid0(VALU_DEP_1)
	v_dual_add_nc_u32 v6, v8, v6 :: v_dual_add_nc_u32 v7, v9, v7
	ds_store_b64 v5, v[6:7] offset:2064
.LBB607_57:
	s_or_b32 exec_lo, exec_lo, s14
	v_dual_mov_b32 v14, 0 :: v_dual_mov_b32 v15, 0
	s_mov_b32 s10, exec_lo
	v_cmp_gt_u32_e32 vcc_lo, 32, v0
	s_wait_dscnt 0x0
	s_barrier_signal -1
	s_barrier_wait -1
	v_cmpx_lt_u32_e32 31, v0
	s_cbranch_execz .LBB607_59
; %bb.58:
	ds_load_b64 v[14:15], v4 offset:2056
	v_cmp_eq_u32_e64 s9, 0, v2
	s_wait_dscnt 0x0
	s_delay_alu instid0(VALU_DEP_1) | instskip(NEXT) | instid1(VALU_DEP_1)
	v_dual_cndmask_b32 v4, 0, v15, s9 :: v_dual_add_nc_u32 v2, v14, v2
	v_add_nc_u32_e32 v3, v4, v3
.LBB607_59:
	s_or_b32 exec_lo, exec_lo, s10
	v_sub_co_u32 v4, s9, v61, 1
	s_delay_alu instid0(VALU_DEP_1) | instskip(NEXT) | instid1(VALU_DEP_1)
	v_cmp_gt_i32_e64 s10, 0, v4
	v_cndmask_b32_e64 v4, v4, v61, s10
	s_delay_alu instid0(VALU_DEP_1)
	v_lshlrev_b32_e32 v4, 2, v4
	ds_bpermute_b32 v20, v4, v2
	ds_bpermute_b32 v21, v4, v3
	s_and_saveexec_b32 s12, vcc_lo
	s_cbranch_execz .LBB607_78
; %bb.60:
	v_mov_b32_e32 v5, 0
	ds_load_b64 v[2:3], v5 offset:2184
	s_and_saveexec_b32 s10, s9
	s_cbranch_execz .LBB607_62
; %bb.61:
	s_add_co_i32 s18, s20, 32
	s_mov_b32 s19, 0
	v_mov_b32_e32 v4, 1
	s_lshl_b64 s[18:19], s[18:19], 4
	s_delay_alu instid0(SALU_CYCLE_1) | instskip(NEXT) | instid1(SALU_CYCLE_1)
	s_add_nc_u64 s[18:19], s[16:17], s[18:19]
	v_mov_b64_e32 v[6:7], s[18:19]
	s_wait_dscnt 0x0
	;;#ASMSTART
	global_store_b128 v[6:7], v[2:5] off scope:SCOPE_DEV	
s_wait_storecnt 0x0
	;;#ASMEND
.LBB607_62:
	s_or_b32 exec_lo, exec_lo, s10
	v_xad_u32 v16, v61, -1, s20
	s_mov_b32 s11, 0
	s_mov_b32 s10, exec_lo
	s_delay_alu instid0(VALU_DEP_1) | instskip(NEXT) | instid1(VALU_DEP_1)
	v_add_nc_u32_e32 v4, 32, v16
	v_lshl_add_u64 v[4:5], v[4:5], 4, s[16:17]
	;;#ASMSTART
	global_load_b128 v[6:9], v[4:5] off scope:SCOPE_DEV	
s_wait_loadcnt 0x0
	;;#ASMEND
	v_and_b32_e32 v9, 0xff, v8
	s_delay_alu instid0(VALU_DEP_1)
	v_cmpx_eq_u16_e32 0, v9
	s_cbranch_execz .LBB607_65
.LBB607_63:                             ; =>This Inner Loop Header: Depth=1
	;;#ASMSTART
	global_load_b128 v[6:9], v[4:5] off scope:SCOPE_DEV	
s_wait_loadcnt 0x0
	;;#ASMEND
	v_and_b32_e32 v9, 0xff, v8
	s_delay_alu instid0(VALU_DEP_1) | instskip(SKIP_1) | instid1(SALU_CYCLE_1)
	v_cmp_ne_u16_e32 vcc_lo, 0, v9
	s_or_b32 s11, vcc_lo, s11
	s_and_not1_b32 exec_lo, exec_lo, s11
	s_cbranch_execnz .LBB607_63
; %bb.64:
	s_or_b32 exec_lo, exec_lo, s11
.LBB607_65:
	s_delay_alu instid0(SALU_CYCLE_1)
	s_or_b32 exec_lo, exec_lo, s10
	v_cmp_ne_u32_e32 vcc_lo, 31, v61
	v_lshlrev_b32_e64 v23, v61, -1
	v_cmp_gt_u32_e64 s11, 30, v61
	v_lshl_or_b32 v30, v61, 2, 64
	v_add_nc_u32_e32 v25, 2, v61
	v_add_co_ci_u32_e64 v4, null, 0, v61, vcc_lo
	s_delay_alu instid0(VALU_DEP_4) | instskip(SKIP_1) | instid1(VALU_DEP_3)
	v_cndmask_b32_e64 v17, 0, 2, s11
	v_dual_add_nc_u32 v27, 4, v61 :: v_dual_add_nc_u32 v29, 8, v61
	v_lshlrev_b32_e32 v22, 2, v4
	v_and_b32_e32 v4, 0xff, v8
	s_delay_alu instid0(VALU_DEP_4)
	v_add_lshl_u32 v24, v17, v61, 2
	v_add_nc_u32_e32 v31, 16, v61
	ds_bpermute_b32 v5, v22, v6
	v_cmp_eq_u16_e32 vcc_lo, 2, v4
	v_and_or_b32 v9, vcc_lo, v23, 0x80000000
	v_cmp_eq_u32_e32 vcc_lo, 0, v6
	s_delay_alu instid0(VALU_DEP_2) | instskip(NEXT) | instid1(VALU_DEP_1)
	v_ctz_i32_b32_e32 v9, v9
	v_cmp_lt_u32_e64 s10, v61, v9
	s_wait_dscnt 0x0
	s_delay_alu instid0(VALU_DEP_1) | instskip(SKIP_4) | instid1(VALU_DEP_1)
	v_cndmask_b32_e64 v5, 0, v5, s10
	ds_bpermute_b32 v4, v22, v7
	s_and_b32 vcc_lo, s10, vcc_lo
	s_wait_dscnt 0x0
	v_dual_cndmask_b32 v4, 0, v4 :: v_dual_add_nc_u32 v5, v5, v6
	v_cmp_eq_u32_e32 vcc_lo, 0, v5
	s_delay_alu instid0(VALU_DEP_2)
	v_add_nc_u32_e32 v4, v4, v7
	ds_bpermute_b32 v7, v24, v4
	s_wait_dscnt 0x0
	v_cndmask_b32_e32 v6, 0, v7, vcc_lo
	ds_bpermute_b32 v7, v24, v5
	v_cmp_gt_u32_e32 vcc_lo, 28, v61
	v_cndmask_b32_e64 v17, 0, 4, vcc_lo
	v_cmp_gt_u32_e32 vcc_lo, v25, v9
	s_delay_alu instid0(VALU_DEP_2) | instskip(SKIP_2) | instid1(VALU_DEP_1)
	v_add_lshl_u32 v26, v17, v61, 2
	s_wait_dscnt 0x0
	v_cndmask_b32_e64 v7, v7, 0, vcc_lo
	v_add_nc_u32_e32 v5, v5, v7
	v_cndmask_b32_e64 v6, v6, 0, vcc_lo
	ds_bpermute_b32 v7, v26, v5
	v_add_nc_u32_e32 v4, v6, v4
	v_cmp_eq_u32_e32 vcc_lo, 0, v5
	ds_bpermute_b32 v6, v26, v4
	s_wait_dscnt 0x0
	v_cndmask_b32_e32 v6, 0, v6, vcc_lo
	v_cmp_gt_u32_e32 vcc_lo, 24, v61
	v_cndmask_b32_e64 v17, 0, 8, vcc_lo
	v_cmp_gt_u32_e32 vcc_lo, v27, v9
	s_delay_alu instid0(VALU_DEP_2) | instskip(SKIP_1) | instid1(VALU_DEP_1)
	v_add_lshl_u32 v28, v17, v61, 2
	v_cndmask_b32_e64 v7, v7, 0, vcc_lo
	v_dual_mov_b32 v17, 0 :: v_dual_add_nc_u32 v5, v5, v7
	v_cndmask_b32_e64 v6, v6, 0, vcc_lo
	ds_bpermute_b32 v7, v28, v5
	v_add_nc_u32_e32 v4, v4, v6
	v_cmp_eq_u32_e32 vcc_lo, 0, v5
	ds_bpermute_b32 v6, v28, v4
	s_wait_dscnt 0x0
	v_cndmask_b32_e32 v6, 0, v6, vcc_lo
	v_cmp_gt_u32_e32 vcc_lo, v29, v9
	s_delay_alu instid0(VALU_DEP_2) | instskip(NEXT) | instid1(VALU_DEP_1)
	v_cndmask_b32_e64 v6, v6, 0, vcc_lo
	v_add_nc_u32_e32 v4, v4, v6
	v_cndmask_b32_e64 v6, v7, 0, vcc_lo
	s_delay_alu instid0(VALU_DEP_1)
	v_add_nc_u32_e32 v5, v5, v6
	ds_bpermute_b32 v7, v30, v4
	ds_bpermute_b32 v6, v30, v5
	v_cmp_eq_u32_e32 vcc_lo, 0, v5
	s_wait_dscnt 0x1
	v_cndmask_b32_e32 v7, 0, v7, vcc_lo
	v_cmp_gt_u32_e32 vcc_lo, v31, v9
	s_wait_dscnt 0x0
	v_cndmask_b32_e64 v6, v6, 0, vcc_lo
	s_delay_alu instid0(VALU_DEP_1) | instskip(SKIP_1) | instid1(VALU_DEP_1)
	v_add_nc_u32_e32 v6, v6, v5
	v_cndmask_b32_e64 v7, v7, 0, vcc_lo
	v_add_nc_u32_e32 v7, v7, v4
	s_branch .LBB607_69
.LBB607_66:                             ;   in Loop: Header=BB607_69 Depth=1
	s_or_b32 exec_lo, exec_lo, s11
.LBB607_67:                             ;   in Loop: Header=BB607_69 Depth=1
	s_delay_alu instid0(SALU_CYCLE_1)
	s_or_b32 exec_lo, exec_lo, s10
	v_and_b32_e32 v9, 0xff, v8
	ds_bpermute_b32 v18, v22, v6
	v_subrev_nc_u32_e32 v16, 32, v16
	v_cmp_eq_u16_e32 vcc_lo, 2, v9
	ds_bpermute_b32 v9, v22, v7
	v_and_or_b32 v19, vcc_lo, v23, 0x80000000
	v_cmp_eq_u32_e32 vcc_lo, 0, v6
	s_delay_alu instid0(VALU_DEP_2) | instskip(NEXT) | instid1(VALU_DEP_1)
	v_ctz_i32_b32_e32 v19, v19
	v_cmp_lt_u32_e64 s10, v61, v19
	s_and_b32 vcc_lo, s10, vcc_lo
	s_wait_dscnt 0x0
	v_dual_cndmask_b32 v18, 0, v18, s10 :: v_dual_cndmask_b32 v9, 0, v9, vcc_lo
	s_mov_b32 s10, 0
	s_delay_alu instid0(VALU_DEP_1)
	v_dual_add_nc_u32 v6, v18, v6 :: v_dual_add_nc_u32 v7, v9, v7
	ds_bpermute_b32 v18, v24, v6
	ds_bpermute_b32 v9, v24, v7
	v_cmp_eq_u32_e32 vcc_lo, 0, v6
	s_wait_dscnt 0x0
	v_cndmask_b32_e32 v9, 0, v9, vcc_lo
	v_cmp_gt_u32_e32 vcc_lo, v25, v19
	v_cndmask_b32_e64 v18, v18, 0, vcc_lo
	s_delay_alu instid0(VALU_DEP_1) | instskip(NEXT) | instid1(VALU_DEP_4)
	v_add_nc_u32_e32 v6, v6, v18
	v_cndmask_b32_e64 v9, v9, 0, vcc_lo
	s_delay_alu instid0(VALU_DEP_2) | instskip(NEXT) | instid1(VALU_DEP_2)
	v_cmp_eq_u32_e32 vcc_lo, 0, v6
	v_add_nc_u32_e32 v7, v9, v7
	ds_bpermute_b32 v18, v26, v6
	ds_bpermute_b32 v9, v26, v7
	s_wait_dscnt 0x0
	v_cndmask_b32_e32 v9, 0, v9, vcc_lo
	v_cmp_gt_u32_e32 vcc_lo, v27, v19
	s_delay_alu instid0(VALU_DEP_2) | instskip(SKIP_1) | instid1(VALU_DEP_1)
	v_cndmask_b32_e64 v9, v9, 0, vcc_lo
	v_cndmask_b32_e64 v18, v18, 0, vcc_lo
	v_dual_add_nc_u32 v7, v7, v9 :: v_dual_add_nc_u32 v6, v6, v18
	ds_bpermute_b32 v9, v28, v7
	ds_bpermute_b32 v18, v28, v6
	v_cmp_eq_u32_e32 vcc_lo, 0, v6
	s_wait_dscnt 0x1
	v_cndmask_b32_e32 v9, 0, v9, vcc_lo
	v_cmp_gt_u32_e32 vcc_lo, v29, v19
	s_wait_dscnt 0x0
	v_cndmask_b32_e64 v18, v18, 0, vcc_lo
	s_delay_alu instid0(VALU_DEP_1) | instskip(SKIP_1) | instid1(VALU_DEP_2)
	v_add_nc_u32_e32 v6, v6, v18
	v_cndmask_b32_e64 v9, v9, 0, vcc_lo
	v_cmp_eq_u32_e32 vcc_lo, 0, v6
	s_delay_alu instid0(VALU_DEP_2)
	v_add_nc_u32_e32 v7, v7, v9
	ds_bpermute_b32 v18, v30, v6
	ds_bpermute_b32 v9, v30, v7
	s_wait_dscnt 0x0
	v_cndmask_b32_e32 v9, 0, v9, vcc_lo
	v_cmp_gt_u32_e32 vcc_lo, v31, v19
	s_delay_alu instid0(VALU_DEP_2) | instskip(NEXT) | instid1(VALU_DEP_1)
	v_cndmask_b32_e64 v9, v9, 0, vcc_lo
	v_add_nc_u32_e32 v7, v9, v7
	v_cndmask_b32_e64 v9, v18, 0, vcc_lo
	v_cmp_eq_u32_e32 vcc_lo, 0, v4
	s_delay_alu instid0(VALU_DEP_2) | instskip(NEXT) | instid1(VALU_DEP_4)
	v_add3_u32 v6, v6, v4, v9
	v_cndmask_b32_e32 v7, 0, v7, vcc_lo
	s_delay_alu instid0(VALU_DEP_1)
	v_add_nc_u32_e32 v7, v7, v5
.LBB607_68:                             ;   in Loop: Header=BB607_69 Depth=1
	s_and_b32 vcc_lo, exec_lo, s10
	s_cbranch_vccnz .LBB607_74
.LBB607_69:                             ; =>This Loop Header: Depth=1
                                        ;     Child Loop BB607_72 Depth 2
	v_and_b32_e32 v4, 0xff, v8
	s_delay_alu instid0(VALU_DEP_2) | instskip(SKIP_1) | instid1(VALU_DEP_2)
	v_mov_b32_e32 v5, v7
	s_mov_b32 s10, -1
                                        ; implicit-def: $vgpr7
                                        ; implicit-def: $vgpr8
	v_cmp_ne_u16_e32 vcc_lo, 2, v4
	v_mov_b32_e32 v4, v6
                                        ; implicit-def: $vgpr6
	s_cmp_lg_u32 vcc_lo, exec_lo
	s_cbranch_scc1 .LBB607_68
; %bb.70:                               ;   in Loop: Header=BB607_69 Depth=1
	v_lshl_add_u64 v[18:19], v[16:17], 4, s[16:17]
	;;#ASMSTART
	global_load_b128 v[6:9], v[18:19] off scope:SCOPE_DEV	
s_wait_loadcnt 0x0
	;;#ASMEND
	v_and_b32_e32 v9, 0xff, v8
	s_mov_b32 s10, exec_lo
	s_delay_alu instid0(VALU_DEP_1)
	v_cmpx_eq_u16_e32 0, v9
	s_cbranch_execz .LBB607_67
; %bb.71:                               ;   in Loop: Header=BB607_69 Depth=1
	s_mov_b32 s11, 0
.LBB607_72:                             ;   Parent Loop BB607_69 Depth=1
                                        ; =>  This Inner Loop Header: Depth=2
	;;#ASMSTART
	global_load_b128 v[6:9], v[18:19] off scope:SCOPE_DEV	
s_wait_loadcnt 0x0
	;;#ASMEND
	v_and_b32_e32 v9, 0xff, v8
	s_delay_alu instid0(VALU_DEP_1) | instskip(SKIP_1) | instid1(SALU_CYCLE_1)
	v_cmp_ne_u16_e32 vcc_lo, 0, v9
	s_or_b32 s11, vcc_lo, s11
	s_and_not1_b32 exec_lo, exec_lo, s11
	s_cbranch_execnz .LBB607_72
	s_branch .LBB607_66
.LBB607_73:
                                        ; implicit-def: $vgpr4
                                        ; implicit-def: $vgpr14
                                        ; implicit-def: $vgpr20_vgpr21
                                        ; implicit-def: $vgpr22_vgpr23
                                        ; implicit-def: $vgpr34_vgpr35
                                        ; implicit-def: $vgpr24_vgpr25
                                        ; implicit-def: $vgpr28_vgpr29
                                        ; implicit-def: $vgpr32_vgpr33
                                        ; implicit-def: $vgpr30_vgpr31
                                        ; implicit-def: $vgpr26_vgpr27
                                        ; implicit-def: $vgpr16_vgpr17
                                        ; implicit-def: $vgpr18_vgpr19
	s_cbranch_execnz .LBB607_79
	s_branch .LBB607_90
.LBB607_74:
	s_and_saveexec_b32 s10, s9
	s_cbranch_execz .LBB607_76
; %bb.75:
	v_cmp_eq_u32_e32 vcc_lo, 0, v2
	s_mov_b32 s19, 0
	s_add_co_i32 s18, s20, 32
	v_mov_b32_e32 v9, 0
	s_lshl_b64 s[18:19], s[18:19], 4
	v_dual_cndmask_b32 v7, 0, v5 :: v_dual_add_nc_u32 v6, v4, v2
	s_add_nc_u64 s[18:19], s[16:17], s[18:19]
	v_mov_b32_e32 v8, 2
	v_mov_b64_e32 v[16:17], s[18:19]
	s_delay_alu instid0(VALU_DEP_3)
	v_add_nc_u32_e32 v7, v7, v3
	;;#ASMSTART
	global_store_b128 v[16:17], v[6:9] off scope:SCOPE_DEV	
s_wait_storecnt 0x0
	;;#ASMEND
	ds_store_b128 v9, v[2:5] offset:2048
.LBB607_76:
	s_or_b32 exec_lo, exec_lo, s10
	s_delay_alu instid0(SALU_CYCLE_1)
	s_and_b32 exec_lo, exec_lo, s2
; %bb.77:
	v_mov_b32_e32 v2, 0
	ds_store_b64 v2, v[4:5] offset:2184
.LBB607_78:
	s_or_b32 exec_lo, exec_lo, s12
	s_wait_dscnt 0x1
	v_dual_mov_b32 v4, 0 :: v_dual_cndmask_b32 v5, v20, v14, s9
	s_wait_dscnt 0x0
	s_barrier_signal -1
	s_barrier_wait -1
	ds_load_b64 v[2:3], v4 offset:2184
	v_cmp_eq_u32_e32 vcc_lo, 0, v5
	v_cndmask_b32_e64 v5, v5, 0, s2
	s_wait_dscnt 0x0
	s_barrier_signal -1
	s_barrier_wait -1
	v_cndmask_b32_e32 v7, 0, v3, vcc_lo
	v_cmp_eq_u32_e32 vcc_lo, 0, v58
	v_dual_cndmask_b32 v6, v21, v15, s9 :: v_dual_add_nc_u32 v28, v2, v5
	s_delay_alu instid0(VALU_DEP_1) | instskip(NEXT) | instid1(VALU_DEP_1)
	v_add_nc_u32_e32 v6, v7, v6
	v_dual_add_nc_u32 v32, v28, v58 :: v_dual_cndmask_b32 v29, v6, v3, s2
	ds_load_b128 v[4:7], v4 offset:2048
	v_cndmask_b32_e32 v3, 0, v29, vcc_lo
	s_delay_alu instid0(VALU_DEP_1) | instskip(NEXT) | instid1(VALU_DEP_1)
	v_add_nc_u32_e32 v33, v3, v39
	v_cndmask_b32_e64 v3, 0, v33, s8
	s_delay_alu instid0(VALU_DEP_1) | instskip(SKIP_2) | instid1(VALU_DEP_2)
	v_add_nc_u32_e32 v31, v3, v41
	s_wait_dscnt 0x0
	v_cmp_eq_u32_e32 vcc_lo, 0, v4
	v_cndmask_b32_e64 v3, 0, v31, s7
	s_delay_alu instid0(VALU_DEP_1) | instskip(NEXT) | instid1(VALU_DEP_1)
	v_add_nc_u32_e32 v27, v3, v43
	v_cndmask_b32_e64 v3, 0, v27, s6
	s_delay_alu instid0(VALU_DEP_1) | instskip(NEXT) | instid1(VALU_DEP_1)
	v_add_nc_u32_e32 v17, v3, v59
	v_dual_cndmask_b32 v3, 0, v7, vcc_lo :: v_dual_cndmask_b32 v2, 0, v17, s5
	s_delay_alu instid0(VALU_DEP_1) | instskip(NEXT) | instid1(VALU_DEP_1)
	v_dual_add_nc_u32 v14, v3, v5 :: v_dual_add_nc_u32 v19, v2, v42
	v_dual_add_nc_u32 v30, v32, v52 :: v_dual_cndmask_b32 v2, 0, v19, s4
	s_delay_alu instid0(VALU_DEP_1) | instskip(NEXT) | instid1(VALU_DEP_1)
	v_add_nc_u32_e32 v25, v2, v40
	v_dual_add_nc_u32 v26, v30, v51 :: v_dual_cndmask_b32 v2, 0, v25, s3
	s_delay_alu instid0(VALU_DEP_1) | instskip(NEXT) | instid1(VALU_DEP_1)
	v_add_nc_u32_e32 v35, v2, v38
	v_dual_add_nc_u32 v16, v26, v50 :: v_dual_cndmask_b32 v2, 0, v35, s1
	s_delay_alu instid0(VALU_DEP_1) | instskip(NEXT) | instid1(VALU_DEP_1)
	v_dual_add_nc_u32 v18, v16, v48 :: v_dual_add_nc_u32 v23, v2, v37
	v_add_nc_u32_e32 v24, v18, v47
	s_delay_alu instid0(VALU_DEP_1) | instskip(NEXT) | instid1(VALU_DEP_1)
	v_dual_cndmask_b32 v2, 0, v23, s0 :: v_dual_add_nc_u32 v34, v24, v45
	v_add_nc_u32_e32 v21, v2, v36
	s_delay_alu instid0(VALU_DEP_2) | instskip(NEXT) | instid1(VALU_DEP_1)
	v_add_nc_u32_e32 v22, v34, v44
	v_add_nc_u32_e32 v20, v22, v46
	s_branch .LBB607_90
.LBB607_79:
	s_cmp_eq_u64 s[36:37], 0
	v_mov_b32_e32 v6, v39
	s_cselect_b32 s0, -1, 0
	s_delay_alu instid0(SALU_CYCLE_1) | instskip(NEXT) | instid1(SALU_CYCLE_1)
	s_or_b32 s0, s13, s0
	s_and_b32 vcc_lo, exec_lo, s0
	s_cbranch_vccnz .LBB607_81
; %bb.80:
	v_mov_b32_e32 v2, 0
	global_load_b32 v6, v2, s[36:37]
.LBB607_81:
	v_add3_u32 v3, v64, v48, v47
	v_cmp_eq_u32_e64 s5, 0, v52
	v_cmp_eq_u32_e64 s6, 0, v51
	;; [unrolled: 1-line block ×4, first 2 shown]
	v_add3_u32 v3, v3, v45, v44
	s_wait_xcnt 0x0
	v_dual_cndmask_b32 v2, 0, v39, s5 :: v_dual_bitop2_b32 v5, 15, v61 bitop3:0x40
	v_cmp_eq_u32_e64 s3, 0, v47
	v_cmp_eq_u32_e64 s1, 0, v45
	v_add3_u32 v3, v3, v46, v49
	s_delay_alu instid0(VALU_DEP_4)
	v_add_nc_u32_e32 v2, v2, v41
	v_cmp_eq_u32_e64 s10, 0, v5
	v_cmp_eq_u32_e64 s0, 0, v44
	v_cmp_eq_u32_e32 vcc_lo, 0, v46
	v_mov_b32_dpp v7, v3 row_shr:1 row_mask:0xf bank_mask:0xf
	v_cmp_eq_u32_e64 s8, 0, v49
	s_mov_b32 s14, exec_lo
	v_cndmask_b32_e64 v7, v7, 0, s10
	v_cndmask_b32_e64 v2, 0, v2, s6
	s_delay_alu instid0(VALU_DEP_1) | instskip(NEXT) | instid1(VALU_DEP_1)
	v_add_nc_u32_e32 v2, v2, v43
	v_cndmask_b32_e64 v2, 0, v2, s7
	s_delay_alu instid0(VALU_DEP_1) | instskip(NEXT) | instid1(VALU_DEP_1)
	v_add_nc_u32_e32 v2, v2, v59
	;; [unrolled: 3-line block ×6, first 2 shown]
	v_cndmask_b32_e32 v2, 0, v2, vcc_lo
	s_delay_alu instid0(VALU_DEP_1) | instskip(NEXT) | instid1(VALU_DEP_1)
	v_add_nc_u32_e32 v2, v2, v36
	v_cndmask_b32_e64 v2, 0, v2, s8
	v_cmp_eq_u32_e64 s8, 0, v3
	s_delay_alu instid0(VALU_DEP_2) | instskip(NEXT) | instid1(VALU_DEP_1)
	v_dual_add_nc_u32 v3, v7, v3 :: v_dual_add_nc_u32 v2, v2, v60
	v_cmp_eq_u32_e64 s9, 0, v3
	s_delay_alu instid0(VALU_DEP_2) | instskip(NEXT) | instid1(VALU_DEP_1)
	v_mov_b32_dpp v4, v2 row_shr:1 row_mask:0xf bank_mask:0xf
	v_cndmask_b32_e64 v4, 0, v4, s8
	v_cmp_lt_u32_e64 s8, 1, v5
	s_delay_alu instid0(VALU_DEP_2) | instskip(SKIP_1) | instid1(VALU_DEP_1)
	v_cndmask_b32_e64 v4, v4, 0, s10
	s_and_b32 s9, s8, s9
	v_add_nc_u32_e32 v2, v4, v2
	v_mov_b32_dpp v4, v3 row_shr:2 row_mask:0xf bank_mask:0xf
	s_delay_alu instid0(VALU_DEP_2) | instskip(NEXT) | instid1(VALU_DEP_1)
	v_mov_b32_dpp v7, v2 row_shr:2 row_mask:0xf bank_mask:0xf
	v_dual_cndmask_b32 v4, 0, v4, s8 :: v_dual_cndmask_b32 v7, 0, v7, s9
	s_delay_alu instid0(VALU_DEP_1) | instskip(SKIP_1) | instid1(VALU_DEP_3)
	v_add_nc_u32_e32 v3, v3, v4
	v_cmp_lt_u32_e64 s9, 3, v5
	v_add_nc_u32_e32 v2, v7, v2
	s_delay_alu instid0(VALU_DEP_3) | instskip(SKIP_1) | instid1(VALU_DEP_3)
	v_mov_b32_dpp v4, v3 row_shr:4 row_mask:0xf bank_mask:0xf
	v_cmp_eq_u32_e64 s11, 0, v3
	v_mov_b32_dpp v7, v2 row_shr:4 row_mask:0xf bank_mask:0xf
	s_delay_alu instid0(VALU_DEP_3)
	v_cndmask_b32_e64 v4, 0, v4, s9
	s_and_b32 s11, s9, s11
	s_delay_alu instid0(VALU_DEP_2) | instid1(SALU_CYCLE_1)
	v_cndmask_b32_e64 v7, 0, v7, s11
	s_delay_alu instid0(VALU_DEP_2) | instskip(SKIP_1) | instid1(VALU_DEP_3)
	v_add_nc_u32_e32 v3, v4, v3
	v_cmp_lt_u32_e64 s11, 7, v5
	v_add_nc_u32_e32 v2, v2, v7
	s_delay_alu instid0(VALU_DEP_3) | instskip(SKIP_2) | instid1(VALU_DEP_4)
	v_cmp_eq_u32_e64 s12, 0, v3
	v_mov_b32_dpp v4, v3 row_shr:8 row_mask:0xf bank_mask:0xf
	v_bfe_i32 v7, v61, 4, 1
	v_mov_b32_dpp v5, v2 row_shr:8 row_mask:0xf bank_mask:0xf
	s_and_b32 s12, s11, s12
	s_delay_alu instid0(VALU_DEP_1) | instid1(SALU_CYCLE_1)
	v_dual_cndmask_b32 v4, 0, v4, s11 :: v_dual_cndmask_b32 v5, 0, v5, s12
	s_delay_alu instid0(VALU_DEP_1) | instskip(SKIP_4) | instid1(VALU_DEP_1)
	v_dual_add_nc_u32 v5, v5, v2 :: v_dual_add_nc_u32 v2, v4, v3
	ds_swizzle_b32 v3, v5 offset:swizzle(BROADCAST,32,15)
	ds_swizzle_b32 v4, v2 offset:swizzle(BROADCAST,32,15)
	v_cmp_eq_u32_e64 s12, 0, v2
	s_wait_dscnt 0x0
	v_dual_cndmask_b32 v3, 0, v3, s12 :: v_dual_bitop2_b32 v4, v7, v4 bitop3:0x40
	s_delay_alu instid0(VALU_DEP_1) | instskip(NEXT) | instid1(VALU_DEP_1)
	v_dual_add_nc_u32 v2, v4, v2 :: v_dual_bitop2_b32 v3, v7, v3 bitop3:0x40
	v_dual_add_nc_u32 v3, v3, v5 :: v_dual_lshlrev_b32 v5, 3, v62
	v_cmpx_eq_u32_e64 v0, v63
; %bb.82:
	ds_store_b64 v5, v[2:3] offset:2064
; %bb.83:
	s_or_b32 exec_lo, exec_lo, s14
	s_delay_alu instid0(SALU_CYCLE_1)
	s_mov_b32 s14, exec_lo
	s_wait_loadcnt_dscnt 0x0
	s_barrier_signal -1
	s_barrier_wait -1
	v_cmpx_gt_u32_e32 16, v0
	s_cbranch_execz .LBB607_85
; %bb.84:
	v_lshlrev_b32_e32 v4, 3, v0
	ds_load_b64 v[8:9], v4 offset:2064
	s_wait_dscnt 0x0
	v_mov_b32_dpp v7, v9 row_shr:1 row_mask:0xf bank_mask:0xf
	v_cmp_eq_u32_e64 s12, 0, v8
	v_mov_b32_dpp v14, v8 row_shr:1 row_mask:0xf bank_mask:0xf
	s_delay_alu instid0(VALU_DEP_2) | instskip(NEXT) | instid1(VALU_DEP_2)
	v_cndmask_b32_e64 v7, 0, v7, s12
	v_cndmask_b32_e64 v14, v14, 0, s10
	s_delay_alu instid0(VALU_DEP_2) | instskip(NEXT) | instid1(VALU_DEP_1)
	v_cndmask_b32_e64 v7, v7, 0, s10
	v_dual_add_nc_u32 v8, v14, v8 :: v_dual_add_nc_u32 v7, v7, v9
	s_delay_alu instid0(VALU_DEP_1) | instskip(SKIP_1) | instid1(VALU_DEP_3)
	v_mov_b32_dpp v9, v8 row_shr:2 row_mask:0xf bank_mask:0xf
	v_cmp_eq_u32_e64 s10, 0, v8
	v_mov_b32_dpp v14, v7 row_shr:2 row_mask:0xf bank_mask:0xf
	s_delay_alu instid0(VALU_DEP_3)
	v_cndmask_b32_e64 v9, 0, v9, s8
	s_and_b32 s8, s8, s10
	s_delay_alu instid0(VALU_DEP_1) | instid1(SALU_CYCLE_1)
	v_dual_cndmask_b32 v14, 0, v14, s8 :: v_dual_add_nc_u32 v8, v9, v8
	s_delay_alu instid0(VALU_DEP_1) | instskip(NEXT) | instid1(VALU_DEP_2)
	v_add_nc_u32_e32 v7, v14, v7
	v_mov_b32_dpp v9, v8 row_shr:4 row_mask:0xf bank_mask:0xf
	v_cmp_eq_u32_e64 s8, 0, v8
	s_delay_alu instid0(VALU_DEP_3)
	v_mov_b32_dpp v14, v7 row_shr:4 row_mask:0xf bank_mask:0xf
	s_and_b32 s8, s9, s8
	s_delay_alu instid0(VALU_DEP_1) | instid1(SALU_CYCLE_1)
	v_dual_cndmask_b32 v9, 0, v9, s9 :: v_dual_cndmask_b32 v14, 0, v14, s8
	s_delay_alu instid0(VALU_DEP_1) | instskip(NEXT) | instid1(VALU_DEP_1)
	v_dual_add_nc_u32 v8, v9, v8 :: v_dual_add_nc_u32 v7, v14, v7
	v_cmp_eq_u32_e64 s8, 0, v8
	v_mov_b32_dpp v9, v8 row_shr:8 row_mask:0xf bank_mask:0xf
	s_delay_alu instid0(VALU_DEP_3)
	v_mov_b32_dpp v14, v7 row_shr:8 row_mask:0xf bank_mask:0xf
	s_and_b32 s8, s11, s8
	s_delay_alu instid0(VALU_DEP_1) | instid1(SALU_CYCLE_1)
	v_dual_cndmask_b32 v9, 0, v9, s11 :: v_dual_cndmask_b32 v14, 0, v14, s8
	s_delay_alu instid0(VALU_DEP_1)
	v_dual_add_nc_u32 v8, v9, v8 :: v_dual_add_nc_u32 v9, v14, v7
	ds_store_b64 v4, v[8:9] offset:2064
.LBB607_85:
	s_or_b32 exec_lo, exec_lo, s14
	v_dual_mov_b32 v7, 0 :: v_dual_mov_b32 v4, 0
	v_mov_b32_e32 v8, v6
	s_mov_b32 s9, exec_lo
	s_wait_dscnt 0x0
	s_barrier_signal -1
	s_barrier_wait -1
	v_cmpx_lt_u32_e32 31, v0
	s_cbranch_execz .LBB607_87
; %bb.86:
	ds_load_b64 v[4:5], v5 offset:2056
	s_wait_dscnt 0x0
	v_cmp_eq_u32_e64 s8, 0, v4
	s_delay_alu instid0(VALU_DEP_1) | instskip(NEXT) | instid1(VALU_DEP_1)
	v_cndmask_b32_e64 v8, 0, v6, s8
	v_add_nc_u32_e32 v8, v8, v5
.LBB607_87:
	s_or_b32 exec_lo, exec_lo, s9
	v_sub_co_u32 v5, s8, v61, 1
	s_delay_alu instid0(VALU_DEP_1) | instskip(NEXT) | instid1(VALU_DEP_1)
	v_cmp_gt_i32_e64 s9, 0, v5
	v_cndmask_b32_e64 v5, v5, v61, s9
	v_cmp_eq_u32_e64 s9, 0, v2
	s_delay_alu instid0(VALU_DEP_1) | instskip(NEXT) | instid1(VALU_DEP_3)
	v_dual_cndmask_b32 v9, 0, v8, s9 :: v_dual_add_nc_u32 v2, v4, v2
	v_lshlrev_b32_e32 v5, 2, v5
	ds_bpermute_b32 v2, v5, v2
	s_wait_dscnt 0x0
	v_dual_add_nc_u32 v3, v9, v3 :: v_dual_cndmask_b32 v2, v2, v4, s8
	ds_bpermute_b32 v3, v5, v3
	ds_load_b64 v[4:5], v7 offset:2184
	v_cndmask_b32_e64 v28, v2, 0, s2
	s_delay_alu instid0(VALU_DEP_1) | instskip(NEXT) | instid1(VALU_DEP_1)
	v_add_nc_u32_e32 v32, v28, v58
	v_add_nc_u32_e32 v30, v32, v52
	s_wait_dscnt 0x1
	s_delay_alu instid0(VALU_DEP_1) | instskip(SKIP_1) | instid1(VALU_DEP_2)
	v_dual_add_nc_u32 v26, v30, v51 :: v_dual_cndmask_b32 v3, v3, v8, s8
	v_cmp_eq_u32_e64 s8, 0, v58
	v_add_nc_u32_e32 v16, v26, v50
	s_delay_alu instid0(VALU_DEP_1) | instskip(NEXT) | instid1(VALU_DEP_1)
	v_dual_cndmask_b32 v29, v3, v6, s2 :: v_dual_add_nc_u32 v18, v16, v48
	v_dual_cndmask_b32 v3, 0, v29, s8 :: v_dual_add_nc_u32 v24, v18, v47
	s_delay_alu instid0(VALU_DEP_1) | instskip(NEXT) | instid1(VALU_DEP_1)
	v_dual_add_nc_u32 v33, v3, v39 :: v_dual_add_nc_u32 v34, v24, v45
	v_dual_cndmask_b32 v3, 0, v33, s5 :: v_dual_add_nc_u32 v22, v34, v44
	s_delay_alu instid0(VALU_DEP_1) | instskip(NEXT) | instid1(VALU_DEP_1)
	v_dual_add_nc_u32 v31, v3, v41 :: v_dual_add_nc_u32 v20, v22, v46
	v_cndmask_b32_e64 v3, 0, v31, s6
	s_delay_alu instid0(VALU_DEP_1) | instskip(NEXT) | instid1(VALU_DEP_1)
	v_add_nc_u32_e32 v27, v3, v43
	v_cndmask_b32_e64 v3, 0, v27, s7
	s_delay_alu instid0(VALU_DEP_1) | instskip(NEXT) | instid1(VALU_DEP_1)
	v_add_nc_u32_e32 v17, v3, v59
	;; [unrolled: 3-line block ×6, first 2 shown]
	v_cndmask_b32_e32 v2, 0, v23, vcc_lo
	s_wait_dscnt 0x0
	v_cmp_eq_u32_e32 vcc_lo, 0, v4
	s_delay_alu instid0(VALU_DEP_2) | instskip(NEXT) | instid1(VALU_DEP_1)
	v_dual_add_nc_u32 v21, v2, v36 :: v_dual_cndmask_b32 v3, 0, v6, vcc_lo
	v_add_nc_u32_e32 v14, v3, v5
	s_and_saveexec_b32 s0, s2
	s_cbranch_execz .LBB607_89
; %bb.88:
	s_add_nc_u64 s[4:5], s[16:17], 0x200
	v_dual_mov_b32 v6, 2 :: v_dual_mov_b32 v7, 0
	v_mov_b32_e32 v5, v14
	v_mov_b64_e32 v[2:3], s[4:5]
	;;#ASMSTART
	global_store_b128 v[2:3], v[4:7] off scope:SCOPE_DEV	
s_wait_storecnt 0x0
	;;#ASMEND
.LBB607_89:
	s_or_b32 exec_lo, exec_lo, s0
	v_mov_b32_e32 v6, 0
.LBB607_90:
	s_cmp_eq_u64 s[30:31], 0
	v_mov_b64_e32 v[36:37], 0
	s_cselect_b32 s0, -1, 0
	s_delay_alu instid0(SALU_CYCLE_1)
	s_or_b32 s0, s13, s0
	s_barrier_signal -1
	s_and_b32 vcc_lo, exec_lo, s0
	s_barrier_wait -1
	s_cbranch_vccnz .LBB607_92
; %bb.91:
	v_mov_b32_e32 v2, 0
	global_load_b64 v[36:37], v2, s[30:31]
.LBB607_92:
	v_cmp_eq_u32_e32 vcc_lo, 0, v58
	s_wait_loadcnt 0x0
	v_lshlrev_b64_e32 v[38:39], 1, v[36:37]
	v_cmp_ne_u32_e64 s10, 0, v58
	v_cmp_ne_u32_e64 s9, 0, v52
	;; [unrolled: 1-line block ×3, first 2 shown]
	v_cndmask_b32_e64 v2, 1, 2, vcc_lo
	v_cmp_eq_u32_e32 vcc_lo, 0, v52
	v_cmp_ne_u32_e64 s7, 0, v50
	v_cmp_ne_u32_e64 s6, 0, v48
	;; [unrolled: 1-line block ×4, first 2 shown]
	v_cndmask_b32_e64 v3, 1, 2, vcc_lo
	v_cmp_eq_u32_e32 vcc_lo, 0, v51
	v_cmp_ne_u32_e64 s3, 0, v44
	v_cmp_ne_u32_e64 s1, 0, v46
	s_delay_alu instid0(VALU_DEP_4) | instskip(SKIP_3) | instid1(VALU_DEP_4)
	v_dual_mov_b32 v7, 0 :: v_dual_bitop2_b32 v2, v3, v2 bitop3:0x40
	v_cndmask_b32_e64 v3, 1, 2, vcc_lo
	v_cmp_eq_u32_e32 vcc_lo, 0, v50
	v_cmp_ne_u32_e64 s0, 0, v49
	v_lshlrev_b64_e32 v[40:41], 1, v[6:7]
	s_mov_b32 s12, -1
	v_cndmask_b32_e64 v5, 1, 2, vcc_lo
	v_cmp_eq_u32_e32 vcc_lo, 0, v48
	s_delay_alu instid0(VALU_DEP_2)
	v_bitop3_b16 v5, v2, v5, v3 bitop3:0x80
	v_cndmask_b32_e64 v8, 1, 2, vcc_lo
	v_cmp_eq_u32_e32 vcc_lo, 0, v47
	v_add_nc_u64_e32 v[2:3], s[24:25], v[38:39]
	v_cndmask_b32_e64 v9, 1, 2, vcc_lo
	v_cmp_eq_u32_e32 vcc_lo, 0, v45
	s_delay_alu instid0(VALU_DEP_3) | instskip(NEXT) | instid1(VALU_DEP_3)
	v_add_nc_u64_e32 v[42:43], v[2:3], v[40:41]
	v_bitop3_b16 v5, v5, v9, v8 bitop3:0x80
	v_cndmask_b32_e64 v8, 1, 2, vcc_lo
	v_cmp_eq_u32_e32 vcc_lo, 0, v44
	v_cndmask_b32_e64 v9, 1, 2, vcc_lo
	v_cmp_eq_u32_e32 vcc_lo, 0, v46
	s_delay_alu instid0(VALU_DEP_2) | instskip(SKIP_4) | instid1(VALU_DEP_2)
	v_bitop3_b16 v2, v5, v9, v8 bitop3:0x80
	v_cndmask_b32_e64 v3, 1, 2, vcc_lo
	v_cmp_eq_u32_e32 vcc_lo, 0, v49
	v_cndmask_b32_e64 v5, 1, 2, vcc_lo
	v_cmp_gt_u32_e32 vcc_lo, 0x200, v4
	v_bitop3_b16 v2, v2, v5, v3 bitop3:0x80
	s_delay_alu instid0(VALU_DEP_1)
	v_cmp_gt_i16_e64 s11, 2, v2
	s_cbranch_vccz .LBB607_99
; %bb.93:
	s_and_saveexec_b32 s12, s11
	s_cbranch_execz .LBB607_98
; %bb.94:
	s_mov_b32 s13, 0
	s_mov_b32 s11, exec_lo
	v_cmpx_ne_u16_e32 1, v2
	s_xor_b32 s11, exec_lo, s11
	s_cbranch_execnz .LBB607_140
; %bb.95:
	s_and_not1_saveexec_b32 s11, s11
	s_cbranch_execnz .LBB607_151
.LBB607_96:
	s_or_b32 exec_lo, exec_lo, s11
	s_delay_alu instid0(SALU_CYCLE_1)
	s_and_b32 exec_lo, exec_lo, s13
	s_cbranch_execz .LBB607_98
.LBB607_97:
	v_sub_nc_u32_e32 v3, v20, v6
	v_readfirstlane_b32 s16, v42
	v_readfirstlane_b32 s17, v43
	global_store_b16 v3, v53, s[16:17] scale_offset
.LBB607_98:
	s_wait_xcnt 0x0
	s_or_b32 exec_lo, exec_lo, s12
	s_mov_b32 s12, 0
.LBB607_99:
	s_delay_alu instid0(SALU_CYCLE_1)
	s_and_b32 vcc_lo, exec_lo, s12
	s_cbranch_vccz .LBB607_119
; %bb.100:
	s_mov_b32 s11, exec_lo
	v_cmpx_gt_i16_e32 2, v2
	s_cbranch_execz .LBB607_105
; %bb.101:
	s_mov_b32 s13, 0
	s_mov_b32 s12, exec_lo
	v_cmpx_ne_u16_e32 1, v2
	s_xor_b32 s12, exec_lo, s12
	s_cbranch_execnz .LBB607_152
; %bb.102:
	s_and_not1_saveexec_b32 s0, s12
	s_cbranch_execnz .LBB607_163
.LBB607_103:
	s_or_b32 exec_lo, exec_lo, s0
	s_delay_alu instid0(SALU_CYCLE_1)
	s_and_b32 exec_lo, exec_lo, s13
.LBB607_104:
	v_sub_nc_u32_e32 v1, v20, v6
	s_delay_alu instid0(VALU_DEP_1)
	v_lshlrev_b32_e32 v1, 1, v1
	ds_store_b16 v1, v53
.LBB607_105:
	s_or_b32 exec_lo, exec_lo, s11
	s_delay_alu instid0(SALU_CYCLE_1)
	s_mov_b32 s0, exec_lo
	s_wait_storecnt_dscnt 0x0
	s_barrier_signal -1
	s_barrier_wait -1
	v_cmpx_lt_u32_e64 v0, v4
	s_cbranch_execz .LBB607_118
; %bb.106:
	v_xad_u32 v1, v0, -1, v4
	v_mov_b32_e32 v2, v0
	s_mov_b32 s3, -1
	s_mov_b32 s1, exec_lo
	s_delay_alu instid0(VALU_DEP_2)
	v_cmpx_lt_u32_e32 0x5ff, v1
	s_cbranch_execz .LBB607_115
; %bb.107:
	v_lshrrev_b32_e32 v5, 9, v1
	v_or_b32_e32 v3, 0x600, v0
	v_or_b32_e32 v2, 0x400, v0
	;; [unrolled: 1-line block ×3, first 2 shown]
	s_delay_alu instid0(VALU_DEP_4) | instskip(NEXT) | instid1(VALU_DEP_1)
	v_dual_mov_b32 v55, 0 :: v_dual_add_nc_u32 v8, -3, v5
	v_lshrrev_b32_e32 v9, 2, v8
	v_cmp_lt_u32_e32 vcc_lo, 11, v8
	s_delay_alu instid0(VALU_DEP_2)
	v_add_nc_u32_e32 v15, 1, v9
	v_mov_b64_e32 v[10:11], v[2:3]
	v_mov_b64_e32 v[8:9], v[0:1]
	s_and_saveexec_b32 s3, vcc_lo
	s_cbranch_execz .LBB607_111
; %bb.108:
	v_mov_b64_e32 v[10:11], v[2:3]
	v_mov_b64_e32 v[8:9], v[0:1]
	v_and_b32_e32 v53, 0x7ffffffc, v15
	v_dual_mov_b32 v13, 0 :: v_dual_lshlrev_b32 v54, 1, v0
	s_mov_b32 s4, 0
	s_mov_b32 s5, 0
.LBB607_109:                            ; =>This Inner Loop Header: Depth=1
	s_delay_alu instid0(VALU_DEP_1) | instskip(SKIP_2) | instid1(VALU_DEP_3)
	v_dual_mov_b32 v12, v8 :: v_dual_mov_b32 v61, v13
	v_add_nc_u32_e32 v53, -4, v53
	v_dual_mov_b32 v67, v13 :: v_dual_add_nc_u32 v60, 0x800, v9
	v_lshl_add_u64 v[74:75], v[12:13], 1, v[42:43]
	v_mov_b32_e32 v12, v9
	ds_load_u16 v1, v54
	ds_load_u16 v59, v54 offset:1024
	ds_load_u16 v82, v54 offset:2048
	;; [unrolled: 1-line block ×7, first 2 shown]
	v_dual_mov_b32 v73, v13 :: v_dual_add_nc_u32 v66, 0x1000, v9
	s_add_co_i32 s5, s5, 16
	s_delay_alu instid0(SALU_CYCLE_1)
	v_dual_mov_b32 v55, s5 :: v_dual_add_nc_u32 v72, 0x1800, v9
	v_add_nc_u32_e32 v9, 0x2000, v9
	v_lshl_add_u64 v[76:77], v[12:13], 1, v[42:43]
	v_mov_b32_e32 v12, v10
	ds_load_u16 v88, v54 offset:8192
	ds_load_u16 v89, v54 offset:9216
	;; [unrolled: 1-line block ×8, first 2 shown]
	v_dual_mov_b32 v57, v13 :: v_dual_add_nc_u32 v2, 0x800, v11
	v_dual_mov_b32 v65, v13 :: v_dual_add_nc_u32 v62, 0x1000, v11
	v_lshl_add_u64 v[78:79], v[12:13], 1, v[42:43]
	v_mov_b32_e32 v12, v11
	v_dual_mov_b32 v71, v13 :: v_dual_add_nc_u32 v68, 0x1800, v11
	v_add_nc_u32_e32 v11, 0x2000, v11
	s_wait_dscnt 0xf
	global_store_b16 v[74:75], v1, off
	s_wait_dscnt 0xe
	global_store_b16 v[76:77], v59, off
	;; [unrolled: 2-line block ×3, first 2 shown]
	v_lshl_add_u64 v[80:81], v[12:13], 1, v[42:43]
	v_add_nc_u32_e32 v12, 0x800, v8
	v_dual_mov_b32 v3, v13 :: v_dual_add_nc_u32 v56, 0x800, v10
	v_dual_mov_b32 v63, v13 :: v_dual_add_nc_u32 v64, 0x1000, v10
	s_wait_xcnt 0x2
	s_delay_alu instid0(VALU_DEP_3)
	v_lshl_add_u64 v[74:75], v[12:13], 1, v[42:43]
	v_add_nc_u32_e32 v12, 0x1000, v8
	v_cmp_eq_u32_e32 vcc_lo, 0, v53
	v_lshl_add_u64 v[60:61], v[60:61], 1, v[42:43]
	s_wait_dscnt 0xc
	global_store_b16 v[80:81], v83, off
	s_wait_dscnt 0xb
	global_store_b16 v[74:75], v84, off
	v_dual_mov_b32 v69, v13 :: v_dual_add_nc_u32 v70, 0x1800, v10
	s_wait_xcnt 0x0
	v_lshl_add_u64 v[74:75], v[12:13], 1, v[42:43]
	v_add_nc_u32_e32 v12, 0x1800, v8
	v_add_nc_u32_e32 v54, 0x4000, v54
	v_lshl_add_u64 v[56:57], v[56:57], 1, v[42:43]
	v_add_nc_u32_e32 v10, 0x2000, v10
	v_add_nc_u32_e32 v8, 0x2000, v8
	v_lshl_add_u64 v[2:3], v[2:3], 1, v[42:43]
	v_lshl_add_u64 v[66:67], v[66:67], 1, v[42:43]
	;; [unrolled: 1-line block ×4, first 2 shown]
	s_or_b32 s4, vcc_lo, s4
	s_wait_dscnt 0xa
	global_store_b16 v[60:61], v85, off
	s_wait_dscnt 0x9
	global_store_b16 v[56:57], v86, off
	;; [unrolled: 2-line block ×3, first 2 shown]
	s_wait_xcnt 0x0
	v_lshl_add_u64 v[2:3], v[12:13], 1, v[42:43]
	v_lshl_add_u64 v[72:73], v[72:73], 1, v[42:43]
	;; [unrolled: 1-line block ×4, first 2 shown]
	s_wait_dscnt 0x7
	global_store_b16 v[74:75], v88, off
	s_wait_dscnt 0x6
	global_store_b16 v[66:67], v89, off
	;; [unrolled: 2-line block ×8, first 2 shown]
	s_wait_xcnt 0x0
	s_and_not1_b32 exec_lo, exec_lo, s4
	s_cbranch_execnz .LBB607_109
; %bb.110:
	s_or_b32 exec_lo, exec_lo, s4
.LBB607_111:
	s_delay_alu instid0(SALU_CYCLE_1) | instskip(SKIP_3) | instid1(VALU_DEP_1)
	s_or_b32 exec_lo, exec_lo, s3
	v_and_b32_e32 v1, 3, v15
	s_mov_b32 s4, 0
	s_mov_b32 s3, exec_lo
	v_cmpx_ne_u32_e32 0, v1
	s_cbranch_execz .LBB607_114
; %bb.112:
	v_dual_mov_b32 v3, 0 :: v_dual_lshlrev_b32 v2, 1, v0
	s_delay_alu instid0(VALU_DEP_1)
	v_lshl_or_b32 v12, v55, 10, v2
.LBB607_113:                            ; =>This Inner Loop Header: Depth=1
	v_dual_mov_b32 v2, v8 :: v_dual_add_nc_u32 v1, -1, v1
	ds_load_u16 v13, v12
	ds_load_u16 v15, v12 offset:1024
	ds_load_u16 v53, v12 offset:2048
	;; [unrolled: 1-line block ×3, first 2 shown]
	v_add_nc_u32_e32 v8, 0x800, v8
	v_add_nc_u32_e32 v12, 0x1000, v12
	v_lshl_add_u64 v[54:55], v[2:3], 1, v[42:43]
	v_dual_mov_b32 v2, v9 :: v_dual_add_nc_u32 v9, 0x800, v9
	v_cmp_eq_u32_e32 vcc_lo, 0, v1
	s_delay_alu instid0(VALU_DEP_2) | instskip(SKIP_3) | instid1(VALU_DEP_2)
	v_lshl_add_u64 v[56:57], v[2:3], 1, v[42:43]
	v_mov_b32_e32 v2, v10
	v_add_nc_u32_e32 v10, 0x800, v10
	s_or_b32 s4, vcc_lo, s4
	v_lshl_add_u64 v[60:61], v[2:3], 1, v[42:43]
	v_dual_mov_b32 v2, v11 :: v_dual_add_nc_u32 v11, 0x800, v11
	s_delay_alu instid0(VALU_DEP_1)
	v_lshl_add_u64 v[62:63], v[2:3], 1, v[42:43]
	s_wait_dscnt 0x3
	global_store_b16 v[54:55], v13, off
	s_wait_dscnt 0x2
	global_store_b16 v[56:57], v15, off
	;; [unrolled: 2-line block ×4, first 2 shown]
	s_wait_xcnt 0x0
	s_and_not1_b32 exec_lo, exec_lo, s4
	s_cbranch_execnz .LBB607_113
.LBB607_114:
	s_or_b32 exec_lo, exec_lo, s3
	v_add_nc_u32_e32 v1, 1, v5
	s_delay_alu instid0(VALU_DEP_1) | instskip(NEXT) | instid1(VALU_DEP_1)
	v_and_b32_e32 v2, 0xfffffc, v1
	v_cmp_ne_u32_e32 vcc_lo, v1, v2
	v_lshl_or_b32 v2, v2, 9, v0
	s_or_not1_b32 s3, vcc_lo, exec_lo
.LBB607_115:
	s_or_b32 exec_lo, exec_lo, s1
	s_delay_alu instid0(SALU_CYCLE_1)
	s_and_b32 exec_lo, exec_lo, s3
	s_cbranch_execz .LBB607_118
; %bb.116:
	v_add_nc_u64_e32 v[8:9], v[38:39], v[40:41]
	v_dual_mov_b32 v3, 0 :: v_dual_lshlrev_b32 v1, 1, v2
	s_mov_b32 s1, 0
	s_delay_alu instid0(VALU_DEP_2) | instskip(NEXT) | instid1(VALU_DEP_1)
	v_add_nc_u64_e32 v[8:9], s[24:25], v[8:9]
	v_lshl_add_u64 v[8:9], v[2:3], 1, v[8:9]
.LBB607_117:                            ; =>This Inner Loop Header: Depth=1
	ds_load_u16 v3, v1
	v_add_nc_u32_e32 v2, 0x200, v2
	v_add_nc_u32_e32 v1, 0x400, v1
	s_delay_alu instid0(VALU_DEP_2)
	v_cmp_ge_u32_e32 vcc_lo, v2, v4
	s_or_b32 s1, vcc_lo, s1
	s_wait_dscnt 0x0
	global_store_b16 v[8:9], v3, off
	s_wait_xcnt 0x0
	v_add_nc_u64_e32 v[8:9], 0x400, v[8:9]
	s_and_not1_b32 exec_lo, exec_lo, s1
	s_cbranch_execnz .LBB607_117
.LBB607_118:
	s_or_b32 exec_lo, exec_lo, s0
.LBB607_119:
	s_cmp_lg_u32 s33, 0x1400
	v_cndmask_b32_e64 v5, 0, 1, s21
	s_cselect_b32 s0, -1, 0
	s_and_b32 s1, s2, s21
	s_and_b32 s0, s0, s15
	v_cndmask_b32_e64 v3, v58, 0, s1
	v_cndmask_b32_e64 v1, 0, 1, s0
	v_sub_nc_u32_e32 v2, v4, v5
	s_mul_hi_u32 s0, s33, 0xcccccccd
	v_readfirstlane_b32 s12, v5
	s_lshr_b32 s0, s0, 3
	s_mov_b32 s13, 0
	v_add_nc_u32_e32 v1, v2, v1
	v_mad_i32_i24 v2, v0, -10, s33
	v_cmp_eq_u32_e32 vcc_lo, s0, v0
	s_add_nc_u64 s[12:13], s[12:13], -1
	s_mov_b32 s11, -1
	s_wait_storecnt 0x0
	v_cmp_ne_u32_e64 s0, 0, v2
	s_and_b32 vcc_lo, vcc_lo, s15
	s_barrier_signal -1
	s_barrier_wait -1
	v_cndmask_b32_e64 v8, 1, v3, s0
	v_cmp_ne_u32_e64 s0, 1, v2
	s_delay_alu instid0(VALU_DEP_2) | instskip(NEXT) | instid1(VALU_DEP_2)
	v_dual_add_nc_u32 v5, v6, v5 :: v_dual_cndmask_b32 v39, v3, v8, vcc_lo
	v_cndmask_b32_e64 v9, 1, v52, s0
	v_cmp_ne_u32_e64 s0, 2, v2
	s_delay_alu instid0(VALU_DEP_3) | instskip(NEXT) | instid1(VALU_DEP_2)
	v_cmp_ne_u32_e64 s9, 0, v39
	v_dual_cndmask_b32 v41, v52, v9, vcc_lo :: v_dual_cndmask_b32 v10, 1, v51, s0
	v_cmp_ne_u32_e64 s0, 3, v2
	v_lshlrev_b64_e32 v[8:9], 3, v[36:37]
	s_delay_alu instid0(VALU_DEP_3) | instskip(NEXT) | instid1(VALU_DEP_3)
	v_cmp_ne_u32_e64 s8, 0, v41
	v_cndmask_b32_e64 v11, 1, v50, s0
	v_cmp_ne_u32_e64 s0, 4, v2
	s_delay_alu instid0(VALU_DEP_1) | instskip(SKIP_1) | instid1(VALU_DEP_1)
	v_cndmask_b32_e64 v12, 1, v48, s0
	v_cmp_ne_u32_e64 s0, 9, v2
	v_cndmask_b32_e64 v13, 1, v49, s0
	v_cmp_ne_u32_e64 s0, 5, v2
	s_delay_alu instid0(VALU_DEP_2) | instskip(NEXT) | instid1(VALU_DEP_2)
	v_dual_cndmask_b32 v12, v48, v12 :: v_dual_cndmask_b32 v13, v49, v13
	v_cndmask_b32_e64 v15, 1, v47, s0
	v_cmp_ne_u32_e64 s0, 6, v2
	v_cndmask_b32_e32 v49, v50, v11, vcc_lo
	s_delay_alu instid0(VALU_DEP_4) | instskip(NEXT) | instid1(VALU_DEP_3)
	v_cmp_ne_u32_e64 s5, 0, v12
	v_cndmask_b32_e64 v38, 1, v45, s0
	v_cmp_ne_u32_e64 s0, 7, v2
	v_cndmask_b32_e32 v15, v47, v15, vcc_lo
	v_cmp_ne_u32_e64 s6, 0, v49
	s_delay_alu instid0(VALU_DEP_3) | instskip(SKIP_1) | instid1(VALU_DEP_4)
	v_dual_cndmask_b32 v38, v45, v38, vcc_lo :: v_dual_cndmask_b32 v40, 1, v44, s0
	v_cmp_ne_u32_e64 s0, 8, v2
	v_cmp_ne_u32_e64 s4, 0, v15
	s_delay_alu instid0(VALU_DEP_3) | instskip(NEXT) | instid1(VALU_DEP_3)
	v_cmp_ne_u32_e64 s3, 0, v38
	v_dual_cndmask_b32 v40, v44, v40, vcc_lo :: v_dual_cndmask_b32 v2, 1, v46, s0
	v_cmp_eq_u32_e64 s0, 0, v39
	s_delay_alu instid0(VALU_DEP_2) | instskip(NEXT) | instid1(VALU_DEP_3)
	v_cmp_ne_u32_e64 s2, 0, v40
	v_cndmask_b32_e32 v46, v46, v2, vcc_lo
	s_delay_alu instid0(VALU_DEP_3) | instskip(SKIP_1) | instid1(VALU_DEP_3)
	v_cndmask_b32_e64 v3, 1, 2, s0
	v_cmp_eq_u32_e64 s0, 0, v41
	v_cmp_ne_u32_e64 s1, 0, v46
	s_delay_alu instid0(VALU_DEP_2) | instskip(SKIP_3) | instid1(VALU_DEP_4)
	v_cndmask_b32_e64 v42, 1, 2, s0
	v_cndmask_b32_e32 v43, v51, v10, vcc_lo
	v_cmp_eq_u32_e32 vcc_lo, 0, v38
	v_lshlrev_b64_e32 v[10:11], 3, v[6:7]
	v_and_b32_e32 v42, v42, v3
	s_delay_alu instid0(VALU_DEP_4)
	v_cmp_eq_u32_e64 s0, 0, v43
	v_cndmask_b32_e64 v44, 1, 2, vcc_lo
	v_cmp_eq_u32_e32 vcc_lo, 0, v40
	v_add_nc_u64_e32 v[2:3], s[26:27], v[8:9]
	v_cmp_ne_u32_e64 s7, 0, v43
	v_cndmask_b32_e64 v50, 1, 2, s0
	v_cmp_eq_u32_e64 s0, 0, v49
	v_cndmask_b32_e64 v45, 1, 2, vcc_lo
	v_cmp_eq_u32_e32 vcc_lo, 0, v46
	v_add_nc_u64_e32 v[2:3], v[2:3], v[10:11]
	s_delay_alu instid0(VALU_DEP_4) | instskip(SKIP_3) | instid1(VALU_DEP_4)
	v_cndmask_b32_e64 v51, 1, 2, s0
	v_cmp_eq_u32_e64 s0, 0, v12
	v_cndmask_b32_e64 v41, 1, 2, vcc_lo
	v_cmp_eq_u32_e32 vcc_lo, 0, v13
	v_bitop3_b16 v42, v42, v51, v50 bitop3:0x80
	s_delay_alu instid0(VALU_DEP_4) | instskip(SKIP_1) | instid1(VALU_DEP_1)
	v_cndmask_b32_e64 v47, 1, 2, s0
	v_cmp_eq_u32_e64 s0, 0, v15
	v_cndmask_b32_e64 v48, 1, 2, s0
	v_cmp_ne_u32_e64 s0, 0, v13
	s_delay_alu instid0(VALU_DEP_2) | instskip(NEXT) | instid1(VALU_DEP_1)
	v_bitop3_b16 v42, v42, v48, v47 bitop3:0x80
	v_bitop3_b16 v39, v42, v45, v44 bitop3:0x80
	v_cndmask_b32_e64 v42, 1, 2, vcc_lo
	v_cmp_gt_u32_e32 vcc_lo, 0x200, v1
	s_delay_alu instid0(VALU_DEP_2) | instskip(NEXT) | instid1(VALU_DEP_1)
	v_bitop3_b16 v15, v39, v42, v41 bitop3:0x80
	v_cmp_gt_i16_e64 s10, 2, v15
	s_cbranch_vccnz .LBB607_123
; %bb.120:
	s_and_b32 vcc_lo, exec_lo, s11
	s_cbranch_vccnz .LBB607_129
.LBB607_121:
	v_cmp_eq_u32_e32 vcc_lo, 0x1ff, v0
	s_and_b32 s0, vcc_lo, s15
	s_delay_alu instid0(SALU_CYCLE_1)
	s_and_saveexec_b32 s1, s0
	s_cbranch_execnz .LBB607_138
.LBB607_122:
	s_sendmsg sendmsg(MSG_DEALLOC_VGPRS)
	s_endpgm
.LBB607_123:
	s_and_saveexec_b32 s11, s10
	s_cbranch_execz .LBB607_128
; %bb.124:
	s_lshl_b64 s[16:17], s[12:13], 3
	s_mov_b32 s14, 0
	v_add_nc_u64_e32 v[12:13], s[16:17], v[2:3]
	s_mov_b32 s10, exec_lo
	v_cmpx_ne_u16_e32 1, v15
	s_xor_b32 s10, exec_lo, s10
	s_cbranch_execnz .LBB607_164
; %bb.125:
	s_and_not1_saveexec_b32 s10, s10
	s_cbranch_execnz .LBB607_175
.LBB607_126:
	s_or_b32 exec_lo, exec_lo, s10
	s_delay_alu instid0(SALU_CYCLE_1)
	s_and_b32 exec_lo, exec_lo, s14
	s_cbranch_execz .LBB607_128
.LBB607_127:
	v_dual_mov_b32 v39, 0 :: v_dual_mov_b32 v38, v21
	v_sub_nc_u32_e32 v40, v20, v5
	v_readfirstlane_b32 s16, v12
	v_readfirstlane_b32 s17, v13
	global_store_b64 v40, v[38:39], s[16:17] scale_offset
.LBB607_128:
	s_wait_xcnt 0x0
	s_or_b32 exec_lo, exec_lo, s11
	s_branch .LBB607_121
.LBB607_129:
	s_mov_b32 s10, exec_lo
	v_cmpx_gt_i16_e32 2, v15
	s_cbranch_execz .LBB607_134
; %bb.130:
	s_mov_b32 s14, 0
	s_mov_b32 s11, exec_lo
	v_cmpx_ne_u16_e32 1, v15
	s_xor_b32 s11, exec_lo, s11
	s_cbranch_execnz .LBB607_176
; %bb.131:
	s_and_not1_saveexec_b32 s0, s11
	s_cbranch_execnz .LBB607_187
.LBB607_132:
	s_or_b32 exec_lo, exec_lo, s0
	s_delay_alu instid0(SALU_CYCLE_1)
	s_and_b32 exec_lo, exec_lo, s14
.LBB607_133:
	v_sub_nc_u32_e32 v5, v20, v5
	s_delay_alu instid0(VALU_DEP_1)
	v_lshlrev_b32_e32 v5, 2, v5
	ds_store_b32 v5, v21
.LBB607_134:
	s_or_b32 exec_lo, exec_lo, s10
	s_delay_alu instid0(SALU_CYCLE_1)
	s_mov_b32 s0, exec_lo
	s_wait_storecnt_dscnt 0x0
	s_barrier_signal -1
	s_barrier_wait -1
	v_cmpx_lt_u32_e64 v0, v1
	s_cbranch_execz .LBB607_137
; %bb.135:
	s_lshl_b64 s[2:3], s[12:13], 3
	v_dual_mov_b32 v12, v0 :: v_dual_lshlrev_b32 v5, 2, v0
	v_add_nc_u64_e32 v[8:9], s[2:3], v[8:9]
	s_mov_b32 s1, 0
	s_delay_alu instid0(VALU_DEP_1) | instskip(NEXT) | instid1(VALU_DEP_1)
	v_add_nc_u64_e32 v[8:9], v[8:9], v[10:11]
	v_add_nc_u64_e32 v[10:11], s[26:27], v[8:9]
	v_dual_mov_b32 v9, 0 :: v_dual_lshlrev_b32 v8, 3, v0
	s_delay_alu instid0(VALU_DEP_1)
	v_add_nc_u64_e32 v[10:11], v[10:11], v[8:9]
.LBB607_136:                            ; =>This Inner Loop Header: Depth=1
	ds_load_b32 v8, v5
	v_add_nc_u32_e32 v12, 0x200, v12
	v_add_nc_u32_e32 v5, 0x800, v5
	s_delay_alu instid0(VALU_DEP_2)
	v_cmp_ge_u32_e32 vcc_lo, v12, v1
	s_or_b32 s1, vcc_lo, s1
	s_wait_dscnt 0x0
	global_store_b64 v[10:11], v[8:9], off
	s_wait_xcnt 0x0
	v_add_nc_u64_e32 v[10:11], 0x1000, v[10:11]
	s_and_not1_b32 exec_lo, exec_lo, s1
	s_cbranch_execnz .LBB607_136
.LBB607_137:
	s_or_b32 exec_lo, exec_lo, s0
	v_cmp_eq_u32_e32 vcc_lo, 0x1ff, v0
	s_and_b32 s0, vcc_lo, s15
	s_delay_alu instid0(SALU_CYCLE_1)
	s_and_saveexec_b32 s1, s0
	s_cbranch_execz .LBB607_122
.LBB607_138:
	v_mov_b32_e32 v5, 0
	s_cmp_lg_u32 s33, 0x1400
	s_delay_alu instid0(VALU_DEP_1) | instskip(NEXT) | instid1(VALU_DEP_1)
	v_add_nc_u64_e32 v[0:1], v[4:5], v[6:7]
	v_add_nc_u64_e32 v[0:1], v[0:1], v[36:37]
	global_store_b64 v5, v[0:1], s[34:35]
	s_cbranch_scc1 .LBB607_122
; %bb.139:
	s_wait_xcnt 0x0
	v_lshlrev_b64_e32 v[0:1], 3, v[4:5]
	v_mov_b32_e32 v15, v5
	s_delay_alu instid0(VALU_DEP_2)
	v_add_nc_u64_e32 v[0:1], v[2:3], v[0:1]
	global_store_b64 v[0:1], v[14:15], off offset:-8
	s_sendmsg sendmsg(MSG_DEALLOC_VGPRS)
	s_endpgm
.LBB607_140:
	s_and_saveexec_b32 s13, s10
	s_cbranch_execnz .LBB607_188
; %bb.141:
	s_or_b32 exec_lo, exec_lo, s13
	s_and_saveexec_b32 s13, s9
	s_cbranch_execnz .LBB607_189
.LBB607_142:
	s_or_b32 exec_lo, exec_lo, s13
	s_and_saveexec_b32 s13, s8
	s_cbranch_execnz .LBB607_190
.LBB607_143:
	s_or_b32 exec_lo, exec_lo, s13
	s_and_saveexec_b32 s13, s7
	s_cbranch_execnz .LBB607_191
.LBB607_144:
	s_or_b32 exec_lo, exec_lo, s13
	s_and_saveexec_b32 s13, s6
	s_cbranch_execnz .LBB607_192
.LBB607_145:
	s_or_b32 exec_lo, exec_lo, s13
	s_and_saveexec_b32 s13, s5
	s_cbranch_execnz .LBB607_193
.LBB607_146:
	s_or_b32 exec_lo, exec_lo, s13
	s_and_saveexec_b32 s13, s4
	s_cbranch_execnz .LBB607_194
.LBB607_147:
	s_or_b32 exec_lo, exec_lo, s13
	s_and_saveexec_b32 s13, s3
	s_cbranch_execnz .LBB607_195
.LBB607_148:
	s_or_b32 exec_lo, exec_lo, s13
	s_and_saveexec_b32 s13, s1
	s_cbranch_execz .LBB607_150
.LBB607_149:
	v_sub_nc_u32_e32 v3, v22, v6
	v_readfirstlane_b32 s16, v42
	v_readfirstlane_b32 s17, v43
	global_store_b16 v3, v1, s[16:17] scale_offset
.LBB607_150:
	s_wait_xcnt 0x0
	s_or_b32 exec_lo, exec_lo, s13
	s_delay_alu instid0(SALU_CYCLE_1)
	s_and_b32 s13, s0, exec_lo
	s_and_not1_saveexec_b32 s11, s11
	s_cbranch_execz .LBB607_96
.LBB607_151:
	v_dual_sub_nc_u32 v3, v28, v6 :: v_dual_sub_nc_u32 v8, v30, v6
	v_readfirstlane_b32 s16, v42
	v_readfirstlane_b32 s17, v43
	v_dual_sub_nc_u32 v5, v32, v6 :: v_dual_sub_nc_u32 v9, v26, v6
	s_clause 0x2
	global_store_b16 v3, v12, s[16:17] scale_offset
	global_store_b16 v5, v57, s[16:17] scale_offset
	;; [unrolled: 1-line block ×3, first 2 shown]
	s_wait_xcnt 0x1
	v_dual_sub_nc_u32 v3, v16, v6 :: v_dual_sub_nc_u32 v5, v18, v6
	global_store_b16 v9, v56, s[16:17] scale_offset
	s_wait_xcnt 0x0
	v_dual_sub_nc_u32 v8, v24, v6 :: v_dual_sub_nc_u32 v9, v34, v6
	global_store_b16 v3, v10, s[16:17] scale_offset
	s_wait_xcnt 0x0
	v_sub_nc_u32_e32 v3, v22, v6
	s_or_b32 s13, s13, exec_lo
	s_clause 0x3
	global_store_b16 v5, v55, s[16:17] scale_offset
	global_store_b16 v8, v11, s[16:17] scale_offset
	;; [unrolled: 1-line block ×4, first 2 shown]
	s_wait_xcnt 0x0
	s_or_b32 exec_lo, exec_lo, s11
	s_delay_alu instid0(SALU_CYCLE_1)
	s_and_b32 exec_lo, exec_lo, s13
	s_cbranch_execnz .LBB607_97
	s_branch .LBB607_98
.LBB607_152:
	s_and_saveexec_b32 s13, s10
	s_cbranch_execnz .LBB607_196
; %bb.153:
	s_or_b32 exec_lo, exec_lo, s13
	s_and_saveexec_b32 s10, s9
	s_cbranch_execnz .LBB607_197
.LBB607_154:
	s_or_b32 exec_lo, exec_lo, s10
	s_and_saveexec_b32 s9, s8
	s_cbranch_execnz .LBB607_198
.LBB607_155:
	s_or_b32 exec_lo, exec_lo, s9
	s_and_saveexec_b32 s8, s7
	s_cbranch_execnz .LBB607_199
.LBB607_156:
	s_or_b32 exec_lo, exec_lo, s8
	s_and_saveexec_b32 s7, s6
	s_cbranch_execnz .LBB607_200
.LBB607_157:
	s_or_b32 exec_lo, exec_lo, s7
	s_and_saveexec_b32 s6, s5
	s_cbranch_execnz .LBB607_201
.LBB607_158:
	s_or_b32 exec_lo, exec_lo, s6
	s_and_saveexec_b32 s5, s4
	s_cbranch_execnz .LBB607_202
.LBB607_159:
	s_or_b32 exec_lo, exec_lo, s5
	s_and_saveexec_b32 s4, s3
	s_cbranch_execnz .LBB607_203
.LBB607_160:
	s_or_b32 exec_lo, exec_lo, s4
	s_and_saveexec_b32 s3, s1
.LBB607_161:
	v_sub_nc_u32_e32 v2, v22, v6
	s_delay_alu instid0(VALU_DEP_1)
	v_lshlrev_b32_e32 v2, 1, v2
	ds_store_b16 v2, v1
.LBB607_162:
	s_or_b32 exec_lo, exec_lo, s3
	s_delay_alu instid0(SALU_CYCLE_1)
	s_and_b32 s13, s0, exec_lo
                                        ; implicit-def: $vgpr12
                                        ; implicit-def: $vgpr10
                                        ; implicit-def: $vgpr1
                                        ; implicit-def: $vgpr57
                                        ; implicit-def: $vgpr56
                                        ; implicit-def: $vgpr55
                                        ; implicit-def: $vgpr54
	s_and_not1_saveexec_b32 s0, s12
	s_cbranch_execz .LBB607_103
.LBB607_163:
	v_dual_sub_nc_u32 v2, v28, v6 :: v_dual_sub_nc_u32 v5, v30, v6
	v_dual_sub_nc_u32 v3, v32, v6 :: v_dual_sub_nc_u32 v8, v26, v6
	s_or_b32 s13, s13, exec_lo
	s_delay_alu instid0(VALU_DEP_2) | instskip(NEXT) | instid1(VALU_DEP_2)
	v_dual_lshlrev_b32 v2, 1, v2 :: v_dual_lshlrev_b32 v5, 1, v5
	v_dual_lshlrev_b32 v3, 1, v3 :: v_dual_lshlrev_b32 v8, 1, v8
	ds_store_b16 v2, v12
	ds_store_b16 v3, v57
	;; [unrolled: 1-line block ×3, first 2 shown]
	v_dual_sub_nc_u32 v2, v16, v6 :: v_dual_sub_nc_u32 v3, v18, v6
	ds_store_b16 v8, v56
	v_dual_sub_nc_u32 v5, v24, v6 :: v_dual_sub_nc_u32 v8, v34, v6
	v_dual_lshlrev_b32 v2, 1, v2 :: v_dual_lshlrev_b32 v3, 1, v3
	s_delay_alu instid0(VALU_DEP_2) | instskip(NEXT) | instid1(VALU_DEP_3)
	v_dual_sub_nc_u32 v9, v22, v6 :: v_dual_lshlrev_b32 v5, 1, v5
	v_lshlrev_b32_e32 v8, 1, v8
	ds_store_b16 v2, v10
	v_lshlrev_b32_e32 v2, 1, v9
	ds_store_b16 v3, v55
	ds_store_b16 v5, v11
	;; [unrolled: 1-line block ×4, first 2 shown]
	s_or_b32 exec_lo, exec_lo, s0
	s_delay_alu instid0(SALU_CYCLE_1)
	s_and_b32 exec_lo, exec_lo, s13
	s_cbranch_execnz .LBB607_104
	s_branch .LBB607_105
.LBB607_164:
	s_and_saveexec_b32 s14, s9
	s_cbranch_execnz .LBB607_204
; %bb.165:
	s_or_b32 exec_lo, exec_lo, s14
	s_and_saveexec_b32 s14, s8
	s_cbranch_execnz .LBB607_205
.LBB607_166:
	s_or_b32 exec_lo, exec_lo, s14
	s_and_saveexec_b32 s14, s7
	s_cbranch_execnz .LBB607_206
.LBB607_167:
	s_or_b32 exec_lo, exec_lo, s14
	s_and_saveexec_b32 s14, s6
	s_cbranch_execnz .LBB607_207
.LBB607_168:
	s_or_b32 exec_lo, exec_lo, s14
	s_and_saveexec_b32 s14, s5
	s_cbranch_execnz .LBB607_208
.LBB607_169:
	s_or_b32 exec_lo, exec_lo, s14
	s_and_saveexec_b32 s14, s4
	s_cbranch_execnz .LBB607_209
.LBB607_170:
	s_or_b32 exec_lo, exec_lo, s14
	s_and_saveexec_b32 s14, s3
	s_cbranch_execnz .LBB607_210
.LBB607_171:
	s_or_b32 exec_lo, exec_lo, s14
	s_and_saveexec_b32 s14, s2
	s_cbranch_execnz .LBB607_211
.LBB607_172:
	s_or_b32 exec_lo, exec_lo, s14
	s_and_saveexec_b32 s14, s1
	s_cbranch_execz .LBB607_174
.LBB607_173:
	v_dual_mov_b32 v39, 0 :: v_dual_sub_nc_u32 v40, v22, v5
	v_mov_b32_e32 v38, v23
	v_readfirstlane_b32 s16, v12
	v_readfirstlane_b32 s17, v13
	global_store_b64 v40, v[38:39], s[16:17] scale_offset
.LBB607_174:
	s_wait_xcnt 0x0
	s_or_b32 exec_lo, exec_lo, s14
	s_delay_alu instid0(SALU_CYCLE_1)
	s_and_b32 s14, s0, exec_lo
	s_and_not1_saveexec_b32 s10, s10
	s_cbranch_execz .LBB607_126
.LBB607_175:
	v_dual_mov_b32 v39, 0 :: v_dual_mov_b32 v38, v29
	v_sub_nc_u32_e32 v40, v28, v5
	v_readfirstlane_b32 s16, v12
	v_readfirstlane_b32 s17, v13
	v_sub_nc_u32_e32 v41, v30, v5
	s_or_b32 s14, s14, exec_lo
	global_store_b64 v40, v[38:39], s[16:17] scale_offset
	s_wait_xcnt 0x0
	v_dual_sub_nc_u32 v40, v32, v5 :: v_dual_mov_b32 v38, v33
	global_store_b64 v40, v[38:39], s[16:17] scale_offset
	s_wait_xcnt 0x0
	v_dual_mov_b32 v38, v31 :: v_dual_sub_nc_u32 v40, v26, v5
	global_store_b64 v41, v[38:39], s[16:17] scale_offset
	s_wait_xcnt 0x0
	v_dual_mov_b32 v38, v27 :: v_dual_sub_nc_u32 v41, v16, v5
	;; [unrolled: 3-line block ×5, first 2 shown]
	global_store_b64 v41, v[38:39], s[16:17] scale_offset
	s_wait_xcnt 0x0
	v_mov_b32_e32 v38, v35
	global_store_b64 v40, v[38:39], s[16:17] scale_offset
	s_wait_xcnt 0x0
	v_dual_mov_b32 v38, v23 :: v_dual_sub_nc_u32 v40, v22, v5
	global_store_b64 v40, v[38:39], s[16:17] scale_offset
	s_wait_xcnt 0x0
	s_or_b32 exec_lo, exec_lo, s10
	s_delay_alu instid0(SALU_CYCLE_1)
	s_and_b32 exec_lo, exec_lo, s14
	s_cbranch_execnz .LBB607_127
	s_branch .LBB607_128
.LBB607_176:
	s_and_saveexec_b32 s14, s9
	s_cbranch_execnz .LBB607_212
; %bb.177:
	s_or_b32 exec_lo, exec_lo, s14
	s_and_saveexec_b32 s9, s8
	s_cbranch_execnz .LBB607_213
.LBB607_178:
	s_or_b32 exec_lo, exec_lo, s9
	s_and_saveexec_b32 s8, s7
	s_cbranch_execnz .LBB607_214
.LBB607_179:
	s_or_b32 exec_lo, exec_lo, s8
	s_and_saveexec_b32 s7, s6
	s_cbranch_execnz .LBB607_215
.LBB607_180:
	s_or_b32 exec_lo, exec_lo, s7
	s_and_saveexec_b32 s6, s5
	s_cbranch_execnz .LBB607_216
.LBB607_181:
	s_or_b32 exec_lo, exec_lo, s6
	s_and_saveexec_b32 s5, s4
	s_cbranch_execnz .LBB607_217
.LBB607_182:
	s_or_b32 exec_lo, exec_lo, s5
	s_and_saveexec_b32 s4, s3
	s_cbranch_execnz .LBB607_218
.LBB607_183:
	s_or_b32 exec_lo, exec_lo, s4
	s_and_saveexec_b32 s3, s2
	s_cbranch_execnz .LBB607_219
.LBB607_184:
	s_or_b32 exec_lo, exec_lo, s3
	s_and_saveexec_b32 s2, s1
.LBB607_185:
	v_sub_nc_u32_e32 v12, v22, v5
	s_delay_alu instid0(VALU_DEP_1)
	v_lshlrev_b32_e32 v12, 2, v12
	ds_store_b32 v12, v23
.LBB607_186:
	s_or_b32 exec_lo, exec_lo, s2
	s_delay_alu instid0(SALU_CYCLE_1)
	s_and_b32 s14, s0, exec_lo
                                        ; implicit-def: $vgpr22_vgpr23
                                        ; implicit-def: $vgpr34_vgpr35
                                        ; implicit-def: $vgpr24_vgpr25
                                        ; implicit-def: $vgpr28_vgpr29
                                        ; implicit-def: $vgpr32_vgpr33
                                        ; implicit-def: $vgpr30_vgpr31
                                        ; implicit-def: $vgpr26_vgpr27
                                        ; implicit-def: $vgpr16_vgpr17
                                        ; implicit-def: $vgpr18_vgpr19
	s_and_not1_saveexec_b32 s0, s11
	s_cbranch_execz .LBB607_132
.LBB607_187:
	v_dual_sub_nc_u32 v12, v28, v5 :: v_dual_sub_nc_u32 v15, v30, v5
	v_dual_sub_nc_u32 v13, v32, v5 :: v_dual_sub_nc_u32 v26, v26, v5
	s_or_b32 s14, s14, exec_lo
	s_delay_alu instid0(VALU_DEP_2) | instskip(NEXT) | instid1(VALU_DEP_2)
	v_dual_lshlrev_b32 v12, 2, v12 :: v_dual_lshlrev_b32 v15, 2, v15
	v_dual_lshlrev_b32 v13, 2, v13 :: v_dual_lshlrev_b32 v26, 2, v26
	ds_store_b32 v12, v29
	ds_store_b32 v13, v33
	;; [unrolled: 1-line block ×3, first 2 shown]
	v_dual_sub_nc_u32 v12, v16, v5 :: v_dual_sub_nc_u32 v13, v18, v5
	v_dual_sub_nc_u32 v15, v24, v5 :: v_dual_sub_nc_u32 v16, v34, v5
	s_delay_alu instid0(VALU_DEP_2)
	v_dual_sub_nc_u32 v18, v22, v5 :: v_dual_lshlrev_b32 v12, 2, v12
	ds_store_b32 v26, v27
	v_dual_lshlrev_b32 v13, 2, v13 :: v_dual_lshlrev_b32 v15, 2, v15
	v_lshlrev_b32_e32 v16, 2, v16
	ds_store_b32 v12, v17
	v_lshlrev_b32_e32 v12, 2, v18
	ds_store_b32 v13, v19
	ds_store_b32 v15, v25
	;; [unrolled: 1-line block ×4, first 2 shown]
	s_or_b32 exec_lo, exec_lo, s0
	s_delay_alu instid0(SALU_CYCLE_1)
	s_and_b32 exec_lo, exec_lo, s14
	s_cbranch_execnz .LBB607_133
	s_branch .LBB607_134
.LBB607_188:
	v_sub_nc_u32_e32 v3, v28, v6
	v_readfirstlane_b32 s16, v42
	v_readfirstlane_b32 s17, v43
	global_store_b16 v3, v12, s[16:17] scale_offset
	s_wait_xcnt 0x0
	s_or_b32 exec_lo, exec_lo, s13
	s_and_saveexec_b32 s13, s9
	s_cbranch_execz .LBB607_142
.LBB607_189:
	v_sub_nc_u32_e32 v3, v32, v6
	v_readfirstlane_b32 s16, v42
	v_readfirstlane_b32 s17, v43
	global_store_b16 v3, v57, s[16:17] scale_offset
	s_wait_xcnt 0x0
	s_or_b32 exec_lo, exec_lo, s13
	s_and_saveexec_b32 s13, s8
	s_cbranch_execz .LBB607_143
.LBB607_190:
	v_sub_nc_u32_e32 v3, v30, v6
	v_readfirstlane_b32 s16, v42
	v_readfirstlane_b32 s17, v43
	global_store_b16 v3, v13, s[16:17] scale_offset
	s_wait_xcnt 0x0
	s_or_b32 exec_lo, exec_lo, s13
	s_and_saveexec_b32 s13, s7
	s_cbranch_execz .LBB607_144
.LBB607_191:
	v_sub_nc_u32_e32 v3, v26, v6
	v_readfirstlane_b32 s16, v42
	v_readfirstlane_b32 s17, v43
	global_store_b16 v3, v56, s[16:17] scale_offset
	s_wait_xcnt 0x0
	s_or_b32 exec_lo, exec_lo, s13
	s_and_saveexec_b32 s13, s6
	s_cbranch_execz .LBB607_145
.LBB607_192:
	v_sub_nc_u32_e32 v3, v16, v6
	v_readfirstlane_b32 s16, v42
	v_readfirstlane_b32 s17, v43
	global_store_b16 v3, v10, s[16:17] scale_offset
	s_wait_xcnt 0x0
	s_or_b32 exec_lo, exec_lo, s13
	s_and_saveexec_b32 s13, s5
	s_cbranch_execz .LBB607_146
.LBB607_193:
	v_sub_nc_u32_e32 v3, v18, v6
	v_readfirstlane_b32 s16, v42
	v_readfirstlane_b32 s17, v43
	global_store_b16 v3, v55, s[16:17] scale_offset
	s_wait_xcnt 0x0
	s_or_b32 exec_lo, exec_lo, s13
	s_and_saveexec_b32 s13, s4
	s_cbranch_execz .LBB607_147
.LBB607_194:
	v_sub_nc_u32_e32 v3, v24, v6
	v_readfirstlane_b32 s16, v42
	v_readfirstlane_b32 s17, v43
	global_store_b16 v3, v11, s[16:17] scale_offset
	s_wait_xcnt 0x0
	s_or_b32 exec_lo, exec_lo, s13
	s_and_saveexec_b32 s13, s3
	s_cbranch_execz .LBB607_148
.LBB607_195:
	v_sub_nc_u32_e32 v3, v34, v6
	v_readfirstlane_b32 s16, v42
	v_readfirstlane_b32 s17, v43
	global_store_b16 v3, v54, s[16:17] scale_offset
	s_wait_xcnt 0x0
	s_or_b32 exec_lo, exec_lo, s13
	s_and_saveexec_b32 s13, s1
	s_cbranch_execnz .LBB607_149
	s_branch .LBB607_150
.LBB607_196:
	v_sub_nc_u32_e32 v2, v28, v6
	s_delay_alu instid0(VALU_DEP_1)
	v_lshlrev_b32_e32 v2, 1, v2
	ds_store_b16 v2, v12
	s_or_b32 exec_lo, exec_lo, s13
	s_and_saveexec_b32 s10, s9
	s_cbranch_execz .LBB607_154
.LBB607_197:
	v_sub_nc_u32_e32 v2, v32, v6
	s_delay_alu instid0(VALU_DEP_1)
	v_lshlrev_b32_e32 v2, 1, v2
	ds_store_b16 v2, v57
	s_or_b32 exec_lo, exec_lo, s10
	s_and_saveexec_b32 s9, s8
	s_cbranch_execz .LBB607_155
.LBB607_198:
	v_sub_nc_u32_e32 v2, v30, v6
	s_delay_alu instid0(VALU_DEP_1)
	v_lshlrev_b32_e32 v2, 1, v2
	ds_store_b16 v2, v13
	s_or_b32 exec_lo, exec_lo, s9
	s_and_saveexec_b32 s8, s7
	s_cbranch_execz .LBB607_156
.LBB607_199:
	v_sub_nc_u32_e32 v2, v26, v6
	s_delay_alu instid0(VALU_DEP_1)
	v_lshlrev_b32_e32 v2, 1, v2
	ds_store_b16 v2, v56
	s_or_b32 exec_lo, exec_lo, s8
	s_and_saveexec_b32 s7, s6
	s_cbranch_execz .LBB607_157
.LBB607_200:
	v_sub_nc_u32_e32 v2, v16, v6
	s_delay_alu instid0(VALU_DEP_1)
	v_lshlrev_b32_e32 v2, 1, v2
	ds_store_b16 v2, v10
	s_or_b32 exec_lo, exec_lo, s7
	s_and_saveexec_b32 s6, s5
	s_cbranch_execz .LBB607_158
.LBB607_201:
	v_sub_nc_u32_e32 v2, v18, v6
	s_delay_alu instid0(VALU_DEP_1)
	v_lshlrev_b32_e32 v2, 1, v2
	ds_store_b16 v2, v55
	s_or_b32 exec_lo, exec_lo, s6
	s_and_saveexec_b32 s5, s4
	s_cbranch_execz .LBB607_159
.LBB607_202:
	v_sub_nc_u32_e32 v2, v24, v6
	s_delay_alu instid0(VALU_DEP_1)
	v_lshlrev_b32_e32 v2, 1, v2
	ds_store_b16 v2, v11
	s_or_b32 exec_lo, exec_lo, s5
	s_and_saveexec_b32 s4, s3
	s_cbranch_execz .LBB607_160
.LBB607_203:
	v_sub_nc_u32_e32 v2, v34, v6
	s_delay_alu instid0(VALU_DEP_1)
	v_lshlrev_b32_e32 v2, 1, v2
	ds_store_b16 v2, v54
	s_or_b32 exec_lo, exec_lo, s4
	s_and_saveexec_b32 s3, s1
	s_cbranch_execnz .LBB607_161
	s_branch .LBB607_162
.LBB607_204:
	v_dual_mov_b32 v39, 0 :: v_dual_sub_nc_u32 v40, v28, v5
	v_mov_b32_e32 v38, v29
	v_readfirstlane_b32 s16, v12
	v_readfirstlane_b32 s17, v13
	global_store_b64 v40, v[38:39], s[16:17] scale_offset
	s_wait_xcnt 0x0
	s_or_b32 exec_lo, exec_lo, s14
	s_and_saveexec_b32 s14, s8
	s_cbranch_execz .LBB607_166
.LBB607_205:
	v_dual_mov_b32 v39, 0 :: v_dual_sub_nc_u32 v40, v32, v5
	v_mov_b32_e32 v38, v33
	v_readfirstlane_b32 s16, v12
	v_readfirstlane_b32 s17, v13
	global_store_b64 v40, v[38:39], s[16:17] scale_offset
	s_wait_xcnt 0x0
	s_or_b32 exec_lo, exec_lo, s14
	s_and_saveexec_b32 s14, s7
	s_cbranch_execz .LBB607_167
.LBB607_206:
	v_dual_mov_b32 v39, 0 :: v_dual_sub_nc_u32 v40, v30, v5
	v_mov_b32_e32 v38, v31
	v_readfirstlane_b32 s16, v12
	v_readfirstlane_b32 s17, v13
	global_store_b64 v40, v[38:39], s[16:17] scale_offset
	s_wait_xcnt 0x0
	s_or_b32 exec_lo, exec_lo, s14
	s_and_saveexec_b32 s14, s6
	s_cbranch_execz .LBB607_168
.LBB607_207:
	v_dual_mov_b32 v39, 0 :: v_dual_sub_nc_u32 v40, v26, v5
	v_mov_b32_e32 v38, v27
	v_readfirstlane_b32 s16, v12
	v_readfirstlane_b32 s17, v13
	global_store_b64 v40, v[38:39], s[16:17] scale_offset
	s_wait_xcnt 0x0
	s_or_b32 exec_lo, exec_lo, s14
	s_and_saveexec_b32 s14, s5
	s_cbranch_execz .LBB607_169
.LBB607_208:
	v_dual_mov_b32 v39, 0 :: v_dual_sub_nc_u32 v40, v16, v5
	v_mov_b32_e32 v38, v17
	v_readfirstlane_b32 s16, v12
	v_readfirstlane_b32 s17, v13
	global_store_b64 v40, v[38:39], s[16:17] scale_offset
	s_wait_xcnt 0x0
	s_or_b32 exec_lo, exec_lo, s14
	s_and_saveexec_b32 s14, s4
	s_cbranch_execz .LBB607_170
.LBB607_209:
	v_dual_mov_b32 v39, 0 :: v_dual_sub_nc_u32 v40, v18, v5
	v_mov_b32_e32 v38, v19
	v_readfirstlane_b32 s16, v12
	v_readfirstlane_b32 s17, v13
	global_store_b64 v40, v[38:39], s[16:17] scale_offset
	s_wait_xcnt 0x0
	s_or_b32 exec_lo, exec_lo, s14
	s_and_saveexec_b32 s14, s3
	s_cbranch_execz .LBB607_171
.LBB607_210:
	v_dual_mov_b32 v39, 0 :: v_dual_sub_nc_u32 v40, v24, v5
	v_mov_b32_e32 v38, v25
	v_readfirstlane_b32 s16, v12
	v_readfirstlane_b32 s17, v13
	global_store_b64 v40, v[38:39], s[16:17] scale_offset
	s_wait_xcnt 0x0
	s_or_b32 exec_lo, exec_lo, s14
	s_and_saveexec_b32 s14, s2
	s_cbranch_execz .LBB607_172
.LBB607_211:
	v_dual_mov_b32 v39, 0 :: v_dual_sub_nc_u32 v40, v34, v5
	v_mov_b32_e32 v38, v35
	v_readfirstlane_b32 s16, v12
	v_readfirstlane_b32 s17, v13
	global_store_b64 v40, v[38:39], s[16:17] scale_offset
	s_wait_xcnt 0x0
	s_or_b32 exec_lo, exec_lo, s14
	s_and_saveexec_b32 s14, s1
	s_cbranch_execnz .LBB607_173
	s_branch .LBB607_174
.LBB607_212:
	v_sub_nc_u32_e32 v12, v28, v5
	s_delay_alu instid0(VALU_DEP_1)
	v_lshlrev_b32_e32 v12, 2, v12
	ds_store_b32 v12, v29
	s_or_b32 exec_lo, exec_lo, s14
	s_and_saveexec_b32 s9, s8
	s_cbranch_execz .LBB607_178
.LBB607_213:
	v_sub_nc_u32_e32 v12, v32, v5
	s_delay_alu instid0(VALU_DEP_1)
	v_lshlrev_b32_e32 v12, 2, v12
	ds_store_b32 v12, v33
	s_or_b32 exec_lo, exec_lo, s9
	s_and_saveexec_b32 s8, s7
	s_cbranch_execz .LBB607_179
.LBB607_214:
	v_sub_nc_u32_e32 v12, v30, v5
	s_delay_alu instid0(VALU_DEP_1)
	v_lshlrev_b32_e32 v12, 2, v12
	ds_store_b32 v12, v31
	s_or_b32 exec_lo, exec_lo, s8
	s_and_saveexec_b32 s7, s6
	s_cbranch_execz .LBB607_180
.LBB607_215:
	v_sub_nc_u32_e32 v12, v26, v5
	s_delay_alu instid0(VALU_DEP_1)
	v_lshlrev_b32_e32 v12, 2, v12
	ds_store_b32 v12, v27
	s_or_b32 exec_lo, exec_lo, s7
	s_and_saveexec_b32 s6, s5
	s_cbranch_execz .LBB607_181
.LBB607_216:
	v_sub_nc_u32_e32 v12, v16, v5
	s_delay_alu instid0(VALU_DEP_1)
	v_lshlrev_b32_e32 v12, 2, v12
	ds_store_b32 v12, v17
	s_or_b32 exec_lo, exec_lo, s6
	s_and_saveexec_b32 s5, s4
	s_cbranch_execz .LBB607_182
.LBB607_217:
	v_sub_nc_u32_e32 v12, v18, v5
	s_delay_alu instid0(VALU_DEP_1)
	v_lshlrev_b32_e32 v12, 2, v12
	ds_store_b32 v12, v19
	s_or_b32 exec_lo, exec_lo, s5
	s_and_saveexec_b32 s4, s3
	s_cbranch_execz .LBB607_183
.LBB607_218:
	v_sub_nc_u32_e32 v12, v24, v5
	s_delay_alu instid0(VALU_DEP_1)
	v_lshlrev_b32_e32 v12, 2, v12
	ds_store_b32 v12, v25
	s_or_b32 exec_lo, exec_lo, s4
	s_and_saveexec_b32 s3, s2
	s_cbranch_execz .LBB607_184
.LBB607_219:
	v_sub_nc_u32_e32 v12, v34, v5
	s_delay_alu instid0(VALU_DEP_1)
	v_lshlrev_b32_e32 v12, 2, v12
	ds_store_b32 v12, v35
	s_or_b32 exec_lo, exec_lo, s3
	s_and_saveexec_b32 s2, s1
	s_cbranch_execnz .LBB607_185
	s_branch .LBB607_186
	.section	.rodata,"a",@progbits
	.p2align	6, 0x0
	.amdhsa_kernel _ZN7rocprim17ROCPRIM_400000_NS6detail17trampoline_kernelINS0_14default_configENS1_33run_length_encode_config_selectorIsjNS0_4plusIjEEEEZZNS1_33reduce_by_key_impl_wrapped_configILNS1_25lookback_scan_determinismE0ES3_S7_PKsNS0_17constant_iteratorIjlEEPsPlSF_S6_NS0_8equal_toIsEEEE10hipError_tPvRmT2_T3_mT4_T5_T6_T7_T8_P12ihipStream_tbENKUlT_T0_E_clISt17integral_constantIbLb0EESY_IbLb1EEEEDaSU_SV_EUlSU_E_NS1_11comp_targetILNS1_3genE0ELNS1_11target_archE4294967295ELNS1_3gpuE0ELNS1_3repE0EEENS1_30default_config_static_selectorELNS0_4arch9wavefront6targetE0EEEvT1_
		.amdhsa_group_segment_fixed_size 20480
		.amdhsa_private_segment_fixed_size 0
		.amdhsa_kernarg_size 128
		.amdhsa_user_sgpr_count 2
		.amdhsa_user_sgpr_dispatch_ptr 0
		.amdhsa_user_sgpr_queue_ptr 0
		.amdhsa_user_sgpr_kernarg_segment_ptr 1
		.amdhsa_user_sgpr_dispatch_id 0
		.amdhsa_user_sgpr_kernarg_preload_length 0
		.amdhsa_user_sgpr_kernarg_preload_offset 0
		.amdhsa_user_sgpr_private_segment_size 0
		.amdhsa_wavefront_size32 1
		.amdhsa_uses_dynamic_stack 0
		.amdhsa_enable_private_segment 0
		.amdhsa_system_sgpr_workgroup_id_x 1
		.amdhsa_system_sgpr_workgroup_id_y 0
		.amdhsa_system_sgpr_workgroup_id_z 0
		.amdhsa_system_sgpr_workgroup_info 0
		.amdhsa_system_vgpr_workitem_id 0
		.amdhsa_next_free_vgpr 96
		.amdhsa_next_free_sgpr 39
		.amdhsa_named_barrier_count 0
		.amdhsa_reserve_vcc 1
		.amdhsa_float_round_mode_32 0
		.amdhsa_float_round_mode_16_64 0
		.amdhsa_float_denorm_mode_32 3
		.amdhsa_float_denorm_mode_16_64 3
		.amdhsa_fp16_overflow 0
		.amdhsa_memory_ordered 1
		.amdhsa_forward_progress 1
		.amdhsa_inst_pref_size 101
		.amdhsa_round_robin_scheduling 0
		.amdhsa_exception_fp_ieee_invalid_op 0
		.amdhsa_exception_fp_denorm_src 0
		.amdhsa_exception_fp_ieee_div_zero 0
		.amdhsa_exception_fp_ieee_overflow 0
		.amdhsa_exception_fp_ieee_underflow 0
		.amdhsa_exception_fp_ieee_inexact 0
		.amdhsa_exception_int_div_zero 0
	.end_amdhsa_kernel
	.section	.text._ZN7rocprim17ROCPRIM_400000_NS6detail17trampoline_kernelINS0_14default_configENS1_33run_length_encode_config_selectorIsjNS0_4plusIjEEEEZZNS1_33reduce_by_key_impl_wrapped_configILNS1_25lookback_scan_determinismE0ES3_S7_PKsNS0_17constant_iteratorIjlEEPsPlSF_S6_NS0_8equal_toIsEEEE10hipError_tPvRmT2_T3_mT4_T5_T6_T7_T8_P12ihipStream_tbENKUlT_T0_E_clISt17integral_constantIbLb0EESY_IbLb1EEEEDaSU_SV_EUlSU_E_NS1_11comp_targetILNS1_3genE0ELNS1_11target_archE4294967295ELNS1_3gpuE0ELNS1_3repE0EEENS1_30default_config_static_selectorELNS0_4arch9wavefront6targetE0EEEvT1_,"axG",@progbits,_ZN7rocprim17ROCPRIM_400000_NS6detail17trampoline_kernelINS0_14default_configENS1_33run_length_encode_config_selectorIsjNS0_4plusIjEEEEZZNS1_33reduce_by_key_impl_wrapped_configILNS1_25lookback_scan_determinismE0ES3_S7_PKsNS0_17constant_iteratorIjlEEPsPlSF_S6_NS0_8equal_toIsEEEE10hipError_tPvRmT2_T3_mT4_T5_T6_T7_T8_P12ihipStream_tbENKUlT_T0_E_clISt17integral_constantIbLb0EESY_IbLb1EEEEDaSU_SV_EUlSU_E_NS1_11comp_targetILNS1_3genE0ELNS1_11target_archE4294967295ELNS1_3gpuE0ELNS1_3repE0EEENS1_30default_config_static_selectorELNS0_4arch9wavefront6targetE0EEEvT1_,comdat
.Lfunc_end607:
	.size	_ZN7rocprim17ROCPRIM_400000_NS6detail17trampoline_kernelINS0_14default_configENS1_33run_length_encode_config_selectorIsjNS0_4plusIjEEEEZZNS1_33reduce_by_key_impl_wrapped_configILNS1_25lookback_scan_determinismE0ES3_S7_PKsNS0_17constant_iteratorIjlEEPsPlSF_S6_NS0_8equal_toIsEEEE10hipError_tPvRmT2_T3_mT4_T5_T6_T7_T8_P12ihipStream_tbENKUlT_T0_E_clISt17integral_constantIbLb0EESY_IbLb1EEEEDaSU_SV_EUlSU_E_NS1_11comp_targetILNS1_3genE0ELNS1_11target_archE4294967295ELNS1_3gpuE0ELNS1_3repE0EEENS1_30default_config_static_selectorELNS0_4arch9wavefront6targetE0EEEvT1_, .Lfunc_end607-_ZN7rocprim17ROCPRIM_400000_NS6detail17trampoline_kernelINS0_14default_configENS1_33run_length_encode_config_selectorIsjNS0_4plusIjEEEEZZNS1_33reduce_by_key_impl_wrapped_configILNS1_25lookback_scan_determinismE0ES3_S7_PKsNS0_17constant_iteratorIjlEEPsPlSF_S6_NS0_8equal_toIsEEEE10hipError_tPvRmT2_T3_mT4_T5_T6_T7_T8_P12ihipStream_tbENKUlT_T0_E_clISt17integral_constantIbLb0EESY_IbLb1EEEEDaSU_SV_EUlSU_E_NS1_11comp_targetILNS1_3genE0ELNS1_11target_archE4294967295ELNS1_3gpuE0ELNS1_3repE0EEENS1_30default_config_static_selectorELNS0_4arch9wavefront6targetE0EEEvT1_
                                        ; -- End function
	.set _ZN7rocprim17ROCPRIM_400000_NS6detail17trampoline_kernelINS0_14default_configENS1_33run_length_encode_config_selectorIsjNS0_4plusIjEEEEZZNS1_33reduce_by_key_impl_wrapped_configILNS1_25lookback_scan_determinismE0ES3_S7_PKsNS0_17constant_iteratorIjlEEPsPlSF_S6_NS0_8equal_toIsEEEE10hipError_tPvRmT2_T3_mT4_T5_T6_T7_T8_P12ihipStream_tbENKUlT_T0_E_clISt17integral_constantIbLb0EESY_IbLb1EEEEDaSU_SV_EUlSU_E_NS1_11comp_targetILNS1_3genE0ELNS1_11target_archE4294967295ELNS1_3gpuE0ELNS1_3repE0EEENS1_30default_config_static_selectorELNS0_4arch9wavefront6targetE0EEEvT1_.num_vgpr, 96
	.set _ZN7rocprim17ROCPRIM_400000_NS6detail17trampoline_kernelINS0_14default_configENS1_33run_length_encode_config_selectorIsjNS0_4plusIjEEEEZZNS1_33reduce_by_key_impl_wrapped_configILNS1_25lookback_scan_determinismE0ES3_S7_PKsNS0_17constant_iteratorIjlEEPsPlSF_S6_NS0_8equal_toIsEEEE10hipError_tPvRmT2_T3_mT4_T5_T6_T7_T8_P12ihipStream_tbENKUlT_T0_E_clISt17integral_constantIbLb0EESY_IbLb1EEEEDaSU_SV_EUlSU_E_NS1_11comp_targetILNS1_3genE0ELNS1_11target_archE4294967295ELNS1_3gpuE0ELNS1_3repE0EEENS1_30default_config_static_selectorELNS0_4arch9wavefront6targetE0EEEvT1_.num_agpr, 0
	.set _ZN7rocprim17ROCPRIM_400000_NS6detail17trampoline_kernelINS0_14default_configENS1_33run_length_encode_config_selectorIsjNS0_4plusIjEEEEZZNS1_33reduce_by_key_impl_wrapped_configILNS1_25lookback_scan_determinismE0ES3_S7_PKsNS0_17constant_iteratorIjlEEPsPlSF_S6_NS0_8equal_toIsEEEE10hipError_tPvRmT2_T3_mT4_T5_T6_T7_T8_P12ihipStream_tbENKUlT_T0_E_clISt17integral_constantIbLb0EESY_IbLb1EEEEDaSU_SV_EUlSU_E_NS1_11comp_targetILNS1_3genE0ELNS1_11target_archE4294967295ELNS1_3gpuE0ELNS1_3repE0EEENS1_30default_config_static_selectorELNS0_4arch9wavefront6targetE0EEEvT1_.numbered_sgpr, 39
	.set _ZN7rocprim17ROCPRIM_400000_NS6detail17trampoline_kernelINS0_14default_configENS1_33run_length_encode_config_selectorIsjNS0_4plusIjEEEEZZNS1_33reduce_by_key_impl_wrapped_configILNS1_25lookback_scan_determinismE0ES3_S7_PKsNS0_17constant_iteratorIjlEEPsPlSF_S6_NS0_8equal_toIsEEEE10hipError_tPvRmT2_T3_mT4_T5_T6_T7_T8_P12ihipStream_tbENKUlT_T0_E_clISt17integral_constantIbLb0EESY_IbLb1EEEEDaSU_SV_EUlSU_E_NS1_11comp_targetILNS1_3genE0ELNS1_11target_archE4294967295ELNS1_3gpuE0ELNS1_3repE0EEENS1_30default_config_static_selectorELNS0_4arch9wavefront6targetE0EEEvT1_.num_named_barrier, 0
	.set _ZN7rocprim17ROCPRIM_400000_NS6detail17trampoline_kernelINS0_14default_configENS1_33run_length_encode_config_selectorIsjNS0_4plusIjEEEEZZNS1_33reduce_by_key_impl_wrapped_configILNS1_25lookback_scan_determinismE0ES3_S7_PKsNS0_17constant_iteratorIjlEEPsPlSF_S6_NS0_8equal_toIsEEEE10hipError_tPvRmT2_T3_mT4_T5_T6_T7_T8_P12ihipStream_tbENKUlT_T0_E_clISt17integral_constantIbLb0EESY_IbLb1EEEEDaSU_SV_EUlSU_E_NS1_11comp_targetILNS1_3genE0ELNS1_11target_archE4294967295ELNS1_3gpuE0ELNS1_3repE0EEENS1_30default_config_static_selectorELNS0_4arch9wavefront6targetE0EEEvT1_.private_seg_size, 0
	.set _ZN7rocprim17ROCPRIM_400000_NS6detail17trampoline_kernelINS0_14default_configENS1_33run_length_encode_config_selectorIsjNS0_4plusIjEEEEZZNS1_33reduce_by_key_impl_wrapped_configILNS1_25lookback_scan_determinismE0ES3_S7_PKsNS0_17constant_iteratorIjlEEPsPlSF_S6_NS0_8equal_toIsEEEE10hipError_tPvRmT2_T3_mT4_T5_T6_T7_T8_P12ihipStream_tbENKUlT_T0_E_clISt17integral_constantIbLb0EESY_IbLb1EEEEDaSU_SV_EUlSU_E_NS1_11comp_targetILNS1_3genE0ELNS1_11target_archE4294967295ELNS1_3gpuE0ELNS1_3repE0EEENS1_30default_config_static_selectorELNS0_4arch9wavefront6targetE0EEEvT1_.uses_vcc, 1
	.set _ZN7rocprim17ROCPRIM_400000_NS6detail17trampoline_kernelINS0_14default_configENS1_33run_length_encode_config_selectorIsjNS0_4plusIjEEEEZZNS1_33reduce_by_key_impl_wrapped_configILNS1_25lookback_scan_determinismE0ES3_S7_PKsNS0_17constant_iteratorIjlEEPsPlSF_S6_NS0_8equal_toIsEEEE10hipError_tPvRmT2_T3_mT4_T5_T6_T7_T8_P12ihipStream_tbENKUlT_T0_E_clISt17integral_constantIbLb0EESY_IbLb1EEEEDaSU_SV_EUlSU_E_NS1_11comp_targetILNS1_3genE0ELNS1_11target_archE4294967295ELNS1_3gpuE0ELNS1_3repE0EEENS1_30default_config_static_selectorELNS0_4arch9wavefront6targetE0EEEvT1_.uses_flat_scratch, 0
	.set _ZN7rocprim17ROCPRIM_400000_NS6detail17trampoline_kernelINS0_14default_configENS1_33run_length_encode_config_selectorIsjNS0_4plusIjEEEEZZNS1_33reduce_by_key_impl_wrapped_configILNS1_25lookback_scan_determinismE0ES3_S7_PKsNS0_17constant_iteratorIjlEEPsPlSF_S6_NS0_8equal_toIsEEEE10hipError_tPvRmT2_T3_mT4_T5_T6_T7_T8_P12ihipStream_tbENKUlT_T0_E_clISt17integral_constantIbLb0EESY_IbLb1EEEEDaSU_SV_EUlSU_E_NS1_11comp_targetILNS1_3genE0ELNS1_11target_archE4294967295ELNS1_3gpuE0ELNS1_3repE0EEENS1_30default_config_static_selectorELNS0_4arch9wavefront6targetE0EEEvT1_.has_dyn_sized_stack, 0
	.set _ZN7rocprim17ROCPRIM_400000_NS6detail17trampoline_kernelINS0_14default_configENS1_33run_length_encode_config_selectorIsjNS0_4plusIjEEEEZZNS1_33reduce_by_key_impl_wrapped_configILNS1_25lookback_scan_determinismE0ES3_S7_PKsNS0_17constant_iteratorIjlEEPsPlSF_S6_NS0_8equal_toIsEEEE10hipError_tPvRmT2_T3_mT4_T5_T6_T7_T8_P12ihipStream_tbENKUlT_T0_E_clISt17integral_constantIbLb0EESY_IbLb1EEEEDaSU_SV_EUlSU_E_NS1_11comp_targetILNS1_3genE0ELNS1_11target_archE4294967295ELNS1_3gpuE0ELNS1_3repE0EEENS1_30default_config_static_selectorELNS0_4arch9wavefront6targetE0EEEvT1_.has_recursion, 0
	.set _ZN7rocprim17ROCPRIM_400000_NS6detail17trampoline_kernelINS0_14default_configENS1_33run_length_encode_config_selectorIsjNS0_4plusIjEEEEZZNS1_33reduce_by_key_impl_wrapped_configILNS1_25lookback_scan_determinismE0ES3_S7_PKsNS0_17constant_iteratorIjlEEPsPlSF_S6_NS0_8equal_toIsEEEE10hipError_tPvRmT2_T3_mT4_T5_T6_T7_T8_P12ihipStream_tbENKUlT_T0_E_clISt17integral_constantIbLb0EESY_IbLb1EEEEDaSU_SV_EUlSU_E_NS1_11comp_targetILNS1_3genE0ELNS1_11target_archE4294967295ELNS1_3gpuE0ELNS1_3repE0EEENS1_30default_config_static_selectorELNS0_4arch9wavefront6targetE0EEEvT1_.has_indirect_call, 0
	.section	.AMDGPU.csdata,"",@progbits
; Kernel info:
; codeLenInByte = 12888
; TotalNumSgprs: 41
; NumVgprs: 96
; ScratchSize: 0
; MemoryBound: 0
; FloatMode: 240
; IeeeMode: 1
; LDSByteSize: 20480 bytes/workgroup (compile time only)
; SGPRBlocks: 0
; VGPRBlocks: 5
; NumSGPRsForWavesPerEU: 41
; NumVGPRsForWavesPerEU: 96
; NamedBarCnt: 0
; Occupancy: 10
; WaveLimiterHint : 1
; COMPUTE_PGM_RSRC2:SCRATCH_EN: 0
; COMPUTE_PGM_RSRC2:USER_SGPR: 2
; COMPUTE_PGM_RSRC2:TRAP_HANDLER: 0
; COMPUTE_PGM_RSRC2:TGID_X_EN: 1
; COMPUTE_PGM_RSRC2:TGID_Y_EN: 0
; COMPUTE_PGM_RSRC2:TGID_Z_EN: 0
; COMPUTE_PGM_RSRC2:TIDIG_COMP_CNT: 0
	.section	.text._ZN7rocprim17ROCPRIM_400000_NS6detail17trampoline_kernelINS0_14default_configENS1_33run_length_encode_config_selectorIsjNS0_4plusIjEEEEZZNS1_33reduce_by_key_impl_wrapped_configILNS1_25lookback_scan_determinismE0ES3_S7_PKsNS0_17constant_iteratorIjlEEPsPlSF_S6_NS0_8equal_toIsEEEE10hipError_tPvRmT2_T3_mT4_T5_T6_T7_T8_P12ihipStream_tbENKUlT_T0_E_clISt17integral_constantIbLb0EESY_IbLb1EEEEDaSU_SV_EUlSU_E_NS1_11comp_targetILNS1_3genE5ELNS1_11target_archE942ELNS1_3gpuE9ELNS1_3repE0EEENS1_30default_config_static_selectorELNS0_4arch9wavefront6targetE0EEEvT1_,"axG",@progbits,_ZN7rocprim17ROCPRIM_400000_NS6detail17trampoline_kernelINS0_14default_configENS1_33run_length_encode_config_selectorIsjNS0_4plusIjEEEEZZNS1_33reduce_by_key_impl_wrapped_configILNS1_25lookback_scan_determinismE0ES3_S7_PKsNS0_17constant_iteratorIjlEEPsPlSF_S6_NS0_8equal_toIsEEEE10hipError_tPvRmT2_T3_mT4_T5_T6_T7_T8_P12ihipStream_tbENKUlT_T0_E_clISt17integral_constantIbLb0EESY_IbLb1EEEEDaSU_SV_EUlSU_E_NS1_11comp_targetILNS1_3genE5ELNS1_11target_archE942ELNS1_3gpuE9ELNS1_3repE0EEENS1_30default_config_static_selectorELNS0_4arch9wavefront6targetE0EEEvT1_,comdat
	.protected	_ZN7rocprim17ROCPRIM_400000_NS6detail17trampoline_kernelINS0_14default_configENS1_33run_length_encode_config_selectorIsjNS0_4plusIjEEEEZZNS1_33reduce_by_key_impl_wrapped_configILNS1_25lookback_scan_determinismE0ES3_S7_PKsNS0_17constant_iteratorIjlEEPsPlSF_S6_NS0_8equal_toIsEEEE10hipError_tPvRmT2_T3_mT4_T5_T6_T7_T8_P12ihipStream_tbENKUlT_T0_E_clISt17integral_constantIbLb0EESY_IbLb1EEEEDaSU_SV_EUlSU_E_NS1_11comp_targetILNS1_3genE5ELNS1_11target_archE942ELNS1_3gpuE9ELNS1_3repE0EEENS1_30default_config_static_selectorELNS0_4arch9wavefront6targetE0EEEvT1_ ; -- Begin function _ZN7rocprim17ROCPRIM_400000_NS6detail17trampoline_kernelINS0_14default_configENS1_33run_length_encode_config_selectorIsjNS0_4plusIjEEEEZZNS1_33reduce_by_key_impl_wrapped_configILNS1_25lookback_scan_determinismE0ES3_S7_PKsNS0_17constant_iteratorIjlEEPsPlSF_S6_NS0_8equal_toIsEEEE10hipError_tPvRmT2_T3_mT4_T5_T6_T7_T8_P12ihipStream_tbENKUlT_T0_E_clISt17integral_constantIbLb0EESY_IbLb1EEEEDaSU_SV_EUlSU_E_NS1_11comp_targetILNS1_3genE5ELNS1_11target_archE942ELNS1_3gpuE9ELNS1_3repE0EEENS1_30default_config_static_selectorELNS0_4arch9wavefront6targetE0EEEvT1_
	.globl	_ZN7rocprim17ROCPRIM_400000_NS6detail17trampoline_kernelINS0_14default_configENS1_33run_length_encode_config_selectorIsjNS0_4plusIjEEEEZZNS1_33reduce_by_key_impl_wrapped_configILNS1_25lookback_scan_determinismE0ES3_S7_PKsNS0_17constant_iteratorIjlEEPsPlSF_S6_NS0_8equal_toIsEEEE10hipError_tPvRmT2_T3_mT4_T5_T6_T7_T8_P12ihipStream_tbENKUlT_T0_E_clISt17integral_constantIbLb0EESY_IbLb1EEEEDaSU_SV_EUlSU_E_NS1_11comp_targetILNS1_3genE5ELNS1_11target_archE942ELNS1_3gpuE9ELNS1_3repE0EEENS1_30default_config_static_selectorELNS0_4arch9wavefront6targetE0EEEvT1_
	.p2align	8
	.type	_ZN7rocprim17ROCPRIM_400000_NS6detail17trampoline_kernelINS0_14default_configENS1_33run_length_encode_config_selectorIsjNS0_4plusIjEEEEZZNS1_33reduce_by_key_impl_wrapped_configILNS1_25lookback_scan_determinismE0ES3_S7_PKsNS0_17constant_iteratorIjlEEPsPlSF_S6_NS0_8equal_toIsEEEE10hipError_tPvRmT2_T3_mT4_T5_T6_T7_T8_P12ihipStream_tbENKUlT_T0_E_clISt17integral_constantIbLb0EESY_IbLb1EEEEDaSU_SV_EUlSU_E_NS1_11comp_targetILNS1_3genE5ELNS1_11target_archE942ELNS1_3gpuE9ELNS1_3repE0EEENS1_30default_config_static_selectorELNS0_4arch9wavefront6targetE0EEEvT1_,@function
_ZN7rocprim17ROCPRIM_400000_NS6detail17trampoline_kernelINS0_14default_configENS1_33run_length_encode_config_selectorIsjNS0_4plusIjEEEEZZNS1_33reduce_by_key_impl_wrapped_configILNS1_25lookback_scan_determinismE0ES3_S7_PKsNS0_17constant_iteratorIjlEEPsPlSF_S6_NS0_8equal_toIsEEEE10hipError_tPvRmT2_T3_mT4_T5_T6_T7_T8_P12ihipStream_tbENKUlT_T0_E_clISt17integral_constantIbLb0EESY_IbLb1EEEEDaSU_SV_EUlSU_E_NS1_11comp_targetILNS1_3genE5ELNS1_11target_archE942ELNS1_3gpuE9ELNS1_3repE0EEENS1_30default_config_static_selectorELNS0_4arch9wavefront6targetE0EEEvT1_: ; @_ZN7rocprim17ROCPRIM_400000_NS6detail17trampoline_kernelINS0_14default_configENS1_33run_length_encode_config_selectorIsjNS0_4plusIjEEEEZZNS1_33reduce_by_key_impl_wrapped_configILNS1_25lookback_scan_determinismE0ES3_S7_PKsNS0_17constant_iteratorIjlEEPsPlSF_S6_NS0_8equal_toIsEEEE10hipError_tPvRmT2_T3_mT4_T5_T6_T7_T8_P12ihipStream_tbENKUlT_T0_E_clISt17integral_constantIbLb0EESY_IbLb1EEEEDaSU_SV_EUlSU_E_NS1_11comp_targetILNS1_3genE5ELNS1_11target_archE942ELNS1_3gpuE9ELNS1_3repE0EEENS1_30default_config_static_selectorELNS0_4arch9wavefront6targetE0EEEvT1_
; %bb.0:
	.section	.rodata,"a",@progbits
	.p2align	6, 0x0
	.amdhsa_kernel _ZN7rocprim17ROCPRIM_400000_NS6detail17trampoline_kernelINS0_14default_configENS1_33run_length_encode_config_selectorIsjNS0_4plusIjEEEEZZNS1_33reduce_by_key_impl_wrapped_configILNS1_25lookback_scan_determinismE0ES3_S7_PKsNS0_17constant_iteratorIjlEEPsPlSF_S6_NS0_8equal_toIsEEEE10hipError_tPvRmT2_T3_mT4_T5_T6_T7_T8_P12ihipStream_tbENKUlT_T0_E_clISt17integral_constantIbLb0EESY_IbLb1EEEEDaSU_SV_EUlSU_E_NS1_11comp_targetILNS1_3genE5ELNS1_11target_archE942ELNS1_3gpuE9ELNS1_3repE0EEENS1_30default_config_static_selectorELNS0_4arch9wavefront6targetE0EEEvT1_
		.amdhsa_group_segment_fixed_size 0
		.amdhsa_private_segment_fixed_size 0
		.amdhsa_kernarg_size 128
		.amdhsa_user_sgpr_count 2
		.amdhsa_user_sgpr_dispatch_ptr 0
		.amdhsa_user_sgpr_queue_ptr 0
		.amdhsa_user_sgpr_kernarg_segment_ptr 1
		.amdhsa_user_sgpr_dispatch_id 0
		.amdhsa_user_sgpr_kernarg_preload_length 0
		.amdhsa_user_sgpr_kernarg_preload_offset 0
		.amdhsa_user_sgpr_private_segment_size 0
		.amdhsa_wavefront_size32 1
		.amdhsa_uses_dynamic_stack 0
		.amdhsa_enable_private_segment 0
		.amdhsa_system_sgpr_workgroup_id_x 1
		.amdhsa_system_sgpr_workgroup_id_y 0
		.amdhsa_system_sgpr_workgroup_id_z 0
		.amdhsa_system_sgpr_workgroup_info 0
		.amdhsa_system_vgpr_workitem_id 0
		.amdhsa_next_free_vgpr 1
		.amdhsa_next_free_sgpr 1
		.amdhsa_named_barrier_count 0
		.amdhsa_reserve_vcc 0
		.amdhsa_float_round_mode_32 0
		.amdhsa_float_round_mode_16_64 0
		.amdhsa_float_denorm_mode_32 3
		.amdhsa_float_denorm_mode_16_64 3
		.amdhsa_fp16_overflow 0
		.amdhsa_memory_ordered 1
		.amdhsa_forward_progress 1
		.amdhsa_inst_pref_size 0
		.amdhsa_round_robin_scheduling 0
		.amdhsa_exception_fp_ieee_invalid_op 0
		.amdhsa_exception_fp_denorm_src 0
		.amdhsa_exception_fp_ieee_div_zero 0
		.amdhsa_exception_fp_ieee_overflow 0
		.amdhsa_exception_fp_ieee_underflow 0
		.amdhsa_exception_fp_ieee_inexact 0
		.amdhsa_exception_int_div_zero 0
	.end_amdhsa_kernel
	.section	.text._ZN7rocprim17ROCPRIM_400000_NS6detail17trampoline_kernelINS0_14default_configENS1_33run_length_encode_config_selectorIsjNS0_4plusIjEEEEZZNS1_33reduce_by_key_impl_wrapped_configILNS1_25lookback_scan_determinismE0ES3_S7_PKsNS0_17constant_iteratorIjlEEPsPlSF_S6_NS0_8equal_toIsEEEE10hipError_tPvRmT2_T3_mT4_T5_T6_T7_T8_P12ihipStream_tbENKUlT_T0_E_clISt17integral_constantIbLb0EESY_IbLb1EEEEDaSU_SV_EUlSU_E_NS1_11comp_targetILNS1_3genE5ELNS1_11target_archE942ELNS1_3gpuE9ELNS1_3repE0EEENS1_30default_config_static_selectorELNS0_4arch9wavefront6targetE0EEEvT1_,"axG",@progbits,_ZN7rocprim17ROCPRIM_400000_NS6detail17trampoline_kernelINS0_14default_configENS1_33run_length_encode_config_selectorIsjNS0_4plusIjEEEEZZNS1_33reduce_by_key_impl_wrapped_configILNS1_25lookback_scan_determinismE0ES3_S7_PKsNS0_17constant_iteratorIjlEEPsPlSF_S6_NS0_8equal_toIsEEEE10hipError_tPvRmT2_T3_mT4_T5_T6_T7_T8_P12ihipStream_tbENKUlT_T0_E_clISt17integral_constantIbLb0EESY_IbLb1EEEEDaSU_SV_EUlSU_E_NS1_11comp_targetILNS1_3genE5ELNS1_11target_archE942ELNS1_3gpuE9ELNS1_3repE0EEENS1_30default_config_static_selectorELNS0_4arch9wavefront6targetE0EEEvT1_,comdat
.Lfunc_end608:
	.size	_ZN7rocprim17ROCPRIM_400000_NS6detail17trampoline_kernelINS0_14default_configENS1_33run_length_encode_config_selectorIsjNS0_4plusIjEEEEZZNS1_33reduce_by_key_impl_wrapped_configILNS1_25lookback_scan_determinismE0ES3_S7_PKsNS0_17constant_iteratorIjlEEPsPlSF_S6_NS0_8equal_toIsEEEE10hipError_tPvRmT2_T3_mT4_T5_T6_T7_T8_P12ihipStream_tbENKUlT_T0_E_clISt17integral_constantIbLb0EESY_IbLb1EEEEDaSU_SV_EUlSU_E_NS1_11comp_targetILNS1_3genE5ELNS1_11target_archE942ELNS1_3gpuE9ELNS1_3repE0EEENS1_30default_config_static_selectorELNS0_4arch9wavefront6targetE0EEEvT1_, .Lfunc_end608-_ZN7rocprim17ROCPRIM_400000_NS6detail17trampoline_kernelINS0_14default_configENS1_33run_length_encode_config_selectorIsjNS0_4plusIjEEEEZZNS1_33reduce_by_key_impl_wrapped_configILNS1_25lookback_scan_determinismE0ES3_S7_PKsNS0_17constant_iteratorIjlEEPsPlSF_S6_NS0_8equal_toIsEEEE10hipError_tPvRmT2_T3_mT4_T5_T6_T7_T8_P12ihipStream_tbENKUlT_T0_E_clISt17integral_constantIbLb0EESY_IbLb1EEEEDaSU_SV_EUlSU_E_NS1_11comp_targetILNS1_3genE5ELNS1_11target_archE942ELNS1_3gpuE9ELNS1_3repE0EEENS1_30default_config_static_selectorELNS0_4arch9wavefront6targetE0EEEvT1_
                                        ; -- End function
	.set _ZN7rocprim17ROCPRIM_400000_NS6detail17trampoline_kernelINS0_14default_configENS1_33run_length_encode_config_selectorIsjNS0_4plusIjEEEEZZNS1_33reduce_by_key_impl_wrapped_configILNS1_25lookback_scan_determinismE0ES3_S7_PKsNS0_17constant_iteratorIjlEEPsPlSF_S6_NS0_8equal_toIsEEEE10hipError_tPvRmT2_T3_mT4_T5_T6_T7_T8_P12ihipStream_tbENKUlT_T0_E_clISt17integral_constantIbLb0EESY_IbLb1EEEEDaSU_SV_EUlSU_E_NS1_11comp_targetILNS1_3genE5ELNS1_11target_archE942ELNS1_3gpuE9ELNS1_3repE0EEENS1_30default_config_static_selectorELNS0_4arch9wavefront6targetE0EEEvT1_.num_vgpr, 0
	.set _ZN7rocprim17ROCPRIM_400000_NS6detail17trampoline_kernelINS0_14default_configENS1_33run_length_encode_config_selectorIsjNS0_4plusIjEEEEZZNS1_33reduce_by_key_impl_wrapped_configILNS1_25lookback_scan_determinismE0ES3_S7_PKsNS0_17constant_iteratorIjlEEPsPlSF_S6_NS0_8equal_toIsEEEE10hipError_tPvRmT2_T3_mT4_T5_T6_T7_T8_P12ihipStream_tbENKUlT_T0_E_clISt17integral_constantIbLb0EESY_IbLb1EEEEDaSU_SV_EUlSU_E_NS1_11comp_targetILNS1_3genE5ELNS1_11target_archE942ELNS1_3gpuE9ELNS1_3repE0EEENS1_30default_config_static_selectorELNS0_4arch9wavefront6targetE0EEEvT1_.num_agpr, 0
	.set _ZN7rocprim17ROCPRIM_400000_NS6detail17trampoline_kernelINS0_14default_configENS1_33run_length_encode_config_selectorIsjNS0_4plusIjEEEEZZNS1_33reduce_by_key_impl_wrapped_configILNS1_25lookback_scan_determinismE0ES3_S7_PKsNS0_17constant_iteratorIjlEEPsPlSF_S6_NS0_8equal_toIsEEEE10hipError_tPvRmT2_T3_mT4_T5_T6_T7_T8_P12ihipStream_tbENKUlT_T0_E_clISt17integral_constantIbLb0EESY_IbLb1EEEEDaSU_SV_EUlSU_E_NS1_11comp_targetILNS1_3genE5ELNS1_11target_archE942ELNS1_3gpuE9ELNS1_3repE0EEENS1_30default_config_static_selectorELNS0_4arch9wavefront6targetE0EEEvT1_.numbered_sgpr, 0
	.set _ZN7rocprim17ROCPRIM_400000_NS6detail17trampoline_kernelINS0_14default_configENS1_33run_length_encode_config_selectorIsjNS0_4plusIjEEEEZZNS1_33reduce_by_key_impl_wrapped_configILNS1_25lookback_scan_determinismE0ES3_S7_PKsNS0_17constant_iteratorIjlEEPsPlSF_S6_NS0_8equal_toIsEEEE10hipError_tPvRmT2_T3_mT4_T5_T6_T7_T8_P12ihipStream_tbENKUlT_T0_E_clISt17integral_constantIbLb0EESY_IbLb1EEEEDaSU_SV_EUlSU_E_NS1_11comp_targetILNS1_3genE5ELNS1_11target_archE942ELNS1_3gpuE9ELNS1_3repE0EEENS1_30default_config_static_selectorELNS0_4arch9wavefront6targetE0EEEvT1_.num_named_barrier, 0
	.set _ZN7rocprim17ROCPRIM_400000_NS6detail17trampoline_kernelINS0_14default_configENS1_33run_length_encode_config_selectorIsjNS0_4plusIjEEEEZZNS1_33reduce_by_key_impl_wrapped_configILNS1_25lookback_scan_determinismE0ES3_S7_PKsNS0_17constant_iteratorIjlEEPsPlSF_S6_NS0_8equal_toIsEEEE10hipError_tPvRmT2_T3_mT4_T5_T6_T7_T8_P12ihipStream_tbENKUlT_T0_E_clISt17integral_constantIbLb0EESY_IbLb1EEEEDaSU_SV_EUlSU_E_NS1_11comp_targetILNS1_3genE5ELNS1_11target_archE942ELNS1_3gpuE9ELNS1_3repE0EEENS1_30default_config_static_selectorELNS0_4arch9wavefront6targetE0EEEvT1_.private_seg_size, 0
	.set _ZN7rocprim17ROCPRIM_400000_NS6detail17trampoline_kernelINS0_14default_configENS1_33run_length_encode_config_selectorIsjNS0_4plusIjEEEEZZNS1_33reduce_by_key_impl_wrapped_configILNS1_25lookback_scan_determinismE0ES3_S7_PKsNS0_17constant_iteratorIjlEEPsPlSF_S6_NS0_8equal_toIsEEEE10hipError_tPvRmT2_T3_mT4_T5_T6_T7_T8_P12ihipStream_tbENKUlT_T0_E_clISt17integral_constantIbLb0EESY_IbLb1EEEEDaSU_SV_EUlSU_E_NS1_11comp_targetILNS1_3genE5ELNS1_11target_archE942ELNS1_3gpuE9ELNS1_3repE0EEENS1_30default_config_static_selectorELNS0_4arch9wavefront6targetE0EEEvT1_.uses_vcc, 0
	.set _ZN7rocprim17ROCPRIM_400000_NS6detail17trampoline_kernelINS0_14default_configENS1_33run_length_encode_config_selectorIsjNS0_4plusIjEEEEZZNS1_33reduce_by_key_impl_wrapped_configILNS1_25lookback_scan_determinismE0ES3_S7_PKsNS0_17constant_iteratorIjlEEPsPlSF_S6_NS0_8equal_toIsEEEE10hipError_tPvRmT2_T3_mT4_T5_T6_T7_T8_P12ihipStream_tbENKUlT_T0_E_clISt17integral_constantIbLb0EESY_IbLb1EEEEDaSU_SV_EUlSU_E_NS1_11comp_targetILNS1_3genE5ELNS1_11target_archE942ELNS1_3gpuE9ELNS1_3repE0EEENS1_30default_config_static_selectorELNS0_4arch9wavefront6targetE0EEEvT1_.uses_flat_scratch, 0
	.set _ZN7rocprim17ROCPRIM_400000_NS6detail17trampoline_kernelINS0_14default_configENS1_33run_length_encode_config_selectorIsjNS0_4plusIjEEEEZZNS1_33reduce_by_key_impl_wrapped_configILNS1_25lookback_scan_determinismE0ES3_S7_PKsNS0_17constant_iteratorIjlEEPsPlSF_S6_NS0_8equal_toIsEEEE10hipError_tPvRmT2_T3_mT4_T5_T6_T7_T8_P12ihipStream_tbENKUlT_T0_E_clISt17integral_constantIbLb0EESY_IbLb1EEEEDaSU_SV_EUlSU_E_NS1_11comp_targetILNS1_3genE5ELNS1_11target_archE942ELNS1_3gpuE9ELNS1_3repE0EEENS1_30default_config_static_selectorELNS0_4arch9wavefront6targetE0EEEvT1_.has_dyn_sized_stack, 0
	.set _ZN7rocprim17ROCPRIM_400000_NS6detail17trampoline_kernelINS0_14default_configENS1_33run_length_encode_config_selectorIsjNS0_4plusIjEEEEZZNS1_33reduce_by_key_impl_wrapped_configILNS1_25lookback_scan_determinismE0ES3_S7_PKsNS0_17constant_iteratorIjlEEPsPlSF_S6_NS0_8equal_toIsEEEE10hipError_tPvRmT2_T3_mT4_T5_T6_T7_T8_P12ihipStream_tbENKUlT_T0_E_clISt17integral_constantIbLb0EESY_IbLb1EEEEDaSU_SV_EUlSU_E_NS1_11comp_targetILNS1_3genE5ELNS1_11target_archE942ELNS1_3gpuE9ELNS1_3repE0EEENS1_30default_config_static_selectorELNS0_4arch9wavefront6targetE0EEEvT1_.has_recursion, 0
	.set _ZN7rocprim17ROCPRIM_400000_NS6detail17trampoline_kernelINS0_14default_configENS1_33run_length_encode_config_selectorIsjNS0_4plusIjEEEEZZNS1_33reduce_by_key_impl_wrapped_configILNS1_25lookback_scan_determinismE0ES3_S7_PKsNS0_17constant_iteratorIjlEEPsPlSF_S6_NS0_8equal_toIsEEEE10hipError_tPvRmT2_T3_mT4_T5_T6_T7_T8_P12ihipStream_tbENKUlT_T0_E_clISt17integral_constantIbLb0EESY_IbLb1EEEEDaSU_SV_EUlSU_E_NS1_11comp_targetILNS1_3genE5ELNS1_11target_archE942ELNS1_3gpuE9ELNS1_3repE0EEENS1_30default_config_static_selectorELNS0_4arch9wavefront6targetE0EEEvT1_.has_indirect_call, 0
	.section	.AMDGPU.csdata,"",@progbits
; Kernel info:
; codeLenInByte = 0
; TotalNumSgprs: 0
; NumVgprs: 0
; ScratchSize: 0
; MemoryBound: 0
; FloatMode: 240
; IeeeMode: 1
; LDSByteSize: 0 bytes/workgroup (compile time only)
; SGPRBlocks: 0
; VGPRBlocks: 0
; NumSGPRsForWavesPerEU: 1
; NumVGPRsForWavesPerEU: 1
; NamedBarCnt: 0
; Occupancy: 16
; WaveLimiterHint : 0
; COMPUTE_PGM_RSRC2:SCRATCH_EN: 0
; COMPUTE_PGM_RSRC2:USER_SGPR: 2
; COMPUTE_PGM_RSRC2:TRAP_HANDLER: 0
; COMPUTE_PGM_RSRC2:TGID_X_EN: 1
; COMPUTE_PGM_RSRC2:TGID_Y_EN: 0
; COMPUTE_PGM_RSRC2:TGID_Z_EN: 0
; COMPUTE_PGM_RSRC2:TIDIG_COMP_CNT: 0
	.section	.text._ZN7rocprim17ROCPRIM_400000_NS6detail17trampoline_kernelINS0_14default_configENS1_33run_length_encode_config_selectorIsjNS0_4plusIjEEEEZZNS1_33reduce_by_key_impl_wrapped_configILNS1_25lookback_scan_determinismE0ES3_S7_PKsNS0_17constant_iteratorIjlEEPsPlSF_S6_NS0_8equal_toIsEEEE10hipError_tPvRmT2_T3_mT4_T5_T6_T7_T8_P12ihipStream_tbENKUlT_T0_E_clISt17integral_constantIbLb0EESY_IbLb1EEEEDaSU_SV_EUlSU_E_NS1_11comp_targetILNS1_3genE4ELNS1_11target_archE910ELNS1_3gpuE8ELNS1_3repE0EEENS1_30default_config_static_selectorELNS0_4arch9wavefront6targetE0EEEvT1_,"axG",@progbits,_ZN7rocprim17ROCPRIM_400000_NS6detail17trampoline_kernelINS0_14default_configENS1_33run_length_encode_config_selectorIsjNS0_4plusIjEEEEZZNS1_33reduce_by_key_impl_wrapped_configILNS1_25lookback_scan_determinismE0ES3_S7_PKsNS0_17constant_iteratorIjlEEPsPlSF_S6_NS0_8equal_toIsEEEE10hipError_tPvRmT2_T3_mT4_T5_T6_T7_T8_P12ihipStream_tbENKUlT_T0_E_clISt17integral_constantIbLb0EESY_IbLb1EEEEDaSU_SV_EUlSU_E_NS1_11comp_targetILNS1_3genE4ELNS1_11target_archE910ELNS1_3gpuE8ELNS1_3repE0EEENS1_30default_config_static_selectorELNS0_4arch9wavefront6targetE0EEEvT1_,comdat
	.protected	_ZN7rocprim17ROCPRIM_400000_NS6detail17trampoline_kernelINS0_14default_configENS1_33run_length_encode_config_selectorIsjNS0_4plusIjEEEEZZNS1_33reduce_by_key_impl_wrapped_configILNS1_25lookback_scan_determinismE0ES3_S7_PKsNS0_17constant_iteratorIjlEEPsPlSF_S6_NS0_8equal_toIsEEEE10hipError_tPvRmT2_T3_mT4_T5_T6_T7_T8_P12ihipStream_tbENKUlT_T0_E_clISt17integral_constantIbLb0EESY_IbLb1EEEEDaSU_SV_EUlSU_E_NS1_11comp_targetILNS1_3genE4ELNS1_11target_archE910ELNS1_3gpuE8ELNS1_3repE0EEENS1_30default_config_static_selectorELNS0_4arch9wavefront6targetE0EEEvT1_ ; -- Begin function _ZN7rocprim17ROCPRIM_400000_NS6detail17trampoline_kernelINS0_14default_configENS1_33run_length_encode_config_selectorIsjNS0_4plusIjEEEEZZNS1_33reduce_by_key_impl_wrapped_configILNS1_25lookback_scan_determinismE0ES3_S7_PKsNS0_17constant_iteratorIjlEEPsPlSF_S6_NS0_8equal_toIsEEEE10hipError_tPvRmT2_T3_mT4_T5_T6_T7_T8_P12ihipStream_tbENKUlT_T0_E_clISt17integral_constantIbLb0EESY_IbLb1EEEEDaSU_SV_EUlSU_E_NS1_11comp_targetILNS1_3genE4ELNS1_11target_archE910ELNS1_3gpuE8ELNS1_3repE0EEENS1_30default_config_static_selectorELNS0_4arch9wavefront6targetE0EEEvT1_
	.globl	_ZN7rocprim17ROCPRIM_400000_NS6detail17trampoline_kernelINS0_14default_configENS1_33run_length_encode_config_selectorIsjNS0_4plusIjEEEEZZNS1_33reduce_by_key_impl_wrapped_configILNS1_25lookback_scan_determinismE0ES3_S7_PKsNS0_17constant_iteratorIjlEEPsPlSF_S6_NS0_8equal_toIsEEEE10hipError_tPvRmT2_T3_mT4_T5_T6_T7_T8_P12ihipStream_tbENKUlT_T0_E_clISt17integral_constantIbLb0EESY_IbLb1EEEEDaSU_SV_EUlSU_E_NS1_11comp_targetILNS1_3genE4ELNS1_11target_archE910ELNS1_3gpuE8ELNS1_3repE0EEENS1_30default_config_static_selectorELNS0_4arch9wavefront6targetE0EEEvT1_
	.p2align	8
	.type	_ZN7rocprim17ROCPRIM_400000_NS6detail17trampoline_kernelINS0_14default_configENS1_33run_length_encode_config_selectorIsjNS0_4plusIjEEEEZZNS1_33reduce_by_key_impl_wrapped_configILNS1_25lookback_scan_determinismE0ES3_S7_PKsNS0_17constant_iteratorIjlEEPsPlSF_S6_NS0_8equal_toIsEEEE10hipError_tPvRmT2_T3_mT4_T5_T6_T7_T8_P12ihipStream_tbENKUlT_T0_E_clISt17integral_constantIbLb0EESY_IbLb1EEEEDaSU_SV_EUlSU_E_NS1_11comp_targetILNS1_3genE4ELNS1_11target_archE910ELNS1_3gpuE8ELNS1_3repE0EEENS1_30default_config_static_selectorELNS0_4arch9wavefront6targetE0EEEvT1_,@function
_ZN7rocprim17ROCPRIM_400000_NS6detail17trampoline_kernelINS0_14default_configENS1_33run_length_encode_config_selectorIsjNS0_4plusIjEEEEZZNS1_33reduce_by_key_impl_wrapped_configILNS1_25lookback_scan_determinismE0ES3_S7_PKsNS0_17constant_iteratorIjlEEPsPlSF_S6_NS0_8equal_toIsEEEE10hipError_tPvRmT2_T3_mT4_T5_T6_T7_T8_P12ihipStream_tbENKUlT_T0_E_clISt17integral_constantIbLb0EESY_IbLb1EEEEDaSU_SV_EUlSU_E_NS1_11comp_targetILNS1_3genE4ELNS1_11target_archE910ELNS1_3gpuE8ELNS1_3repE0EEENS1_30default_config_static_selectorELNS0_4arch9wavefront6targetE0EEEvT1_: ; @_ZN7rocprim17ROCPRIM_400000_NS6detail17trampoline_kernelINS0_14default_configENS1_33run_length_encode_config_selectorIsjNS0_4plusIjEEEEZZNS1_33reduce_by_key_impl_wrapped_configILNS1_25lookback_scan_determinismE0ES3_S7_PKsNS0_17constant_iteratorIjlEEPsPlSF_S6_NS0_8equal_toIsEEEE10hipError_tPvRmT2_T3_mT4_T5_T6_T7_T8_P12ihipStream_tbENKUlT_T0_E_clISt17integral_constantIbLb0EESY_IbLb1EEEEDaSU_SV_EUlSU_E_NS1_11comp_targetILNS1_3genE4ELNS1_11target_archE910ELNS1_3gpuE8ELNS1_3repE0EEENS1_30default_config_static_selectorELNS0_4arch9wavefront6targetE0EEEvT1_
; %bb.0:
	.section	.rodata,"a",@progbits
	.p2align	6, 0x0
	.amdhsa_kernel _ZN7rocprim17ROCPRIM_400000_NS6detail17trampoline_kernelINS0_14default_configENS1_33run_length_encode_config_selectorIsjNS0_4plusIjEEEEZZNS1_33reduce_by_key_impl_wrapped_configILNS1_25lookback_scan_determinismE0ES3_S7_PKsNS0_17constant_iteratorIjlEEPsPlSF_S6_NS0_8equal_toIsEEEE10hipError_tPvRmT2_T3_mT4_T5_T6_T7_T8_P12ihipStream_tbENKUlT_T0_E_clISt17integral_constantIbLb0EESY_IbLb1EEEEDaSU_SV_EUlSU_E_NS1_11comp_targetILNS1_3genE4ELNS1_11target_archE910ELNS1_3gpuE8ELNS1_3repE0EEENS1_30default_config_static_selectorELNS0_4arch9wavefront6targetE0EEEvT1_
		.amdhsa_group_segment_fixed_size 0
		.amdhsa_private_segment_fixed_size 0
		.amdhsa_kernarg_size 128
		.amdhsa_user_sgpr_count 2
		.amdhsa_user_sgpr_dispatch_ptr 0
		.amdhsa_user_sgpr_queue_ptr 0
		.amdhsa_user_sgpr_kernarg_segment_ptr 1
		.amdhsa_user_sgpr_dispatch_id 0
		.amdhsa_user_sgpr_kernarg_preload_length 0
		.amdhsa_user_sgpr_kernarg_preload_offset 0
		.amdhsa_user_sgpr_private_segment_size 0
		.amdhsa_wavefront_size32 1
		.amdhsa_uses_dynamic_stack 0
		.amdhsa_enable_private_segment 0
		.amdhsa_system_sgpr_workgroup_id_x 1
		.amdhsa_system_sgpr_workgroup_id_y 0
		.amdhsa_system_sgpr_workgroup_id_z 0
		.amdhsa_system_sgpr_workgroup_info 0
		.amdhsa_system_vgpr_workitem_id 0
		.amdhsa_next_free_vgpr 1
		.amdhsa_next_free_sgpr 1
		.amdhsa_named_barrier_count 0
		.amdhsa_reserve_vcc 0
		.amdhsa_float_round_mode_32 0
		.amdhsa_float_round_mode_16_64 0
		.amdhsa_float_denorm_mode_32 3
		.amdhsa_float_denorm_mode_16_64 3
		.amdhsa_fp16_overflow 0
		.amdhsa_memory_ordered 1
		.amdhsa_forward_progress 1
		.amdhsa_inst_pref_size 0
		.amdhsa_round_robin_scheduling 0
		.amdhsa_exception_fp_ieee_invalid_op 0
		.amdhsa_exception_fp_denorm_src 0
		.amdhsa_exception_fp_ieee_div_zero 0
		.amdhsa_exception_fp_ieee_overflow 0
		.amdhsa_exception_fp_ieee_underflow 0
		.amdhsa_exception_fp_ieee_inexact 0
		.amdhsa_exception_int_div_zero 0
	.end_amdhsa_kernel
	.section	.text._ZN7rocprim17ROCPRIM_400000_NS6detail17trampoline_kernelINS0_14default_configENS1_33run_length_encode_config_selectorIsjNS0_4plusIjEEEEZZNS1_33reduce_by_key_impl_wrapped_configILNS1_25lookback_scan_determinismE0ES3_S7_PKsNS0_17constant_iteratorIjlEEPsPlSF_S6_NS0_8equal_toIsEEEE10hipError_tPvRmT2_T3_mT4_T5_T6_T7_T8_P12ihipStream_tbENKUlT_T0_E_clISt17integral_constantIbLb0EESY_IbLb1EEEEDaSU_SV_EUlSU_E_NS1_11comp_targetILNS1_3genE4ELNS1_11target_archE910ELNS1_3gpuE8ELNS1_3repE0EEENS1_30default_config_static_selectorELNS0_4arch9wavefront6targetE0EEEvT1_,"axG",@progbits,_ZN7rocprim17ROCPRIM_400000_NS6detail17trampoline_kernelINS0_14default_configENS1_33run_length_encode_config_selectorIsjNS0_4plusIjEEEEZZNS1_33reduce_by_key_impl_wrapped_configILNS1_25lookback_scan_determinismE0ES3_S7_PKsNS0_17constant_iteratorIjlEEPsPlSF_S6_NS0_8equal_toIsEEEE10hipError_tPvRmT2_T3_mT4_T5_T6_T7_T8_P12ihipStream_tbENKUlT_T0_E_clISt17integral_constantIbLb0EESY_IbLb1EEEEDaSU_SV_EUlSU_E_NS1_11comp_targetILNS1_3genE4ELNS1_11target_archE910ELNS1_3gpuE8ELNS1_3repE0EEENS1_30default_config_static_selectorELNS0_4arch9wavefront6targetE0EEEvT1_,comdat
.Lfunc_end609:
	.size	_ZN7rocprim17ROCPRIM_400000_NS6detail17trampoline_kernelINS0_14default_configENS1_33run_length_encode_config_selectorIsjNS0_4plusIjEEEEZZNS1_33reduce_by_key_impl_wrapped_configILNS1_25lookback_scan_determinismE0ES3_S7_PKsNS0_17constant_iteratorIjlEEPsPlSF_S6_NS0_8equal_toIsEEEE10hipError_tPvRmT2_T3_mT4_T5_T6_T7_T8_P12ihipStream_tbENKUlT_T0_E_clISt17integral_constantIbLb0EESY_IbLb1EEEEDaSU_SV_EUlSU_E_NS1_11comp_targetILNS1_3genE4ELNS1_11target_archE910ELNS1_3gpuE8ELNS1_3repE0EEENS1_30default_config_static_selectorELNS0_4arch9wavefront6targetE0EEEvT1_, .Lfunc_end609-_ZN7rocprim17ROCPRIM_400000_NS6detail17trampoline_kernelINS0_14default_configENS1_33run_length_encode_config_selectorIsjNS0_4plusIjEEEEZZNS1_33reduce_by_key_impl_wrapped_configILNS1_25lookback_scan_determinismE0ES3_S7_PKsNS0_17constant_iteratorIjlEEPsPlSF_S6_NS0_8equal_toIsEEEE10hipError_tPvRmT2_T3_mT4_T5_T6_T7_T8_P12ihipStream_tbENKUlT_T0_E_clISt17integral_constantIbLb0EESY_IbLb1EEEEDaSU_SV_EUlSU_E_NS1_11comp_targetILNS1_3genE4ELNS1_11target_archE910ELNS1_3gpuE8ELNS1_3repE0EEENS1_30default_config_static_selectorELNS0_4arch9wavefront6targetE0EEEvT1_
                                        ; -- End function
	.set _ZN7rocprim17ROCPRIM_400000_NS6detail17trampoline_kernelINS0_14default_configENS1_33run_length_encode_config_selectorIsjNS0_4plusIjEEEEZZNS1_33reduce_by_key_impl_wrapped_configILNS1_25lookback_scan_determinismE0ES3_S7_PKsNS0_17constant_iteratorIjlEEPsPlSF_S6_NS0_8equal_toIsEEEE10hipError_tPvRmT2_T3_mT4_T5_T6_T7_T8_P12ihipStream_tbENKUlT_T0_E_clISt17integral_constantIbLb0EESY_IbLb1EEEEDaSU_SV_EUlSU_E_NS1_11comp_targetILNS1_3genE4ELNS1_11target_archE910ELNS1_3gpuE8ELNS1_3repE0EEENS1_30default_config_static_selectorELNS0_4arch9wavefront6targetE0EEEvT1_.num_vgpr, 0
	.set _ZN7rocprim17ROCPRIM_400000_NS6detail17trampoline_kernelINS0_14default_configENS1_33run_length_encode_config_selectorIsjNS0_4plusIjEEEEZZNS1_33reduce_by_key_impl_wrapped_configILNS1_25lookback_scan_determinismE0ES3_S7_PKsNS0_17constant_iteratorIjlEEPsPlSF_S6_NS0_8equal_toIsEEEE10hipError_tPvRmT2_T3_mT4_T5_T6_T7_T8_P12ihipStream_tbENKUlT_T0_E_clISt17integral_constantIbLb0EESY_IbLb1EEEEDaSU_SV_EUlSU_E_NS1_11comp_targetILNS1_3genE4ELNS1_11target_archE910ELNS1_3gpuE8ELNS1_3repE0EEENS1_30default_config_static_selectorELNS0_4arch9wavefront6targetE0EEEvT1_.num_agpr, 0
	.set _ZN7rocprim17ROCPRIM_400000_NS6detail17trampoline_kernelINS0_14default_configENS1_33run_length_encode_config_selectorIsjNS0_4plusIjEEEEZZNS1_33reduce_by_key_impl_wrapped_configILNS1_25lookback_scan_determinismE0ES3_S7_PKsNS0_17constant_iteratorIjlEEPsPlSF_S6_NS0_8equal_toIsEEEE10hipError_tPvRmT2_T3_mT4_T5_T6_T7_T8_P12ihipStream_tbENKUlT_T0_E_clISt17integral_constantIbLb0EESY_IbLb1EEEEDaSU_SV_EUlSU_E_NS1_11comp_targetILNS1_3genE4ELNS1_11target_archE910ELNS1_3gpuE8ELNS1_3repE0EEENS1_30default_config_static_selectorELNS0_4arch9wavefront6targetE0EEEvT1_.numbered_sgpr, 0
	.set _ZN7rocprim17ROCPRIM_400000_NS6detail17trampoline_kernelINS0_14default_configENS1_33run_length_encode_config_selectorIsjNS0_4plusIjEEEEZZNS1_33reduce_by_key_impl_wrapped_configILNS1_25lookback_scan_determinismE0ES3_S7_PKsNS0_17constant_iteratorIjlEEPsPlSF_S6_NS0_8equal_toIsEEEE10hipError_tPvRmT2_T3_mT4_T5_T6_T7_T8_P12ihipStream_tbENKUlT_T0_E_clISt17integral_constantIbLb0EESY_IbLb1EEEEDaSU_SV_EUlSU_E_NS1_11comp_targetILNS1_3genE4ELNS1_11target_archE910ELNS1_3gpuE8ELNS1_3repE0EEENS1_30default_config_static_selectorELNS0_4arch9wavefront6targetE0EEEvT1_.num_named_barrier, 0
	.set _ZN7rocprim17ROCPRIM_400000_NS6detail17trampoline_kernelINS0_14default_configENS1_33run_length_encode_config_selectorIsjNS0_4plusIjEEEEZZNS1_33reduce_by_key_impl_wrapped_configILNS1_25lookback_scan_determinismE0ES3_S7_PKsNS0_17constant_iteratorIjlEEPsPlSF_S6_NS0_8equal_toIsEEEE10hipError_tPvRmT2_T3_mT4_T5_T6_T7_T8_P12ihipStream_tbENKUlT_T0_E_clISt17integral_constantIbLb0EESY_IbLb1EEEEDaSU_SV_EUlSU_E_NS1_11comp_targetILNS1_3genE4ELNS1_11target_archE910ELNS1_3gpuE8ELNS1_3repE0EEENS1_30default_config_static_selectorELNS0_4arch9wavefront6targetE0EEEvT1_.private_seg_size, 0
	.set _ZN7rocprim17ROCPRIM_400000_NS6detail17trampoline_kernelINS0_14default_configENS1_33run_length_encode_config_selectorIsjNS0_4plusIjEEEEZZNS1_33reduce_by_key_impl_wrapped_configILNS1_25lookback_scan_determinismE0ES3_S7_PKsNS0_17constant_iteratorIjlEEPsPlSF_S6_NS0_8equal_toIsEEEE10hipError_tPvRmT2_T3_mT4_T5_T6_T7_T8_P12ihipStream_tbENKUlT_T0_E_clISt17integral_constantIbLb0EESY_IbLb1EEEEDaSU_SV_EUlSU_E_NS1_11comp_targetILNS1_3genE4ELNS1_11target_archE910ELNS1_3gpuE8ELNS1_3repE0EEENS1_30default_config_static_selectorELNS0_4arch9wavefront6targetE0EEEvT1_.uses_vcc, 0
	.set _ZN7rocprim17ROCPRIM_400000_NS6detail17trampoline_kernelINS0_14default_configENS1_33run_length_encode_config_selectorIsjNS0_4plusIjEEEEZZNS1_33reduce_by_key_impl_wrapped_configILNS1_25lookback_scan_determinismE0ES3_S7_PKsNS0_17constant_iteratorIjlEEPsPlSF_S6_NS0_8equal_toIsEEEE10hipError_tPvRmT2_T3_mT4_T5_T6_T7_T8_P12ihipStream_tbENKUlT_T0_E_clISt17integral_constantIbLb0EESY_IbLb1EEEEDaSU_SV_EUlSU_E_NS1_11comp_targetILNS1_3genE4ELNS1_11target_archE910ELNS1_3gpuE8ELNS1_3repE0EEENS1_30default_config_static_selectorELNS0_4arch9wavefront6targetE0EEEvT1_.uses_flat_scratch, 0
	.set _ZN7rocprim17ROCPRIM_400000_NS6detail17trampoline_kernelINS0_14default_configENS1_33run_length_encode_config_selectorIsjNS0_4plusIjEEEEZZNS1_33reduce_by_key_impl_wrapped_configILNS1_25lookback_scan_determinismE0ES3_S7_PKsNS0_17constant_iteratorIjlEEPsPlSF_S6_NS0_8equal_toIsEEEE10hipError_tPvRmT2_T3_mT4_T5_T6_T7_T8_P12ihipStream_tbENKUlT_T0_E_clISt17integral_constantIbLb0EESY_IbLb1EEEEDaSU_SV_EUlSU_E_NS1_11comp_targetILNS1_3genE4ELNS1_11target_archE910ELNS1_3gpuE8ELNS1_3repE0EEENS1_30default_config_static_selectorELNS0_4arch9wavefront6targetE0EEEvT1_.has_dyn_sized_stack, 0
	.set _ZN7rocprim17ROCPRIM_400000_NS6detail17trampoline_kernelINS0_14default_configENS1_33run_length_encode_config_selectorIsjNS0_4plusIjEEEEZZNS1_33reduce_by_key_impl_wrapped_configILNS1_25lookback_scan_determinismE0ES3_S7_PKsNS0_17constant_iteratorIjlEEPsPlSF_S6_NS0_8equal_toIsEEEE10hipError_tPvRmT2_T3_mT4_T5_T6_T7_T8_P12ihipStream_tbENKUlT_T0_E_clISt17integral_constantIbLb0EESY_IbLb1EEEEDaSU_SV_EUlSU_E_NS1_11comp_targetILNS1_3genE4ELNS1_11target_archE910ELNS1_3gpuE8ELNS1_3repE0EEENS1_30default_config_static_selectorELNS0_4arch9wavefront6targetE0EEEvT1_.has_recursion, 0
	.set _ZN7rocprim17ROCPRIM_400000_NS6detail17trampoline_kernelINS0_14default_configENS1_33run_length_encode_config_selectorIsjNS0_4plusIjEEEEZZNS1_33reduce_by_key_impl_wrapped_configILNS1_25lookback_scan_determinismE0ES3_S7_PKsNS0_17constant_iteratorIjlEEPsPlSF_S6_NS0_8equal_toIsEEEE10hipError_tPvRmT2_T3_mT4_T5_T6_T7_T8_P12ihipStream_tbENKUlT_T0_E_clISt17integral_constantIbLb0EESY_IbLb1EEEEDaSU_SV_EUlSU_E_NS1_11comp_targetILNS1_3genE4ELNS1_11target_archE910ELNS1_3gpuE8ELNS1_3repE0EEENS1_30default_config_static_selectorELNS0_4arch9wavefront6targetE0EEEvT1_.has_indirect_call, 0
	.section	.AMDGPU.csdata,"",@progbits
; Kernel info:
; codeLenInByte = 0
; TotalNumSgprs: 0
; NumVgprs: 0
; ScratchSize: 0
; MemoryBound: 0
; FloatMode: 240
; IeeeMode: 1
; LDSByteSize: 0 bytes/workgroup (compile time only)
; SGPRBlocks: 0
; VGPRBlocks: 0
; NumSGPRsForWavesPerEU: 1
; NumVGPRsForWavesPerEU: 1
; NamedBarCnt: 0
; Occupancy: 16
; WaveLimiterHint : 0
; COMPUTE_PGM_RSRC2:SCRATCH_EN: 0
; COMPUTE_PGM_RSRC2:USER_SGPR: 2
; COMPUTE_PGM_RSRC2:TRAP_HANDLER: 0
; COMPUTE_PGM_RSRC2:TGID_X_EN: 1
; COMPUTE_PGM_RSRC2:TGID_Y_EN: 0
; COMPUTE_PGM_RSRC2:TGID_Z_EN: 0
; COMPUTE_PGM_RSRC2:TIDIG_COMP_CNT: 0
	.section	.text._ZN7rocprim17ROCPRIM_400000_NS6detail17trampoline_kernelINS0_14default_configENS1_33run_length_encode_config_selectorIsjNS0_4plusIjEEEEZZNS1_33reduce_by_key_impl_wrapped_configILNS1_25lookback_scan_determinismE0ES3_S7_PKsNS0_17constant_iteratorIjlEEPsPlSF_S6_NS0_8equal_toIsEEEE10hipError_tPvRmT2_T3_mT4_T5_T6_T7_T8_P12ihipStream_tbENKUlT_T0_E_clISt17integral_constantIbLb0EESY_IbLb1EEEEDaSU_SV_EUlSU_E_NS1_11comp_targetILNS1_3genE3ELNS1_11target_archE908ELNS1_3gpuE7ELNS1_3repE0EEENS1_30default_config_static_selectorELNS0_4arch9wavefront6targetE0EEEvT1_,"axG",@progbits,_ZN7rocprim17ROCPRIM_400000_NS6detail17trampoline_kernelINS0_14default_configENS1_33run_length_encode_config_selectorIsjNS0_4plusIjEEEEZZNS1_33reduce_by_key_impl_wrapped_configILNS1_25lookback_scan_determinismE0ES3_S7_PKsNS0_17constant_iteratorIjlEEPsPlSF_S6_NS0_8equal_toIsEEEE10hipError_tPvRmT2_T3_mT4_T5_T6_T7_T8_P12ihipStream_tbENKUlT_T0_E_clISt17integral_constantIbLb0EESY_IbLb1EEEEDaSU_SV_EUlSU_E_NS1_11comp_targetILNS1_3genE3ELNS1_11target_archE908ELNS1_3gpuE7ELNS1_3repE0EEENS1_30default_config_static_selectorELNS0_4arch9wavefront6targetE0EEEvT1_,comdat
	.protected	_ZN7rocprim17ROCPRIM_400000_NS6detail17trampoline_kernelINS0_14default_configENS1_33run_length_encode_config_selectorIsjNS0_4plusIjEEEEZZNS1_33reduce_by_key_impl_wrapped_configILNS1_25lookback_scan_determinismE0ES3_S7_PKsNS0_17constant_iteratorIjlEEPsPlSF_S6_NS0_8equal_toIsEEEE10hipError_tPvRmT2_T3_mT4_T5_T6_T7_T8_P12ihipStream_tbENKUlT_T0_E_clISt17integral_constantIbLb0EESY_IbLb1EEEEDaSU_SV_EUlSU_E_NS1_11comp_targetILNS1_3genE3ELNS1_11target_archE908ELNS1_3gpuE7ELNS1_3repE0EEENS1_30default_config_static_selectorELNS0_4arch9wavefront6targetE0EEEvT1_ ; -- Begin function _ZN7rocprim17ROCPRIM_400000_NS6detail17trampoline_kernelINS0_14default_configENS1_33run_length_encode_config_selectorIsjNS0_4plusIjEEEEZZNS1_33reduce_by_key_impl_wrapped_configILNS1_25lookback_scan_determinismE0ES3_S7_PKsNS0_17constant_iteratorIjlEEPsPlSF_S6_NS0_8equal_toIsEEEE10hipError_tPvRmT2_T3_mT4_T5_T6_T7_T8_P12ihipStream_tbENKUlT_T0_E_clISt17integral_constantIbLb0EESY_IbLb1EEEEDaSU_SV_EUlSU_E_NS1_11comp_targetILNS1_3genE3ELNS1_11target_archE908ELNS1_3gpuE7ELNS1_3repE0EEENS1_30default_config_static_selectorELNS0_4arch9wavefront6targetE0EEEvT1_
	.globl	_ZN7rocprim17ROCPRIM_400000_NS6detail17trampoline_kernelINS0_14default_configENS1_33run_length_encode_config_selectorIsjNS0_4plusIjEEEEZZNS1_33reduce_by_key_impl_wrapped_configILNS1_25lookback_scan_determinismE0ES3_S7_PKsNS0_17constant_iteratorIjlEEPsPlSF_S6_NS0_8equal_toIsEEEE10hipError_tPvRmT2_T3_mT4_T5_T6_T7_T8_P12ihipStream_tbENKUlT_T0_E_clISt17integral_constantIbLb0EESY_IbLb1EEEEDaSU_SV_EUlSU_E_NS1_11comp_targetILNS1_3genE3ELNS1_11target_archE908ELNS1_3gpuE7ELNS1_3repE0EEENS1_30default_config_static_selectorELNS0_4arch9wavefront6targetE0EEEvT1_
	.p2align	8
	.type	_ZN7rocprim17ROCPRIM_400000_NS6detail17trampoline_kernelINS0_14default_configENS1_33run_length_encode_config_selectorIsjNS0_4plusIjEEEEZZNS1_33reduce_by_key_impl_wrapped_configILNS1_25lookback_scan_determinismE0ES3_S7_PKsNS0_17constant_iteratorIjlEEPsPlSF_S6_NS0_8equal_toIsEEEE10hipError_tPvRmT2_T3_mT4_T5_T6_T7_T8_P12ihipStream_tbENKUlT_T0_E_clISt17integral_constantIbLb0EESY_IbLb1EEEEDaSU_SV_EUlSU_E_NS1_11comp_targetILNS1_3genE3ELNS1_11target_archE908ELNS1_3gpuE7ELNS1_3repE0EEENS1_30default_config_static_selectorELNS0_4arch9wavefront6targetE0EEEvT1_,@function
_ZN7rocprim17ROCPRIM_400000_NS6detail17trampoline_kernelINS0_14default_configENS1_33run_length_encode_config_selectorIsjNS0_4plusIjEEEEZZNS1_33reduce_by_key_impl_wrapped_configILNS1_25lookback_scan_determinismE0ES3_S7_PKsNS0_17constant_iteratorIjlEEPsPlSF_S6_NS0_8equal_toIsEEEE10hipError_tPvRmT2_T3_mT4_T5_T6_T7_T8_P12ihipStream_tbENKUlT_T0_E_clISt17integral_constantIbLb0EESY_IbLb1EEEEDaSU_SV_EUlSU_E_NS1_11comp_targetILNS1_3genE3ELNS1_11target_archE908ELNS1_3gpuE7ELNS1_3repE0EEENS1_30default_config_static_selectorELNS0_4arch9wavefront6targetE0EEEvT1_: ; @_ZN7rocprim17ROCPRIM_400000_NS6detail17trampoline_kernelINS0_14default_configENS1_33run_length_encode_config_selectorIsjNS0_4plusIjEEEEZZNS1_33reduce_by_key_impl_wrapped_configILNS1_25lookback_scan_determinismE0ES3_S7_PKsNS0_17constant_iteratorIjlEEPsPlSF_S6_NS0_8equal_toIsEEEE10hipError_tPvRmT2_T3_mT4_T5_T6_T7_T8_P12ihipStream_tbENKUlT_T0_E_clISt17integral_constantIbLb0EESY_IbLb1EEEEDaSU_SV_EUlSU_E_NS1_11comp_targetILNS1_3genE3ELNS1_11target_archE908ELNS1_3gpuE7ELNS1_3repE0EEENS1_30default_config_static_selectorELNS0_4arch9wavefront6targetE0EEEvT1_
; %bb.0:
	.section	.rodata,"a",@progbits
	.p2align	6, 0x0
	.amdhsa_kernel _ZN7rocprim17ROCPRIM_400000_NS6detail17trampoline_kernelINS0_14default_configENS1_33run_length_encode_config_selectorIsjNS0_4plusIjEEEEZZNS1_33reduce_by_key_impl_wrapped_configILNS1_25lookback_scan_determinismE0ES3_S7_PKsNS0_17constant_iteratorIjlEEPsPlSF_S6_NS0_8equal_toIsEEEE10hipError_tPvRmT2_T3_mT4_T5_T6_T7_T8_P12ihipStream_tbENKUlT_T0_E_clISt17integral_constantIbLb0EESY_IbLb1EEEEDaSU_SV_EUlSU_E_NS1_11comp_targetILNS1_3genE3ELNS1_11target_archE908ELNS1_3gpuE7ELNS1_3repE0EEENS1_30default_config_static_selectorELNS0_4arch9wavefront6targetE0EEEvT1_
		.amdhsa_group_segment_fixed_size 0
		.amdhsa_private_segment_fixed_size 0
		.amdhsa_kernarg_size 128
		.amdhsa_user_sgpr_count 2
		.amdhsa_user_sgpr_dispatch_ptr 0
		.amdhsa_user_sgpr_queue_ptr 0
		.amdhsa_user_sgpr_kernarg_segment_ptr 1
		.amdhsa_user_sgpr_dispatch_id 0
		.amdhsa_user_sgpr_kernarg_preload_length 0
		.amdhsa_user_sgpr_kernarg_preload_offset 0
		.amdhsa_user_sgpr_private_segment_size 0
		.amdhsa_wavefront_size32 1
		.amdhsa_uses_dynamic_stack 0
		.amdhsa_enable_private_segment 0
		.amdhsa_system_sgpr_workgroup_id_x 1
		.amdhsa_system_sgpr_workgroup_id_y 0
		.amdhsa_system_sgpr_workgroup_id_z 0
		.amdhsa_system_sgpr_workgroup_info 0
		.amdhsa_system_vgpr_workitem_id 0
		.amdhsa_next_free_vgpr 1
		.amdhsa_next_free_sgpr 1
		.amdhsa_named_barrier_count 0
		.amdhsa_reserve_vcc 0
		.amdhsa_float_round_mode_32 0
		.amdhsa_float_round_mode_16_64 0
		.amdhsa_float_denorm_mode_32 3
		.amdhsa_float_denorm_mode_16_64 3
		.amdhsa_fp16_overflow 0
		.amdhsa_memory_ordered 1
		.amdhsa_forward_progress 1
		.amdhsa_inst_pref_size 0
		.amdhsa_round_robin_scheduling 0
		.amdhsa_exception_fp_ieee_invalid_op 0
		.amdhsa_exception_fp_denorm_src 0
		.amdhsa_exception_fp_ieee_div_zero 0
		.amdhsa_exception_fp_ieee_overflow 0
		.amdhsa_exception_fp_ieee_underflow 0
		.amdhsa_exception_fp_ieee_inexact 0
		.amdhsa_exception_int_div_zero 0
	.end_amdhsa_kernel
	.section	.text._ZN7rocprim17ROCPRIM_400000_NS6detail17trampoline_kernelINS0_14default_configENS1_33run_length_encode_config_selectorIsjNS0_4plusIjEEEEZZNS1_33reduce_by_key_impl_wrapped_configILNS1_25lookback_scan_determinismE0ES3_S7_PKsNS0_17constant_iteratorIjlEEPsPlSF_S6_NS0_8equal_toIsEEEE10hipError_tPvRmT2_T3_mT4_T5_T6_T7_T8_P12ihipStream_tbENKUlT_T0_E_clISt17integral_constantIbLb0EESY_IbLb1EEEEDaSU_SV_EUlSU_E_NS1_11comp_targetILNS1_3genE3ELNS1_11target_archE908ELNS1_3gpuE7ELNS1_3repE0EEENS1_30default_config_static_selectorELNS0_4arch9wavefront6targetE0EEEvT1_,"axG",@progbits,_ZN7rocprim17ROCPRIM_400000_NS6detail17trampoline_kernelINS0_14default_configENS1_33run_length_encode_config_selectorIsjNS0_4plusIjEEEEZZNS1_33reduce_by_key_impl_wrapped_configILNS1_25lookback_scan_determinismE0ES3_S7_PKsNS0_17constant_iteratorIjlEEPsPlSF_S6_NS0_8equal_toIsEEEE10hipError_tPvRmT2_T3_mT4_T5_T6_T7_T8_P12ihipStream_tbENKUlT_T0_E_clISt17integral_constantIbLb0EESY_IbLb1EEEEDaSU_SV_EUlSU_E_NS1_11comp_targetILNS1_3genE3ELNS1_11target_archE908ELNS1_3gpuE7ELNS1_3repE0EEENS1_30default_config_static_selectorELNS0_4arch9wavefront6targetE0EEEvT1_,comdat
.Lfunc_end610:
	.size	_ZN7rocprim17ROCPRIM_400000_NS6detail17trampoline_kernelINS0_14default_configENS1_33run_length_encode_config_selectorIsjNS0_4plusIjEEEEZZNS1_33reduce_by_key_impl_wrapped_configILNS1_25lookback_scan_determinismE0ES3_S7_PKsNS0_17constant_iteratorIjlEEPsPlSF_S6_NS0_8equal_toIsEEEE10hipError_tPvRmT2_T3_mT4_T5_T6_T7_T8_P12ihipStream_tbENKUlT_T0_E_clISt17integral_constantIbLb0EESY_IbLb1EEEEDaSU_SV_EUlSU_E_NS1_11comp_targetILNS1_3genE3ELNS1_11target_archE908ELNS1_3gpuE7ELNS1_3repE0EEENS1_30default_config_static_selectorELNS0_4arch9wavefront6targetE0EEEvT1_, .Lfunc_end610-_ZN7rocprim17ROCPRIM_400000_NS6detail17trampoline_kernelINS0_14default_configENS1_33run_length_encode_config_selectorIsjNS0_4plusIjEEEEZZNS1_33reduce_by_key_impl_wrapped_configILNS1_25lookback_scan_determinismE0ES3_S7_PKsNS0_17constant_iteratorIjlEEPsPlSF_S6_NS0_8equal_toIsEEEE10hipError_tPvRmT2_T3_mT4_T5_T6_T7_T8_P12ihipStream_tbENKUlT_T0_E_clISt17integral_constantIbLb0EESY_IbLb1EEEEDaSU_SV_EUlSU_E_NS1_11comp_targetILNS1_3genE3ELNS1_11target_archE908ELNS1_3gpuE7ELNS1_3repE0EEENS1_30default_config_static_selectorELNS0_4arch9wavefront6targetE0EEEvT1_
                                        ; -- End function
	.set _ZN7rocprim17ROCPRIM_400000_NS6detail17trampoline_kernelINS0_14default_configENS1_33run_length_encode_config_selectorIsjNS0_4plusIjEEEEZZNS1_33reduce_by_key_impl_wrapped_configILNS1_25lookback_scan_determinismE0ES3_S7_PKsNS0_17constant_iteratorIjlEEPsPlSF_S6_NS0_8equal_toIsEEEE10hipError_tPvRmT2_T3_mT4_T5_T6_T7_T8_P12ihipStream_tbENKUlT_T0_E_clISt17integral_constantIbLb0EESY_IbLb1EEEEDaSU_SV_EUlSU_E_NS1_11comp_targetILNS1_3genE3ELNS1_11target_archE908ELNS1_3gpuE7ELNS1_3repE0EEENS1_30default_config_static_selectorELNS0_4arch9wavefront6targetE0EEEvT1_.num_vgpr, 0
	.set _ZN7rocprim17ROCPRIM_400000_NS6detail17trampoline_kernelINS0_14default_configENS1_33run_length_encode_config_selectorIsjNS0_4plusIjEEEEZZNS1_33reduce_by_key_impl_wrapped_configILNS1_25lookback_scan_determinismE0ES3_S7_PKsNS0_17constant_iteratorIjlEEPsPlSF_S6_NS0_8equal_toIsEEEE10hipError_tPvRmT2_T3_mT4_T5_T6_T7_T8_P12ihipStream_tbENKUlT_T0_E_clISt17integral_constantIbLb0EESY_IbLb1EEEEDaSU_SV_EUlSU_E_NS1_11comp_targetILNS1_3genE3ELNS1_11target_archE908ELNS1_3gpuE7ELNS1_3repE0EEENS1_30default_config_static_selectorELNS0_4arch9wavefront6targetE0EEEvT1_.num_agpr, 0
	.set _ZN7rocprim17ROCPRIM_400000_NS6detail17trampoline_kernelINS0_14default_configENS1_33run_length_encode_config_selectorIsjNS0_4plusIjEEEEZZNS1_33reduce_by_key_impl_wrapped_configILNS1_25lookback_scan_determinismE0ES3_S7_PKsNS0_17constant_iteratorIjlEEPsPlSF_S6_NS0_8equal_toIsEEEE10hipError_tPvRmT2_T3_mT4_T5_T6_T7_T8_P12ihipStream_tbENKUlT_T0_E_clISt17integral_constantIbLb0EESY_IbLb1EEEEDaSU_SV_EUlSU_E_NS1_11comp_targetILNS1_3genE3ELNS1_11target_archE908ELNS1_3gpuE7ELNS1_3repE0EEENS1_30default_config_static_selectorELNS0_4arch9wavefront6targetE0EEEvT1_.numbered_sgpr, 0
	.set _ZN7rocprim17ROCPRIM_400000_NS6detail17trampoline_kernelINS0_14default_configENS1_33run_length_encode_config_selectorIsjNS0_4plusIjEEEEZZNS1_33reduce_by_key_impl_wrapped_configILNS1_25lookback_scan_determinismE0ES3_S7_PKsNS0_17constant_iteratorIjlEEPsPlSF_S6_NS0_8equal_toIsEEEE10hipError_tPvRmT2_T3_mT4_T5_T6_T7_T8_P12ihipStream_tbENKUlT_T0_E_clISt17integral_constantIbLb0EESY_IbLb1EEEEDaSU_SV_EUlSU_E_NS1_11comp_targetILNS1_3genE3ELNS1_11target_archE908ELNS1_3gpuE7ELNS1_3repE0EEENS1_30default_config_static_selectorELNS0_4arch9wavefront6targetE0EEEvT1_.num_named_barrier, 0
	.set _ZN7rocprim17ROCPRIM_400000_NS6detail17trampoline_kernelINS0_14default_configENS1_33run_length_encode_config_selectorIsjNS0_4plusIjEEEEZZNS1_33reduce_by_key_impl_wrapped_configILNS1_25lookback_scan_determinismE0ES3_S7_PKsNS0_17constant_iteratorIjlEEPsPlSF_S6_NS0_8equal_toIsEEEE10hipError_tPvRmT2_T3_mT4_T5_T6_T7_T8_P12ihipStream_tbENKUlT_T0_E_clISt17integral_constantIbLb0EESY_IbLb1EEEEDaSU_SV_EUlSU_E_NS1_11comp_targetILNS1_3genE3ELNS1_11target_archE908ELNS1_3gpuE7ELNS1_3repE0EEENS1_30default_config_static_selectorELNS0_4arch9wavefront6targetE0EEEvT1_.private_seg_size, 0
	.set _ZN7rocprim17ROCPRIM_400000_NS6detail17trampoline_kernelINS0_14default_configENS1_33run_length_encode_config_selectorIsjNS0_4plusIjEEEEZZNS1_33reduce_by_key_impl_wrapped_configILNS1_25lookback_scan_determinismE0ES3_S7_PKsNS0_17constant_iteratorIjlEEPsPlSF_S6_NS0_8equal_toIsEEEE10hipError_tPvRmT2_T3_mT4_T5_T6_T7_T8_P12ihipStream_tbENKUlT_T0_E_clISt17integral_constantIbLb0EESY_IbLb1EEEEDaSU_SV_EUlSU_E_NS1_11comp_targetILNS1_3genE3ELNS1_11target_archE908ELNS1_3gpuE7ELNS1_3repE0EEENS1_30default_config_static_selectorELNS0_4arch9wavefront6targetE0EEEvT1_.uses_vcc, 0
	.set _ZN7rocprim17ROCPRIM_400000_NS6detail17trampoline_kernelINS0_14default_configENS1_33run_length_encode_config_selectorIsjNS0_4plusIjEEEEZZNS1_33reduce_by_key_impl_wrapped_configILNS1_25lookback_scan_determinismE0ES3_S7_PKsNS0_17constant_iteratorIjlEEPsPlSF_S6_NS0_8equal_toIsEEEE10hipError_tPvRmT2_T3_mT4_T5_T6_T7_T8_P12ihipStream_tbENKUlT_T0_E_clISt17integral_constantIbLb0EESY_IbLb1EEEEDaSU_SV_EUlSU_E_NS1_11comp_targetILNS1_3genE3ELNS1_11target_archE908ELNS1_3gpuE7ELNS1_3repE0EEENS1_30default_config_static_selectorELNS0_4arch9wavefront6targetE0EEEvT1_.uses_flat_scratch, 0
	.set _ZN7rocprim17ROCPRIM_400000_NS6detail17trampoline_kernelINS0_14default_configENS1_33run_length_encode_config_selectorIsjNS0_4plusIjEEEEZZNS1_33reduce_by_key_impl_wrapped_configILNS1_25lookback_scan_determinismE0ES3_S7_PKsNS0_17constant_iteratorIjlEEPsPlSF_S6_NS0_8equal_toIsEEEE10hipError_tPvRmT2_T3_mT4_T5_T6_T7_T8_P12ihipStream_tbENKUlT_T0_E_clISt17integral_constantIbLb0EESY_IbLb1EEEEDaSU_SV_EUlSU_E_NS1_11comp_targetILNS1_3genE3ELNS1_11target_archE908ELNS1_3gpuE7ELNS1_3repE0EEENS1_30default_config_static_selectorELNS0_4arch9wavefront6targetE0EEEvT1_.has_dyn_sized_stack, 0
	.set _ZN7rocprim17ROCPRIM_400000_NS6detail17trampoline_kernelINS0_14default_configENS1_33run_length_encode_config_selectorIsjNS0_4plusIjEEEEZZNS1_33reduce_by_key_impl_wrapped_configILNS1_25lookback_scan_determinismE0ES3_S7_PKsNS0_17constant_iteratorIjlEEPsPlSF_S6_NS0_8equal_toIsEEEE10hipError_tPvRmT2_T3_mT4_T5_T6_T7_T8_P12ihipStream_tbENKUlT_T0_E_clISt17integral_constantIbLb0EESY_IbLb1EEEEDaSU_SV_EUlSU_E_NS1_11comp_targetILNS1_3genE3ELNS1_11target_archE908ELNS1_3gpuE7ELNS1_3repE0EEENS1_30default_config_static_selectorELNS0_4arch9wavefront6targetE0EEEvT1_.has_recursion, 0
	.set _ZN7rocprim17ROCPRIM_400000_NS6detail17trampoline_kernelINS0_14default_configENS1_33run_length_encode_config_selectorIsjNS0_4plusIjEEEEZZNS1_33reduce_by_key_impl_wrapped_configILNS1_25lookback_scan_determinismE0ES3_S7_PKsNS0_17constant_iteratorIjlEEPsPlSF_S6_NS0_8equal_toIsEEEE10hipError_tPvRmT2_T3_mT4_T5_T6_T7_T8_P12ihipStream_tbENKUlT_T0_E_clISt17integral_constantIbLb0EESY_IbLb1EEEEDaSU_SV_EUlSU_E_NS1_11comp_targetILNS1_3genE3ELNS1_11target_archE908ELNS1_3gpuE7ELNS1_3repE0EEENS1_30default_config_static_selectorELNS0_4arch9wavefront6targetE0EEEvT1_.has_indirect_call, 0
	.section	.AMDGPU.csdata,"",@progbits
; Kernel info:
; codeLenInByte = 0
; TotalNumSgprs: 0
; NumVgprs: 0
; ScratchSize: 0
; MemoryBound: 0
; FloatMode: 240
; IeeeMode: 1
; LDSByteSize: 0 bytes/workgroup (compile time only)
; SGPRBlocks: 0
; VGPRBlocks: 0
; NumSGPRsForWavesPerEU: 1
; NumVGPRsForWavesPerEU: 1
; NamedBarCnt: 0
; Occupancy: 16
; WaveLimiterHint : 0
; COMPUTE_PGM_RSRC2:SCRATCH_EN: 0
; COMPUTE_PGM_RSRC2:USER_SGPR: 2
; COMPUTE_PGM_RSRC2:TRAP_HANDLER: 0
; COMPUTE_PGM_RSRC2:TGID_X_EN: 1
; COMPUTE_PGM_RSRC2:TGID_Y_EN: 0
; COMPUTE_PGM_RSRC2:TGID_Z_EN: 0
; COMPUTE_PGM_RSRC2:TIDIG_COMP_CNT: 0
	.section	.text._ZN7rocprim17ROCPRIM_400000_NS6detail17trampoline_kernelINS0_14default_configENS1_33run_length_encode_config_selectorIsjNS0_4plusIjEEEEZZNS1_33reduce_by_key_impl_wrapped_configILNS1_25lookback_scan_determinismE0ES3_S7_PKsNS0_17constant_iteratorIjlEEPsPlSF_S6_NS0_8equal_toIsEEEE10hipError_tPvRmT2_T3_mT4_T5_T6_T7_T8_P12ihipStream_tbENKUlT_T0_E_clISt17integral_constantIbLb0EESY_IbLb1EEEEDaSU_SV_EUlSU_E_NS1_11comp_targetILNS1_3genE2ELNS1_11target_archE906ELNS1_3gpuE6ELNS1_3repE0EEENS1_30default_config_static_selectorELNS0_4arch9wavefront6targetE0EEEvT1_,"axG",@progbits,_ZN7rocprim17ROCPRIM_400000_NS6detail17trampoline_kernelINS0_14default_configENS1_33run_length_encode_config_selectorIsjNS0_4plusIjEEEEZZNS1_33reduce_by_key_impl_wrapped_configILNS1_25lookback_scan_determinismE0ES3_S7_PKsNS0_17constant_iteratorIjlEEPsPlSF_S6_NS0_8equal_toIsEEEE10hipError_tPvRmT2_T3_mT4_T5_T6_T7_T8_P12ihipStream_tbENKUlT_T0_E_clISt17integral_constantIbLb0EESY_IbLb1EEEEDaSU_SV_EUlSU_E_NS1_11comp_targetILNS1_3genE2ELNS1_11target_archE906ELNS1_3gpuE6ELNS1_3repE0EEENS1_30default_config_static_selectorELNS0_4arch9wavefront6targetE0EEEvT1_,comdat
	.protected	_ZN7rocprim17ROCPRIM_400000_NS6detail17trampoline_kernelINS0_14default_configENS1_33run_length_encode_config_selectorIsjNS0_4plusIjEEEEZZNS1_33reduce_by_key_impl_wrapped_configILNS1_25lookback_scan_determinismE0ES3_S7_PKsNS0_17constant_iteratorIjlEEPsPlSF_S6_NS0_8equal_toIsEEEE10hipError_tPvRmT2_T3_mT4_T5_T6_T7_T8_P12ihipStream_tbENKUlT_T0_E_clISt17integral_constantIbLb0EESY_IbLb1EEEEDaSU_SV_EUlSU_E_NS1_11comp_targetILNS1_3genE2ELNS1_11target_archE906ELNS1_3gpuE6ELNS1_3repE0EEENS1_30default_config_static_selectorELNS0_4arch9wavefront6targetE0EEEvT1_ ; -- Begin function _ZN7rocprim17ROCPRIM_400000_NS6detail17trampoline_kernelINS0_14default_configENS1_33run_length_encode_config_selectorIsjNS0_4plusIjEEEEZZNS1_33reduce_by_key_impl_wrapped_configILNS1_25lookback_scan_determinismE0ES3_S7_PKsNS0_17constant_iteratorIjlEEPsPlSF_S6_NS0_8equal_toIsEEEE10hipError_tPvRmT2_T3_mT4_T5_T6_T7_T8_P12ihipStream_tbENKUlT_T0_E_clISt17integral_constantIbLb0EESY_IbLb1EEEEDaSU_SV_EUlSU_E_NS1_11comp_targetILNS1_3genE2ELNS1_11target_archE906ELNS1_3gpuE6ELNS1_3repE0EEENS1_30default_config_static_selectorELNS0_4arch9wavefront6targetE0EEEvT1_
	.globl	_ZN7rocprim17ROCPRIM_400000_NS6detail17trampoline_kernelINS0_14default_configENS1_33run_length_encode_config_selectorIsjNS0_4plusIjEEEEZZNS1_33reduce_by_key_impl_wrapped_configILNS1_25lookback_scan_determinismE0ES3_S7_PKsNS0_17constant_iteratorIjlEEPsPlSF_S6_NS0_8equal_toIsEEEE10hipError_tPvRmT2_T3_mT4_T5_T6_T7_T8_P12ihipStream_tbENKUlT_T0_E_clISt17integral_constantIbLb0EESY_IbLb1EEEEDaSU_SV_EUlSU_E_NS1_11comp_targetILNS1_3genE2ELNS1_11target_archE906ELNS1_3gpuE6ELNS1_3repE0EEENS1_30default_config_static_selectorELNS0_4arch9wavefront6targetE0EEEvT1_
	.p2align	8
	.type	_ZN7rocprim17ROCPRIM_400000_NS6detail17trampoline_kernelINS0_14default_configENS1_33run_length_encode_config_selectorIsjNS0_4plusIjEEEEZZNS1_33reduce_by_key_impl_wrapped_configILNS1_25lookback_scan_determinismE0ES3_S7_PKsNS0_17constant_iteratorIjlEEPsPlSF_S6_NS0_8equal_toIsEEEE10hipError_tPvRmT2_T3_mT4_T5_T6_T7_T8_P12ihipStream_tbENKUlT_T0_E_clISt17integral_constantIbLb0EESY_IbLb1EEEEDaSU_SV_EUlSU_E_NS1_11comp_targetILNS1_3genE2ELNS1_11target_archE906ELNS1_3gpuE6ELNS1_3repE0EEENS1_30default_config_static_selectorELNS0_4arch9wavefront6targetE0EEEvT1_,@function
_ZN7rocprim17ROCPRIM_400000_NS6detail17trampoline_kernelINS0_14default_configENS1_33run_length_encode_config_selectorIsjNS0_4plusIjEEEEZZNS1_33reduce_by_key_impl_wrapped_configILNS1_25lookback_scan_determinismE0ES3_S7_PKsNS0_17constant_iteratorIjlEEPsPlSF_S6_NS0_8equal_toIsEEEE10hipError_tPvRmT2_T3_mT4_T5_T6_T7_T8_P12ihipStream_tbENKUlT_T0_E_clISt17integral_constantIbLb0EESY_IbLb1EEEEDaSU_SV_EUlSU_E_NS1_11comp_targetILNS1_3genE2ELNS1_11target_archE906ELNS1_3gpuE6ELNS1_3repE0EEENS1_30default_config_static_selectorELNS0_4arch9wavefront6targetE0EEEvT1_: ; @_ZN7rocprim17ROCPRIM_400000_NS6detail17trampoline_kernelINS0_14default_configENS1_33run_length_encode_config_selectorIsjNS0_4plusIjEEEEZZNS1_33reduce_by_key_impl_wrapped_configILNS1_25lookback_scan_determinismE0ES3_S7_PKsNS0_17constant_iteratorIjlEEPsPlSF_S6_NS0_8equal_toIsEEEE10hipError_tPvRmT2_T3_mT4_T5_T6_T7_T8_P12ihipStream_tbENKUlT_T0_E_clISt17integral_constantIbLb0EESY_IbLb1EEEEDaSU_SV_EUlSU_E_NS1_11comp_targetILNS1_3genE2ELNS1_11target_archE906ELNS1_3gpuE6ELNS1_3repE0EEENS1_30default_config_static_selectorELNS0_4arch9wavefront6targetE0EEEvT1_
; %bb.0:
	.section	.rodata,"a",@progbits
	.p2align	6, 0x0
	.amdhsa_kernel _ZN7rocprim17ROCPRIM_400000_NS6detail17trampoline_kernelINS0_14default_configENS1_33run_length_encode_config_selectorIsjNS0_4plusIjEEEEZZNS1_33reduce_by_key_impl_wrapped_configILNS1_25lookback_scan_determinismE0ES3_S7_PKsNS0_17constant_iteratorIjlEEPsPlSF_S6_NS0_8equal_toIsEEEE10hipError_tPvRmT2_T3_mT4_T5_T6_T7_T8_P12ihipStream_tbENKUlT_T0_E_clISt17integral_constantIbLb0EESY_IbLb1EEEEDaSU_SV_EUlSU_E_NS1_11comp_targetILNS1_3genE2ELNS1_11target_archE906ELNS1_3gpuE6ELNS1_3repE0EEENS1_30default_config_static_selectorELNS0_4arch9wavefront6targetE0EEEvT1_
		.amdhsa_group_segment_fixed_size 0
		.amdhsa_private_segment_fixed_size 0
		.amdhsa_kernarg_size 128
		.amdhsa_user_sgpr_count 2
		.amdhsa_user_sgpr_dispatch_ptr 0
		.amdhsa_user_sgpr_queue_ptr 0
		.amdhsa_user_sgpr_kernarg_segment_ptr 1
		.amdhsa_user_sgpr_dispatch_id 0
		.amdhsa_user_sgpr_kernarg_preload_length 0
		.amdhsa_user_sgpr_kernarg_preload_offset 0
		.amdhsa_user_sgpr_private_segment_size 0
		.amdhsa_wavefront_size32 1
		.amdhsa_uses_dynamic_stack 0
		.amdhsa_enable_private_segment 0
		.amdhsa_system_sgpr_workgroup_id_x 1
		.amdhsa_system_sgpr_workgroup_id_y 0
		.amdhsa_system_sgpr_workgroup_id_z 0
		.amdhsa_system_sgpr_workgroup_info 0
		.amdhsa_system_vgpr_workitem_id 0
		.amdhsa_next_free_vgpr 1
		.amdhsa_next_free_sgpr 1
		.amdhsa_named_barrier_count 0
		.amdhsa_reserve_vcc 0
		.amdhsa_float_round_mode_32 0
		.amdhsa_float_round_mode_16_64 0
		.amdhsa_float_denorm_mode_32 3
		.amdhsa_float_denorm_mode_16_64 3
		.amdhsa_fp16_overflow 0
		.amdhsa_memory_ordered 1
		.amdhsa_forward_progress 1
		.amdhsa_inst_pref_size 0
		.amdhsa_round_robin_scheduling 0
		.amdhsa_exception_fp_ieee_invalid_op 0
		.amdhsa_exception_fp_denorm_src 0
		.amdhsa_exception_fp_ieee_div_zero 0
		.amdhsa_exception_fp_ieee_overflow 0
		.amdhsa_exception_fp_ieee_underflow 0
		.amdhsa_exception_fp_ieee_inexact 0
		.amdhsa_exception_int_div_zero 0
	.end_amdhsa_kernel
	.section	.text._ZN7rocprim17ROCPRIM_400000_NS6detail17trampoline_kernelINS0_14default_configENS1_33run_length_encode_config_selectorIsjNS0_4plusIjEEEEZZNS1_33reduce_by_key_impl_wrapped_configILNS1_25lookback_scan_determinismE0ES3_S7_PKsNS0_17constant_iteratorIjlEEPsPlSF_S6_NS0_8equal_toIsEEEE10hipError_tPvRmT2_T3_mT4_T5_T6_T7_T8_P12ihipStream_tbENKUlT_T0_E_clISt17integral_constantIbLb0EESY_IbLb1EEEEDaSU_SV_EUlSU_E_NS1_11comp_targetILNS1_3genE2ELNS1_11target_archE906ELNS1_3gpuE6ELNS1_3repE0EEENS1_30default_config_static_selectorELNS0_4arch9wavefront6targetE0EEEvT1_,"axG",@progbits,_ZN7rocprim17ROCPRIM_400000_NS6detail17trampoline_kernelINS0_14default_configENS1_33run_length_encode_config_selectorIsjNS0_4plusIjEEEEZZNS1_33reduce_by_key_impl_wrapped_configILNS1_25lookback_scan_determinismE0ES3_S7_PKsNS0_17constant_iteratorIjlEEPsPlSF_S6_NS0_8equal_toIsEEEE10hipError_tPvRmT2_T3_mT4_T5_T6_T7_T8_P12ihipStream_tbENKUlT_T0_E_clISt17integral_constantIbLb0EESY_IbLb1EEEEDaSU_SV_EUlSU_E_NS1_11comp_targetILNS1_3genE2ELNS1_11target_archE906ELNS1_3gpuE6ELNS1_3repE0EEENS1_30default_config_static_selectorELNS0_4arch9wavefront6targetE0EEEvT1_,comdat
.Lfunc_end611:
	.size	_ZN7rocprim17ROCPRIM_400000_NS6detail17trampoline_kernelINS0_14default_configENS1_33run_length_encode_config_selectorIsjNS0_4plusIjEEEEZZNS1_33reduce_by_key_impl_wrapped_configILNS1_25lookback_scan_determinismE0ES3_S7_PKsNS0_17constant_iteratorIjlEEPsPlSF_S6_NS0_8equal_toIsEEEE10hipError_tPvRmT2_T3_mT4_T5_T6_T7_T8_P12ihipStream_tbENKUlT_T0_E_clISt17integral_constantIbLb0EESY_IbLb1EEEEDaSU_SV_EUlSU_E_NS1_11comp_targetILNS1_3genE2ELNS1_11target_archE906ELNS1_3gpuE6ELNS1_3repE0EEENS1_30default_config_static_selectorELNS0_4arch9wavefront6targetE0EEEvT1_, .Lfunc_end611-_ZN7rocprim17ROCPRIM_400000_NS6detail17trampoline_kernelINS0_14default_configENS1_33run_length_encode_config_selectorIsjNS0_4plusIjEEEEZZNS1_33reduce_by_key_impl_wrapped_configILNS1_25lookback_scan_determinismE0ES3_S7_PKsNS0_17constant_iteratorIjlEEPsPlSF_S6_NS0_8equal_toIsEEEE10hipError_tPvRmT2_T3_mT4_T5_T6_T7_T8_P12ihipStream_tbENKUlT_T0_E_clISt17integral_constantIbLb0EESY_IbLb1EEEEDaSU_SV_EUlSU_E_NS1_11comp_targetILNS1_3genE2ELNS1_11target_archE906ELNS1_3gpuE6ELNS1_3repE0EEENS1_30default_config_static_selectorELNS0_4arch9wavefront6targetE0EEEvT1_
                                        ; -- End function
	.set _ZN7rocprim17ROCPRIM_400000_NS6detail17trampoline_kernelINS0_14default_configENS1_33run_length_encode_config_selectorIsjNS0_4plusIjEEEEZZNS1_33reduce_by_key_impl_wrapped_configILNS1_25lookback_scan_determinismE0ES3_S7_PKsNS0_17constant_iteratorIjlEEPsPlSF_S6_NS0_8equal_toIsEEEE10hipError_tPvRmT2_T3_mT4_T5_T6_T7_T8_P12ihipStream_tbENKUlT_T0_E_clISt17integral_constantIbLb0EESY_IbLb1EEEEDaSU_SV_EUlSU_E_NS1_11comp_targetILNS1_3genE2ELNS1_11target_archE906ELNS1_3gpuE6ELNS1_3repE0EEENS1_30default_config_static_selectorELNS0_4arch9wavefront6targetE0EEEvT1_.num_vgpr, 0
	.set _ZN7rocprim17ROCPRIM_400000_NS6detail17trampoline_kernelINS0_14default_configENS1_33run_length_encode_config_selectorIsjNS0_4plusIjEEEEZZNS1_33reduce_by_key_impl_wrapped_configILNS1_25lookback_scan_determinismE0ES3_S7_PKsNS0_17constant_iteratorIjlEEPsPlSF_S6_NS0_8equal_toIsEEEE10hipError_tPvRmT2_T3_mT4_T5_T6_T7_T8_P12ihipStream_tbENKUlT_T0_E_clISt17integral_constantIbLb0EESY_IbLb1EEEEDaSU_SV_EUlSU_E_NS1_11comp_targetILNS1_3genE2ELNS1_11target_archE906ELNS1_3gpuE6ELNS1_3repE0EEENS1_30default_config_static_selectorELNS0_4arch9wavefront6targetE0EEEvT1_.num_agpr, 0
	.set _ZN7rocprim17ROCPRIM_400000_NS6detail17trampoline_kernelINS0_14default_configENS1_33run_length_encode_config_selectorIsjNS0_4plusIjEEEEZZNS1_33reduce_by_key_impl_wrapped_configILNS1_25lookback_scan_determinismE0ES3_S7_PKsNS0_17constant_iteratorIjlEEPsPlSF_S6_NS0_8equal_toIsEEEE10hipError_tPvRmT2_T3_mT4_T5_T6_T7_T8_P12ihipStream_tbENKUlT_T0_E_clISt17integral_constantIbLb0EESY_IbLb1EEEEDaSU_SV_EUlSU_E_NS1_11comp_targetILNS1_3genE2ELNS1_11target_archE906ELNS1_3gpuE6ELNS1_3repE0EEENS1_30default_config_static_selectorELNS0_4arch9wavefront6targetE0EEEvT1_.numbered_sgpr, 0
	.set _ZN7rocprim17ROCPRIM_400000_NS6detail17trampoline_kernelINS0_14default_configENS1_33run_length_encode_config_selectorIsjNS0_4plusIjEEEEZZNS1_33reduce_by_key_impl_wrapped_configILNS1_25lookback_scan_determinismE0ES3_S7_PKsNS0_17constant_iteratorIjlEEPsPlSF_S6_NS0_8equal_toIsEEEE10hipError_tPvRmT2_T3_mT4_T5_T6_T7_T8_P12ihipStream_tbENKUlT_T0_E_clISt17integral_constantIbLb0EESY_IbLb1EEEEDaSU_SV_EUlSU_E_NS1_11comp_targetILNS1_3genE2ELNS1_11target_archE906ELNS1_3gpuE6ELNS1_3repE0EEENS1_30default_config_static_selectorELNS0_4arch9wavefront6targetE0EEEvT1_.num_named_barrier, 0
	.set _ZN7rocprim17ROCPRIM_400000_NS6detail17trampoline_kernelINS0_14default_configENS1_33run_length_encode_config_selectorIsjNS0_4plusIjEEEEZZNS1_33reduce_by_key_impl_wrapped_configILNS1_25lookback_scan_determinismE0ES3_S7_PKsNS0_17constant_iteratorIjlEEPsPlSF_S6_NS0_8equal_toIsEEEE10hipError_tPvRmT2_T3_mT4_T5_T6_T7_T8_P12ihipStream_tbENKUlT_T0_E_clISt17integral_constantIbLb0EESY_IbLb1EEEEDaSU_SV_EUlSU_E_NS1_11comp_targetILNS1_3genE2ELNS1_11target_archE906ELNS1_3gpuE6ELNS1_3repE0EEENS1_30default_config_static_selectorELNS0_4arch9wavefront6targetE0EEEvT1_.private_seg_size, 0
	.set _ZN7rocprim17ROCPRIM_400000_NS6detail17trampoline_kernelINS0_14default_configENS1_33run_length_encode_config_selectorIsjNS0_4plusIjEEEEZZNS1_33reduce_by_key_impl_wrapped_configILNS1_25lookback_scan_determinismE0ES3_S7_PKsNS0_17constant_iteratorIjlEEPsPlSF_S6_NS0_8equal_toIsEEEE10hipError_tPvRmT2_T3_mT4_T5_T6_T7_T8_P12ihipStream_tbENKUlT_T0_E_clISt17integral_constantIbLb0EESY_IbLb1EEEEDaSU_SV_EUlSU_E_NS1_11comp_targetILNS1_3genE2ELNS1_11target_archE906ELNS1_3gpuE6ELNS1_3repE0EEENS1_30default_config_static_selectorELNS0_4arch9wavefront6targetE0EEEvT1_.uses_vcc, 0
	.set _ZN7rocprim17ROCPRIM_400000_NS6detail17trampoline_kernelINS0_14default_configENS1_33run_length_encode_config_selectorIsjNS0_4plusIjEEEEZZNS1_33reduce_by_key_impl_wrapped_configILNS1_25lookback_scan_determinismE0ES3_S7_PKsNS0_17constant_iteratorIjlEEPsPlSF_S6_NS0_8equal_toIsEEEE10hipError_tPvRmT2_T3_mT4_T5_T6_T7_T8_P12ihipStream_tbENKUlT_T0_E_clISt17integral_constantIbLb0EESY_IbLb1EEEEDaSU_SV_EUlSU_E_NS1_11comp_targetILNS1_3genE2ELNS1_11target_archE906ELNS1_3gpuE6ELNS1_3repE0EEENS1_30default_config_static_selectorELNS0_4arch9wavefront6targetE0EEEvT1_.uses_flat_scratch, 0
	.set _ZN7rocprim17ROCPRIM_400000_NS6detail17trampoline_kernelINS0_14default_configENS1_33run_length_encode_config_selectorIsjNS0_4plusIjEEEEZZNS1_33reduce_by_key_impl_wrapped_configILNS1_25lookback_scan_determinismE0ES3_S7_PKsNS0_17constant_iteratorIjlEEPsPlSF_S6_NS0_8equal_toIsEEEE10hipError_tPvRmT2_T3_mT4_T5_T6_T7_T8_P12ihipStream_tbENKUlT_T0_E_clISt17integral_constantIbLb0EESY_IbLb1EEEEDaSU_SV_EUlSU_E_NS1_11comp_targetILNS1_3genE2ELNS1_11target_archE906ELNS1_3gpuE6ELNS1_3repE0EEENS1_30default_config_static_selectorELNS0_4arch9wavefront6targetE0EEEvT1_.has_dyn_sized_stack, 0
	.set _ZN7rocprim17ROCPRIM_400000_NS6detail17trampoline_kernelINS0_14default_configENS1_33run_length_encode_config_selectorIsjNS0_4plusIjEEEEZZNS1_33reduce_by_key_impl_wrapped_configILNS1_25lookback_scan_determinismE0ES3_S7_PKsNS0_17constant_iteratorIjlEEPsPlSF_S6_NS0_8equal_toIsEEEE10hipError_tPvRmT2_T3_mT4_T5_T6_T7_T8_P12ihipStream_tbENKUlT_T0_E_clISt17integral_constantIbLb0EESY_IbLb1EEEEDaSU_SV_EUlSU_E_NS1_11comp_targetILNS1_3genE2ELNS1_11target_archE906ELNS1_3gpuE6ELNS1_3repE0EEENS1_30default_config_static_selectorELNS0_4arch9wavefront6targetE0EEEvT1_.has_recursion, 0
	.set _ZN7rocprim17ROCPRIM_400000_NS6detail17trampoline_kernelINS0_14default_configENS1_33run_length_encode_config_selectorIsjNS0_4plusIjEEEEZZNS1_33reduce_by_key_impl_wrapped_configILNS1_25lookback_scan_determinismE0ES3_S7_PKsNS0_17constant_iteratorIjlEEPsPlSF_S6_NS0_8equal_toIsEEEE10hipError_tPvRmT2_T3_mT4_T5_T6_T7_T8_P12ihipStream_tbENKUlT_T0_E_clISt17integral_constantIbLb0EESY_IbLb1EEEEDaSU_SV_EUlSU_E_NS1_11comp_targetILNS1_3genE2ELNS1_11target_archE906ELNS1_3gpuE6ELNS1_3repE0EEENS1_30default_config_static_selectorELNS0_4arch9wavefront6targetE0EEEvT1_.has_indirect_call, 0
	.section	.AMDGPU.csdata,"",@progbits
; Kernel info:
; codeLenInByte = 0
; TotalNumSgprs: 0
; NumVgprs: 0
; ScratchSize: 0
; MemoryBound: 0
; FloatMode: 240
; IeeeMode: 1
; LDSByteSize: 0 bytes/workgroup (compile time only)
; SGPRBlocks: 0
; VGPRBlocks: 0
; NumSGPRsForWavesPerEU: 1
; NumVGPRsForWavesPerEU: 1
; NamedBarCnt: 0
; Occupancy: 16
; WaveLimiterHint : 0
; COMPUTE_PGM_RSRC2:SCRATCH_EN: 0
; COMPUTE_PGM_RSRC2:USER_SGPR: 2
; COMPUTE_PGM_RSRC2:TRAP_HANDLER: 0
; COMPUTE_PGM_RSRC2:TGID_X_EN: 1
; COMPUTE_PGM_RSRC2:TGID_Y_EN: 0
; COMPUTE_PGM_RSRC2:TGID_Z_EN: 0
; COMPUTE_PGM_RSRC2:TIDIG_COMP_CNT: 0
	.section	.text._ZN7rocprim17ROCPRIM_400000_NS6detail17trampoline_kernelINS0_14default_configENS1_33run_length_encode_config_selectorIsjNS0_4plusIjEEEEZZNS1_33reduce_by_key_impl_wrapped_configILNS1_25lookback_scan_determinismE0ES3_S7_PKsNS0_17constant_iteratorIjlEEPsPlSF_S6_NS0_8equal_toIsEEEE10hipError_tPvRmT2_T3_mT4_T5_T6_T7_T8_P12ihipStream_tbENKUlT_T0_E_clISt17integral_constantIbLb0EESY_IbLb1EEEEDaSU_SV_EUlSU_E_NS1_11comp_targetILNS1_3genE10ELNS1_11target_archE1201ELNS1_3gpuE5ELNS1_3repE0EEENS1_30default_config_static_selectorELNS0_4arch9wavefront6targetE0EEEvT1_,"axG",@progbits,_ZN7rocprim17ROCPRIM_400000_NS6detail17trampoline_kernelINS0_14default_configENS1_33run_length_encode_config_selectorIsjNS0_4plusIjEEEEZZNS1_33reduce_by_key_impl_wrapped_configILNS1_25lookback_scan_determinismE0ES3_S7_PKsNS0_17constant_iteratorIjlEEPsPlSF_S6_NS0_8equal_toIsEEEE10hipError_tPvRmT2_T3_mT4_T5_T6_T7_T8_P12ihipStream_tbENKUlT_T0_E_clISt17integral_constantIbLb0EESY_IbLb1EEEEDaSU_SV_EUlSU_E_NS1_11comp_targetILNS1_3genE10ELNS1_11target_archE1201ELNS1_3gpuE5ELNS1_3repE0EEENS1_30default_config_static_selectorELNS0_4arch9wavefront6targetE0EEEvT1_,comdat
	.protected	_ZN7rocprim17ROCPRIM_400000_NS6detail17trampoline_kernelINS0_14default_configENS1_33run_length_encode_config_selectorIsjNS0_4plusIjEEEEZZNS1_33reduce_by_key_impl_wrapped_configILNS1_25lookback_scan_determinismE0ES3_S7_PKsNS0_17constant_iteratorIjlEEPsPlSF_S6_NS0_8equal_toIsEEEE10hipError_tPvRmT2_T3_mT4_T5_T6_T7_T8_P12ihipStream_tbENKUlT_T0_E_clISt17integral_constantIbLb0EESY_IbLb1EEEEDaSU_SV_EUlSU_E_NS1_11comp_targetILNS1_3genE10ELNS1_11target_archE1201ELNS1_3gpuE5ELNS1_3repE0EEENS1_30default_config_static_selectorELNS0_4arch9wavefront6targetE0EEEvT1_ ; -- Begin function _ZN7rocprim17ROCPRIM_400000_NS6detail17trampoline_kernelINS0_14default_configENS1_33run_length_encode_config_selectorIsjNS0_4plusIjEEEEZZNS1_33reduce_by_key_impl_wrapped_configILNS1_25lookback_scan_determinismE0ES3_S7_PKsNS0_17constant_iteratorIjlEEPsPlSF_S6_NS0_8equal_toIsEEEE10hipError_tPvRmT2_T3_mT4_T5_T6_T7_T8_P12ihipStream_tbENKUlT_T0_E_clISt17integral_constantIbLb0EESY_IbLb1EEEEDaSU_SV_EUlSU_E_NS1_11comp_targetILNS1_3genE10ELNS1_11target_archE1201ELNS1_3gpuE5ELNS1_3repE0EEENS1_30default_config_static_selectorELNS0_4arch9wavefront6targetE0EEEvT1_
	.globl	_ZN7rocprim17ROCPRIM_400000_NS6detail17trampoline_kernelINS0_14default_configENS1_33run_length_encode_config_selectorIsjNS0_4plusIjEEEEZZNS1_33reduce_by_key_impl_wrapped_configILNS1_25lookback_scan_determinismE0ES3_S7_PKsNS0_17constant_iteratorIjlEEPsPlSF_S6_NS0_8equal_toIsEEEE10hipError_tPvRmT2_T3_mT4_T5_T6_T7_T8_P12ihipStream_tbENKUlT_T0_E_clISt17integral_constantIbLb0EESY_IbLb1EEEEDaSU_SV_EUlSU_E_NS1_11comp_targetILNS1_3genE10ELNS1_11target_archE1201ELNS1_3gpuE5ELNS1_3repE0EEENS1_30default_config_static_selectorELNS0_4arch9wavefront6targetE0EEEvT1_
	.p2align	8
	.type	_ZN7rocprim17ROCPRIM_400000_NS6detail17trampoline_kernelINS0_14default_configENS1_33run_length_encode_config_selectorIsjNS0_4plusIjEEEEZZNS1_33reduce_by_key_impl_wrapped_configILNS1_25lookback_scan_determinismE0ES3_S7_PKsNS0_17constant_iteratorIjlEEPsPlSF_S6_NS0_8equal_toIsEEEE10hipError_tPvRmT2_T3_mT4_T5_T6_T7_T8_P12ihipStream_tbENKUlT_T0_E_clISt17integral_constantIbLb0EESY_IbLb1EEEEDaSU_SV_EUlSU_E_NS1_11comp_targetILNS1_3genE10ELNS1_11target_archE1201ELNS1_3gpuE5ELNS1_3repE0EEENS1_30default_config_static_selectorELNS0_4arch9wavefront6targetE0EEEvT1_,@function
_ZN7rocprim17ROCPRIM_400000_NS6detail17trampoline_kernelINS0_14default_configENS1_33run_length_encode_config_selectorIsjNS0_4plusIjEEEEZZNS1_33reduce_by_key_impl_wrapped_configILNS1_25lookback_scan_determinismE0ES3_S7_PKsNS0_17constant_iteratorIjlEEPsPlSF_S6_NS0_8equal_toIsEEEE10hipError_tPvRmT2_T3_mT4_T5_T6_T7_T8_P12ihipStream_tbENKUlT_T0_E_clISt17integral_constantIbLb0EESY_IbLb1EEEEDaSU_SV_EUlSU_E_NS1_11comp_targetILNS1_3genE10ELNS1_11target_archE1201ELNS1_3gpuE5ELNS1_3repE0EEENS1_30default_config_static_selectorELNS0_4arch9wavefront6targetE0EEEvT1_: ; @_ZN7rocprim17ROCPRIM_400000_NS6detail17trampoline_kernelINS0_14default_configENS1_33run_length_encode_config_selectorIsjNS0_4plusIjEEEEZZNS1_33reduce_by_key_impl_wrapped_configILNS1_25lookback_scan_determinismE0ES3_S7_PKsNS0_17constant_iteratorIjlEEPsPlSF_S6_NS0_8equal_toIsEEEE10hipError_tPvRmT2_T3_mT4_T5_T6_T7_T8_P12ihipStream_tbENKUlT_T0_E_clISt17integral_constantIbLb0EESY_IbLb1EEEEDaSU_SV_EUlSU_E_NS1_11comp_targetILNS1_3genE10ELNS1_11target_archE1201ELNS1_3gpuE5ELNS1_3repE0EEENS1_30default_config_static_selectorELNS0_4arch9wavefront6targetE0EEEvT1_
; %bb.0:
	.section	.rodata,"a",@progbits
	.p2align	6, 0x0
	.amdhsa_kernel _ZN7rocprim17ROCPRIM_400000_NS6detail17trampoline_kernelINS0_14default_configENS1_33run_length_encode_config_selectorIsjNS0_4plusIjEEEEZZNS1_33reduce_by_key_impl_wrapped_configILNS1_25lookback_scan_determinismE0ES3_S7_PKsNS0_17constant_iteratorIjlEEPsPlSF_S6_NS0_8equal_toIsEEEE10hipError_tPvRmT2_T3_mT4_T5_T6_T7_T8_P12ihipStream_tbENKUlT_T0_E_clISt17integral_constantIbLb0EESY_IbLb1EEEEDaSU_SV_EUlSU_E_NS1_11comp_targetILNS1_3genE10ELNS1_11target_archE1201ELNS1_3gpuE5ELNS1_3repE0EEENS1_30default_config_static_selectorELNS0_4arch9wavefront6targetE0EEEvT1_
		.amdhsa_group_segment_fixed_size 0
		.amdhsa_private_segment_fixed_size 0
		.amdhsa_kernarg_size 128
		.amdhsa_user_sgpr_count 2
		.amdhsa_user_sgpr_dispatch_ptr 0
		.amdhsa_user_sgpr_queue_ptr 0
		.amdhsa_user_sgpr_kernarg_segment_ptr 1
		.amdhsa_user_sgpr_dispatch_id 0
		.amdhsa_user_sgpr_kernarg_preload_length 0
		.amdhsa_user_sgpr_kernarg_preload_offset 0
		.amdhsa_user_sgpr_private_segment_size 0
		.amdhsa_wavefront_size32 1
		.amdhsa_uses_dynamic_stack 0
		.amdhsa_enable_private_segment 0
		.amdhsa_system_sgpr_workgroup_id_x 1
		.amdhsa_system_sgpr_workgroup_id_y 0
		.amdhsa_system_sgpr_workgroup_id_z 0
		.amdhsa_system_sgpr_workgroup_info 0
		.amdhsa_system_vgpr_workitem_id 0
		.amdhsa_next_free_vgpr 1
		.amdhsa_next_free_sgpr 1
		.amdhsa_named_barrier_count 0
		.amdhsa_reserve_vcc 0
		.amdhsa_float_round_mode_32 0
		.amdhsa_float_round_mode_16_64 0
		.amdhsa_float_denorm_mode_32 3
		.amdhsa_float_denorm_mode_16_64 3
		.amdhsa_fp16_overflow 0
		.amdhsa_memory_ordered 1
		.amdhsa_forward_progress 1
		.amdhsa_inst_pref_size 0
		.amdhsa_round_robin_scheduling 0
		.amdhsa_exception_fp_ieee_invalid_op 0
		.amdhsa_exception_fp_denorm_src 0
		.amdhsa_exception_fp_ieee_div_zero 0
		.amdhsa_exception_fp_ieee_overflow 0
		.amdhsa_exception_fp_ieee_underflow 0
		.amdhsa_exception_fp_ieee_inexact 0
		.amdhsa_exception_int_div_zero 0
	.end_amdhsa_kernel
	.section	.text._ZN7rocprim17ROCPRIM_400000_NS6detail17trampoline_kernelINS0_14default_configENS1_33run_length_encode_config_selectorIsjNS0_4plusIjEEEEZZNS1_33reduce_by_key_impl_wrapped_configILNS1_25lookback_scan_determinismE0ES3_S7_PKsNS0_17constant_iteratorIjlEEPsPlSF_S6_NS0_8equal_toIsEEEE10hipError_tPvRmT2_T3_mT4_T5_T6_T7_T8_P12ihipStream_tbENKUlT_T0_E_clISt17integral_constantIbLb0EESY_IbLb1EEEEDaSU_SV_EUlSU_E_NS1_11comp_targetILNS1_3genE10ELNS1_11target_archE1201ELNS1_3gpuE5ELNS1_3repE0EEENS1_30default_config_static_selectorELNS0_4arch9wavefront6targetE0EEEvT1_,"axG",@progbits,_ZN7rocprim17ROCPRIM_400000_NS6detail17trampoline_kernelINS0_14default_configENS1_33run_length_encode_config_selectorIsjNS0_4plusIjEEEEZZNS1_33reduce_by_key_impl_wrapped_configILNS1_25lookback_scan_determinismE0ES3_S7_PKsNS0_17constant_iteratorIjlEEPsPlSF_S6_NS0_8equal_toIsEEEE10hipError_tPvRmT2_T3_mT4_T5_T6_T7_T8_P12ihipStream_tbENKUlT_T0_E_clISt17integral_constantIbLb0EESY_IbLb1EEEEDaSU_SV_EUlSU_E_NS1_11comp_targetILNS1_3genE10ELNS1_11target_archE1201ELNS1_3gpuE5ELNS1_3repE0EEENS1_30default_config_static_selectorELNS0_4arch9wavefront6targetE0EEEvT1_,comdat
.Lfunc_end612:
	.size	_ZN7rocprim17ROCPRIM_400000_NS6detail17trampoline_kernelINS0_14default_configENS1_33run_length_encode_config_selectorIsjNS0_4plusIjEEEEZZNS1_33reduce_by_key_impl_wrapped_configILNS1_25lookback_scan_determinismE0ES3_S7_PKsNS0_17constant_iteratorIjlEEPsPlSF_S6_NS0_8equal_toIsEEEE10hipError_tPvRmT2_T3_mT4_T5_T6_T7_T8_P12ihipStream_tbENKUlT_T0_E_clISt17integral_constantIbLb0EESY_IbLb1EEEEDaSU_SV_EUlSU_E_NS1_11comp_targetILNS1_3genE10ELNS1_11target_archE1201ELNS1_3gpuE5ELNS1_3repE0EEENS1_30default_config_static_selectorELNS0_4arch9wavefront6targetE0EEEvT1_, .Lfunc_end612-_ZN7rocprim17ROCPRIM_400000_NS6detail17trampoline_kernelINS0_14default_configENS1_33run_length_encode_config_selectorIsjNS0_4plusIjEEEEZZNS1_33reduce_by_key_impl_wrapped_configILNS1_25lookback_scan_determinismE0ES3_S7_PKsNS0_17constant_iteratorIjlEEPsPlSF_S6_NS0_8equal_toIsEEEE10hipError_tPvRmT2_T3_mT4_T5_T6_T7_T8_P12ihipStream_tbENKUlT_T0_E_clISt17integral_constantIbLb0EESY_IbLb1EEEEDaSU_SV_EUlSU_E_NS1_11comp_targetILNS1_3genE10ELNS1_11target_archE1201ELNS1_3gpuE5ELNS1_3repE0EEENS1_30default_config_static_selectorELNS0_4arch9wavefront6targetE0EEEvT1_
                                        ; -- End function
	.set _ZN7rocprim17ROCPRIM_400000_NS6detail17trampoline_kernelINS0_14default_configENS1_33run_length_encode_config_selectorIsjNS0_4plusIjEEEEZZNS1_33reduce_by_key_impl_wrapped_configILNS1_25lookback_scan_determinismE0ES3_S7_PKsNS0_17constant_iteratorIjlEEPsPlSF_S6_NS0_8equal_toIsEEEE10hipError_tPvRmT2_T3_mT4_T5_T6_T7_T8_P12ihipStream_tbENKUlT_T0_E_clISt17integral_constantIbLb0EESY_IbLb1EEEEDaSU_SV_EUlSU_E_NS1_11comp_targetILNS1_3genE10ELNS1_11target_archE1201ELNS1_3gpuE5ELNS1_3repE0EEENS1_30default_config_static_selectorELNS0_4arch9wavefront6targetE0EEEvT1_.num_vgpr, 0
	.set _ZN7rocprim17ROCPRIM_400000_NS6detail17trampoline_kernelINS0_14default_configENS1_33run_length_encode_config_selectorIsjNS0_4plusIjEEEEZZNS1_33reduce_by_key_impl_wrapped_configILNS1_25lookback_scan_determinismE0ES3_S7_PKsNS0_17constant_iteratorIjlEEPsPlSF_S6_NS0_8equal_toIsEEEE10hipError_tPvRmT2_T3_mT4_T5_T6_T7_T8_P12ihipStream_tbENKUlT_T0_E_clISt17integral_constantIbLb0EESY_IbLb1EEEEDaSU_SV_EUlSU_E_NS1_11comp_targetILNS1_3genE10ELNS1_11target_archE1201ELNS1_3gpuE5ELNS1_3repE0EEENS1_30default_config_static_selectorELNS0_4arch9wavefront6targetE0EEEvT1_.num_agpr, 0
	.set _ZN7rocprim17ROCPRIM_400000_NS6detail17trampoline_kernelINS0_14default_configENS1_33run_length_encode_config_selectorIsjNS0_4plusIjEEEEZZNS1_33reduce_by_key_impl_wrapped_configILNS1_25lookback_scan_determinismE0ES3_S7_PKsNS0_17constant_iteratorIjlEEPsPlSF_S6_NS0_8equal_toIsEEEE10hipError_tPvRmT2_T3_mT4_T5_T6_T7_T8_P12ihipStream_tbENKUlT_T0_E_clISt17integral_constantIbLb0EESY_IbLb1EEEEDaSU_SV_EUlSU_E_NS1_11comp_targetILNS1_3genE10ELNS1_11target_archE1201ELNS1_3gpuE5ELNS1_3repE0EEENS1_30default_config_static_selectorELNS0_4arch9wavefront6targetE0EEEvT1_.numbered_sgpr, 0
	.set _ZN7rocprim17ROCPRIM_400000_NS6detail17trampoline_kernelINS0_14default_configENS1_33run_length_encode_config_selectorIsjNS0_4plusIjEEEEZZNS1_33reduce_by_key_impl_wrapped_configILNS1_25lookback_scan_determinismE0ES3_S7_PKsNS0_17constant_iteratorIjlEEPsPlSF_S6_NS0_8equal_toIsEEEE10hipError_tPvRmT2_T3_mT4_T5_T6_T7_T8_P12ihipStream_tbENKUlT_T0_E_clISt17integral_constantIbLb0EESY_IbLb1EEEEDaSU_SV_EUlSU_E_NS1_11comp_targetILNS1_3genE10ELNS1_11target_archE1201ELNS1_3gpuE5ELNS1_3repE0EEENS1_30default_config_static_selectorELNS0_4arch9wavefront6targetE0EEEvT1_.num_named_barrier, 0
	.set _ZN7rocprim17ROCPRIM_400000_NS6detail17trampoline_kernelINS0_14default_configENS1_33run_length_encode_config_selectorIsjNS0_4plusIjEEEEZZNS1_33reduce_by_key_impl_wrapped_configILNS1_25lookback_scan_determinismE0ES3_S7_PKsNS0_17constant_iteratorIjlEEPsPlSF_S6_NS0_8equal_toIsEEEE10hipError_tPvRmT2_T3_mT4_T5_T6_T7_T8_P12ihipStream_tbENKUlT_T0_E_clISt17integral_constantIbLb0EESY_IbLb1EEEEDaSU_SV_EUlSU_E_NS1_11comp_targetILNS1_3genE10ELNS1_11target_archE1201ELNS1_3gpuE5ELNS1_3repE0EEENS1_30default_config_static_selectorELNS0_4arch9wavefront6targetE0EEEvT1_.private_seg_size, 0
	.set _ZN7rocprim17ROCPRIM_400000_NS6detail17trampoline_kernelINS0_14default_configENS1_33run_length_encode_config_selectorIsjNS0_4plusIjEEEEZZNS1_33reduce_by_key_impl_wrapped_configILNS1_25lookback_scan_determinismE0ES3_S7_PKsNS0_17constant_iteratorIjlEEPsPlSF_S6_NS0_8equal_toIsEEEE10hipError_tPvRmT2_T3_mT4_T5_T6_T7_T8_P12ihipStream_tbENKUlT_T0_E_clISt17integral_constantIbLb0EESY_IbLb1EEEEDaSU_SV_EUlSU_E_NS1_11comp_targetILNS1_3genE10ELNS1_11target_archE1201ELNS1_3gpuE5ELNS1_3repE0EEENS1_30default_config_static_selectorELNS0_4arch9wavefront6targetE0EEEvT1_.uses_vcc, 0
	.set _ZN7rocprim17ROCPRIM_400000_NS6detail17trampoline_kernelINS0_14default_configENS1_33run_length_encode_config_selectorIsjNS0_4plusIjEEEEZZNS1_33reduce_by_key_impl_wrapped_configILNS1_25lookback_scan_determinismE0ES3_S7_PKsNS0_17constant_iteratorIjlEEPsPlSF_S6_NS0_8equal_toIsEEEE10hipError_tPvRmT2_T3_mT4_T5_T6_T7_T8_P12ihipStream_tbENKUlT_T0_E_clISt17integral_constantIbLb0EESY_IbLb1EEEEDaSU_SV_EUlSU_E_NS1_11comp_targetILNS1_3genE10ELNS1_11target_archE1201ELNS1_3gpuE5ELNS1_3repE0EEENS1_30default_config_static_selectorELNS0_4arch9wavefront6targetE0EEEvT1_.uses_flat_scratch, 0
	.set _ZN7rocprim17ROCPRIM_400000_NS6detail17trampoline_kernelINS0_14default_configENS1_33run_length_encode_config_selectorIsjNS0_4plusIjEEEEZZNS1_33reduce_by_key_impl_wrapped_configILNS1_25lookback_scan_determinismE0ES3_S7_PKsNS0_17constant_iteratorIjlEEPsPlSF_S6_NS0_8equal_toIsEEEE10hipError_tPvRmT2_T3_mT4_T5_T6_T7_T8_P12ihipStream_tbENKUlT_T0_E_clISt17integral_constantIbLb0EESY_IbLb1EEEEDaSU_SV_EUlSU_E_NS1_11comp_targetILNS1_3genE10ELNS1_11target_archE1201ELNS1_3gpuE5ELNS1_3repE0EEENS1_30default_config_static_selectorELNS0_4arch9wavefront6targetE0EEEvT1_.has_dyn_sized_stack, 0
	.set _ZN7rocprim17ROCPRIM_400000_NS6detail17trampoline_kernelINS0_14default_configENS1_33run_length_encode_config_selectorIsjNS0_4plusIjEEEEZZNS1_33reduce_by_key_impl_wrapped_configILNS1_25lookback_scan_determinismE0ES3_S7_PKsNS0_17constant_iteratorIjlEEPsPlSF_S6_NS0_8equal_toIsEEEE10hipError_tPvRmT2_T3_mT4_T5_T6_T7_T8_P12ihipStream_tbENKUlT_T0_E_clISt17integral_constantIbLb0EESY_IbLb1EEEEDaSU_SV_EUlSU_E_NS1_11comp_targetILNS1_3genE10ELNS1_11target_archE1201ELNS1_3gpuE5ELNS1_3repE0EEENS1_30default_config_static_selectorELNS0_4arch9wavefront6targetE0EEEvT1_.has_recursion, 0
	.set _ZN7rocprim17ROCPRIM_400000_NS6detail17trampoline_kernelINS0_14default_configENS1_33run_length_encode_config_selectorIsjNS0_4plusIjEEEEZZNS1_33reduce_by_key_impl_wrapped_configILNS1_25lookback_scan_determinismE0ES3_S7_PKsNS0_17constant_iteratorIjlEEPsPlSF_S6_NS0_8equal_toIsEEEE10hipError_tPvRmT2_T3_mT4_T5_T6_T7_T8_P12ihipStream_tbENKUlT_T0_E_clISt17integral_constantIbLb0EESY_IbLb1EEEEDaSU_SV_EUlSU_E_NS1_11comp_targetILNS1_3genE10ELNS1_11target_archE1201ELNS1_3gpuE5ELNS1_3repE0EEENS1_30default_config_static_selectorELNS0_4arch9wavefront6targetE0EEEvT1_.has_indirect_call, 0
	.section	.AMDGPU.csdata,"",@progbits
; Kernel info:
; codeLenInByte = 0
; TotalNumSgprs: 0
; NumVgprs: 0
; ScratchSize: 0
; MemoryBound: 0
; FloatMode: 240
; IeeeMode: 1
; LDSByteSize: 0 bytes/workgroup (compile time only)
; SGPRBlocks: 0
; VGPRBlocks: 0
; NumSGPRsForWavesPerEU: 1
; NumVGPRsForWavesPerEU: 1
; NamedBarCnt: 0
; Occupancy: 16
; WaveLimiterHint : 0
; COMPUTE_PGM_RSRC2:SCRATCH_EN: 0
; COMPUTE_PGM_RSRC2:USER_SGPR: 2
; COMPUTE_PGM_RSRC2:TRAP_HANDLER: 0
; COMPUTE_PGM_RSRC2:TGID_X_EN: 1
; COMPUTE_PGM_RSRC2:TGID_Y_EN: 0
; COMPUTE_PGM_RSRC2:TGID_Z_EN: 0
; COMPUTE_PGM_RSRC2:TIDIG_COMP_CNT: 0
	.section	.text._ZN7rocprim17ROCPRIM_400000_NS6detail17trampoline_kernelINS0_14default_configENS1_33run_length_encode_config_selectorIsjNS0_4plusIjEEEEZZNS1_33reduce_by_key_impl_wrapped_configILNS1_25lookback_scan_determinismE0ES3_S7_PKsNS0_17constant_iteratorIjlEEPsPlSF_S6_NS0_8equal_toIsEEEE10hipError_tPvRmT2_T3_mT4_T5_T6_T7_T8_P12ihipStream_tbENKUlT_T0_E_clISt17integral_constantIbLb0EESY_IbLb1EEEEDaSU_SV_EUlSU_E_NS1_11comp_targetILNS1_3genE10ELNS1_11target_archE1200ELNS1_3gpuE4ELNS1_3repE0EEENS1_30default_config_static_selectorELNS0_4arch9wavefront6targetE0EEEvT1_,"axG",@progbits,_ZN7rocprim17ROCPRIM_400000_NS6detail17trampoline_kernelINS0_14default_configENS1_33run_length_encode_config_selectorIsjNS0_4plusIjEEEEZZNS1_33reduce_by_key_impl_wrapped_configILNS1_25lookback_scan_determinismE0ES3_S7_PKsNS0_17constant_iteratorIjlEEPsPlSF_S6_NS0_8equal_toIsEEEE10hipError_tPvRmT2_T3_mT4_T5_T6_T7_T8_P12ihipStream_tbENKUlT_T0_E_clISt17integral_constantIbLb0EESY_IbLb1EEEEDaSU_SV_EUlSU_E_NS1_11comp_targetILNS1_3genE10ELNS1_11target_archE1200ELNS1_3gpuE4ELNS1_3repE0EEENS1_30default_config_static_selectorELNS0_4arch9wavefront6targetE0EEEvT1_,comdat
	.protected	_ZN7rocprim17ROCPRIM_400000_NS6detail17trampoline_kernelINS0_14default_configENS1_33run_length_encode_config_selectorIsjNS0_4plusIjEEEEZZNS1_33reduce_by_key_impl_wrapped_configILNS1_25lookback_scan_determinismE0ES3_S7_PKsNS0_17constant_iteratorIjlEEPsPlSF_S6_NS0_8equal_toIsEEEE10hipError_tPvRmT2_T3_mT4_T5_T6_T7_T8_P12ihipStream_tbENKUlT_T0_E_clISt17integral_constantIbLb0EESY_IbLb1EEEEDaSU_SV_EUlSU_E_NS1_11comp_targetILNS1_3genE10ELNS1_11target_archE1200ELNS1_3gpuE4ELNS1_3repE0EEENS1_30default_config_static_selectorELNS0_4arch9wavefront6targetE0EEEvT1_ ; -- Begin function _ZN7rocprim17ROCPRIM_400000_NS6detail17trampoline_kernelINS0_14default_configENS1_33run_length_encode_config_selectorIsjNS0_4plusIjEEEEZZNS1_33reduce_by_key_impl_wrapped_configILNS1_25lookback_scan_determinismE0ES3_S7_PKsNS0_17constant_iteratorIjlEEPsPlSF_S6_NS0_8equal_toIsEEEE10hipError_tPvRmT2_T3_mT4_T5_T6_T7_T8_P12ihipStream_tbENKUlT_T0_E_clISt17integral_constantIbLb0EESY_IbLb1EEEEDaSU_SV_EUlSU_E_NS1_11comp_targetILNS1_3genE10ELNS1_11target_archE1200ELNS1_3gpuE4ELNS1_3repE0EEENS1_30default_config_static_selectorELNS0_4arch9wavefront6targetE0EEEvT1_
	.globl	_ZN7rocprim17ROCPRIM_400000_NS6detail17trampoline_kernelINS0_14default_configENS1_33run_length_encode_config_selectorIsjNS0_4plusIjEEEEZZNS1_33reduce_by_key_impl_wrapped_configILNS1_25lookback_scan_determinismE0ES3_S7_PKsNS0_17constant_iteratorIjlEEPsPlSF_S6_NS0_8equal_toIsEEEE10hipError_tPvRmT2_T3_mT4_T5_T6_T7_T8_P12ihipStream_tbENKUlT_T0_E_clISt17integral_constantIbLb0EESY_IbLb1EEEEDaSU_SV_EUlSU_E_NS1_11comp_targetILNS1_3genE10ELNS1_11target_archE1200ELNS1_3gpuE4ELNS1_3repE0EEENS1_30default_config_static_selectorELNS0_4arch9wavefront6targetE0EEEvT1_
	.p2align	8
	.type	_ZN7rocprim17ROCPRIM_400000_NS6detail17trampoline_kernelINS0_14default_configENS1_33run_length_encode_config_selectorIsjNS0_4plusIjEEEEZZNS1_33reduce_by_key_impl_wrapped_configILNS1_25lookback_scan_determinismE0ES3_S7_PKsNS0_17constant_iteratorIjlEEPsPlSF_S6_NS0_8equal_toIsEEEE10hipError_tPvRmT2_T3_mT4_T5_T6_T7_T8_P12ihipStream_tbENKUlT_T0_E_clISt17integral_constantIbLb0EESY_IbLb1EEEEDaSU_SV_EUlSU_E_NS1_11comp_targetILNS1_3genE10ELNS1_11target_archE1200ELNS1_3gpuE4ELNS1_3repE0EEENS1_30default_config_static_selectorELNS0_4arch9wavefront6targetE0EEEvT1_,@function
_ZN7rocprim17ROCPRIM_400000_NS6detail17trampoline_kernelINS0_14default_configENS1_33run_length_encode_config_selectorIsjNS0_4plusIjEEEEZZNS1_33reduce_by_key_impl_wrapped_configILNS1_25lookback_scan_determinismE0ES3_S7_PKsNS0_17constant_iteratorIjlEEPsPlSF_S6_NS0_8equal_toIsEEEE10hipError_tPvRmT2_T3_mT4_T5_T6_T7_T8_P12ihipStream_tbENKUlT_T0_E_clISt17integral_constantIbLb0EESY_IbLb1EEEEDaSU_SV_EUlSU_E_NS1_11comp_targetILNS1_3genE10ELNS1_11target_archE1200ELNS1_3gpuE4ELNS1_3repE0EEENS1_30default_config_static_selectorELNS0_4arch9wavefront6targetE0EEEvT1_: ; @_ZN7rocprim17ROCPRIM_400000_NS6detail17trampoline_kernelINS0_14default_configENS1_33run_length_encode_config_selectorIsjNS0_4plusIjEEEEZZNS1_33reduce_by_key_impl_wrapped_configILNS1_25lookback_scan_determinismE0ES3_S7_PKsNS0_17constant_iteratorIjlEEPsPlSF_S6_NS0_8equal_toIsEEEE10hipError_tPvRmT2_T3_mT4_T5_T6_T7_T8_P12ihipStream_tbENKUlT_T0_E_clISt17integral_constantIbLb0EESY_IbLb1EEEEDaSU_SV_EUlSU_E_NS1_11comp_targetILNS1_3genE10ELNS1_11target_archE1200ELNS1_3gpuE4ELNS1_3repE0EEENS1_30default_config_static_selectorELNS0_4arch9wavefront6targetE0EEEvT1_
; %bb.0:
	.section	.rodata,"a",@progbits
	.p2align	6, 0x0
	.amdhsa_kernel _ZN7rocprim17ROCPRIM_400000_NS6detail17trampoline_kernelINS0_14default_configENS1_33run_length_encode_config_selectorIsjNS0_4plusIjEEEEZZNS1_33reduce_by_key_impl_wrapped_configILNS1_25lookback_scan_determinismE0ES3_S7_PKsNS0_17constant_iteratorIjlEEPsPlSF_S6_NS0_8equal_toIsEEEE10hipError_tPvRmT2_T3_mT4_T5_T6_T7_T8_P12ihipStream_tbENKUlT_T0_E_clISt17integral_constantIbLb0EESY_IbLb1EEEEDaSU_SV_EUlSU_E_NS1_11comp_targetILNS1_3genE10ELNS1_11target_archE1200ELNS1_3gpuE4ELNS1_3repE0EEENS1_30default_config_static_selectorELNS0_4arch9wavefront6targetE0EEEvT1_
		.amdhsa_group_segment_fixed_size 0
		.amdhsa_private_segment_fixed_size 0
		.amdhsa_kernarg_size 128
		.amdhsa_user_sgpr_count 2
		.amdhsa_user_sgpr_dispatch_ptr 0
		.amdhsa_user_sgpr_queue_ptr 0
		.amdhsa_user_sgpr_kernarg_segment_ptr 1
		.amdhsa_user_sgpr_dispatch_id 0
		.amdhsa_user_sgpr_kernarg_preload_length 0
		.amdhsa_user_sgpr_kernarg_preload_offset 0
		.amdhsa_user_sgpr_private_segment_size 0
		.amdhsa_wavefront_size32 1
		.amdhsa_uses_dynamic_stack 0
		.amdhsa_enable_private_segment 0
		.amdhsa_system_sgpr_workgroup_id_x 1
		.amdhsa_system_sgpr_workgroup_id_y 0
		.amdhsa_system_sgpr_workgroup_id_z 0
		.amdhsa_system_sgpr_workgroup_info 0
		.amdhsa_system_vgpr_workitem_id 0
		.amdhsa_next_free_vgpr 1
		.amdhsa_next_free_sgpr 1
		.amdhsa_named_barrier_count 0
		.amdhsa_reserve_vcc 0
		.amdhsa_float_round_mode_32 0
		.amdhsa_float_round_mode_16_64 0
		.amdhsa_float_denorm_mode_32 3
		.amdhsa_float_denorm_mode_16_64 3
		.amdhsa_fp16_overflow 0
		.amdhsa_memory_ordered 1
		.amdhsa_forward_progress 1
		.amdhsa_inst_pref_size 0
		.amdhsa_round_robin_scheduling 0
		.amdhsa_exception_fp_ieee_invalid_op 0
		.amdhsa_exception_fp_denorm_src 0
		.amdhsa_exception_fp_ieee_div_zero 0
		.amdhsa_exception_fp_ieee_overflow 0
		.amdhsa_exception_fp_ieee_underflow 0
		.amdhsa_exception_fp_ieee_inexact 0
		.amdhsa_exception_int_div_zero 0
	.end_amdhsa_kernel
	.section	.text._ZN7rocprim17ROCPRIM_400000_NS6detail17trampoline_kernelINS0_14default_configENS1_33run_length_encode_config_selectorIsjNS0_4plusIjEEEEZZNS1_33reduce_by_key_impl_wrapped_configILNS1_25lookback_scan_determinismE0ES3_S7_PKsNS0_17constant_iteratorIjlEEPsPlSF_S6_NS0_8equal_toIsEEEE10hipError_tPvRmT2_T3_mT4_T5_T6_T7_T8_P12ihipStream_tbENKUlT_T0_E_clISt17integral_constantIbLb0EESY_IbLb1EEEEDaSU_SV_EUlSU_E_NS1_11comp_targetILNS1_3genE10ELNS1_11target_archE1200ELNS1_3gpuE4ELNS1_3repE0EEENS1_30default_config_static_selectorELNS0_4arch9wavefront6targetE0EEEvT1_,"axG",@progbits,_ZN7rocprim17ROCPRIM_400000_NS6detail17trampoline_kernelINS0_14default_configENS1_33run_length_encode_config_selectorIsjNS0_4plusIjEEEEZZNS1_33reduce_by_key_impl_wrapped_configILNS1_25lookback_scan_determinismE0ES3_S7_PKsNS0_17constant_iteratorIjlEEPsPlSF_S6_NS0_8equal_toIsEEEE10hipError_tPvRmT2_T3_mT4_T5_T6_T7_T8_P12ihipStream_tbENKUlT_T0_E_clISt17integral_constantIbLb0EESY_IbLb1EEEEDaSU_SV_EUlSU_E_NS1_11comp_targetILNS1_3genE10ELNS1_11target_archE1200ELNS1_3gpuE4ELNS1_3repE0EEENS1_30default_config_static_selectorELNS0_4arch9wavefront6targetE0EEEvT1_,comdat
.Lfunc_end613:
	.size	_ZN7rocprim17ROCPRIM_400000_NS6detail17trampoline_kernelINS0_14default_configENS1_33run_length_encode_config_selectorIsjNS0_4plusIjEEEEZZNS1_33reduce_by_key_impl_wrapped_configILNS1_25lookback_scan_determinismE0ES3_S7_PKsNS0_17constant_iteratorIjlEEPsPlSF_S6_NS0_8equal_toIsEEEE10hipError_tPvRmT2_T3_mT4_T5_T6_T7_T8_P12ihipStream_tbENKUlT_T0_E_clISt17integral_constantIbLb0EESY_IbLb1EEEEDaSU_SV_EUlSU_E_NS1_11comp_targetILNS1_3genE10ELNS1_11target_archE1200ELNS1_3gpuE4ELNS1_3repE0EEENS1_30default_config_static_selectorELNS0_4arch9wavefront6targetE0EEEvT1_, .Lfunc_end613-_ZN7rocprim17ROCPRIM_400000_NS6detail17trampoline_kernelINS0_14default_configENS1_33run_length_encode_config_selectorIsjNS0_4plusIjEEEEZZNS1_33reduce_by_key_impl_wrapped_configILNS1_25lookback_scan_determinismE0ES3_S7_PKsNS0_17constant_iteratorIjlEEPsPlSF_S6_NS0_8equal_toIsEEEE10hipError_tPvRmT2_T3_mT4_T5_T6_T7_T8_P12ihipStream_tbENKUlT_T0_E_clISt17integral_constantIbLb0EESY_IbLb1EEEEDaSU_SV_EUlSU_E_NS1_11comp_targetILNS1_3genE10ELNS1_11target_archE1200ELNS1_3gpuE4ELNS1_3repE0EEENS1_30default_config_static_selectorELNS0_4arch9wavefront6targetE0EEEvT1_
                                        ; -- End function
	.set _ZN7rocprim17ROCPRIM_400000_NS6detail17trampoline_kernelINS0_14default_configENS1_33run_length_encode_config_selectorIsjNS0_4plusIjEEEEZZNS1_33reduce_by_key_impl_wrapped_configILNS1_25lookback_scan_determinismE0ES3_S7_PKsNS0_17constant_iteratorIjlEEPsPlSF_S6_NS0_8equal_toIsEEEE10hipError_tPvRmT2_T3_mT4_T5_T6_T7_T8_P12ihipStream_tbENKUlT_T0_E_clISt17integral_constantIbLb0EESY_IbLb1EEEEDaSU_SV_EUlSU_E_NS1_11comp_targetILNS1_3genE10ELNS1_11target_archE1200ELNS1_3gpuE4ELNS1_3repE0EEENS1_30default_config_static_selectorELNS0_4arch9wavefront6targetE0EEEvT1_.num_vgpr, 0
	.set _ZN7rocprim17ROCPRIM_400000_NS6detail17trampoline_kernelINS0_14default_configENS1_33run_length_encode_config_selectorIsjNS0_4plusIjEEEEZZNS1_33reduce_by_key_impl_wrapped_configILNS1_25lookback_scan_determinismE0ES3_S7_PKsNS0_17constant_iteratorIjlEEPsPlSF_S6_NS0_8equal_toIsEEEE10hipError_tPvRmT2_T3_mT4_T5_T6_T7_T8_P12ihipStream_tbENKUlT_T0_E_clISt17integral_constantIbLb0EESY_IbLb1EEEEDaSU_SV_EUlSU_E_NS1_11comp_targetILNS1_3genE10ELNS1_11target_archE1200ELNS1_3gpuE4ELNS1_3repE0EEENS1_30default_config_static_selectorELNS0_4arch9wavefront6targetE0EEEvT1_.num_agpr, 0
	.set _ZN7rocprim17ROCPRIM_400000_NS6detail17trampoline_kernelINS0_14default_configENS1_33run_length_encode_config_selectorIsjNS0_4plusIjEEEEZZNS1_33reduce_by_key_impl_wrapped_configILNS1_25lookback_scan_determinismE0ES3_S7_PKsNS0_17constant_iteratorIjlEEPsPlSF_S6_NS0_8equal_toIsEEEE10hipError_tPvRmT2_T3_mT4_T5_T6_T7_T8_P12ihipStream_tbENKUlT_T0_E_clISt17integral_constantIbLb0EESY_IbLb1EEEEDaSU_SV_EUlSU_E_NS1_11comp_targetILNS1_3genE10ELNS1_11target_archE1200ELNS1_3gpuE4ELNS1_3repE0EEENS1_30default_config_static_selectorELNS0_4arch9wavefront6targetE0EEEvT1_.numbered_sgpr, 0
	.set _ZN7rocprim17ROCPRIM_400000_NS6detail17trampoline_kernelINS0_14default_configENS1_33run_length_encode_config_selectorIsjNS0_4plusIjEEEEZZNS1_33reduce_by_key_impl_wrapped_configILNS1_25lookback_scan_determinismE0ES3_S7_PKsNS0_17constant_iteratorIjlEEPsPlSF_S6_NS0_8equal_toIsEEEE10hipError_tPvRmT2_T3_mT4_T5_T6_T7_T8_P12ihipStream_tbENKUlT_T0_E_clISt17integral_constantIbLb0EESY_IbLb1EEEEDaSU_SV_EUlSU_E_NS1_11comp_targetILNS1_3genE10ELNS1_11target_archE1200ELNS1_3gpuE4ELNS1_3repE0EEENS1_30default_config_static_selectorELNS0_4arch9wavefront6targetE0EEEvT1_.num_named_barrier, 0
	.set _ZN7rocprim17ROCPRIM_400000_NS6detail17trampoline_kernelINS0_14default_configENS1_33run_length_encode_config_selectorIsjNS0_4plusIjEEEEZZNS1_33reduce_by_key_impl_wrapped_configILNS1_25lookback_scan_determinismE0ES3_S7_PKsNS0_17constant_iteratorIjlEEPsPlSF_S6_NS0_8equal_toIsEEEE10hipError_tPvRmT2_T3_mT4_T5_T6_T7_T8_P12ihipStream_tbENKUlT_T0_E_clISt17integral_constantIbLb0EESY_IbLb1EEEEDaSU_SV_EUlSU_E_NS1_11comp_targetILNS1_3genE10ELNS1_11target_archE1200ELNS1_3gpuE4ELNS1_3repE0EEENS1_30default_config_static_selectorELNS0_4arch9wavefront6targetE0EEEvT1_.private_seg_size, 0
	.set _ZN7rocprim17ROCPRIM_400000_NS6detail17trampoline_kernelINS0_14default_configENS1_33run_length_encode_config_selectorIsjNS0_4plusIjEEEEZZNS1_33reduce_by_key_impl_wrapped_configILNS1_25lookback_scan_determinismE0ES3_S7_PKsNS0_17constant_iteratorIjlEEPsPlSF_S6_NS0_8equal_toIsEEEE10hipError_tPvRmT2_T3_mT4_T5_T6_T7_T8_P12ihipStream_tbENKUlT_T0_E_clISt17integral_constantIbLb0EESY_IbLb1EEEEDaSU_SV_EUlSU_E_NS1_11comp_targetILNS1_3genE10ELNS1_11target_archE1200ELNS1_3gpuE4ELNS1_3repE0EEENS1_30default_config_static_selectorELNS0_4arch9wavefront6targetE0EEEvT1_.uses_vcc, 0
	.set _ZN7rocprim17ROCPRIM_400000_NS6detail17trampoline_kernelINS0_14default_configENS1_33run_length_encode_config_selectorIsjNS0_4plusIjEEEEZZNS1_33reduce_by_key_impl_wrapped_configILNS1_25lookback_scan_determinismE0ES3_S7_PKsNS0_17constant_iteratorIjlEEPsPlSF_S6_NS0_8equal_toIsEEEE10hipError_tPvRmT2_T3_mT4_T5_T6_T7_T8_P12ihipStream_tbENKUlT_T0_E_clISt17integral_constantIbLb0EESY_IbLb1EEEEDaSU_SV_EUlSU_E_NS1_11comp_targetILNS1_3genE10ELNS1_11target_archE1200ELNS1_3gpuE4ELNS1_3repE0EEENS1_30default_config_static_selectorELNS0_4arch9wavefront6targetE0EEEvT1_.uses_flat_scratch, 0
	.set _ZN7rocprim17ROCPRIM_400000_NS6detail17trampoline_kernelINS0_14default_configENS1_33run_length_encode_config_selectorIsjNS0_4plusIjEEEEZZNS1_33reduce_by_key_impl_wrapped_configILNS1_25lookback_scan_determinismE0ES3_S7_PKsNS0_17constant_iteratorIjlEEPsPlSF_S6_NS0_8equal_toIsEEEE10hipError_tPvRmT2_T3_mT4_T5_T6_T7_T8_P12ihipStream_tbENKUlT_T0_E_clISt17integral_constantIbLb0EESY_IbLb1EEEEDaSU_SV_EUlSU_E_NS1_11comp_targetILNS1_3genE10ELNS1_11target_archE1200ELNS1_3gpuE4ELNS1_3repE0EEENS1_30default_config_static_selectorELNS0_4arch9wavefront6targetE0EEEvT1_.has_dyn_sized_stack, 0
	.set _ZN7rocprim17ROCPRIM_400000_NS6detail17trampoline_kernelINS0_14default_configENS1_33run_length_encode_config_selectorIsjNS0_4plusIjEEEEZZNS1_33reduce_by_key_impl_wrapped_configILNS1_25lookback_scan_determinismE0ES3_S7_PKsNS0_17constant_iteratorIjlEEPsPlSF_S6_NS0_8equal_toIsEEEE10hipError_tPvRmT2_T3_mT4_T5_T6_T7_T8_P12ihipStream_tbENKUlT_T0_E_clISt17integral_constantIbLb0EESY_IbLb1EEEEDaSU_SV_EUlSU_E_NS1_11comp_targetILNS1_3genE10ELNS1_11target_archE1200ELNS1_3gpuE4ELNS1_3repE0EEENS1_30default_config_static_selectorELNS0_4arch9wavefront6targetE0EEEvT1_.has_recursion, 0
	.set _ZN7rocprim17ROCPRIM_400000_NS6detail17trampoline_kernelINS0_14default_configENS1_33run_length_encode_config_selectorIsjNS0_4plusIjEEEEZZNS1_33reduce_by_key_impl_wrapped_configILNS1_25lookback_scan_determinismE0ES3_S7_PKsNS0_17constant_iteratorIjlEEPsPlSF_S6_NS0_8equal_toIsEEEE10hipError_tPvRmT2_T3_mT4_T5_T6_T7_T8_P12ihipStream_tbENKUlT_T0_E_clISt17integral_constantIbLb0EESY_IbLb1EEEEDaSU_SV_EUlSU_E_NS1_11comp_targetILNS1_3genE10ELNS1_11target_archE1200ELNS1_3gpuE4ELNS1_3repE0EEENS1_30default_config_static_selectorELNS0_4arch9wavefront6targetE0EEEvT1_.has_indirect_call, 0
	.section	.AMDGPU.csdata,"",@progbits
; Kernel info:
; codeLenInByte = 0
; TotalNumSgprs: 0
; NumVgprs: 0
; ScratchSize: 0
; MemoryBound: 0
; FloatMode: 240
; IeeeMode: 1
; LDSByteSize: 0 bytes/workgroup (compile time only)
; SGPRBlocks: 0
; VGPRBlocks: 0
; NumSGPRsForWavesPerEU: 1
; NumVGPRsForWavesPerEU: 1
; NamedBarCnt: 0
; Occupancy: 16
; WaveLimiterHint : 0
; COMPUTE_PGM_RSRC2:SCRATCH_EN: 0
; COMPUTE_PGM_RSRC2:USER_SGPR: 2
; COMPUTE_PGM_RSRC2:TRAP_HANDLER: 0
; COMPUTE_PGM_RSRC2:TGID_X_EN: 1
; COMPUTE_PGM_RSRC2:TGID_Y_EN: 0
; COMPUTE_PGM_RSRC2:TGID_Z_EN: 0
; COMPUTE_PGM_RSRC2:TIDIG_COMP_CNT: 0
	.section	.text._ZN7rocprim17ROCPRIM_400000_NS6detail17trampoline_kernelINS0_14default_configENS1_33run_length_encode_config_selectorIsjNS0_4plusIjEEEEZZNS1_33reduce_by_key_impl_wrapped_configILNS1_25lookback_scan_determinismE0ES3_S7_PKsNS0_17constant_iteratorIjlEEPsPlSF_S6_NS0_8equal_toIsEEEE10hipError_tPvRmT2_T3_mT4_T5_T6_T7_T8_P12ihipStream_tbENKUlT_T0_E_clISt17integral_constantIbLb0EESY_IbLb1EEEEDaSU_SV_EUlSU_E_NS1_11comp_targetILNS1_3genE9ELNS1_11target_archE1100ELNS1_3gpuE3ELNS1_3repE0EEENS1_30default_config_static_selectorELNS0_4arch9wavefront6targetE0EEEvT1_,"axG",@progbits,_ZN7rocprim17ROCPRIM_400000_NS6detail17trampoline_kernelINS0_14default_configENS1_33run_length_encode_config_selectorIsjNS0_4plusIjEEEEZZNS1_33reduce_by_key_impl_wrapped_configILNS1_25lookback_scan_determinismE0ES3_S7_PKsNS0_17constant_iteratorIjlEEPsPlSF_S6_NS0_8equal_toIsEEEE10hipError_tPvRmT2_T3_mT4_T5_T6_T7_T8_P12ihipStream_tbENKUlT_T0_E_clISt17integral_constantIbLb0EESY_IbLb1EEEEDaSU_SV_EUlSU_E_NS1_11comp_targetILNS1_3genE9ELNS1_11target_archE1100ELNS1_3gpuE3ELNS1_3repE0EEENS1_30default_config_static_selectorELNS0_4arch9wavefront6targetE0EEEvT1_,comdat
	.protected	_ZN7rocprim17ROCPRIM_400000_NS6detail17trampoline_kernelINS0_14default_configENS1_33run_length_encode_config_selectorIsjNS0_4plusIjEEEEZZNS1_33reduce_by_key_impl_wrapped_configILNS1_25lookback_scan_determinismE0ES3_S7_PKsNS0_17constant_iteratorIjlEEPsPlSF_S6_NS0_8equal_toIsEEEE10hipError_tPvRmT2_T3_mT4_T5_T6_T7_T8_P12ihipStream_tbENKUlT_T0_E_clISt17integral_constantIbLb0EESY_IbLb1EEEEDaSU_SV_EUlSU_E_NS1_11comp_targetILNS1_3genE9ELNS1_11target_archE1100ELNS1_3gpuE3ELNS1_3repE0EEENS1_30default_config_static_selectorELNS0_4arch9wavefront6targetE0EEEvT1_ ; -- Begin function _ZN7rocprim17ROCPRIM_400000_NS6detail17trampoline_kernelINS0_14default_configENS1_33run_length_encode_config_selectorIsjNS0_4plusIjEEEEZZNS1_33reduce_by_key_impl_wrapped_configILNS1_25lookback_scan_determinismE0ES3_S7_PKsNS0_17constant_iteratorIjlEEPsPlSF_S6_NS0_8equal_toIsEEEE10hipError_tPvRmT2_T3_mT4_T5_T6_T7_T8_P12ihipStream_tbENKUlT_T0_E_clISt17integral_constantIbLb0EESY_IbLb1EEEEDaSU_SV_EUlSU_E_NS1_11comp_targetILNS1_3genE9ELNS1_11target_archE1100ELNS1_3gpuE3ELNS1_3repE0EEENS1_30default_config_static_selectorELNS0_4arch9wavefront6targetE0EEEvT1_
	.globl	_ZN7rocprim17ROCPRIM_400000_NS6detail17trampoline_kernelINS0_14default_configENS1_33run_length_encode_config_selectorIsjNS0_4plusIjEEEEZZNS1_33reduce_by_key_impl_wrapped_configILNS1_25lookback_scan_determinismE0ES3_S7_PKsNS0_17constant_iteratorIjlEEPsPlSF_S6_NS0_8equal_toIsEEEE10hipError_tPvRmT2_T3_mT4_T5_T6_T7_T8_P12ihipStream_tbENKUlT_T0_E_clISt17integral_constantIbLb0EESY_IbLb1EEEEDaSU_SV_EUlSU_E_NS1_11comp_targetILNS1_3genE9ELNS1_11target_archE1100ELNS1_3gpuE3ELNS1_3repE0EEENS1_30default_config_static_selectorELNS0_4arch9wavefront6targetE0EEEvT1_
	.p2align	8
	.type	_ZN7rocprim17ROCPRIM_400000_NS6detail17trampoline_kernelINS0_14default_configENS1_33run_length_encode_config_selectorIsjNS0_4plusIjEEEEZZNS1_33reduce_by_key_impl_wrapped_configILNS1_25lookback_scan_determinismE0ES3_S7_PKsNS0_17constant_iteratorIjlEEPsPlSF_S6_NS0_8equal_toIsEEEE10hipError_tPvRmT2_T3_mT4_T5_T6_T7_T8_P12ihipStream_tbENKUlT_T0_E_clISt17integral_constantIbLb0EESY_IbLb1EEEEDaSU_SV_EUlSU_E_NS1_11comp_targetILNS1_3genE9ELNS1_11target_archE1100ELNS1_3gpuE3ELNS1_3repE0EEENS1_30default_config_static_selectorELNS0_4arch9wavefront6targetE0EEEvT1_,@function
_ZN7rocprim17ROCPRIM_400000_NS6detail17trampoline_kernelINS0_14default_configENS1_33run_length_encode_config_selectorIsjNS0_4plusIjEEEEZZNS1_33reduce_by_key_impl_wrapped_configILNS1_25lookback_scan_determinismE0ES3_S7_PKsNS0_17constant_iteratorIjlEEPsPlSF_S6_NS0_8equal_toIsEEEE10hipError_tPvRmT2_T3_mT4_T5_T6_T7_T8_P12ihipStream_tbENKUlT_T0_E_clISt17integral_constantIbLb0EESY_IbLb1EEEEDaSU_SV_EUlSU_E_NS1_11comp_targetILNS1_3genE9ELNS1_11target_archE1100ELNS1_3gpuE3ELNS1_3repE0EEENS1_30default_config_static_selectorELNS0_4arch9wavefront6targetE0EEEvT1_: ; @_ZN7rocprim17ROCPRIM_400000_NS6detail17trampoline_kernelINS0_14default_configENS1_33run_length_encode_config_selectorIsjNS0_4plusIjEEEEZZNS1_33reduce_by_key_impl_wrapped_configILNS1_25lookback_scan_determinismE0ES3_S7_PKsNS0_17constant_iteratorIjlEEPsPlSF_S6_NS0_8equal_toIsEEEE10hipError_tPvRmT2_T3_mT4_T5_T6_T7_T8_P12ihipStream_tbENKUlT_T0_E_clISt17integral_constantIbLb0EESY_IbLb1EEEEDaSU_SV_EUlSU_E_NS1_11comp_targetILNS1_3genE9ELNS1_11target_archE1100ELNS1_3gpuE3ELNS1_3repE0EEENS1_30default_config_static_selectorELNS0_4arch9wavefront6targetE0EEEvT1_
; %bb.0:
	.section	.rodata,"a",@progbits
	.p2align	6, 0x0
	.amdhsa_kernel _ZN7rocprim17ROCPRIM_400000_NS6detail17trampoline_kernelINS0_14default_configENS1_33run_length_encode_config_selectorIsjNS0_4plusIjEEEEZZNS1_33reduce_by_key_impl_wrapped_configILNS1_25lookback_scan_determinismE0ES3_S7_PKsNS0_17constant_iteratorIjlEEPsPlSF_S6_NS0_8equal_toIsEEEE10hipError_tPvRmT2_T3_mT4_T5_T6_T7_T8_P12ihipStream_tbENKUlT_T0_E_clISt17integral_constantIbLb0EESY_IbLb1EEEEDaSU_SV_EUlSU_E_NS1_11comp_targetILNS1_3genE9ELNS1_11target_archE1100ELNS1_3gpuE3ELNS1_3repE0EEENS1_30default_config_static_selectorELNS0_4arch9wavefront6targetE0EEEvT1_
		.amdhsa_group_segment_fixed_size 0
		.amdhsa_private_segment_fixed_size 0
		.amdhsa_kernarg_size 128
		.amdhsa_user_sgpr_count 2
		.amdhsa_user_sgpr_dispatch_ptr 0
		.amdhsa_user_sgpr_queue_ptr 0
		.amdhsa_user_sgpr_kernarg_segment_ptr 1
		.amdhsa_user_sgpr_dispatch_id 0
		.amdhsa_user_sgpr_kernarg_preload_length 0
		.amdhsa_user_sgpr_kernarg_preload_offset 0
		.amdhsa_user_sgpr_private_segment_size 0
		.amdhsa_wavefront_size32 1
		.amdhsa_uses_dynamic_stack 0
		.amdhsa_enable_private_segment 0
		.amdhsa_system_sgpr_workgroup_id_x 1
		.amdhsa_system_sgpr_workgroup_id_y 0
		.amdhsa_system_sgpr_workgroup_id_z 0
		.amdhsa_system_sgpr_workgroup_info 0
		.amdhsa_system_vgpr_workitem_id 0
		.amdhsa_next_free_vgpr 1
		.amdhsa_next_free_sgpr 1
		.amdhsa_named_barrier_count 0
		.amdhsa_reserve_vcc 0
		.amdhsa_float_round_mode_32 0
		.amdhsa_float_round_mode_16_64 0
		.amdhsa_float_denorm_mode_32 3
		.amdhsa_float_denorm_mode_16_64 3
		.amdhsa_fp16_overflow 0
		.amdhsa_memory_ordered 1
		.amdhsa_forward_progress 1
		.amdhsa_inst_pref_size 0
		.amdhsa_round_robin_scheduling 0
		.amdhsa_exception_fp_ieee_invalid_op 0
		.amdhsa_exception_fp_denorm_src 0
		.amdhsa_exception_fp_ieee_div_zero 0
		.amdhsa_exception_fp_ieee_overflow 0
		.amdhsa_exception_fp_ieee_underflow 0
		.amdhsa_exception_fp_ieee_inexact 0
		.amdhsa_exception_int_div_zero 0
	.end_amdhsa_kernel
	.section	.text._ZN7rocprim17ROCPRIM_400000_NS6detail17trampoline_kernelINS0_14default_configENS1_33run_length_encode_config_selectorIsjNS0_4plusIjEEEEZZNS1_33reduce_by_key_impl_wrapped_configILNS1_25lookback_scan_determinismE0ES3_S7_PKsNS0_17constant_iteratorIjlEEPsPlSF_S6_NS0_8equal_toIsEEEE10hipError_tPvRmT2_T3_mT4_T5_T6_T7_T8_P12ihipStream_tbENKUlT_T0_E_clISt17integral_constantIbLb0EESY_IbLb1EEEEDaSU_SV_EUlSU_E_NS1_11comp_targetILNS1_3genE9ELNS1_11target_archE1100ELNS1_3gpuE3ELNS1_3repE0EEENS1_30default_config_static_selectorELNS0_4arch9wavefront6targetE0EEEvT1_,"axG",@progbits,_ZN7rocprim17ROCPRIM_400000_NS6detail17trampoline_kernelINS0_14default_configENS1_33run_length_encode_config_selectorIsjNS0_4plusIjEEEEZZNS1_33reduce_by_key_impl_wrapped_configILNS1_25lookback_scan_determinismE0ES3_S7_PKsNS0_17constant_iteratorIjlEEPsPlSF_S6_NS0_8equal_toIsEEEE10hipError_tPvRmT2_T3_mT4_T5_T6_T7_T8_P12ihipStream_tbENKUlT_T0_E_clISt17integral_constantIbLb0EESY_IbLb1EEEEDaSU_SV_EUlSU_E_NS1_11comp_targetILNS1_3genE9ELNS1_11target_archE1100ELNS1_3gpuE3ELNS1_3repE0EEENS1_30default_config_static_selectorELNS0_4arch9wavefront6targetE0EEEvT1_,comdat
.Lfunc_end614:
	.size	_ZN7rocprim17ROCPRIM_400000_NS6detail17trampoline_kernelINS0_14default_configENS1_33run_length_encode_config_selectorIsjNS0_4plusIjEEEEZZNS1_33reduce_by_key_impl_wrapped_configILNS1_25lookback_scan_determinismE0ES3_S7_PKsNS0_17constant_iteratorIjlEEPsPlSF_S6_NS0_8equal_toIsEEEE10hipError_tPvRmT2_T3_mT4_T5_T6_T7_T8_P12ihipStream_tbENKUlT_T0_E_clISt17integral_constantIbLb0EESY_IbLb1EEEEDaSU_SV_EUlSU_E_NS1_11comp_targetILNS1_3genE9ELNS1_11target_archE1100ELNS1_3gpuE3ELNS1_3repE0EEENS1_30default_config_static_selectorELNS0_4arch9wavefront6targetE0EEEvT1_, .Lfunc_end614-_ZN7rocprim17ROCPRIM_400000_NS6detail17trampoline_kernelINS0_14default_configENS1_33run_length_encode_config_selectorIsjNS0_4plusIjEEEEZZNS1_33reduce_by_key_impl_wrapped_configILNS1_25lookback_scan_determinismE0ES3_S7_PKsNS0_17constant_iteratorIjlEEPsPlSF_S6_NS0_8equal_toIsEEEE10hipError_tPvRmT2_T3_mT4_T5_T6_T7_T8_P12ihipStream_tbENKUlT_T0_E_clISt17integral_constantIbLb0EESY_IbLb1EEEEDaSU_SV_EUlSU_E_NS1_11comp_targetILNS1_3genE9ELNS1_11target_archE1100ELNS1_3gpuE3ELNS1_3repE0EEENS1_30default_config_static_selectorELNS0_4arch9wavefront6targetE0EEEvT1_
                                        ; -- End function
	.set _ZN7rocprim17ROCPRIM_400000_NS6detail17trampoline_kernelINS0_14default_configENS1_33run_length_encode_config_selectorIsjNS0_4plusIjEEEEZZNS1_33reduce_by_key_impl_wrapped_configILNS1_25lookback_scan_determinismE0ES3_S7_PKsNS0_17constant_iteratorIjlEEPsPlSF_S6_NS0_8equal_toIsEEEE10hipError_tPvRmT2_T3_mT4_T5_T6_T7_T8_P12ihipStream_tbENKUlT_T0_E_clISt17integral_constantIbLb0EESY_IbLb1EEEEDaSU_SV_EUlSU_E_NS1_11comp_targetILNS1_3genE9ELNS1_11target_archE1100ELNS1_3gpuE3ELNS1_3repE0EEENS1_30default_config_static_selectorELNS0_4arch9wavefront6targetE0EEEvT1_.num_vgpr, 0
	.set _ZN7rocprim17ROCPRIM_400000_NS6detail17trampoline_kernelINS0_14default_configENS1_33run_length_encode_config_selectorIsjNS0_4plusIjEEEEZZNS1_33reduce_by_key_impl_wrapped_configILNS1_25lookback_scan_determinismE0ES3_S7_PKsNS0_17constant_iteratorIjlEEPsPlSF_S6_NS0_8equal_toIsEEEE10hipError_tPvRmT2_T3_mT4_T5_T6_T7_T8_P12ihipStream_tbENKUlT_T0_E_clISt17integral_constantIbLb0EESY_IbLb1EEEEDaSU_SV_EUlSU_E_NS1_11comp_targetILNS1_3genE9ELNS1_11target_archE1100ELNS1_3gpuE3ELNS1_3repE0EEENS1_30default_config_static_selectorELNS0_4arch9wavefront6targetE0EEEvT1_.num_agpr, 0
	.set _ZN7rocprim17ROCPRIM_400000_NS6detail17trampoline_kernelINS0_14default_configENS1_33run_length_encode_config_selectorIsjNS0_4plusIjEEEEZZNS1_33reduce_by_key_impl_wrapped_configILNS1_25lookback_scan_determinismE0ES3_S7_PKsNS0_17constant_iteratorIjlEEPsPlSF_S6_NS0_8equal_toIsEEEE10hipError_tPvRmT2_T3_mT4_T5_T6_T7_T8_P12ihipStream_tbENKUlT_T0_E_clISt17integral_constantIbLb0EESY_IbLb1EEEEDaSU_SV_EUlSU_E_NS1_11comp_targetILNS1_3genE9ELNS1_11target_archE1100ELNS1_3gpuE3ELNS1_3repE0EEENS1_30default_config_static_selectorELNS0_4arch9wavefront6targetE0EEEvT1_.numbered_sgpr, 0
	.set _ZN7rocprim17ROCPRIM_400000_NS6detail17trampoline_kernelINS0_14default_configENS1_33run_length_encode_config_selectorIsjNS0_4plusIjEEEEZZNS1_33reduce_by_key_impl_wrapped_configILNS1_25lookback_scan_determinismE0ES3_S7_PKsNS0_17constant_iteratorIjlEEPsPlSF_S6_NS0_8equal_toIsEEEE10hipError_tPvRmT2_T3_mT4_T5_T6_T7_T8_P12ihipStream_tbENKUlT_T0_E_clISt17integral_constantIbLb0EESY_IbLb1EEEEDaSU_SV_EUlSU_E_NS1_11comp_targetILNS1_3genE9ELNS1_11target_archE1100ELNS1_3gpuE3ELNS1_3repE0EEENS1_30default_config_static_selectorELNS0_4arch9wavefront6targetE0EEEvT1_.num_named_barrier, 0
	.set _ZN7rocprim17ROCPRIM_400000_NS6detail17trampoline_kernelINS0_14default_configENS1_33run_length_encode_config_selectorIsjNS0_4plusIjEEEEZZNS1_33reduce_by_key_impl_wrapped_configILNS1_25lookback_scan_determinismE0ES3_S7_PKsNS0_17constant_iteratorIjlEEPsPlSF_S6_NS0_8equal_toIsEEEE10hipError_tPvRmT2_T3_mT4_T5_T6_T7_T8_P12ihipStream_tbENKUlT_T0_E_clISt17integral_constantIbLb0EESY_IbLb1EEEEDaSU_SV_EUlSU_E_NS1_11comp_targetILNS1_3genE9ELNS1_11target_archE1100ELNS1_3gpuE3ELNS1_3repE0EEENS1_30default_config_static_selectorELNS0_4arch9wavefront6targetE0EEEvT1_.private_seg_size, 0
	.set _ZN7rocprim17ROCPRIM_400000_NS6detail17trampoline_kernelINS0_14default_configENS1_33run_length_encode_config_selectorIsjNS0_4plusIjEEEEZZNS1_33reduce_by_key_impl_wrapped_configILNS1_25lookback_scan_determinismE0ES3_S7_PKsNS0_17constant_iteratorIjlEEPsPlSF_S6_NS0_8equal_toIsEEEE10hipError_tPvRmT2_T3_mT4_T5_T6_T7_T8_P12ihipStream_tbENKUlT_T0_E_clISt17integral_constantIbLb0EESY_IbLb1EEEEDaSU_SV_EUlSU_E_NS1_11comp_targetILNS1_3genE9ELNS1_11target_archE1100ELNS1_3gpuE3ELNS1_3repE0EEENS1_30default_config_static_selectorELNS0_4arch9wavefront6targetE0EEEvT1_.uses_vcc, 0
	.set _ZN7rocprim17ROCPRIM_400000_NS6detail17trampoline_kernelINS0_14default_configENS1_33run_length_encode_config_selectorIsjNS0_4plusIjEEEEZZNS1_33reduce_by_key_impl_wrapped_configILNS1_25lookback_scan_determinismE0ES3_S7_PKsNS0_17constant_iteratorIjlEEPsPlSF_S6_NS0_8equal_toIsEEEE10hipError_tPvRmT2_T3_mT4_T5_T6_T7_T8_P12ihipStream_tbENKUlT_T0_E_clISt17integral_constantIbLb0EESY_IbLb1EEEEDaSU_SV_EUlSU_E_NS1_11comp_targetILNS1_3genE9ELNS1_11target_archE1100ELNS1_3gpuE3ELNS1_3repE0EEENS1_30default_config_static_selectorELNS0_4arch9wavefront6targetE0EEEvT1_.uses_flat_scratch, 0
	.set _ZN7rocprim17ROCPRIM_400000_NS6detail17trampoline_kernelINS0_14default_configENS1_33run_length_encode_config_selectorIsjNS0_4plusIjEEEEZZNS1_33reduce_by_key_impl_wrapped_configILNS1_25lookback_scan_determinismE0ES3_S7_PKsNS0_17constant_iteratorIjlEEPsPlSF_S6_NS0_8equal_toIsEEEE10hipError_tPvRmT2_T3_mT4_T5_T6_T7_T8_P12ihipStream_tbENKUlT_T0_E_clISt17integral_constantIbLb0EESY_IbLb1EEEEDaSU_SV_EUlSU_E_NS1_11comp_targetILNS1_3genE9ELNS1_11target_archE1100ELNS1_3gpuE3ELNS1_3repE0EEENS1_30default_config_static_selectorELNS0_4arch9wavefront6targetE0EEEvT1_.has_dyn_sized_stack, 0
	.set _ZN7rocprim17ROCPRIM_400000_NS6detail17trampoline_kernelINS0_14default_configENS1_33run_length_encode_config_selectorIsjNS0_4plusIjEEEEZZNS1_33reduce_by_key_impl_wrapped_configILNS1_25lookback_scan_determinismE0ES3_S7_PKsNS0_17constant_iteratorIjlEEPsPlSF_S6_NS0_8equal_toIsEEEE10hipError_tPvRmT2_T3_mT4_T5_T6_T7_T8_P12ihipStream_tbENKUlT_T0_E_clISt17integral_constantIbLb0EESY_IbLb1EEEEDaSU_SV_EUlSU_E_NS1_11comp_targetILNS1_3genE9ELNS1_11target_archE1100ELNS1_3gpuE3ELNS1_3repE0EEENS1_30default_config_static_selectorELNS0_4arch9wavefront6targetE0EEEvT1_.has_recursion, 0
	.set _ZN7rocprim17ROCPRIM_400000_NS6detail17trampoline_kernelINS0_14default_configENS1_33run_length_encode_config_selectorIsjNS0_4plusIjEEEEZZNS1_33reduce_by_key_impl_wrapped_configILNS1_25lookback_scan_determinismE0ES3_S7_PKsNS0_17constant_iteratorIjlEEPsPlSF_S6_NS0_8equal_toIsEEEE10hipError_tPvRmT2_T3_mT4_T5_T6_T7_T8_P12ihipStream_tbENKUlT_T0_E_clISt17integral_constantIbLb0EESY_IbLb1EEEEDaSU_SV_EUlSU_E_NS1_11comp_targetILNS1_3genE9ELNS1_11target_archE1100ELNS1_3gpuE3ELNS1_3repE0EEENS1_30default_config_static_selectorELNS0_4arch9wavefront6targetE0EEEvT1_.has_indirect_call, 0
	.section	.AMDGPU.csdata,"",@progbits
; Kernel info:
; codeLenInByte = 0
; TotalNumSgprs: 0
; NumVgprs: 0
; ScratchSize: 0
; MemoryBound: 0
; FloatMode: 240
; IeeeMode: 1
; LDSByteSize: 0 bytes/workgroup (compile time only)
; SGPRBlocks: 0
; VGPRBlocks: 0
; NumSGPRsForWavesPerEU: 1
; NumVGPRsForWavesPerEU: 1
; NamedBarCnt: 0
; Occupancy: 16
; WaveLimiterHint : 0
; COMPUTE_PGM_RSRC2:SCRATCH_EN: 0
; COMPUTE_PGM_RSRC2:USER_SGPR: 2
; COMPUTE_PGM_RSRC2:TRAP_HANDLER: 0
; COMPUTE_PGM_RSRC2:TGID_X_EN: 1
; COMPUTE_PGM_RSRC2:TGID_Y_EN: 0
; COMPUTE_PGM_RSRC2:TGID_Z_EN: 0
; COMPUTE_PGM_RSRC2:TIDIG_COMP_CNT: 0
	.section	.text._ZN7rocprim17ROCPRIM_400000_NS6detail17trampoline_kernelINS0_14default_configENS1_33run_length_encode_config_selectorIsjNS0_4plusIjEEEEZZNS1_33reduce_by_key_impl_wrapped_configILNS1_25lookback_scan_determinismE0ES3_S7_PKsNS0_17constant_iteratorIjlEEPsPlSF_S6_NS0_8equal_toIsEEEE10hipError_tPvRmT2_T3_mT4_T5_T6_T7_T8_P12ihipStream_tbENKUlT_T0_E_clISt17integral_constantIbLb0EESY_IbLb1EEEEDaSU_SV_EUlSU_E_NS1_11comp_targetILNS1_3genE8ELNS1_11target_archE1030ELNS1_3gpuE2ELNS1_3repE0EEENS1_30default_config_static_selectorELNS0_4arch9wavefront6targetE0EEEvT1_,"axG",@progbits,_ZN7rocprim17ROCPRIM_400000_NS6detail17trampoline_kernelINS0_14default_configENS1_33run_length_encode_config_selectorIsjNS0_4plusIjEEEEZZNS1_33reduce_by_key_impl_wrapped_configILNS1_25lookback_scan_determinismE0ES3_S7_PKsNS0_17constant_iteratorIjlEEPsPlSF_S6_NS0_8equal_toIsEEEE10hipError_tPvRmT2_T3_mT4_T5_T6_T7_T8_P12ihipStream_tbENKUlT_T0_E_clISt17integral_constantIbLb0EESY_IbLb1EEEEDaSU_SV_EUlSU_E_NS1_11comp_targetILNS1_3genE8ELNS1_11target_archE1030ELNS1_3gpuE2ELNS1_3repE0EEENS1_30default_config_static_selectorELNS0_4arch9wavefront6targetE0EEEvT1_,comdat
	.protected	_ZN7rocprim17ROCPRIM_400000_NS6detail17trampoline_kernelINS0_14default_configENS1_33run_length_encode_config_selectorIsjNS0_4plusIjEEEEZZNS1_33reduce_by_key_impl_wrapped_configILNS1_25lookback_scan_determinismE0ES3_S7_PKsNS0_17constant_iteratorIjlEEPsPlSF_S6_NS0_8equal_toIsEEEE10hipError_tPvRmT2_T3_mT4_T5_T6_T7_T8_P12ihipStream_tbENKUlT_T0_E_clISt17integral_constantIbLb0EESY_IbLb1EEEEDaSU_SV_EUlSU_E_NS1_11comp_targetILNS1_3genE8ELNS1_11target_archE1030ELNS1_3gpuE2ELNS1_3repE0EEENS1_30default_config_static_selectorELNS0_4arch9wavefront6targetE0EEEvT1_ ; -- Begin function _ZN7rocprim17ROCPRIM_400000_NS6detail17trampoline_kernelINS0_14default_configENS1_33run_length_encode_config_selectorIsjNS0_4plusIjEEEEZZNS1_33reduce_by_key_impl_wrapped_configILNS1_25lookback_scan_determinismE0ES3_S7_PKsNS0_17constant_iteratorIjlEEPsPlSF_S6_NS0_8equal_toIsEEEE10hipError_tPvRmT2_T3_mT4_T5_T6_T7_T8_P12ihipStream_tbENKUlT_T0_E_clISt17integral_constantIbLb0EESY_IbLb1EEEEDaSU_SV_EUlSU_E_NS1_11comp_targetILNS1_3genE8ELNS1_11target_archE1030ELNS1_3gpuE2ELNS1_3repE0EEENS1_30default_config_static_selectorELNS0_4arch9wavefront6targetE0EEEvT1_
	.globl	_ZN7rocprim17ROCPRIM_400000_NS6detail17trampoline_kernelINS0_14default_configENS1_33run_length_encode_config_selectorIsjNS0_4plusIjEEEEZZNS1_33reduce_by_key_impl_wrapped_configILNS1_25lookback_scan_determinismE0ES3_S7_PKsNS0_17constant_iteratorIjlEEPsPlSF_S6_NS0_8equal_toIsEEEE10hipError_tPvRmT2_T3_mT4_T5_T6_T7_T8_P12ihipStream_tbENKUlT_T0_E_clISt17integral_constantIbLb0EESY_IbLb1EEEEDaSU_SV_EUlSU_E_NS1_11comp_targetILNS1_3genE8ELNS1_11target_archE1030ELNS1_3gpuE2ELNS1_3repE0EEENS1_30default_config_static_selectorELNS0_4arch9wavefront6targetE0EEEvT1_
	.p2align	8
	.type	_ZN7rocprim17ROCPRIM_400000_NS6detail17trampoline_kernelINS0_14default_configENS1_33run_length_encode_config_selectorIsjNS0_4plusIjEEEEZZNS1_33reduce_by_key_impl_wrapped_configILNS1_25lookback_scan_determinismE0ES3_S7_PKsNS0_17constant_iteratorIjlEEPsPlSF_S6_NS0_8equal_toIsEEEE10hipError_tPvRmT2_T3_mT4_T5_T6_T7_T8_P12ihipStream_tbENKUlT_T0_E_clISt17integral_constantIbLb0EESY_IbLb1EEEEDaSU_SV_EUlSU_E_NS1_11comp_targetILNS1_3genE8ELNS1_11target_archE1030ELNS1_3gpuE2ELNS1_3repE0EEENS1_30default_config_static_selectorELNS0_4arch9wavefront6targetE0EEEvT1_,@function
_ZN7rocprim17ROCPRIM_400000_NS6detail17trampoline_kernelINS0_14default_configENS1_33run_length_encode_config_selectorIsjNS0_4plusIjEEEEZZNS1_33reduce_by_key_impl_wrapped_configILNS1_25lookback_scan_determinismE0ES3_S7_PKsNS0_17constant_iteratorIjlEEPsPlSF_S6_NS0_8equal_toIsEEEE10hipError_tPvRmT2_T3_mT4_T5_T6_T7_T8_P12ihipStream_tbENKUlT_T0_E_clISt17integral_constantIbLb0EESY_IbLb1EEEEDaSU_SV_EUlSU_E_NS1_11comp_targetILNS1_3genE8ELNS1_11target_archE1030ELNS1_3gpuE2ELNS1_3repE0EEENS1_30default_config_static_selectorELNS0_4arch9wavefront6targetE0EEEvT1_: ; @_ZN7rocprim17ROCPRIM_400000_NS6detail17trampoline_kernelINS0_14default_configENS1_33run_length_encode_config_selectorIsjNS0_4plusIjEEEEZZNS1_33reduce_by_key_impl_wrapped_configILNS1_25lookback_scan_determinismE0ES3_S7_PKsNS0_17constant_iteratorIjlEEPsPlSF_S6_NS0_8equal_toIsEEEE10hipError_tPvRmT2_T3_mT4_T5_T6_T7_T8_P12ihipStream_tbENKUlT_T0_E_clISt17integral_constantIbLb0EESY_IbLb1EEEEDaSU_SV_EUlSU_E_NS1_11comp_targetILNS1_3genE8ELNS1_11target_archE1030ELNS1_3gpuE2ELNS1_3repE0EEENS1_30default_config_static_selectorELNS0_4arch9wavefront6targetE0EEEvT1_
; %bb.0:
	.section	.rodata,"a",@progbits
	.p2align	6, 0x0
	.amdhsa_kernel _ZN7rocprim17ROCPRIM_400000_NS6detail17trampoline_kernelINS0_14default_configENS1_33run_length_encode_config_selectorIsjNS0_4plusIjEEEEZZNS1_33reduce_by_key_impl_wrapped_configILNS1_25lookback_scan_determinismE0ES3_S7_PKsNS0_17constant_iteratorIjlEEPsPlSF_S6_NS0_8equal_toIsEEEE10hipError_tPvRmT2_T3_mT4_T5_T6_T7_T8_P12ihipStream_tbENKUlT_T0_E_clISt17integral_constantIbLb0EESY_IbLb1EEEEDaSU_SV_EUlSU_E_NS1_11comp_targetILNS1_3genE8ELNS1_11target_archE1030ELNS1_3gpuE2ELNS1_3repE0EEENS1_30default_config_static_selectorELNS0_4arch9wavefront6targetE0EEEvT1_
		.amdhsa_group_segment_fixed_size 0
		.amdhsa_private_segment_fixed_size 0
		.amdhsa_kernarg_size 128
		.amdhsa_user_sgpr_count 2
		.amdhsa_user_sgpr_dispatch_ptr 0
		.amdhsa_user_sgpr_queue_ptr 0
		.amdhsa_user_sgpr_kernarg_segment_ptr 1
		.amdhsa_user_sgpr_dispatch_id 0
		.amdhsa_user_sgpr_kernarg_preload_length 0
		.amdhsa_user_sgpr_kernarg_preload_offset 0
		.amdhsa_user_sgpr_private_segment_size 0
		.amdhsa_wavefront_size32 1
		.amdhsa_uses_dynamic_stack 0
		.amdhsa_enable_private_segment 0
		.amdhsa_system_sgpr_workgroup_id_x 1
		.amdhsa_system_sgpr_workgroup_id_y 0
		.amdhsa_system_sgpr_workgroup_id_z 0
		.amdhsa_system_sgpr_workgroup_info 0
		.amdhsa_system_vgpr_workitem_id 0
		.amdhsa_next_free_vgpr 1
		.amdhsa_next_free_sgpr 1
		.amdhsa_named_barrier_count 0
		.amdhsa_reserve_vcc 0
		.amdhsa_float_round_mode_32 0
		.amdhsa_float_round_mode_16_64 0
		.amdhsa_float_denorm_mode_32 3
		.amdhsa_float_denorm_mode_16_64 3
		.amdhsa_fp16_overflow 0
		.amdhsa_memory_ordered 1
		.amdhsa_forward_progress 1
		.amdhsa_inst_pref_size 0
		.amdhsa_round_robin_scheduling 0
		.amdhsa_exception_fp_ieee_invalid_op 0
		.amdhsa_exception_fp_denorm_src 0
		.amdhsa_exception_fp_ieee_div_zero 0
		.amdhsa_exception_fp_ieee_overflow 0
		.amdhsa_exception_fp_ieee_underflow 0
		.amdhsa_exception_fp_ieee_inexact 0
		.amdhsa_exception_int_div_zero 0
	.end_amdhsa_kernel
	.section	.text._ZN7rocprim17ROCPRIM_400000_NS6detail17trampoline_kernelINS0_14default_configENS1_33run_length_encode_config_selectorIsjNS0_4plusIjEEEEZZNS1_33reduce_by_key_impl_wrapped_configILNS1_25lookback_scan_determinismE0ES3_S7_PKsNS0_17constant_iteratorIjlEEPsPlSF_S6_NS0_8equal_toIsEEEE10hipError_tPvRmT2_T3_mT4_T5_T6_T7_T8_P12ihipStream_tbENKUlT_T0_E_clISt17integral_constantIbLb0EESY_IbLb1EEEEDaSU_SV_EUlSU_E_NS1_11comp_targetILNS1_3genE8ELNS1_11target_archE1030ELNS1_3gpuE2ELNS1_3repE0EEENS1_30default_config_static_selectorELNS0_4arch9wavefront6targetE0EEEvT1_,"axG",@progbits,_ZN7rocprim17ROCPRIM_400000_NS6detail17trampoline_kernelINS0_14default_configENS1_33run_length_encode_config_selectorIsjNS0_4plusIjEEEEZZNS1_33reduce_by_key_impl_wrapped_configILNS1_25lookback_scan_determinismE0ES3_S7_PKsNS0_17constant_iteratorIjlEEPsPlSF_S6_NS0_8equal_toIsEEEE10hipError_tPvRmT2_T3_mT4_T5_T6_T7_T8_P12ihipStream_tbENKUlT_T0_E_clISt17integral_constantIbLb0EESY_IbLb1EEEEDaSU_SV_EUlSU_E_NS1_11comp_targetILNS1_3genE8ELNS1_11target_archE1030ELNS1_3gpuE2ELNS1_3repE0EEENS1_30default_config_static_selectorELNS0_4arch9wavefront6targetE0EEEvT1_,comdat
.Lfunc_end615:
	.size	_ZN7rocprim17ROCPRIM_400000_NS6detail17trampoline_kernelINS0_14default_configENS1_33run_length_encode_config_selectorIsjNS0_4plusIjEEEEZZNS1_33reduce_by_key_impl_wrapped_configILNS1_25lookback_scan_determinismE0ES3_S7_PKsNS0_17constant_iteratorIjlEEPsPlSF_S6_NS0_8equal_toIsEEEE10hipError_tPvRmT2_T3_mT4_T5_T6_T7_T8_P12ihipStream_tbENKUlT_T0_E_clISt17integral_constantIbLb0EESY_IbLb1EEEEDaSU_SV_EUlSU_E_NS1_11comp_targetILNS1_3genE8ELNS1_11target_archE1030ELNS1_3gpuE2ELNS1_3repE0EEENS1_30default_config_static_selectorELNS0_4arch9wavefront6targetE0EEEvT1_, .Lfunc_end615-_ZN7rocprim17ROCPRIM_400000_NS6detail17trampoline_kernelINS0_14default_configENS1_33run_length_encode_config_selectorIsjNS0_4plusIjEEEEZZNS1_33reduce_by_key_impl_wrapped_configILNS1_25lookback_scan_determinismE0ES3_S7_PKsNS0_17constant_iteratorIjlEEPsPlSF_S6_NS0_8equal_toIsEEEE10hipError_tPvRmT2_T3_mT4_T5_T6_T7_T8_P12ihipStream_tbENKUlT_T0_E_clISt17integral_constantIbLb0EESY_IbLb1EEEEDaSU_SV_EUlSU_E_NS1_11comp_targetILNS1_3genE8ELNS1_11target_archE1030ELNS1_3gpuE2ELNS1_3repE0EEENS1_30default_config_static_selectorELNS0_4arch9wavefront6targetE0EEEvT1_
                                        ; -- End function
	.set _ZN7rocprim17ROCPRIM_400000_NS6detail17trampoline_kernelINS0_14default_configENS1_33run_length_encode_config_selectorIsjNS0_4plusIjEEEEZZNS1_33reduce_by_key_impl_wrapped_configILNS1_25lookback_scan_determinismE0ES3_S7_PKsNS0_17constant_iteratorIjlEEPsPlSF_S6_NS0_8equal_toIsEEEE10hipError_tPvRmT2_T3_mT4_T5_T6_T7_T8_P12ihipStream_tbENKUlT_T0_E_clISt17integral_constantIbLb0EESY_IbLb1EEEEDaSU_SV_EUlSU_E_NS1_11comp_targetILNS1_3genE8ELNS1_11target_archE1030ELNS1_3gpuE2ELNS1_3repE0EEENS1_30default_config_static_selectorELNS0_4arch9wavefront6targetE0EEEvT1_.num_vgpr, 0
	.set _ZN7rocprim17ROCPRIM_400000_NS6detail17trampoline_kernelINS0_14default_configENS1_33run_length_encode_config_selectorIsjNS0_4plusIjEEEEZZNS1_33reduce_by_key_impl_wrapped_configILNS1_25lookback_scan_determinismE0ES3_S7_PKsNS0_17constant_iteratorIjlEEPsPlSF_S6_NS0_8equal_toIsEEEE10hipError_tPvRmT2_T3_mT4_T5_T6_T7_T8_P12ihipStream_tbENKUlT_T0_E_clISt17integral_constantIbLb0EESY_IbLb1EEEEDaSU_SV_EUlSU_E_NS1_11comp_targetILNS1_3genE8ELNS1_11target_archE1030ELNS1_3gpuE2ELNS1_3repE0EEENS1_30default_config_static_selectorELNS0_4arch9wavefront6targetE0EEEvT1_.num_agpr, 0
	.set _ZN7rocprim17ROCPRIM_400000_NS6detail17trampoline_kernelINS0_14default_configENS1_33run_length_encode_config_selectorIsjNS0_4plusIjEEEEZZNS1_33reduce_by_key_impl_wrapped_configILNS1_25lookback_scan_determinismE0ES3_S7_PKsNS0_17constant_iteratorIjlEEPsPlSF_S6_NS0_8equal_toIsEEEE10hipError_tPvRmT2_T3_mT4_T5_T6_T7_T8_P12ihipStream_tbENKUlT_T0_E_clISt17integral_constantIbLb0EESY_IbLb1EEEEDaSU_SV_EUlSU_E_NS1_11comp_targetILNS1_3genE8ELNS1_11target_archE1030ELNS1_3gpuE2ELNS1_3repE0EEENS1_30default_config_static_selectorELNS0_4arch9wavefront6targetE0EEEvT1_.numbered_sgpr, 0
	.set _ZN7rocprim17ROCPRIM_400000_NS6detail17trampoline_kernelINS0_14default_configENS1_33run_length_encode_config_selectorIsjNS0_4plusIjEEEEZZNS1_33reduce_by_key_impl_wrapped_configILNS1_25lookback_scan_determinismE0ES3_S7_PKsNS0_17constant_iteratorIjlEEPsPlSF_S6_NS0_8equal_toIsEEEE10hipError_tPvRmT2_T3_mT4_T5_T6_T7_T8_P12ihipStream_tbENKUlT_T0_E_clISt17integral_constantIbLb0EESY_IbLb1EEEEDaSU_SV_EUlSU_E_NS1_11comp_targetILNS1_3genE8ELNS1_11target_archE1030ELNS1_3gpuE2ELNS1_3repE0EEENS1_30default_config_static_selectorELNS0_4arch9wavefront6targetE0EEEvT1_.num_named_barrier, 0
	.set _ZN7rocprim17ROCPRIM_400000_NS6detail17trampoline_kernelINS0_14default_configENS1_33run_length_encode_config_selectorIsjNS0_4plusIjEEEEZZNS1_33reduce_by_key_impl_wrapped_configILNS1_25lookback_scan_determinismE0ES3_S7_PKsNS0_17constant_iteratorIjlEEPsPlSF_S6_NS0_8equal_toIsEEEE10hipError_tPvRmT2_T3_mT4_T5_T6_T7_T8_P12ihipStream_tbENKUlT_T0_E_clISt17integral_constantIbLb0EESY_IbLb1EEEEDaSU_SV_EUlSU_E_NS1_11comp_targetILNS1_3genE8ELNS1_11target_archE1030ELNS1_3gpuE2ELNS1_3repE0EEENS1_30default_config_static_selectorELNS0_4arch9wavefront6targetE0EEEvT1_.private_seg_size, 0
	.set _ZN7rocprim17ROCPRIM_400000_NS6detail17trampoline_kernelINS0_14default_configENS1_33run_length_encode_config_selectorIsjNS0_4plusIjEEEEZZNS1_33reduce_by_key_impl_wrapped_configILNS1_25lookback_scan_determinismE0ES3_S7_PKsNS0_17constant_iteratorIjlEEPsPlSF_S6_NS0_8equal_toIsEEEE10hipError_tPvRmT2_T3_mT4_T5_T6_T7_T8_P12ihipStream_tbENKUlT_T0_E_clISt17integral_constantIbLb0EESY_IbLb1EEEEDaSU_SV_EUlSU_E_NS1_11comp_targetILNS1_3genE8ELNS1_11target_archE1030ELNS1_3gpuE2ELNS1_3repE0EEENS1_30default_config_static_selectorELNS0_4arch9wavefront6targetE0EEEvT1_.uses_vcc, 0
	.set _ZN7rocprim17ROCPRIM_400000_NS6detail17trampoline_kernelINS0_14default_configENS1_33run_length_encode_config_selectorIsjNS0_4plusIjEEEEZZNS1_33reduce_by_key_impl_wrapped_configILNS1_25lookback_scan_determinismE0ES3_S7_PKsNS0_17constant_iteratorIjlEEPsPlSF_S6_NS0_8equal_toIsEEEE10hipError_tPvRmT2_T3_mT4_T5_T6_T7_T8_P12ihipStream_tbENKUlT_T0_E_clISt17integral_constantIbLb0EESY_IbLb1EEEEDaSU_SV_EUlSU_E_NS1_11comp_targetILNS1_3genE8ELNS1_11target_archE1030ELNS1_3gpuE2ELNS1_3repE0EEENS1_30default_config_static_selectorELNS0_4arch9wavefront6targetE0EEEvT1_.uses_flat_scratch, 0
	.set _ZN7rocprim17ROCPRIM_400000_NS6detail17trampoline_kernelINS0_14default_configENS1_33run_length_encode_config_selectorIsjNS0_4plusIjEEEEZZNS1_33reduce_by_key_impl_wrapped_configILNS1_25lookback_scan_determinismE0ES3_S7_PKsNS0_17constant_iteratorIjlEEPsPlSF_S6_NS0_8equal_toIsEEEE10hipError_tPvRmT2_T3_mT4_T5_T6_T7_T8_P12ihipStream_tbENKUlT_T0_E_clISt17integral_constantIbLb0EESY_IbLb1EEEEDaSU_SV_EUlSU_E_NS1_11comp_targetILNS1_3genE8ELNS1_11target_archE1030ELNS1_3gpuE2ELNS1_3repE0EEENS1_30default_config_static_selectorELNS0_4arch9wavefront6targetE0EEEvT1_.has_dyn_sized_stack, 0
	.set _ZN7rocprim17ROCPRIM_400000_NS6detail17trampoline_kernelINS0_14default_configENS1_33run_length_encode_config_selectorIsjNS0_4plusIjEEEEZZNS1_33reduce_by_key_impl_wrapped_configILNS1_25lookback_scan_determinismE0ES3_S7_PKsNS0_17constant_iteratorIjlEEPsPlSF_S6_NS0_8equal_toIsEEEE10hipError_tPvRmT2_T3_mT4_T5_T6_T7_T8_P12ihipStream_tbENKUlT_T0_E_clISt17integral_constantIbLb0EESY_IbLb1EEEEDaSU_SV_EUlSU_E_NS1_11comp_targetILNS1_3genE8ELNS1_11target_archE1030ELNS1_3gpuE2ELNS1_3repE0EEENS1_30default_config_static_selectorELNS0_4arch9wavefront6targetE0EEEvT1_.has_recursion, 0
	.set _ZN7rocprim17ROCPRIM_400000_NS6detail17trampoline_kernelINS0_14default_configENS1_33run_length_encode_config_selectorIsjNS0_4plusIjEEEEZZNS1_33reduce_by_key_impl_wrapped_configILNS1_25lookback_scan_determinismE0ES3_S7_PKsNS0_17constant_iteratorIjlEEPsPlSF_S6_NS0_8equal_toIsEEEE10hipError_tPvRmT2_T3_mT4_T5_T6_T7_T8_P12ihipStream_tbENKUlT_T0_E_clISt17integral_constantIbLb0EESY_IbLb1EEEEDaSU_SV_EUlSU_E_NS1_11comp_targetILNS1_3genE8ELNS1_11target_archE1030ELNS1_3gpuE2ELNS1_3repE0EEENS1_30default_config_static_selectorELNS0_4arch9wavefront6targetE0EEEvT1_.has_indirect_call, 0
	.section	.AMDGPU.csdata,"",@progbits
; Kernel info:
; codeLenInByte = 0
; TotalNumSgprs: 0
; NumVgprs: 0
; ScratchSize: 0
; MemoryBound: 0
; FloatMode: 240
; IeeeMode: 1
; LDSByteSize: 0 bytes/workgroup (compile time only)
; SGPRBlocks: 0
; VGPRBlocks: 0
; NumSGPRsForWavesPerEU: 1
; NumVGPRsForWavesPerEU: 1
; NamedBarCnt: 0
; Occupancy: 16
; WaveLimiterHint : 0
; COMPUTE_PGM_RSRC2:SCRATCH_EN: 0
; COMPUTE_PGM_RSRC2:USER_SGPR: 2
; COMPUTE_PGM_RSRC2:TRAP_HANDLER: 0
; COMPUTE_PGM_RSRC2:TGID_X_EN: 1
; COMPUTE_PGM_RSRC2:TGID_Y_EN: 0
; COMPUTE_PGM_RSRC2:TGID_Z_EN: 0
; COMPUTE_PGM_RSRC2:TIDIG_COMP_CNT: 0
	.section	.text._ZN2at6native8internal12_GLOBAL__N_126adjacent_difference_kernelIPKjEEvlT_Pi,"axG",@progbits,_ZN2at6native8internal12_GLOBAL__N_126adjacent_difference_kernelIPKjEEvlT_Pi,comdat
	.globl	_ZN2at6native8internal12_GLOBAL__N_126adjacent_difference_kernelIPKjEEvlT_Pi ; -- Begin function _ZN2at6native8internal12_GLOBAL__N_126adjacent_difference_kernelIPKjEEvlT_Pi
	.p2align	8
	.type	_ZN2at6native8internal12_GLOBAL__N_126adjacent_difference_kernelIPKjEEvlT_Pi,@function
_ZN2at6native8internal12_GLOBAL__N_126adjacent_difference_kernelIPKjEEvlT_Pi: ; @_ZN2at6native8internal12_GLOBAL__N_126adjacent_difference_kernelIPKjEEvlT_Pi
; %bb.0:
	s_clause 0x1
	s_load_b32 s2, s[0:1], 0x24
	s_load_b128 s[4:7], s[0:1], 0x0
	s_bfe_u32 s9, ttmp6, 0x4000c
	s_and_b32 s8, ttmp6, 15
	s_add_co_i32 s9, s9, 1
	s_getreg_b32 s10, hwreg(HW_REG_IB_STS2, 6, 4)
	s_mul_i32 s9, ttmp9, s9
	s_mov_b32 s3, 0
	s_add_co_i32 s8, s8, s9
	s_cmp_eq_u32 s10, 0
	v_mov_b32_e32 v1, 0
	s_mov_b32 s15, s3
	s_cselect_b32 s14, ttmp9, s8
	s_mov_b32 s13, s3
	s_wait_kmcnt 0x0
	s_and_b32 s12, s2, 0xffff
	s_mov_b32 s2, exec_lo
	s_mul_u64 s[8:9], s[12:13], s[14:15]
	s_delay_alu instid0(SALU_CYCLE_1) | instskip(NEXT) | instid1(VALU_DEP_1)
	v_add_nc_u64_e32 v[4:5], s[8:9], v[0:1]
	v_cmpx_gt_i64_e64 s[4:5], v[4:5]
	s_cbranch_execz .LBB616_5
; %bb.1:
	s_add_nc_u64 s[16:17], s[0:1], 24
	v_dual_mov_b32 v2, v1 :: v_dual_mov_b32 v3, v4
	s_load_b32 s2, s[16:17], 0x0
	s_load_b64 s[10:11], s[0:1], 0x10
	v_mov_b64_e32 v[4:5], v[0:1]
	s_mul_i32 s13, s14, s12
	s_wait_xcnt 0x0
	s_mov_b32 s0, s3
	s_wait_kmcnt 0x0
	s_mul_i32 s2, s2, s12
	s_mov_b32 s12, s3
	s_mov_b32 s1, s2
	s_branch .LBB616_3
.LBB616_2:                              ;   in Loop: Header=BB616_3 Depth=1
	s_or_b32 exec_lo, exec_lo, s14
	v_add_nc_u64_e32 v[4:5], s[2:3], v[4:5]
	v_ashrrev_i64 v[8:9], 30, v[2:3]
	v_add_nc_u64_e32 v[2:3], s[0:1], v[2:3]
	s_delay_alu instid0(VALU_DEP_3) | instskip(NEXT) | instid1(VALU_DEP_1)
	v_add_nc_u64_e32 v[6:7], s[8:9], v[4:5]
	v_cmp_le_i64_e32 vcc_lo, s[4:5], v[6:7]
	s_delay_alu instid0(VALU_DEP_4)
	v_add_nc_u64_e32 v[6:7], s[10:11], v[8:9]
	s_or_b32 s12, vcc_lo, s12
	global_store_b32 v[6:7], v0, off
	s_wait_xcnt 0x0
	s_and_not1_b32 exec_lo, exec_lo, s12
	s_cbranch_execz .LBB616_5
.LBB616_3:                              ; =>This Inner Loop Header: Depth=1
	v_dual_add_nc_u32 v6, s13, v4 :: v_dual_mov_b32 v0, 0
	s_mov_b32 s14, exec_lo
	s_delay_alu instid0(VALU_DEP_1)
	v_cmpx_lt_i32_e32 0, v6
	s_cbranch_execz .LBB616_2
; %bb.4:                                ;   in Loop: Header=BB616_3 Depth=1
	v_add_nc_u32_e32 v8, s8, v4
	s_delay_alu instid0(VALU_DEP_1) | instskip(NEXT) | instid1(VALU_DEP_1)
	v_and_b32_e32 v0, 0x7fffffff, v8
	v_lshl_add_u64 v[6:7], v[0:1], 2, s[6:7]
	v_add_nc_u32_e32 v0, -1, v8
	s_clause 0x1
	global_load_b32 v8, v[6:7], off
	global_load_b32 v9, v0, s[6:7] scale_offset
	s_wait_loadcnt 0x0
	v_cmp_ne_u32_e32 vcc_lo, v8, v9
	s_wait_xcnt 0x0
	v_cndmask_b32_e64 v0, 0, 1, vcc_lo
	s_branch .LBB616_2
.LBB616_5:
	s_endpgm
	.section	.rodata,"a",@progbits
	.p2align	6, 0x0
	.amdhsa_kernel _ZN2at6native8internal12_GLOBAL__N_126adjacent_difference_kernelIPKjEEvlT_Pi
		.amdhsa_group_segment_fixed_size 0
		.amdhsa_private_segment_fixed_size 0
		.amdhsa_kernarg_size 280
		.amdhsa_user_sgpr_count 2
		.amdhsa_user_sgpr_dispatch_ptr 0
		.amdhsa_user_sgpr_queue_ptr 0
		.amdhsa_user_sgpr_kernarg_segment_ptr 1
		.amdhsa_user_sgpr_dispatch_id 0
		.amdhsa_user_sgpr_kernarg_preload_length 0
		.amdhsa_user_sgpr_kernarg_preload_offset 0
		.amdhsa_user_sgpr_private_segment_size 0
		.amdhsa_wavefront_size32 1
		.amdhsa_uses_dynamic_stack 0
		.amdhsa_enable_private_segment 0
		.amdhsa_system_sgpr_workgroup_id_x 1
		.amdhsa_system_sgpr_workgroup_id_y 0
		.amdhsa_system_sgpr_workgroup_id_z 0
		.amdhsa_system_sgpr_workgroup_info 0
		.amdhsa_system_vgpr_workitem_id 0
		.amdhsa_next_free_vgpr 10
		.amdhsa_next_free_sgpr 18
		.amdhsa_named_barrier_count 0
		.amdhsa_reserve_vcc 1
		.amdhsa_float_round_mode_32 0
		.amdhsa_float_round_mode_16_64 0
		.amdhsa_float_denorm_mode_32 3
		.amdhsa_float_denorm_mode_16_64 3
		.amdhsa_fp16_overflow 0
		.amdhsa_memory_ordered 1
		.amdhsa_forward_progress 1
		.amdhsa_inst_pref_size 3
		.amdhsa_round_robin_scheduling 0
		.amdhsa_exception_fp_ieee_invalid_op 0
		.amdhsa_exception_fp_denorm_src 0
		.amdhsa_exception_fp_ieee_div_zero 0
		.amdhsa_exception_fp_ieee_overflow 0
		.amdhsa_exception_fp_ieee_underflow 0
		.amdhsa_exception_fp_ieee_inexact 0
		.amdhsa_exception_int_div_zero 0
	.end_amdhsa_kernel
	.section	.text._ZN2at6native8internal12_GLOBAL__N_126adjacent_difference_kernelIPKjEEvlT_Pi,"axG",@progbits,_ZN2at6native8internal12_GLOBAL__N_126adjacent_difference_kernelIPKjEEvlT_Pi,comdat
.Lfunc_end616:
	.size	_ZN2at6native8internal12_GLOBAL__N_126adjacent_difference_kernelIPKjEEvlT_Pi, .Lfunc_end616-_ZN2at6native8internal12_GLOBAL__N_126adjacent_difference_kernelIPKjEEvlT_Pi
                                        ; -- End function
	.set _ZN2at6native8internal12_GLOBAL__N_126adjacent_difference_kernelIPKjEEvlT_Pi.num_vgpr, 10
	.set _ZN2at6native8internal12_GLOBAL__N_126adjacent_difference_kernelIPKjEEvlT_Pi.num_agpr, 0
	.set _ZN2at6native8internal12_GLOBAL__N_126adjacent_difference_kernelIPKjEEvlT_Pi.numbered_sgpr, 18
	.set _ZN2at6native8internal12_GLOBAL__N_126adjacent_difference_kernelIPKjEEvlT_Pi.num_named_barrier, 0
	.set _ZN2at6native8internal12_GLOBAL__N_126adjacent_difference_kernelIPKjEEvlT_Pi.private_seg_size, 0
	.set _ZN2at6native8internal12_GLOBAL__N_126adjacent_difference_kernelIPKjEEvlT_Pi.uses_vcc, 1
	.set _ZN2at6native8internal12_GLOBAL__N_126adjacent_difference_kernelIPKjEEvlT_Pi.uses_flat_scratch, 0
	.set _ZN2at6native8internal12_GLOBAL__N_126adjacent_difference_kernelIPKjEEvlT_Pi.has_dyn_sized_stack, 0
	.set _ZN2at6native8internal12_GLOBAL__N_126adjacent_difference_kernelIPKjEEvlT_Pi.has_recursion, 0
	.set _ZN2at6native8internal12_GLOBAL__N_126adjacent_difference_kernelIPKjEEvlT_Pi.has_indirect_call, 0
	.section	.AMDGPU.csdata,"",@progbits
; Kernel info:
; codeLenInByte = 356
; TotalNumSgprs: 20
; NumVgprs: 10
; ScratchSize: 0
; MemoryBound: 0
; FloatMode: 240
; IeeeMode: 1
; LDSByteSize: 0 bytes/workgroup (compile time only)
; SGPRBlocks: 0
; VGPRBlocks: 0
; NumSGPRsForWavesPerEU: 20
; NumVGPRsForWavesPerEU: 10
; NamedBarCnt: 0
; Occupancy: 16
; WaveLimiterHint : 0
; COMPUTE_PGM_RSRC2:SCRATCH_EN: 0
; COMPUTE_PGM_RSRC2:USER_SGPR: 2
; COMPUTE_PGM_RSRC2:TRAP_HANDLER: 0
; COMPUTE_PGM_RSRC2:TGID_X_EN: 1
; COMPUTE_PGM_RSRC2:TGID_Y_EN: 0
; COMPUTE_PGM_RSRC2:TGID_Z_EN: 0
; COMPUTE_PGM_RSRC2:TIDIG_COMP_CNT: 0
	.section	.text._ZN7rocprim17ROCPRIM_400000_NS6detail17trampoline_kernelINS0_14default_configENS1_25partition_config_selectorILNS1_17partition_subalgoE8EjNS0_10empty_typeEbEEZZNS1_14partition_implILS5_8ELb0ES3_jPKjPS6_PKS6_NS0_5tupleIJPjS6_EEENSE_IJSB_SB_EEENS0_18inequality_wrapperIN6hipcub16HIPCUB_304000_NS8EqualityEEEPlJS6_EEE10hipError_tPvRmT3_T4_T5_T6_T7_T9_mT8_P12ihipStream_tbDpT10_ENKUlT_T0_E_clISt17integral_constantIbLb0EES17_EEDaS12_S13_EUlS12_E_NS1_11comp_targetILNS1_3genE0ELNS1_11target_archE4294967295ELNS1_3gpuE0ELNS1_3repE0EEENS1_30default_config_static_selectorELNS0_4arch9wavefront6targetE0EEEvT1_,"axG",@progbits,_ZN7rocprim17ROCPRIM_400000_NS6detail17trampoline_kernelINS0_14default_configENS1_25partition_config_selectorILNS1_17partition_subalgoE8EjNS0_10empty_typeEbEEZZNS1_14partition_implILS5_8ELb0ES3_jPKjPS6_PKS6_NS0_5tupleIJPjS6_EEENSE_IJSB_SB_EEENS0_18inequality_wrapperIN6hipcub16HIPCUB_304000_NS8EqualityEEEPlJS6_EEE10hipError_tPvRmT3_T4_T5_T6_T7_T9_mT8_P12ihipStream_tbDpT10_ENKUlT_T0_E_clISt17integral_constantIbLb0EES17_EEDaS12_S13_EUlS12_E_NS1_11comp_targetILNS1_3genE0ELNS1_11target_archE4294967295ELNS1_3gpuE0ELNS1_3repE0EEENS1_30default_config_static_selectorELNS0_4arch9wavefront6targetE0EEEvT1_,comdat
	.protected	_ZN7rocprim17ROCPRIM_400000_NS6detail17trampoline_kernelINS0_14default_configENS1_25partition_config_selectorILNS1_17partition_subalgoE8EjNS0_10empty_typeEbEEZZNS1_14partition_implILS5_8ELb0ES3_jPKjPS6_PKS6_NS0_5tupleIJPjS6_EEENSE_IJSB_SB_EEENS0_18inequality_wrapperIN6hipcub16HIPCUB_304000_NS8EqualityEEEPlJS6_EEE10hipError_tPvRmT3_T4_T5_T6_T7_T9_mT8_P12ihipStream_tbDpT10_ENKUlT_T0_E_clISt17integral_constantIbLb0EES17_EEDaS12_S13_EUlS12_E_NS1_11comp_targetILNS1_3genE0ELNS1_11target_archE4294967295ELNS1_3gpuE0ELNS1_3repE0EEENS1_30default_config_static_selectorELNS0_4arch9wavefront6targetE0EEEvT1_ ; -- Begin function _ZN7rocprim17ROCPRIM_400000_NS6detail17trampoline_kernelINS0_14default_configENS1_25partition_config_selectorILNS1_17partition_subalgoE8EjNS0_10empty_typeEbEEZZNS1_14partition_implILS5_8ELb0ES3_jPKjPS6_PKS6_NS0_5tupleIJPjS6_EEENSE_IJSB_SB_EEENS0_18inequality_wrapperIN6hipcub16HIPCUB_304000_NS8EqualityEEEPlJS6_EEE10hipError_tPvRmT3_T4_T5_T6_T7_T9_mT8_P12ihipStream_tbDpT10_ENKUlT_T0_E_clISt17integral_constantIbLb0EES17_EEDaS12_S13_EUlS12_E_NS1_11comp_targetILNS1_3genE0ELNS1_11target_archE4294967295ELNS1_3gpuE0ELNS1_3repE0EEENS1_30default_config_static_selectorELNS0_4arch9wavefront6targetE0EEEvT1_
	.globl	_ZN7rocprim17ROCPRIM_400000_NS6detail17trampoline_kernelINS0_14default_configENS1_25partition_config_selectorILNS1_17partition_subalgoE8EjNS0_10empty_typeEbEEZZNS1_14partition_implILS5_8ELb0ES3_jPKjPS6_PKS6_NS0_5tupleIJPjS6_EEENSE_IJSB_SB_EEENS0_18inequality_wrapperIN6hipcub16HIPCUB_304000_NS8EqualityEEEPlJS6_EEE10hipError_tPvRmT3_T4_T5_T6_T7_T9_mT8_P12ihipStream_tbDpT10_ENKUlT_T0_E_clISt17integral_constantIbLb0EES17_EEDaS12_S13_EUlS12_E_NS1_11comp_targetILNS1_3genE0ELNS1_11target_archE4294967295ELNS1_3gpuE0ELNS1_3repE0EEENS1_30default_config_static_selectorELNS0_4arch9wavefront6targetE0EEEvT1_
	.p2align	8
	.type	_ZN7rocprim17ROCPRIM_400000_NS6detail17trampoline_kernelINS0_14default_configENS1_25partition_config_selectorILNS1_17partition_subalgoE8EjNS0_10empty_typeEbEEZZNS1_14partition_implILS5_8ELb0ES3_jPKjPS6_PKS6_NS0_5tupleIJPjS6_EEENSE_IJSB_SB_EEENS0_18inequality_wrapperIN6hipcub16HIPCUB_304000_NS8EqualityEEEPlJS6_EEE10hipError_tPvRmT3_T4_T5_T6_T7_T9_mT8_P12ihipStream_tbDpT10_ENKUlT_T0_E_clISt17integral_constantIbLb0EES17_EEDaS12_S13_EUlS12_E_NS1_11comp_targetILNS1_3genE0ELNS1_11target_archE4294967295ELNS1_3gpuE0ELNS1_3repE0EEENS1_30default_config_static_selectorELNS0_4arch9wavefront6targetE0EEEvT1_,@function
_ZN7rocprim17ROCPRIM_400000_NS6detail17trampoline_kernelINS0_14default_configENS1_25partition_config_selectorILNS1_17partition_subalgoE8EjNS0_10empty_typeEbEEZZNS1_14partition_implILS5_8ELb0ES3_jPKjPS6_PKS6_NS0_5tupleIJPjS6_EEENSE_IJSB_SB_EEENS0_18inequality_wrapperIN6hipcub16HIPCUB_304000_NS8EqualityEEEPlJS6_EEE10hipError_tPvRmT3_T4_T5_T6_T7_T9_mT8_P12ihipStream_tbDpT10_ENKUlT_T0_E_clISt17integral_constantIbLb0EES17_EEDaS12_S13_EUlS12_E_NS1_11comp_targetILNS1_3genE0ELNS1_11target_archE4294967295ELNS1_3gpuE0ELNS1_3repE0EEENS1_30default_config_static_selectorELNS0_4arch9wavefront6targetE0EEEvT1_: ; @_ZN7rocprim17ROCPRIM_400000_NS6detail17trampoline_kernelINS0_14default_configENS1_25partition_config_selectorILNS1_17partition_subalgoE8EjNS0_10empty_typeEbEEZZNS1_14partition_implILS5_8ELb0ES3_jPKjPS6_PKS6_NS0_5tupleIJPjS6_EEENSE_IJSB_SB_EEENS0_18inequality_wrapperIN6hipcub16HIPCUB_304000_NS8EqualityEEEPlJS6_EEE10hipError_tPvRmT3_T4_T5_T6_T7_T9_mT8_P12ihipStream_tbDpT10_ENKUlT_T0_E_clISt17integral_constantIbLb0EES17_EEDaS12_S13_EUlS12_E_NS1_11comp_targetILNS1_3genE0ELNS1_11target_archE4294967295ELNS1_3gpuE0ELNS1_3repE0EEENS1_30default_config_static_selectorELNS0_4arch9wavefront6targetE0EEEvT1_
; %bb.0:
	s_clause 0x3
	s_load_b128 s[4:7], s[0:1], 0x8
	s_load_b128 s[20:23], s[0:1], 0x40
	s_load_b32 s12, s[0:1], 0x68
	s_load_b64 s[2:3], s[0:1], 0x50
	s_bfe_u32 s10, ttmp6, 0x4000c
	s_and_b32 s8, ttmp6, 15
	s_add_co_i32 s10, s10, 1
	s_mov_b32 s9, 0
	s_mul_i32 s10, ttmp9, s10
	s_getreg_b32 s13, hwreg(HW_REG_IB_STS2, 6, 4)
	s_add_co_i32 s14, s8, s10
	v_mov_b32_e32 v14, v0
	s_wait_kmcnt 0x0
	s_lshl_b64 s[10:11], s[6:7], 2
	s_load_b64 s[22:23], s[22:23], 0x0
	s_mul_i32 s8, s12, 0x1600
	s_cmp_eq_u32 s13, 0
	s_add_nc_u64 s[10:11], s[4:5], s[10:11]
	s_add_nc_u64 s[4:5], s[6:7], s[8:9]
	s_cselect_b32 s26, ttmp9, s14
	s_add_co_i32 s8, s8, s6
	v_cmp_le_u64_e64 s3, s[2:3], s[4:5]
	s_add_co_i32 s12, s12, -1
	s_sub_co_i32 s27, s2, s8
	s_cmp_eq_u32 s26, s12
	s_mul_i32 s8, s26, 0x1600
	s_cselect_b32 s24, -1, 0
	s_mov_b32 s4, -1
	s_and_b32 s28, s24, s3
	s_lshl_b64 s[2:3], s[8:9], 2
	s_xor_b32 s25, s28, -1
	s_add_nc_u64 s[2:3], s[10:11], s[2:3]
	s_and_b32 vcc_lo, exec_lo, s25
	s_cbranch_vccz .LBB617_2
; %bb.1:
	s_clause 0xa
	global_load_b32 v1, v0, s[2:3] scale_offset
	global_load_b32 v2, v0, s[2:3] offset:2048 scale_offset
	global_load_b32 v3, v0, s[2:3] offset:4096 scale_offset
	;; [unrolled: 1-line block ×10, first 2 shown]
	v_lshlrev_b32_e32 v12, 2, v0
	s_mov_b32 s4, 0
	s_wait_loadcnt 0x9
	ds_store_2addr_stride64_b32 v12, v1, v2 offset1:8
	s_wait_loadcnt 0x7
	ds_store_2addr_stride64_b32 v12, v3, v4 offset0:16 offset1:24
	s_wait_loadcnt 0x5
	ds_store_2addr_stride64_b32 v12, v5, v6 offset0:32 offset1:40
	;; [unrolled: 2-line block ×4, first 2 shown]
	s_wait_loadcnt 0x0
	ds_store_b32 v12, v11 offset:20480
	s_wait_dscnt 0x0
	s_barrier_signal -1
	s_barrier_wait -1
.LBB617_2:
	s_and_not1_b32 vcc_lo, exec_lo, s4
	s_addk_co_i32 s27, 0x1600
	s_cbranch_vccnz .LBB617_26
; %bb.3:
	v_mov_b32_e32 v2, 0
	s_mov_b32 s4, exec_lo
	s_delay_alu instid0(VALU_DEP_1)
	v_dual_mov_b32 v3, v2 :: v_dual_mov_b32 v4, v2
	v_dual_mov_b32 v5, v2 :: v_dual_mov_b32 v6, v2
	;; [unrolled: 1-line block ×5, first 2 shown]
	v_cmpx_gt_u32_e64 s27, v0
	s_cbranch_execz .LBB617_5
; %bb.4:
	global_load_b32 v16, v0, s[2:3] scale_offset
	v_dual_mov_b32 v17, v2 :: v_dual_mov_b32 v18, v2
	v_dual_mov_b32 v19, v2 :: v_dual_mov_b32 v20, v2
	;; [unrolled: 1-line block ×5, first 2 shown]
	s_wait_loadcnt 0x0
	v_dual_mov_b32 v2, v16 :: v_dual_mov_b32 v3, v17
	v_dual_mov_b32 v4, v18 :: v_dual_mov_b32 v5, v19
	;; [unrolled: 1-line block ×5, first 2 shown]
	v_mov_b32_e32 v12, v26
.LBB617_5:
	s_or_b32 exec_lo, exec_lo, s4
	v_or_b32_e32 v1, 0x200, v0
	s_mov_b32 s4, exec_lo
	s_delay_alu instid0(VALU_DEP_1)
	v_cmpx_gt_u32_e64 s27, v1
	s_cbranch_execz .LBB617_7
; %bb.6:
	global_load_b32 v3, v0, s[2:3] offset:2048 scale_offset
.LBB617_7:
	s_wait_xcnt 0x0
	s_or_b32 exec_lo, exec_lo, s4
	v_or_b32_e32 v1, 0x400, v0
	s_mov_b32 s4, exec_lo
	s_delay_alu instid0(VALU_DEP_1)
	v_cmpx_gt_u32_e64 s27, v1
	s_cbranch_execz .LBB617_9
; %bb.8:
	global_load_b32 v4, v0, s[2:3] offset:4096 scale_offset
.LBB617_9:
	s_wait_xcnt 0x0
	;; [unrolled: 10-line block ×10, first 2 shown]
	s_or_b32 exec_lo, exec_lo, s4
	v_lshlrev_b32_e32 v1, 2, v0
	s_wait_loadcnt 0x0
	ds_store_2addr_stride64_b32 v1, v2, v3 offset1:8
	ds_store_2addr_stride64_b32 v1, v4, v5 offset0:16 offset1:24
	ds_store_2addr_stride64_b32 v1, v6, v7 offset0:32 offset1:40
	;; [unrolled: 1-line block ×4, first 2 shown]
	ds_store_b32 v1, v12 offset:20480
	s_wait_dscnt 0x0
	s_barrier_signal -1
	s_barrier_wait -1
.LBB617_26:
	v_mul_u32_u24_e32 v6, 11, v0
	s_cmp_lg_u32 s26, 0
	s_mov_b32 s18, 0
	s_cselect_b32 s29, -1, 0
	s_delay_alu instid0(VALU_DEP_1)
	v_lshlrev_b32_e32 v1, 2, v6
	s_cmp_lg_u64 s[6:7], 0
	ds_load_2addr_b32 v[22:23], v1 offset0:2 offset1:3
	ds_load_2addr_b32 v[24:25], v1 offset1:1
	ds_load_2addr_b32 v[12:13], v1 offset0:3 offset1:4
	ds_load_2addr_b32 v[2:3], v1 offset0:1 offset1:2
	;; [unrolled: 1-line block ×5, first 2 shown]
	s_cselect_b32 s4, -1, 0
	s_wait_dscnt 0x0
	s_or_b32 s4, s29, s4
	s_barrier_signal -1
	s_and_b32 vcc_lo, exec_lo, s4
	s_barrier_wait -1
	s_cbranch_vccz .LBB617_31
; %bb.27:
	s_add_nc_u64 s[2:3], s[2:3], -4
	v_lshlrev_b32_e32 v10, 2, v0
	s_load_b32 s3, s[2:3], 0x0
	s_and_b32 vcc_lo, exec_lo, s25
	ds_store_b32 v10, v17
	s_cbranch_vccz .LBB617_33
; %bb.28:
	s_wait_kmcnt 0x0
	v_mov_b32_e32 v4, s3
	s_mov_b32 s4, 0
	s_mov_b32 s2, exec_lo
	s_wait_dscnt 0x0
	s_barrier_signal -1
	s_barrier_wait -1
	v_cmpx_ne_u32_e32 0, v0
; %bb.29:
	v_add_nc_u32_e32 v4, -4, v10
	ds_load_b32 v4, v4
; %bb.30:
	s_or_b32 exec_lo, exec_lo, s2
	v_cmp_ne_u32_e32 vcc_lo, v23, v22
	s_wait_dscnt 0x0
	v_cmp_ne_u32_e64 s2, v4, v24
	v_cndmask_b32_e64 v5, 0, 1, vcc_lo
	v_cmp_ne_u32_e32 vcc_lo, v20, v13
	s_delay_alu instid0(VALU_DEP_2) | instskip(SKIP_2) | instid1(VALU_DEP_2)
	v_lshlrev_b16 v5, 8, v5
	v_cndmask_b32_e64 v7, 0, 1, vcc_lo
	v_cmp_ne_u32_e32 vcc_lo, v25, v24
	v_lshlrev_b16 v7, 8, v7
	v_cndmask_b32_e64 v8, 0, 1, vcc_lo
	v_cmp_ne_u32_e32 vcc_lo, v18, v21
	s_delay_alu instid0(VALU_DEP_3) | instskip(NEXT) | instid1(VALU_DEP_3)
	v_dual_lshrrev_b32 v5, 8, v5 :: v_dual_lshrrev_b32 v11, 8, v7
	v_lshlrev_b16 v8, 8, v8
	v_cndmask_b32_e64 v9, 0, 1, vcc_lo
	v_cmp_ne_u32_e32 vcc_lo, v16, v17
	s_delay_alu instid0(VALU_DEP_4) | instskip(SKIP_1) | instid1(VALU_DEP_4)
	v_lshlrev_b16 v5, 8, v5
	v_lshlrev_b16 v11, 8, v11
	v_lshlrev_b16 v9, 8, v9
	v_cndmask_b32_e64 v7, 0, 1, vcc_lo
	v_cmp_ne_u32_e32 vcc_lo, v25, v22
	s_delay_alu instid0(VALU_DEP_2) | instskip(SKIP_2) | instid1(VALU_DEP_2)
	v_lshlrev_b16 v28, 8, v7
	v_cndmask_b32_e64 v15, 0, 1, vcc_lo
	v_cmp_ne_u32_e32 vcc_lo, v23, v13
	v_dual_lshrrev_b32 v8, 8, v8 :: v_dual_bitop2_b32 v5, v15, v5 bitop3:0x54
	v_cndmask_b32_e64 v26, 0, 1, vcc_lo
	v_cmp_ne_u32_e32 vcc_lo, v20, v21
	s_delay_alu instid0(VALU_DEP_3) | instskip(NEXT) | instid1(VALU_DEP_3)
	v_lshlrev_b16 v8, 8, v8
	v_dual_lshlrev_b32 v5, 16, v5 :: v_dual_bitop2_b32 v11, v26, v11 bitop3:0x54
	v_cndmask_b32_e64 v27, 0, 1, vcc_lo
	v_cmp_ne_u32_e32 vcc_lo, v16, v19
	s_delay_alu instid0(VALU_DEP_4) | instskip(NEXT) | instid1(VALU_DEP_4)
	v_and_b32_e32 v26, 0xffff, v8
	v_and_b32_e32 v11, 0xffff, v11
	s_delay_alu instid0(VALU_DEP_4) | instskip(SKIP_3) | instid1(VALU_DEP_3)
	v_or_b32_e32 v9, v27, v9
	v_cndmask_b32_e64 v15, 0, 1, vcc_lo
	v_cmp_ne_u32_e32 vcc_lo, v18, v19
	v_or_b32_e32 v4, v26, v5
	v_dual_lshlrev_b32 v27, 16, v9 :: v_dual_bitop2_b32 v9, v15, v28 bitop3:0x54
	v_cndmask_b32_e64 v8, 0, 1, vcc_lo
	s_delay_alu instid0(VALU_DEP_2)
	v_or_b32_e32 v5, v11, v27
	s_and_b32 vcc_lo, exec_lo, s4
	s_cbranch_vccnz .LBB617_34
	s_branch .LBB617_37
.LBB617_31:
                                        ; implicit-def: $sgpr2
                                        ; implicit-def: $vgpr7
                                        ; implicit-def: $vgpr9
                                        ; implicit-def: $vgpr8
                                        ; implicit-def: $vgpr5
	s_branch .LBB617_38
.LBB617_32:
                                        ; implicit-def: $vgpr26
                                        ; implicit-def: $vgpr37
                                        ; implicit-def: $vgpr35
                                        ; implicit-def: $vgpr28
                                        ; implicit-def: $vgpr36
                                        ; implicit-def: $vgpr34
                                        ; implicit-def: $vgpr33
                                        ; implicit-def: $vgpr15
                                        ; implicit-def: $vgpr29
                                        ; implicit-def: $vgpr1
	s_branch .LBB617_46
.LBB617_33:
                                        ; implicit-def: $sgpr2
                                        ; implicit-def: $vgpr7
                                        ; implicit-def: $vgpr9
                                        ; implicit-def: $vgpr8
                                        ; implicit-def: $vgpr5
	s_cbranch_execz .LBB617_37
.LBB617_34:
	s_wait_kmcnt 0x0
	v_mov_b32_e32 v4, s3
	s_mov_b32 s2, exec_lo
	s_wait_dscnt 0x0
	s_barrier_signal -1
	s_barrier_wait -1
	v_cmpx_ne_u32_e32 0, v0
; %bb.35:
	v_add_nc_u32_e32 v4, -4, v10
	ds_load_b32 v4, v4
; %bb.36:
	s_or_b32 exec_lo, exec_lo, s2
	v_dual_add_nc_u32 v5, 10, v6 :: v_dual_add_nc_u32 v7, 9, v6
	v_add_nc_u32_e32 v8, 8, v6
	v_cmp_ne_u32_e64 s17, v23, v22
	v_cmp_ne_u32_e64 s11, v20, v13
	s_delay_alu instid0(VALU_DEP_4)
	v_cmp_gt_u32_e64 s2, s27, v5
	v_add_nc_u32_e32 v5, 7, v6
	v_cmp_gt_u32_e64 s3, s27, v7
	v_add_nc_u32_e32 v7, 5, v6
	;; [unrolled: 2-line block ×6, first 2 shown]
	v_cmp_gt_u32_e64 s13, s27, v5
	v_cmp_ne_u32_e64 s15, v25, v24
	v_cmp_gt_u32_e64 s14, s27, v7
	s_and_b32 s9, s9, s11
	v_add_nc_u32_e32 v5, 2, v6
	s_and_b32 s13, s13, s17
	v_cmp_gt_u32_e64 s16, s27, v8
	v_cndmask_b32_e64 v7, 0, 1, s13
	v_cndmask_b32_e64 v8, 0, 1, s9
	v_cmp_ne_u32_e32 vcc_lo, v16, v17
	v_cmp_ne_u32_e64 s8, v18, v21
	s_and_b32 s14, s14, s15
	v_cmp_gt_u32_e64 s19, s27, v5
	v_cmp_ne_u32_e64 s13, v25, v22
	v_lshlrev_b16 v7, 8, v7
	v_cndmask_b32_e64 v5, 0, 1, s14
	v_lshlrev_b16 v10, 8, v8
	v_cmp_ne_u32_e64 s18, v23, v13
	s_and_b32 s2, s2, vcc_lo
	v_cmp_ne_u32_e64 s12, v20, v21
	s_and_b32 s6, s6, s8
	v_dual_lshrrev_b32 v11, 8, v7 :: v_dual_lshrrev_b32 v10, 8, v10
	v_cndmask_b32_e64 v7, 0, 1, s2
	s_and_b32 s2, s19, s13
	v_lshlrev_b16 v5, 8, v5
	v_cndmask_b32_e64 v9, 0, 1, s6
	v_cndmask_b32_e64 v15, 0, 1, s2
	s_and_b32 s2, s16, s18
	v_lshlrev_b16 v11, 8, v11
	v_cndmask_b32_e64 v26, 0, 1, s2
	s_and_b32 s2, s10, s12
	v_lshlrev_b16 v9, 8, v9
	s_delay_alu instid0(VALU_DEP_3) | instskip(SKIP_3) | instid1(VALU_DEP_4)
	v_dual_lshrrev_b32 v5, 8, v5 :: v_dual_bitop2_b32 v11, v15, v11 bitop3:0x54
	v_lshlrev_b16 v10, 8, v10
	v_cndmask_b32_e64 v27, 0, 1, s2
	v_cmp_ne_u32_e64 s4, v16, v19
	v_lshlrev_b16 v5, 8, v5
	v_cmp_ne_u32_e64 s7, v18, v19
	v_dual_lshlrev_b32 v11, 16, v11 :: v_dual_bitop2_b32 v10, v26, v10 bitop3:0x54
	v_or_b32_e32 v9, v27, v9
	s_and_b32 s2, s3, s4
	v_lshlrev_b16 v28, 8, v7
	v_cndmask_b32_e64 v15, 0, 1, s2
	v_and_b32_e32 v5, 0xffff, v5
	v_and_b32_e32 v10, 0xffff, v10
	v_lshlrev_b32_e32 v26, 16, v9
	s_and_b32 s5, s5, s7
	v_cmp_gt_u32_e32 vcc_lo, s27, v6
	s_wait_dscnt 0x0
	v_cmp_ne_u32_e64 s2, v4, v24
	v_cndmask_b32_e64 v8, 0, 1, s5
	v_or_b32_e32 v9, v15, v28
	v_or_b32_e32 v4, v5, v11
	;; [unrolled: 1-line block ×3, first 2 shown]
	s_and_b32 s2, vcc_lo, s2
.LBB617_37:
	s_wait_kmcnt 0x0
	s_mov_b32 s18, -1
	s_cbranch_execnz .LBB617_32
.LBB617_38:
	v_mad_i32_i24 v10, 0xffffffd8, v0, v1
	v_cmp_ne_u32_e64 s2, v16, v17
	v_cmp_ne_u32_e64 s3, v18, v19
	;; [unrolled: 1-line block ×4, first 2 shown]
	s_and_b32 vcc_lo, exec_lo, s25
	ds_store_b32 v10, v17
	s_cbranch_vccz .LBB617_42
; %bb.39:
	v_cmp_ne_u32_e32 vcc_lo, v25, v22
	v_cndmask_b32_e64 v27, 0, 1, s5
	v_cndmask_b32_e64 v34, 0, 1, s4
	;; [unrolled: 1-line block ×4, first 2 shown]
	v_cndmask_b32_e64 v35, 0, 1, vcc_lo
	v_cmp_ne_u32_e32 vcc_lo, v25, v24
	v_lshlrev_b16 v29, 8, v27
	v_lshlrev_b16 v31, 8, v34
	v_lshlrev_b16 v33, 8, v15
	v_lshlrev_b16 v11, 8, v35
	v_cndmask_b32_e64 v28, 0, 1, vcc_lo
	v_cmp_ne_u32_e32 vcc_lo, v23, v22
	v_lshlrev_b16 v39, 8, v1
	v_mov_b32_e32 v26, 1
	s_mov_b32 s3, 0
	s_mov_b32 s4, exec_lo
	v_cndmask_b32_e64 v30, 0, 1, vcc_lo
	v_cmp_ne_u32_e32 vcc_lo, v20, v13
	s_wait_dscnt 0x0
	s_barrier_signal -1
	s_barrier_wait -1
	v_cndmask_b32_e64 v32, 0, 1, vcc_lo
	v_cmp_ne_u32_e32 vcc_lo, v18, v21
                                        ; implicit-def: $sgpr2
                                        ; implicit-def: $vgpr7
                                        ; implicit-def: $vgpr9
                                        ; implicit-def: $vgpr8
                                        ; implicit-def: $vgpr5
	v_cndmask_b32_e64 v38, 0, 1, vcc_lo
	v_cmp_ne_u32_e32 vcc_lo, v16, v19
	v_cndmask_b32_e64 v40, 0, 1, vcc_lo
	v_cmpx_ne_u32_e32 0, v0
	s_xor_b32 s4, exec_lo, s4
	s_cbranch_execz .LBB617_41
; %bb.40:
	s_delay_alu instid0(VALU_DEP_2) | instskip(SKIP_3) | instid1(VALU_DEP_4)
	v_lshlrev_b16 v5, 8, v40
	v_lshlrev_b16 v4, 8, v32
	;; [unrolled: 1-line block ×4, first 2 shown]
	v_dual_add_nc_u32 v9, -4, v10 :: v_dual_lshrrev_b32 v5, 8, v5
	s_delay_alu instid0(VALU_DEP_3)
	v_dual_lshrrev_b32 v4, 8, v4 :: v_dual_lshrrev_b32 v7, 8, v7
	v_lshlrev_b16 v36, 8, v38
	ds_load_b32 v9, v9
	v_lshlrev_b16 v5, 8, v5
	v_lshrrev_b32_e32 v8, 8, v8
	v_lshlrev_b16 v4, 8, v4
	v_lshlrev_b16 v7, 8, v7
	v_or_b32_e32 v36, v34, v36
	v_or_b32_e32 v5, v15, v5
	v_lshlrev_b16 v8, 8, v8
	s_or_b32 s18, s18, exec_lo
	s_delay_alu instid0(VALU_DEP_3) | instskip(SKIP_1) | instid1(VALU_DEP_3)
	v_dual_lshlrev_b32 v36, 16, v36 :: v_dual_bitop2_b32 v7, v35, v7 bitop3:0x54
	v_or_b32_e32 v4, v27, v4
	v_or_b32_e32 v8, 1, v8
	v_and_b32_e32 v5, 0xffff, v5
	s_delay_alu instid0(VALU_DEP_4) | instskip(NEXT) | instid1(VALU_DEP_4)
	v_lshlrev_b32_e32 v7, 16, v7
	v_and_b32_e32 v4, 0xffff, v4
	s_delay_alu instid0(VALU_DEP_4) | instskip(NEXT) | instid1(VALU_DEP_4)
	v_and_b32_e32 v37, 0xffff, v8
	v_lshl_or_b32 v8, v1, 16, v5
	s_wait_dscnt 0x0
	v_cmp_ne_u32_e64 s2, v9, v24
	v_or_b32_e32 v5, v4, v36
	s_delay_alu instid0(VALU_DEP_3)
	v_dual_lshrrev_b32 v9, 8, v8 :: v_dual_bitop2_b32 v4, v37, v7 bitop3:0x54
	v_lshrrev_b32_e32 v7, 16, v8
.LBB617_41:
	s_or_b32 exec_lo, exec_lo, s4
	v_or_b32_e32 v37, v28, v11
	v_or_b32_e32 v28, v30, v29
	;; [unrolled: 1-line block ×5, first 2 shown]
	s_and_b32 vcc_lo, exec_lo, s3
	s_cbranch_vccnz .LBB617_43
	s_branch .LBB617_46
.LBB617_42:
                                        ; implicit-def: $sgpr2
                                        ; implicit-def: $vgpr7
                                        ; implicit-def: $vgpr9
                                        ; implicit-def: $vgpr8
                                        ; implicit-def: $vgpr5
                                        ; implicit-def: $vgpr26
                                        ; implicit-def: $vgpr37
                                        ; implicit-def: $vgpr35
                                        ; implicit-def: $vgpr28
                                        ; implicit-def: $vgpr36
                                        ; implicit-def: $vgpr34
                                        ; implicit-def: $vgpr33
                                        ; implicit-def: $vgpr15
                                        ; implicit-def: $vgpr29
                                        ; implicit-def: $vgpr1
	s_cbranch_execz .LBB617_46
.LBB617_43:
	v_dual_add_nc_u32 v1, 10, v6 :: v_dual_add_nc_u32 v4, 9, v6
	v_add_nc_u32_e32 v5, 6, v6
	v_cmp_ne_u32_e64 s13, v23, v13
	v_cmp_ne_u32_e64 s11, v18, v19
	s_delay_alu instid0(VALU_DEP_4) | instskip(SKIP_4) | instid1(VALU_DEP_4)
	v_cmp_gt_u32_e64 s2, s27, v1
	v_add_nc_u32_e32 v1, 5, v6
	v_cmp_gt_u32_e64 s3, s27, v4
	v_dual_add_nc_u32 v4, 8, v6 :: v_dual_add_nc_u32 v7, 7, v6
	v_cmp_gt_u32_e64 s5, s27, v5
	v_cmp_gt_u32_e64 s6, s27, v1
	v_dual_add_nc_u32 v1, 4, v6 :: v_dual_add_nc_u32 v5, 3, v6
	s_delay_alu instid0(VALU_DEP_4) | instskip(SKIP_2) | instid1(VALU_DEP_4)
	v_cmp_gt_u32_e64 s7, s27, v4
	v_add_nc_u32_e32 v4, 2, v6
	v_cmp_ne_u32_e64 s9, v20, v21
	v_cmp_gt_u32_e64 s14, s27, v1
	v_cmp_gt_u32_e64 s8, s27, v7
	v_cmp_ne_u32_e64 s12, v21, v18
	v_add_nc_u32_e32 v1, 1, v6
	v_cmp_ne_u32_e64 s15, v25, v3
	s_and_b32 s13, s14, s13
	v_cmp_gt_u32_e64 s17, s27, v4
	v_cndmask_b32_e64 v4, 0, 1, s13
	v_cmp_ne_u32_e64 s13, v22, v12
	v_cmp_gt_u32_e64 s14, s27, v5
	s_and_b32 s7, s7, s11
	s_and_b32 s5, s5, s9
	v_cndmask_b32_e64 v35, 0, 1, s7
	s_and_b32 s15, s17, s15
	s_and_b32 s7, s14, s13
	v_cndmask_b32_e64 v36, 0, 1, s5
	s_and_b32 s5, s8, s12
	v_cndmask_b32_e64 v32, 0, 1, s15
	v_lshlrev_b16 v3, 8, v4
	v_cndmask_b32_e64 v38, 0, 1, s7
	v_lshlrev_b16 v5, 8, v35
	v_cndmask_b32_e64 v37, 0, 1, s5
	v_cmp_ne_u32_e32 vcc_lo, v16, v17
	v_cmp_ne_u32_e64 s16, v24, v2
	v_lshlrev_b16 v2, 8, v32
	v_cmp_ne_u32_e64 s10, v13, v20
	v_or_b32_e32 v33, v37, v5
	v_or_b32_e32 v28, v38, v3
	v_lshlrev_b16 v3, 8, v36
	v_cmp_ne_u32_e64 s4, v19, v16
	v_cmp_gt_u32_e64 s5, s27, v1
	s_and_b32 s2, s2, vcc_lo
	v_and_b32_e32 v5, 0xffff, v2
	v_dual_lshlrev_b32 v15, 16, v33 :: v_dual_lshlrev_b32 v11, 16, v28
	v_and_b32_e32 v7, 0xffff, v3
	v_cndmask_b32_e64 v1, 0, 1, s2
	s_and_b32 s2, s6, s10
	s_and_b32 s5, s5, s16
	v_cndmask_b32_e64 v27, 0, 1, s2
	s_and_b32 s2, s3, s4
	v_cndmask_b32_e64 v12, 0, 1, s5
	v_dual_mov_b32 v26, 1 :: v_dual_bitop2_b32 v30, v5, v11 bitop3:0x54
	v_or_b32_e32 v31, v7, v15
	v_lshlrev_b16 v29, 8, v1
	v_cndmask_b32_e64 v34, 0, 1, s2
	s_mov_b32 s3, exec_lo
	s_wait_dscnt 0x0
	s_barrier_signal -1
	s_barrier_wait -1
                                        ; implicit-def: $sgpr2
                                        ; implicit-def: $vgpr7
                                        ; implicit-def: $vgpr9
                                        ; implicit-def: $vgpr8
                                        ; implicit-def: $vgpr5
	v_cmpx_ne_u32_e32 0, v0
	s_cbranch_execz .LBB617_45
; %bb.44:
	v_lshlrev_b16 v5, 8, v34
	v_lshlrev_b16 v7, 8, v27
	;; [unrolled: 1-line block ×3, first 2 shown]
	v_add_nc_u32_e32 v9, -4, v10
	v_lshlrev_b16 v10, 8, v12
	s_delay_alu instid0(VALU_DEP_4) | instskip(NEXT) | instid1(VALU_DEP_4)
	v_dual_lshrrev_b32 v5, 8, v5 :: v_dual_lshrrev_b32 v7, 8, v7
	v_lshrrev_b32_e32 v8, 8, v8
	ds_load_b32 v9, v9
	v_lshlrev_b16 v37, 8, v37
	v_lshlrev_b16 v5, 8, v5
	v_lshrrev_b32_e32 v10, 8, v10
	v_lshlrev_b16 v7, 8, v7
	v_lshlrev_b16 v8, 8, v8
	v_cmp_gt_u32_e32 vcc_lo, s27, v6
	v_or_b32_e32 v5, v35, v5
	v_lshlrev_b16 v10, 8, v10
	v_or_b32_e32 v4, v4, v7
	v_or_b32_e32 v7, v32, v8
	v_or_b32_e32 v35, v36, v37
	v_and_b32_e32 v5, 0xffff, v5
	v_or_b32_e32 v8, 1, v10
	s_or_b32 s18, s18, exec_lo
	v_lshlrev_b32_e32 v7, 16, v7
	v_lshlrev_b32_e32 v10, 16, v35
	s_delay_alu instid0(VALU_DEP_3) | instskip(SKIP_3) | instid1(VALU_DEP_2)
	v_and_b32_e32 v32, 0xffff, v8
	v_lshl_or_b32 v8, v1, 16, v5
	s_wait_dscnt 0x0
	v_cmp_ne_u32_e64 s2, v9, v24
	v_lshrrev_b32_e32 v9, 8, v8
	v_and_b32_e32 v4, 0xffff, v4
	s_and_b32 s2, vcc_lo, s2
	s_delay_alu instid0(VALU_DEP_1)
	v_or_b32_e32 v5, v4, v10
	v_dual_lshrrev_b32 v7, 16, v8 :: v_dual_bitop2_b32 v4, v32, v7 bitop3:0x54
.LBB617_45:
	s_or_b32 exec_lo, exec_lo, s3
	v_dual_lshrrev_b32 v15, 24, v15 :: v_dual_bitop2_b32 v37, v12, v2 bitop3:0x54
	v_dual_lshrrev_b32 v35, 8, v30 :: v_dual_bitop2_b32 v36, v27, v3 bitop3:0x54
	;; [unrolled: 1-line block ×3, first 2 shown]
	v_lshrrev_b32_e32 v34, 8, v31
.LBB617_46:
	s_and_saveexec_b32 s3, s18
	s_cbranch_execz .LBB617_48
; %bb.47:
	v_lshrrev_b64 v[28:29], 24, v[4:5]
	v_dual_lshrrev_b32 v36, 8, v5 :: v_dual_lshrrev_b32 v34, 16, v5
	v_dual_lshrrev_b32 v33, 24, v5 :: v_dual_lshrrev_b32 v35, 16, v4
	v_dual_lshrrev_b32 v37, 8, v4 :: v_dual_mov_b32 v27, v5
	v_cndmask_b32_e64 v26, 0, 1, s2
	v_dual_mov_b32 v15, v8 :: v_dual_mov_b32 v29, v9
	v_mov_b32_e32 v1, v7
.LBB617_48:
	s_or_b32 exec_lo, exec_lo, s3
	s_load_b64 s[10:11], s[0:1], 0x60
	s_and_not1_b32 vcc_lo, exec_lo, s28
	s_cbranch_vccnz .LBB617_52
; %bb.49:
	v_perm_b32 v2, v26, v37, 0xc0c0004
	v_perm_b32 v3, v35, v28, 0xc0c0004
	v_cmp_gt_u32_e32 vcc_lo, s27, v6
	v_dual_add_nc_u32 v4, 1, v6 :: v_dual_add_nc_u32 v5, 2, v6
	v_perm_b32 v7, v27, v36, 0xc0c0004
	s_delay_alu instid0(VALU_DEP_4) | instskip(SKIP_2) | instid1(VALU_DEP_3)
	v_lshl_or_b32 v2, v3, 16, v2
	v_and_b32_e32 v1, 0xff, v1
	v_perm_b32 v9, v15, v29, 0xc0c0004
	v_cndmask_b32_e32 v3, 0, v2, vcc_lo
	v_cmp_gt_u32_e32 vcc_lo, s27, v4
	v_perm_b32 v4, v34, v33, 0xc0c0004
	s_delay_alu instid0(VALU_DEP_1) | instskip(NEXT) | instid1(VALU_DEP_4)
	v_dual_lshlrev_b32 v1, 16, v1 :: v_dual_lshlrev_b32 v4, 16, v4
	v_and_b32_e32 v3, 0xff, v3
	s_delay_alu instid0(VALU_DEP_2) | instskip(NEXT) | instid1(VALU_DEP_3)
	v_or_b32_e32 v9, v9, v1
	v_or_b32_e32 v8, v7, v4
	v_bitop3_b32 v4, v7, 0xffffff00, v4 bitop3:0xc8
	s_delay_alu instid0(VALU_DEP_4) | instskip(SKIP_2) | instid1(VALU_DEP_3)
	v_cndmask_b32_e32 v3, v3, v2, vcc_lo
	v_cmp_gt_u32_e32 vcc_lo, s27, v5
	v_dual_add_nc_u32 v5, 4, v6 :: v_dual_add_nc_u32 v7, 3, v6
	v_and_b32_e32 v3, 0xffff, v3
	s_delay_alu instid0(VALU_DEP_2) | instskip(SKIP_1) | instid1(VALU_DEP_3)
	v_cmp_gt_u32_e64 s2, s27, v7
	v_lshlrev_b16 v7, 8, v29
	v_cndmask_b32_e32 v3, v3, v2, vcc_lo
	v_cmp_gt_u32_e32 vcc_lo, s27, v5
	v_add_nc_u32_e32 v5, 5, v6
	s_delay_alu instid0(VALU_DEP_3) | instskip(SKIP_1) | instid1(VALU_DEP_1)
	v_and_b32_e32 v3, 0xffffff, v3
	v_cndmask_b32_e32 v4, v4, v8, vcc_lo
	v_and_b32_e32 v4, 0xffff00ff, v4
	s_delay_alu instid0(VALU_DEP_3) | instskip(NEXT) | instid1(VALU_DEP_1)
	v_cndmask_b32_e64 v3, v3, v2, s2
	v_cndmask_b32_e32 v3, v3, v2, vcc_lo
	v_cmp_gt_u32_e32 vcc_lo, s27, v5
	v_and_b32_e32 v5, 0xffff, v7
	v_dual_cndmask_b32 v4, v4, v8 :: v_dual_add_nc_u32 v7, 8, v6
	s_delay_alu instid0(VALU_DEP_2) | instskip(SKIP_1) | instid1(VALU_DEP_3)
	v_dual_add_nc_u32 v5, 6, v6 :: v_dual_bitop2_b32 v1, v5, v1 bitop3:0x54
	v_cndmask_b32_e32 v3, v3, v2, vcc_lo
	v_cmp_gt_u32_e32 vcc_lo, s27, v7
	s_delay_alu instid0(VALU_DEP_4) | instskip(SKIP_3) | instid1(VALU_DEP_3)
	v_and_b32_e32 v4, 0xff00ffff, v4
	v_add_nc_u32_e32 v7, 9, v6
	v_cmp_gt_u32_e64 s2, s27, v5
	v_dual_cndmask_b32 v1, v1, v9 :: v_dual_add_nc_u32 v10, 7, v6
	v_cmp_gt_u32_e64 s3, s27, v7
	s_delay_alu instid0(VALU_DEP_3) | instskip(NEXT) | instid1(VALU_DEP_3)
	v_cndmask_b32_e64 v4, v4, v8, s2
	v_cmp_gt_u32_e64 s4, s27, v10
	s_delay_alu instid0(VALU_DEP_4) | instskip(NEXT) | instid1(VALU_DEP_3)
	v_and_b32_e32 v1, 0xffff00ff, v1
	v_and_b32_e32 v4, 0xffffff, v4
	s_delay_alu instid0(VALU_DEP_2) | instskip(SKIP_1) | instid1(SALU_CYCLE_1)
	v_cndmask_b32_e64 v15, v1, v9, s3
	s_or_b32 s3, s3, vcc_lo
	s_or_b32 vcc_lo, s3, s4
	s_delay_alu instid0(VALU_DEP_2) | instskip(SKIP_2) | instid1(VALU_DEP_2)
	v_cndmask_b32_e32 v27, v4, v8, vcc_lo
	s_or_b32 vcc_lo, vcc_lo, s2
	v_dual_cndmask_b32 v26, v3, v2 :: v_dual_lshrrev_b32 v1, 16, v15
	v_dual_add_nc_u32 v2, 10, v6 :: v_dual_lshrrev_b32 v34, 16, v27
	v_dual_lshrrev_b32 v33, 24, v27 :: v_dual_lshrrev_b32 v36, 8, v27
	s_delay_alu instid0(VALU_DEP_3)
	v_lshrrev_b64 v[28:29], 24, v[26:27]
	v_dual_lshrrev_b32 v35, 16, v26 :: v_dual_lshrrev_b32 v37, 8, v26
	v_lshrrev_b32_e32 v29, 8, v15
	s_mov_b32 s2, exec_lo
	v_cmpx_le_u32_e64 s27, v2
; %bb.50:
	v_mov_b32_e32 v1, 0
; %bb.51:
	s_or_b32 exec_lo, exec_lo, s2
.LBB617_52:
	v_and_b32_e32 v38, 0xff, v26
	v_and_b32_e32 v39, 0xff, v37
	;; [unrolled: 1-line block ×7, first 2 shown]
	v_add3_u32 v2, v39, v38, v40
	v_and_b32_e32 v45, 0xff, v33
	v_mbcnt_lo_u32_b32 v48, -1, 0
	v_and_b32_e32 v46, 0xff, v15
	v_and_b32_e32 v47, 0xff, v29
	v_add3_u32 v2, v2, v41, v42
	v_and_b32_e32 v4, 0xff, v1
	v_and_b32_e32 v3, 15, v48
	v_dual_lshrrev_b32 v49, 5, v0 :: v_dual_bitop2_b32 v5, 31, v0 bitop3:0x54
	s_delay_alu instid0(VALU_DEP_4) | instskip(SKIP_1) | instid1(VALU_DEP_4)
	v_add3_u32 v2, v2, v43, v44
	v_and_b32_e32 v6, 16, v48
	v_cmp_eq_u32_e64 s5, 0, v3
	v_cmp_lt_u32_e64 s4, 1, v3
	v_cmp_lt_u32_e64 s3, 3, v3
	v_add3_u32 v2, v2, v45, v46
	v_cmp_lt_u32_e64 s2, 7, v3
	v_cmp_eq_u32_e64 s7, 0, v6
	v_cmp_eq_u32_e64 s6, v0, v5
	s_and_b32 vcc_lo, exec_lo, s29
	v_add3_u32 v50, v2, v47, v4
	s_mov_b32 s8, -1
	s_wait_dscnt 0x0
	s_barrier_signal -1
	s_barrier_wait -1
	s_cbranch_vccz .LBB617_74
; %bb.53:
	v_mov_b32_dpp v2, v50 row_shr:1 row_mask:0xf bank_mask:0xf
	s_delay_alu instid0(VALU_DEP_1) | instskip(NEXT) | instid1(VALU_DEP_1)
	v_cndmask_b32_e64 v2, v2, 0, s5
	v_add_nc_u32_e32 v2, v2, v50
	s_delay_alu instid0(VALU_DEP_1) | instskip(NEXT) | instid1(VALU_DEP_1)
	v_mov_b32_dpp v3, v2 row_shr:2 row_mask:0xf bank_mask:0xf
	v_cndmask_b32_e64 v3, 0, v3, s4
	s_delay_alu instid0(VALU_DEP_1) | instskip(NEXT) | instid1(VALU_DEP_1)
	v_add_nc_u32_e32 v2, v2, v3
	v_mov_b32_dpp v3, v2 row_shr:4 row_mask:0xf bank_mask:0xf
	s_delay_alu instid0(VALU_DEP_1) | instskip(NEXT) | instid1(VALU_DEP_1)
	v_cndmask_b32_e64 v3, 0, v3, s3
	v_add_nc_u32_e32 v2, v2, v3
	s_delay_alu instid0(VALU_DEP_1) | instskip(NEXT) | instid1(VALU_DEP_1)
	v_mov_b32_dpp v3, v2 row_shr:8 row_mask:0xf bank_mask:0xf
	v_cndmask_b32_e64 v3, 0, v3, s2
	s_delay_alu instid0(VALU_DEP_1) | instskip(SKIP_3) | instid1(VALU_DEP_1)
	v_add_nc_u32_e32 v2, v2, v3
	ds_swizzle_b32 v3, v2 offset:swizzle(BROADCAST,32,15)
	s_wait_dscnt 0x0
	v_cndmask_b32_e64 v3, v3, 0, s7
	v_add_nc_u32_e32 v2, v2, v3
	s_and_saveexec_b32 s8, s6
; %bb.54:
	v_lshlrev_b32_e32 v3, 2, v49
	ds_store_b32 v3, v2
; %bb.55:
	s_or_b32 exec_lo, exec_lo, s8
	s_delay_alu instid0(SALU_CYCLE_1)
	s_mov_b32 s8, exec_lo
	s_wait_dscnt 0x0
	s_barrier_signal -1
	s_barrier_wait -1
	v_cmpx_gt_u32_e32 16, v0
	s_cbranch_execz .LBB617_57
; %bb.56:
	v_lshlrev_b32_e32 v3, 2, v0
	ds_load_b32 v4, v3
	s_wait_dscnt 0x0
	v_mov_b32_dpp v5, v4 row_shr:1 row_mask:0xf bank_mask:0xf
	s_delay_alu instid0(VALU_DEP_1) | instskip(NEXT) | instid1(VALU_DEP_1)
	v_cndmask_b32_e64 v5, v5, 0, s5
	v_add_nc_u32_e32 v4, v5, v4
	s_delay_alu instid0(VALU_DEP_1) | instskip(NEXT) | instid1(VALU_DEP_1)
	v_mov_b32_dpp v5, v4 row_shr:2 row_mask:0xf bank_mask:0xf
	v_cndmask_b32_e64 v5, 0, v5, s4
	s_delay_alu instid0(VALU_DEP_1) | instskip(NEXT) | instid1(VALU_DEP_1)
	v_add_nc_u32_e32 v4, v4, v5
	v_mov_b32_dpp v5, v4 row_shr:4 row_mask:0xf bank_mask:0xf
	s_delay_alu instid0(VALU_DEP_1) | instskip(NEXT) | instid1(VALU_DEP_1)
	v_cndmask_b32_e64 v5, 0, v5, s3
	v_add_nc_u32_e32 v4, v4, v5
	s_delay_alu instid0(VALU_DEP_1) | instskip(NEXT) | instid1(VALU_DEP_1)
	v_mov_b32_dpp v5, v4 row_shr:8 row_mask:0xf bank_mask:0xf
	v_cndmask_b32_e64 v5, 0, v5, s2
	s_delay_alu instid0(VALU_DEP_1)
	v_add_nc_u32_e32 v4, v4, v5
	ds_store_b32 v3, v4
.LBB617_57:
	s_or_b32 exec_lo, exec_lo, s8
	s_delay_alu instid0(SALU_CYCLE_1)
	s_mov_b32 s9, exec_lo
	v_cmp_gt_u32_e32 vcc_lo, 32, v0
	s_wait_dscnt 0x0
	s_barrier_signal -1
	s_barrier_wait -1
                                        ; implicit-def: $vgpr10
	v_cmpx_lt_u32_e32 31, v0
	s_cbranch_execz .LBB617_59
; %bb.58:
	v_lshl_add_u32 v3, v49, 2, -4
	ds_load_b32 v10, v3
	s_wait_dscnt 0x0
	v_add_nc_u32_e32 v2, v10, v2
.LBB617_59:
	s_or_b32 exec_lo, exec_lo, s9
	v_sub_co_u32 v3, s8, v48, 1
	s_delay_alu instid0(VALU_DEP_1) | instskip(NEXT) | instid1(VALU_DEP_1)
	v_cmp_gt_i32_e64 s9, 0, v3
	v_cndmask_b32_e64 v3, v3, v48, s9
	s_delay_alu instid0(VALU_DEP_1)
	v_lshlrev_b32_e32 v3, 2, v3
	ds_bpermute_b32 v11, v3, v2
	s_and_saveexec_b32 s9, vcc_lo
	s_cbranch_execz .LBB617_79
; %bb.60:
	v_mov_b32_e32 v9, 0
	ds_load_b32 v2, v9 offset:60
	s_and_saveexec_b32 s12, s8
	s_cbranch_execz .LBB617_62
; %bb.61:
	s_add_co_i32 s13, s26, 32
	s_delay_alu instid0(SALU_CYCLE_1)
	v_dual_mov_b32 v3, 1 :: v_dual_mov_b32 v4, s13
	s_wait_xcnt 0x0
	s_wait_dscnt 0x0
	s_wait_kmcnt 0x0
	global_store_b64 v4, v[2:3], s[10:11] scale_offset scope:SCOPE_DEV
.LBB617_62:
	s_wait_xcnt 0x0
	s_or_b32 exec_lo, exec_lo, s12
	v_xad_u32 v4, v48, -1, s26
	s_mov_b32 s13, 0
	s_mov_b32 s12, exec_lo
	s_delay_alu instid0(VALU_DEP_1)
	v_add_nc_u32_e32 v8, 32, v4
	s_wait_kmcnt 0x0
	global_load_b64 v[6:7], v8, s[10:11] scale_offset scope:SCOPE_DEV
	s_wait_loadcnt 0x0
	v_and_b32_e32 v3, 0xff, v7
	s_wait_xcnt 0x0
	s_delay_alu instid0(VALU_DEP_1)
	v_cmpx_eq_u16_e32 0, v3
	s_cbranch_execz .LBB617_66
; %bb.63:
	v_lshl_add_u64 v[8:9], v[8:9], 3, s[10:11]
.LBB617_64:                             ; =>This Inner Loop Header: Depth=1
	global_load_b64 v[6:7], v[8:9], off scope:SCOPE_DEV
	s_wait_loadcnt 0x0
	v_and_b32_e32 v3, 0xff, v7
	s_delay_alu instid0(VALU_DEP_1)
	v_cmp_ne_u16_e32 vcc_lo, 0, v3
	s_or_b32 s13, vcc_lo, s13
	s_wait_xcnt 0x0
	s_and_not1_b32 exec_lo, exec_lo, s13
	s_cbranch_execnz .LBB617_64
; %bb.65:
	s_or_b32 exec_lo, exec_lo, s13
.LBB617_66:
	s_delay_alu instid0(SALU_CYCLE_1)
	s_or_b32 exec_lo, exec_lo, s12
	v_cmp_ne_u32_e32 vcc_lo, 31, v48
	v_lshlrev_b32_e64 v30, v48, -1
	v_lshl_or_b32 v55, v48, 2, 64
	v_dual_add_nc_u32 v32, 2, v48 :: v_dual_add_nc_u32 v52, 4, v48
	v_add_co_ci_u32_e64 v3, null, 0, v48, vcc_lo
	v_dual_add_nc_u32 v54, 8, v48 :: v_dual_add_nc_u32 v56, 16, v48
	s_delay_alu instid0(VALU_DEP_2)
	v_lshlrev_b32_e32 v12, 2, v3
	v_and_b32_e32 v3, 0xff, v7
	ds_bpermute_b32 v5, v12, v6
	v_cmp_eq_u16_e32 vcc_lo, 2, v3
	v_and_or_b32 v3, vcc_lo, v30, 0x80000000
	v_cmp_gt_u32_e32 vcc_lo, 30, v48
	s_delay_alu instid0(VALU_DEP_2) | instskip(SKIP_1) | instid1(VALU_DEP_2)
	v_ctz_i32_b32_e32 v3, v3
	v_cndmask_b32_e64 v8, 0, 2, vcc_lo
	v_cmp_lt_u32_e32 vcc_lo, v48, v3
	s_delay_alu instid0(VALU_DEP_2) | instskip(SKIP_3) | instid1(VALU_DEP_2)
	v_add_lshl_u32 v31, v8, v48, 2
	s_wait_dscnt 0x0
	v_cndmask_b32_e32 v5, 0, v5, vcc_lo
	v_cmp_gt_u32_e32 vcc_lo, 28, v48
	v_add_nc_u32_e32 v5, v5, v6
	v_cndmask_b32_e64 v8, 0, 4, vcc_lo
	v_cmp_le_u32_e32 vcc_lo, v32, v3
	ds_bpermute_b32 v6, v31, v5
	v_add_lshl_u32 v51, v8, v48, 2
	s_wait_dscnt 0x0
	v_cndmask_b32_e32 v6, 0, v6, vcc_lo
	v_cmp_gt_u32_e32 vcc_lo, 24, v48
	v_cndmask_b32_e64 v8, 0, 8, vcc_lo
	v_cmp_le_u32_e32 vcc_lo, v52, v3
	s_delay_alu instid0(VALU_DEP_4) | instskip(NEXT) | instid1(VALU_DEP_3)
	v_add_nc_u32_e32 v5, v5, v6
	v_add_lshl_u32 v53, v8, v48, 2
	ds_bpermute_b32 v6, v51, v5
	s_wait_dscnt 0x0
	v_cndmask_b32_e32 v6, 0, v6, vcc_lo
	v_cmp_le_u32_e32 vcc_lo, v54, v3
	s_delay_alu instid0(VALU_DEP_2) | instskip(SKIP_4) | instid1(VALU_DEP_2)
	v_add_nc_u32_e32 v5, v5, v6
	ds_bpermute_b32 v6, v53, v5
	s_wait_dscnt 0x0
	v_cndmask_b32_e32 v6, 0, v6, vcc_lo
	v_cmp_le_u32_e32 vcc_lo, v56, v3
	v_add_nc_u32_e32 v5, v5, v6
	ds_bpermute_b32 v6, v55, v5
	s_wait_dscnt 0x0
	v_cndmask_b32_e32 v3, 0, v6, vcc_lo
	s_delay_alu instid0(VALU_DEP_1)
	v_dual_mov_b32 v5, 0 :: v_dual_add_nc_u32 v6, v5, v3
	s_branch .LBB617_69
.LBB617_67:                             ;   in Loop: Header=BB617_69 Depth=1
	s_or_b32 exec_lo, exec_lo, s12
	v_and_b32_e32 v8, 0xff, v7
	ds_bpermute_b32 v9, v12, v6
	v_subrev_nc_u32_e32 v4, 32, v4
	s_mov_b32 s12, 0
	v_cmp_eq_u16_e32 vcc_lo, 2, v8
	v_and_or_b32 v8, vcc_lo, v30, 0x80000000
	s_delay_alu instid0(VALU_DEP_1) | instskip(NEXT) | instid1(VALU_DEP_1)
	v_ctz_i32_b32_e32 v8, v8
	v_cmp_lt_u32_e32 vcc_lo, v48, v8
	s_wait_dscnt 0x0
	v_cndmask_b32_e32 v9, 0, v9, vcc_lo
	v_cmp_le_u32_e32 vcc_lo, v32, v8
	s_delay_alu instid0(VALU_DEP_2) | instskip(SKIP_4) | instid1(VALU_DEP_2)
	v_add_nc_u32_e32 v6, v9, v6
	ds_bpermute_b32 v9, v31, v6
	s_wait_dscnt 0x0
	v_cndmask_b32_e32 v9, 0, v9, vcc_lo
	v_cmp_le_u32_e32 vcc_lo, v52, v8
	v_add_nc_u32_e32 v6, v6, v9
	ds_bpermute_b32 v9, v51, v6
	s_wait_dscnt 0x0
	v_cndmask_b32_e32 v9, 0, v9, vcc_lo
	v_cmp_le_u32_e32 vcc_lo, v54, v8
	s_delay_alu instid0(VALU_DEP_2) | instskip(SKIP_4) | instid1(VALU_DEP_2)
	v_add_nc_u32_e32 v6, v6, v9
	ds_bpermute_b32 v9, v53, v6
	s_wait_dscnt 0x0
	v_cndmask_b32_e32 v9, 0, v9, vcc_lo
	v_cmp_le_u32_e32 vcc_lo, v56, v8
	v_add_nc_u32_e32 v6, v6, v9
	ds_bpermute_b32 v9, v55, v6
	s_wait_dscnt 0x0
	v_cndmask_b32_e32 v8, 0, v9, vcc_lo
	s_delay_alu instid0(VALU_DEP_1)
	v_add3_u32 v6, v8, v3, v6
.LBB617_68:                             ;   in Loop: Header=BB617_69 Depth=1
	s_and_b32 vcc_lo, exec_lo, s12
	s_cbranch_vccnz .LBB617_75
.LBB617_69:                             ; =>This Loop Header: Depth=1
                                        ;     Child Loop BB617_72 Depth 2
	v_and_b32_e32 v3, 0xff, v7
	s_mov_b32 s12, -1
                                        ; implicit-def: $vgpr7
	s_delay_alu instid0(VALU_DEP_1)
	v_cmp_ne_u16_e32 vcc_lo, 2, v3
	v_mov_b32_e32 v3, v6
                                        ; implicit-def: $vgpr6
	s_cmp_lg_u32 vcc_lo, exec_lo
	s_cbranch_scc1 .LBB617_68
; %bb.70:                               ;   in Loop: Header=BB617_69 Depth=1
	global_load_b64 v[6:7], v4, s[10:11] scale_offset scope:SCOPE_DEV
	s_mov_b32 s12, exec_lo
	s_wait_loadcnt 0x0
	v_and_b32_e32 v8, 0xff, v7
	s_wait_xcnt 0x0
	s_delay_alu instid0(VALU_DEP_1)
	v_cmpx_eq_u16_e32 0, v8
	s_cbranch_execz .LBB617_67
; %bb.71:                               ;   in Loop: Header=BB617_69 Depth=1
	v_lshl_add_u64 v[8:9], v[4:5], 3, s[10:11]
	s_mov_b32 s13, 0
.LBB617_72:                             ;   Parent Loop BB617_69 Depth=1
                                        ; =>  This Inner Loop Header: Depth=2
	global_load_b64 v[6:7], v[8:9], off scope:SCOPE_DEV
	s_wait_loadcnt 0x0
	v_and_b32_e32 v57, 0xff, v7
	s_delay_alu instid0(VALU_DEP_1)
	v_cmp_ne_u16_e32 vcc_lo, 0, v57
	s_or_b32 s13, vcc_lo, s13
	s_wait_xcnt 0x0
	s_and_not1_b32 exec_lo, exec_lo, s13
	s_cbranch_execnz .LBB617_72
; %bb.73:                               ;   in Loop: Header=BB617_69 Depth=1
	s_or_b32 exec_lo, exec_lo, s13
	s_branch .LBB617_67
.LBB617_74:
                                        ; implicit-def: $vgpr32
                                        ; implicit-def: $vgpr30
                                        ; implicit-def: $vgpr2_vgpr3_vgpr4_vgpr5_vgpr6_vgpr7_vgpr8_vgpr9_vgpr10_vgpr11_vgpr12
	s_and_b32 vcc_lo, exec_lo, s8
	s_cbranch_vccnz .LBB617_80
	s_branch .LBB617_89
.LBB617_75:
	s_and_saveexec_b32 s12, s8
	s_cbranch_execz .LBB617_77
; %bb.76:
	s_add_co_i32 s13, s26, 32
	v_dual_mov_b32 v5, 2 :: v_dual_add_nc_u32 v4, v3, v2
	v_dual_mov_b32 v6, s13 :: v_dual_mov_b32 v7, 0
	global_store_b64 v6, v[4:5], s[10:11] scale_offset scope:SCOPE_DEV
	ds_store_b64 v7, v[2:3] offset:22528
.LBB617_77:
	s_wait_xcnt 0x0
	s_or_b32 exec_lo, exec_lo, s12
	v_cmp_eq_u32_e32 vcc_lo, 0, v0
	s_and_b32 exec_lo, exec_lo, vcc_lo
; %bb.78:
	v_mov_b32_e32 v2, 0
	ds_store_b32 v2, v3 offset:60
.LBB617_79:
	s_or_b32 exec_lo, exec_lo, s9
	s_wait_dscnt 0x0
	v_dual_mov_b32 v9, 0 :: v_dual_cndmask_b32 v3, v11, v10, s8
	s_wait_storecnt 0x0
	s_barrier_signal -1
	s_barrier_wait -1
	ds_load_b32 v2, v9 offset:60
	v_cmp_ne_u32_e32 vcc_lo, 0, v0
	s_wait_dscnt 0x0
	s_barrier_signal -1
	s_barrier_wait -1
	v_cndmask_b32_e32 v3, 0, v3, vcc_lo
	ds_load_b64 v[30:31], v9 offset:22528
	v_add_nc_u32_e32 v2, v2, v3
	s_wait_dscnt 0x0
	s_delay_alu instid0(VALU_DEP_1) | instskip(NEXT) | instid1(VALU_DEP_1)
	v_dual_mov_b32 v32, v31 :: v_dual_add_nc_u32 v3, v2, v38
	v_add_nc_u32_e32 v4, v3, v39
	s_delay_alu instid0(VALU_DEP_1) | instskip(NEXT) | instid1(VALU_DEP_1)
	v_add_nc_u32_e32 v5, v4, v40
	v_add_nc_u32_e32 v6, v5, v41
	s_delay_alu instid0(VALU_DEP_1) | instskip(NEXT) | instid1(VALU_DEP_1)
	v_add_nc_u32_e32 v7, v6, v42
	v_add_nc_u32_e32 v8, v7, v43
	s_delay_alu instid0(VALU_DEP_1) | instskip(NEXT) | instid1(VALU_DEP_1)
	v_add_nc_u32_e32 v9, v8, v44
	v_add_nc_u32_e32 v10, v9, v45
	s_delay_alu instid0(VALU_DEP_1) | instskip(NEXT) | instid1(VALU_DEP_1)
	v_add_nc_u32_e32 v11, v10, v46
	v_add_nc_u32_e32 v12, v11, v47
	s_branch .LBB617_89
.LBB617_80:
	v_mov_b32_dpp v2, v50 row_shr:1 row_mask:0xf bank_mask:0xf
	s_delay_alu instid0(VALU_DEP_1) | instskip(NEXT) | instid1(VALU_DEP_1)
	v_cndmask_b32_e64 v2, v2, 0, s5
	v_add_nc_u32_e32 v2, v2, v50
	s_delay_alu instid0(VALU_DEP_1) | instskip(NEXT) | instid1(VALU_DEP_1)
	v_mov_b32_dpp v3, v2 row_shr:2 row_mask:0xf bank_mask:0xf
	v_cndmask_b32_e64 v3, 0, v3, s4
	s_delay_alu instid0(VALU_DEP_1) | instskip(NEXT) | instid1(VALU_DEP_1)
	v_add_nc_u32_e32 v2, v2, v3
	v_mov_b32_dpp v3, v2 row_shr:4 row_mask:0xf bank_mask:0xf
	s_delay_alu instid0(VALU_DEP_1) | instskip(NEXT) | instid1(VALU_DEP_1)
	v_cndmask_b32_e64 v3, 0, v3, s3
	v_add_nc_u32_e32 v2, v2, v3
	s_delay_alu instid0(VALU_DEP_1) | instskip(NEXT) | instid1(VALU_DEP_1)
	v_mov_b32_dpp v3, v2 row_shr:8 row_mask:0xf bank_mask:0xf
	v_cndmask_b32_e64 v3, 0, v3, s2
	s_delay_alu instid0(VALU_DEP_1) | instskip(SKIP_3) | instid1(VALU_DEP_1)
	v_add_nc_u32_e32 v2, v2, v3
	ds_swizzle_b32 v3, v2 offset:swizzle(BROADCAST,32,15)
	s_wait_dscnt 0x0
	v_cndmask_b32_e64 v3, v3, 0, s7
	v_add_nc_u32_e32 v2, v2, v3
	s_and_saveexec_b32 s7, s6
; %bb.81:
	v_lshlrev_b32_e32 v3, 2, v49
	ds_store_b32 v3, v2
; %bb.82:
	s_or_b32 exec_lo, exec_lo, s7
	s_delay_alu instid0(SALU_CYCLE_1)
	s_mov_b32 s6, exec_lo
	s_wait_dscnt 0x0
	s_barrier_signal -1
	s_barrier_wait -1
	v_cmpx_gt_u32_e32 16, v0
	s_cbranch_execz .LBB617_84
; %bb.83:
	v_lshlrev_b32_e32 v3, 2, v0
	ds_load_b32 v4, v3
	s_wait_dscnt 0x0
	v_mov_b32_dpp v5, v4 row_shr:1 row_mask:0xf bank_mask:0xf
	s_delay_alu instid0(VALU_DEP_1) | instskip(NEXT) | instid1(VALU_DEP_1)
	v_cndmask_b32_e64 v5, v5, 0, s5
	v_add_nc_u32_e32 v4, v5, v4
	s_delay_alu instid0(VALU_DEP_1) | instskip(NEXT) | instid1(VALU_DEP_1)
	v_mov_b32_dpp v5, v4 row_shr:2 row_mask:0xf bank_mask:0xf
	v_cndmask_b32_e64 v5, 0, v5, s4
	s_delay_alu instid0(VALU_DEP_1) | instskip(NEXT) | instid1(VALU_DEP_1)
	v_add_nc_u32_e32 v4, v4, v5
	v_mov_b32_dpp v5, v4 row_shr:4 row_mask:0xf bank_mask:0xf
	s_delay_alu instid0(VALU_DEP_1) | instskip(NEXT) | instid1(VALU_DEP_1)
	v_cndmask_b32_e64 v5, 0, v5, s3
	v_add_nc_u32_e32 v4, v4, v5
	s_delay_alu instid0(VALU_DEP_1) | instskip(NEXT) | instid1(VALU_DEP_1)
	v_mov_b32_dpp v5, v4 row_shr:8 row_mask:0xf bank_mask:0xf
	v_cndmask_b32_e64 v5, 0, v5, s2
	s_delay_alu instid0(VALU_DEP_1)
	v_add_nc_u32_e32 v4, v4, v5
	ds_store_b32 v3, v4
.LBB617_84:
	s_or_b32 exec_lo, exec_lo, s6
	v_dual_mov_b32 v4, 0 :: v_dual_mov_b32 v3, 0
	s_mov_b32 s2, exec_lo
	s_wait_dscnt 0x0
	s_barrier_signal -1
	s_barrier_wait -1
	v_cmpx_lt_u32_e32 31, v0
; %bb.85:
	v_lshl_add_u32 v3, v49, 2, -4
	ds_load_b32 v3, v3
; %bb.86:
	s_or_b32 exec_lo, exec_lo, s2
	v_sub_co_u32 v5, vcc_lo, v48, 1
	ds_load_b32 v30, v4 offset:60
	s_wait_dscnt 0x1
	v_add_nc_u32_e32 v2, v3, v2
	v_cmp_gt_i32_e64 s2, 0, v5
	s_delay_alu instid0(VALU_DEP_1) | instskip(SKIP_1) | instid1(VALU_DEP_2)
	v_cndmask_b32_e64 v5, v5, v48, s2
	v_cmp_eq_u32_e64 s2, 0, v0
	v_lshlrev_b32_e32 v5, 2, v5
	ds_bpermute_b32 v2, v5, v2
	s_and_saveexec_b32 s3, s2
	s_cbranch_execz .LBB617_88
; %bb.87:
	v_dual_mov_b32 v4, 0 :: v_dual_mov_b32 v31, 2
	s_wait_xcnt 0x0
	s_wait_dscnt 0x1
	s_wait_kmcnt 0x0
	global_store_b64 v4, v[30:31], s[10:11] offset:256 scope:SCOPE_DEV
.LBB617_88:
	s_wait_xcnt 0x0
	s_or_b32 exec_lo, exec_lo, s3
	s_wait_dscnt 0x0
	v_cndmask_b32_e32 v2, v2, v3, vcc_lo
	s_wait_storecnt 0x0
	s_barrier_signal -1
	s_barrier_wait -1
	s_delay_alu instid0(VALU_DEP_1) | instskip(NEXT) | instid1(VALU_DEP_1)
	v_cndmask_b32_e64 v2, v2, 0, s2
	v_dual_mov_b32 v32, 0 :: v_dual_add_nc_u32 v3, v2, v38
	s_delay_alu instid0(VALU_DEP_1) | instskip(NEXT) | instid1(VALU_DEP_1)
	v_add_nc_u32_e32 v4, v3, v39
	v_add_nc_u32_e32 v5, v4, v40
	s_delay_alu instid0(VALU_DEP_1) | instskip(NEXT) | instid1(VALU_DEP_1)
	v_add_nc_u32_e32 v6, v5, v41
	v_add_nc_u32_e32 v7, v6, v42
	;; [unrolled: 3-line block ×4, first 2 shown]
	s_delay_alu instid0(VALU_DEP_1)
	v_add_nc_u32_e32 v12, v11, v47
.LBB617_89:
	s_load_b64 s[2:3], s[0:1], 0x28
	v_and_b32_e32 v26, 1, v26
	v_cmp_gt_u32_e32 vcc_lo, 0x201, v30
	s_wait_xcnt 0x0
	s_mov_b32 s1, -1
	s_delay_alu instid0(VALU_DEP_2)
	v_cmp_eq_u32_e64 s0, 1, v26
	s_cbranch_vccnz .LBB617_93
; %bb.90:
	s_and_b32 vcc_lo, exec_lo, s1
	s_cbranch_vccnz .LBB617_116
.LBB617_91:
	v_cmp_eq_u32_e32 vcc_lo, 0, v0
	s_and_b32 s0, vcc_lo, s24
	s_delay_alu instid0(SALU_CYCLE_1)
	s_and_saveexec_b32 s1, s0
	s_cbranch_execnz .LBB617_151
.LBB617_92:
	s_endpgm
.LBB617_93:
	v_add_nc_u32_e32 v31, v32, v30
	s_wait_kmcnt 0x0
	s_lshl_b64 s[4:5], s[22:23], 2
	s_delay_alu instid0(SALU_CYCLE_1) | instskip(NEXT) | instid1(VALU_DEP_1)
	s_add_nc_u64 s[4:5], s[2:3], s[4:5]
	v_cmp_lt_u32_e32 vcc_lo, v2, v31
	s_or_b32 s1, s25, vcc_lo
	s_delay_alu instid0(SALU_CYCLE_1) | instskip(NEXT) | instid1(SALU_CYCLE_1)
	s_and_b32 s1, s1, s0
	s_and_saveexec_b32 s0, s1
	s_cbranch_execz .LBB617_95
; %bb.94:
	global_store_b32 v2, v24, s[4:5] scale_offset
.LBB617_95:
	s_wait_xcnt 0x0
	s_or_b32 exec_lo, exec_lo, s0
	v_and_b32_e32 v38, 1, v37
	v_cmp_lt_u32_e32 vcc_lo, v3, v31
	s_delay_alu instid0(VALU_DEP_2) | instskip(SKIP_1) | instid1(SALU_CYCLE_1)
	v_cmp_eq_u32_e64 s0, 1, v38
	s_or_b32 s1, s25, vcc_lo
	s_and_b32 s1, s1, s0
	s_delay_alu instid0(SALU_CYCLE_1)
	s_and_saveexec_b32 s0, s1
	s_cbranch_execz .LBB617_97
; %bb.96:
	global_store_b32 v3, v25, s[4:5] scale_offset
.LBB617_97:
	s_wait_xcnt 0x0
	s_or_b32 exec_lo, exec_lo, s0
	v_and_b32_e32 v38, 1, v35
	v_cmp_lt_u32_e32 vcc_lo, v4, v31
	s_delay_alu instid0(VALU_DEP_2) | instskip(SKIP_1) | instid1(SALU_CYCLE_1)
	v_cmp_eq_u32_e64 s0, 1, v38
	s_or_b32 s1, s25, vcc_lo
	s_and_b32 s1, s1, s0
	s_delay_alu instid0(SALU_CYCLE_1)
	;; [unrolled: 14-line block ×10, first 2 shown]
	s_and_saveexec_b32 s0, s1
	s_cbranch_execz .LBB617_115
; %bb.114:
	global_store_b32 v12, v17, s[4:5] scale_offset
.LBB617_115:
	s_wait_xcnt 0x0
	s_or_b32 exec_lo, exec_lo, s0
	s_branch .LBB617_91
.LBB617_116:
	s_mov_b32 s0, exec_lo
	v_cmpx_eq_u32_e32 1, v26
; %bb.117:
	v_sub_nc_u32_e32 v2, v2, v32
	s_delay_alu instid0(VALU_DEP_1)
	v_lshlrev_b32_e32 v2, 2, v2
	ds_store_b32 v2, v24
; %bb.118:
	s_or_b32 exec_lo, exec_lo, s0
	v_and_b32_e32 v2, 1, v37
	s_mov_b32 s0, exec_lo
	s_delay_alu instid0(VALU_DEP_1)
	v_cmpx_eq_u32_e32 1, v2
; %bb.119:
	v_sub_nc_u32_e32 v2, v3, v32
	s_delay_alu instid0(VALU_DEP_1)
	v_lshlrev_b32_e32 v2, 2, v2
	ds_store_b32 v2, v25
; %bb.120:
	s_or_b32 exec_lo, exec_lo, s0
	v_and_b32_e32 v2, 1, v35
	s_mov_b32 s0, exec_lo
	s_delay_alu instid0(VALU_DEP_1)
	;; [unrolled: 11-line block ×10, first 2 shown]
	v_cmpx_eq_u32_e32 1, v1
; %bb.137:
	v_sub_nc_u32_e32 v1, v12, v32
	s_delay_alu instid0(VALU_DEP_1)
	v_lshlrev_b32_e32 v1, 2, v1
	ds_store_b32 v1, v17
; %bb.138:
	s_or_b32 exec_lo, exec_lo, s0
	v_or_b32_e32 v1, 0x200, v0
	v_mov_b32_e32 v33, 0
	s_mov_b32 s1, -1
	s_mov_b32 s0, exec_lo
	s_wait_storecnt_dscnt 0x0
	v_max_u32_e32 v2, v30, v1
	s_barrier_signal -1
	s_barrier_wait -1
	s_delay_alu instid0(VALU_DEP_1) | instskip(SKIP_1) | instid1(VALU_DEP_2)
	v_xad_u32 v4, v0, -1, v2
	v_lshlrev_b64_e32 v[2:3], 2, v[32:33]
	v_cmpx_lt_u32_e32 0x1ff, v4
	s_cbranch_execz .LBB617_147
; %bb.139:
	v_lshrrev_b32_e32 v10, 9, v4
	s_wait_kmcnt 0x0
	s_lshl_b64 s[4:5], s[22:23], 2
	v_lshlrev_b32_e32 v11, 2, v0
	s_add_nc_u64 s[4:5], s[2:3], s[4:5]
	v_add_nc_u32_e32 v6, -1, v10
	v_add_nc_u64_e32 v[4:5], s[4:5], v[2:3]
	s_delay_alu instid0(VALU_DEP_2) | instskip(SKIP_1) | instid1(VALU_DEP_2)
	v_lshrrev_b32_e32 v7, 1, v6
	v_cmp_lt_u32_e32 vcc_lo, 13, v6
	v_add_nc_u32_e32 v12, 1, v7
	v_mov_b64_e32 v[6:7], v[0:1]
	s_and_saveexec_b32 s1, vcc_lo
	s_cbranch_execz .LBB617_143
; %bb.140:
	v_mov_b64_e32 v[6:7], v[0:1]
	v_dual_mov_b32 v9, 0 :: v_dual_bitop2_b32 v13, -8, v12 bitop3:0x40
	v_mov_b32_e32 v14, v11
	s_mov_b32 s4, 0
	s_mov_b32 s5, 0
.LBB617_141:                            ; =>This Inner Loop Header: Depth=1
	s_delay_alu instid0(VALU_DEP_2)
	v_dual_mov_b32 v8, v6 :: v_dual_mov_b32 v19, v9
	ds_load_2addr_stride64_b32 v[16:17], v14 offset1:8
	v_add_nc_u32_e32 v13, -8, v13
	ds_load_2addr_stride64_b32 v[20:21], v14 offset0:16 offset1:24
	v_lshl_add_u64 v[50:51], v[8:9], 2, v[4:5]
	v_mov_b32_e32 v8, v7
	ds_load_2addr_stride64_b32 v[24:25], v14 offset0:32 offset1:40
	ds_load_2addr_stride64_b32 v[28:29], v14 offset0:48 offset1:56
	v_dual_mov_b32 v23, v9 :: v_dual_add_nc_u32 v18, 0x400, v7
	v_lshl_add_u64 v[52:53], v[8:9], 2, v[4:5]
	v_add_nc_u32_e32 v8, 0x400, v6
	ds_load_2addr_stride64_b32 v[36:37], v14 offset0:64 offset1:72
	v_lshl_add_u64 v[18:19], v[18:19], 2, v[4:5]
	ds_load_2addr_stride64_b32 v[40:41], v14 offset0:80 offset1:88
	ds_load_2addr_stride64_b32 v[44:45], v14 offset0:96 offset1:104
	v_lshl_add_u64 v[54:55], v[8:9], 2, v[4:5]
	v_add_nc_u32_e32 v8, 0x800, v6
	ds_load_2addr_stride64_b32 v[48:49], v14 offset0:112 offset1:120
	s_wait_dscnt 0x7
	s_clause 0x1
	global_store_b32 v[50:51], v16, off
	global_store_b32 v[52:53], v17, off
	s_wait_dscnt 0x6
	s_clause 0x1
	global_store_b32 v[54:55], v20, off
	global_store_b32 v[18:19], v21, off
	v_lshl_add_u64 v[56:57], v[8:9], 2, v[4:5]
	v_add_nc_u32_e32 v8, 0xc00, v6
	v_dual_mov_b32 v27, v9 :: v_dual_add_nc_u32 v22, 0x800, v7
	v_dual_mov_b32 v35, v9 :: v_dual_add_nc_u32 v26, 0xc00, v7
	s_wait_xcnt 0x2
	s_delay_alu instid0(VALU_DEP_3)
	v_lshl_add_u64 v[16:17], v[8:9], 2, v[4:5]
	v_add_nc_u32_e32 v8, 0x1000, v6
	v_lshl_add_u64 v[22:23], v[22:23], 2, v[4:5]
	v_dual_mov_b32 v39, v9 :: v_dual_add_nc_u32 v34, 0x1000, v7
	v_lshl_add_u64 v[26:27], v[26:27], 2, v[4:5]
	s_wait_xcnt 0x0
	v_lshl_add_u64 v[18:19], v[8:9], 2, v[4:5]
	v_add_nc_u32_e32 v8, 0x1400, v6
	s_wait_dscnt 0x5
	s_clause 0x1
	global_store_b32 v[56:57], v24, off
	global_store_b32 v[22:23], v25, off
	s_wait_dscnt 0x4
	global_store_b32 v[16:17], v28, off
	v_dual_mov_b32 v43, v9 :: v_dual_add_nc_u32 v38, 0x1400, v7
	s_wait_xcnt 0x0
	v_lshl_add_u64 v[16:17], v[8:9], 2, v[4:5]
	v_add_nc_u32_e32 v8, 0x1800, v6
	v_dual_mov_b32 v47, v9 :: v_dual_add_nc_u32 v42, 0x1800, v7
	v_lshl_add_u64 v[34:35], v[34:35], 2, v[4:5]
	global_store_b32 v[26:27], v29, off
	s_wait_dscnt 0x3
	global_store_b32 v[18:19], v36, off
	s_wait_xcnt 0x0
	v_lshl_add_u64 v[18:19], v[8:9], 2, v[4:5]
	v_add_nc_u32_e32 v8, 0x1c00, v6
	s_add_co_i32 s5, s5, 16
	s_delay_alu instid0(SALU_CYCLE_1)
	v_dual_mov_b32 v33, s5 :: v_dual_add_nc_u32 v46, 0x1c00, v7
	v_cmp_eq_u32_e32 vcc_lo, 0, v13
	v_lshl_add_u64 v[38:39], v[38:39], 2, v[4:5]
	v_add_nc_u32_e32 v14, 0x8000, v14
	v_add_nc_u32_e32 v7, 0x2000, v7
	;; [unrolled: 1-line block ×3, first 2 shown]
	v_lshl_add_u64 v[42:43], v[42:43], 2, v[4:5]
	global_store_b32 v[34:35], v37, off
	s_wait_dscnt 0x2
	s_clause 0x1
	global_store_b32 v[16:17], v40, off
	global_store_b32 v[38:39], v41, off
	s_wait_xcnt 0x1
	v_lshl_add_u64 v[16:17], v[8:9], 2, v[4:5]
	v_lshl_add_u64 v[46:47], v[46:47], 2, v[4:5]
	s_or_b32 s4, vcc_lo, s4
	s_wait_dscnt 0x1
	s_clause 0x1
	global_store_b32 v[18:19], v44, off
	global_store_b32 v[42:43], v45, off
	s_wait_dscnt 0x0
	s_clause 0x1
	global_store_b32 v[16:17], v48, off
	global_store_b32 v[46:47], v49, off
	s_wait_xcnt 0x0
	s_and_not1_b32 exec_lo, exec_lo, s4
	s_cbranch_execnz .LBB617_141
; %bb.142:
	s_or_b32 exec_lo, exec_lo, s4
.LBB617_143:
	s_delay_alu instid0(SALU_CYCLE_1) | instskip(SKIP_3) | instid1(VALU_DEP_1)
	s_or_b32 exec_lo, exec_lo, s1
	v_and_b32_e32 v1, 7, v12
	s_mov_b32 s4, 0
	s_mov_b32 s1, exec_lo
	v_cmpx_ne_u32_e32 0, v1
	s_cbranch_execz .LBB617_146
; %bb.144:
	v_lshl_or_b32 v11, v33, 11, v11
	v_mov_b32_e32 v9, 0
.LBB617_145:                            ; =>This Inner Loop Header: Depth=1
	ds_load_2addr_stride64_b32 v[12:13], v11 offset1:8
	v_dual_mov_b32 v8, v6 :: v_dual_add_nc_u32 v1, -1, v1
	v_add_nc_u32_e32 v6, 0x400, v6
	v_add_nc_u32_e32 v11, 0x1000, v11
	s_delay_alu instid0(VALU_DEP_3) | instskip(SKIP_3) | instid1(VALU_DEP_3)
	v_lshl_add_u64 v[14:15], v[8:9], 2, v[4:5]
	v_mov_b32_e32 v8, v7
	v_cmp_eq_u32_e32 vcc_lo, 0, v1
	v_add_nc_u32_e32 v7, 0x400, v7
	v_lshl_add_u64 v[16:17], v[8:9], 2, v[4:5]
	s_or_b32 s4, vcc_lo, s4
	s_wait_dscnt 0x0
	s_clause 0x1
	global_store_b32 v[14:15], v12, off
	global_store_b32 v[16:17], v13, off
	s_wait_xcnt 0x0
	s_and_not1_b32 exec_lo, exec_lo, s4
	s_cbranch_execnz .LBB617_145
.LBB617_146:
	s_or_b32 exec_lo, exec_lo, s1
	v_add_nc_u32_e32 v1, 1, v10
	s_delay_alu instid0(VALU_DEP_1) | instskip(NEXT) | instid1(VALU_DEP_1)
	v_and_b32_e32 v4, 0xfffffe, v1
	v_cmp_ne_u32_e32 vcc_lo, v1, v4
	v_lshl_or_b32 v14, v4, 9, v0
	s_or_not1_b32 s1, vcc_lo, exec_lo
.LBB617_147:
	s_or_b32 exec_lo, exec_lo, s0
	s_and_saveexec_b32 s0, s1
	s_cbranch_execz .LBB617_150
; %bb.148:
	s_wait_kmcnt 0x0
	s_lshl_b64 s[4:5], s[22:23], 2
	v_dual_mov_b32 v15, 0 :: v_dual_lshlrev_b32 v1, 2, v14
	v_add_nc_u64_e32 v[2:3], s[4:5], v[2:3]
	s_mov_b32 s1, 0
	s_delay_alu instid0(VALU_DEP_1) | instskip(NEXT) | instid1(VALU_DEP_1)
	v_add_nc_u64_e32 v[2:3], s[2:3], v[2:3]
	v_lshl_add_u64 v[2:3], v[14:15], 2, v[2:3]
.LBB617_149:                            ; =>This Inner Loop Header: Depth=1
	ds_load_b32 v4, v1
	v_add_nc_u32_e32 v14, 0x200, v14
	v_add_nc_u32_e32 v1, 0x800, v1
	s_delay_alu instid0(VALU_DEP_2)
	v_cmp_ge_u32_e32 vcc_lo, v14, v30
	s_or_b32 s1, vcc_lo, s1
	s_wait_dscnt 0x0
	global_store_b32 v[2:3], v4, off
	s_wait_xcnt 0x0
	v_add_nc_u64_e32 v[2:3], 0x800, v[2:3]
	s_and_not1_b32 exec_lo, exec_lo, s1
	s_cbranch_execnz .LBB617_149
.LBB617_150:
	s_or_b32 exec_lo, exec_lo, s0
	v_cmp_eq_u32_e32 vcc_lo, 0, v0
	s_and_b32 s0, vcc_lo, s24
	s_delay_alu instid0(SALU_CYCLE_1)
	s_and_saveexec_b32 s1, s0
	s_cbranch_execz .LBB617_92
.LBB617_151:
	v_mov_b32_e32 v31, 0
	s_wait_kmcnt 0x0
	s_delay_alu instid0(VALU_DEP_1) | instskip(SKIP_1) | instid1(VALU_DEP_1)
	v_add_nc_u64_e32 v[0:1], s[22:23], v[30:31]
	v_mov_b32_e32 v33, v31
	v_add_nc_u64_e32 v[0:1], v[0:1], v[32:33]
	global_store_b64 v31, v[0:1], s[20:21]
	s_endpgm
	.section	.rodata,"a",@progbits
	.p2align	6, 0x0
	.amdhsa_kernel _ZN7rocprim17ROCPRIM_400000_NS6detail17trampoline_kernelINS0_14default_configENS1_25partition_config_selectorILNS1_17partition_subalgoE8EjNS0_10empty_typeEbEEZZNS1_14partition_implILS5_8ELb0ES3_jPKjPS6_PKS6_NS0_5tupleIJPjS6_EEENSE_IJSB_SB_EEENS0_18inequality_wrapperIN6hipcub16HIPCUB_304000_NS8EqualityEEEPlJS6_EEE10hipError_tPvRmT3_T4_T5_T6_T7_T9_mT8_P12ihipStream_tbDpT10_ENKUlT_T0_E_clISt17integral_constantIbLb0EES17_EEDaS12_S13_EUlS12_E_NS1_11comp_targetILNS1_3genE0ELNS1_11target_archE4294967295ELNS1_3gpuE0ELNS1_3repE0EEENS1_30default_config_static_selectorELNS0_4arch9wavefront6targetE0EEEvT1_
		.amdhsa_group_segment_fixed_size 22536
		.amdhsa_private_segment_fixed_size 0
		.amdhsa_kernarg_size 112
		.amdhsa_user_sgpr_count 2
		.amdhsa_user_sgpr_dispatch_ptr 0
		.amdhsa_user_sgpr_queue_ptr 0
		.amdhsa_user_sgpr_kernarg_segment_ptr 1
		.amdhsa_user_sgpr_dispatch_id 0
		.amdhsa_user_sgpr_kernarg_preload_length 0
		.amdhsa_user_sgpr_kernarg_preload_offset 0
		.amdhsa_user_sgpr_private_segment_size 0
		.amdhsa_wavefront_size32 1
		.amdhsa_uses_dynamic_stack 0
		.amdhsa_enable_private_segment 0
		.amdhsa_system_sgpr_workgroup_id_x 1
		.amdhsa_system_sgpr_workgroup_id_y 0
		.amdhsa_system_sgpr_workgroup_id_z 0
		.amdhsa_system_sgpr_workgroup_info 0
		.amdhsa_system_vgpr_workitem_id 0
		.amdhsa_next_free_vgpr 58
		.amdhsa_next_free_sgpr 30
		.amdhsa_named_barrier_count 0
		.amdhsa_reserve_vcc 1
		.amdhsa_float_round_mode_32 0
		.amdhsa_float_round_mode_16_64 0
		.amdhsa_float_denorm_mode_32 3
		.amdhsa_float_denorm_mode_16_64 3
		.amdhsa_fp16_overflow 0
		.amdhsa_memory_ordered 1
		.amdhsa_forward_progress 1
		.amdhsa_inst_pref_size 68
		.amdhsa_round_robin_scheduling 0
		.amdhsa_exception_fp_ieee_invalid_op 0
		.amdhsa_exception_fp_denorm_src 0
		.amdhsa_exception_fp_ieee_div_zero 0
		.amdhsa_exception_fp_ieee_overflow 0
		.amdhsa_exception_fp_ieee_underflow 0
		.amdhsa_exception_fp_ieee_inexact 0
		.amdhsa_exception_int_div_zero 0
	.end_amdhsa_kernel
	.section	.text._ZN7rocprim17ROCPRIM_400000_NS6detail17trampoline_kernelINS0_14default_configENS1_25partition_config_selectorILNS1_17partition_subalgoE8EjNS0_10empty_typeEbEEZZNS1_14partition_implILS5_8ELb0ES3_jPKjPS6_PKS6_NS0_5tupleIJPjS6_EEENSE_IJSB_SB_EEENS0_18inequality_wrapperIN6hipcub16HIPCUB_304000_NS8EqualityEEEPlJS6_EEE10hipError_tPvRmT3_T4_T5_T6_T7_T9_mT8_P12ihipStream_tbDpT10_ENKUlT_T0_E_clISt17integral_constantIbLb0EES17_EEDaS12_S13_EUlS12_E_NS1_11comp_targetILNS1_3genE0ELNS1_11target_archE4294967295ELNS1_3gpuE0ELNS1_3repE0EEENS1_30default_config_static_selectorELNS0_4arch9wavefront6targetE0EEEvT1_,"axG",@progbits,_ZN7rocprim17ROCPRIM_400000_NS6detail17trampoline_kernelINS0_14default_configENS1_25partition_config_selectorILNS1_17partition_subalgoE8EjNS0_10empty_typeEbEEZZNS1_14partition_implILS5_8ELb0ES3_jPKjPS6_PKS6_NS0_5tupleIJPjS6_EEENSE_IJSB_SB_EEENS0_18inequality_wrapperIN6hipcub16HIPCUB_304000_NS8EqualityEEEPlJS6_EEE10hipError_tPvRmT3_T4_T5_T6_T7_T9_mT8_P12ihipStream_tbDpT10_ENKUlT_T0_E_clISt17integral_constantIbLb0EES17_EEDaS12_S13_EUlS12_E_NS1_11comp_targetILNS1_3genE0ELNS1_11target_archE4294967295ELNS1_3gpuE0ELNS1_3repE0EEENS1_30default_config_static_selectorELNS0_4arch9wavefront6targetE0EEEvT1_,comdat
.Lfunc_end617:
	.size	_ZN7rocprim17ROCPRIM_400000_NS6detail17trampoline_kernelINS0_14default_configENS1_25partition_config_selectorILNS1_17partition_subalgoE8EjNS0_10empty_typeEbEEZZNS1_14partition_implILS5_8ELb0ES3_jPKjPS6_PKS6_NS0_5tupleIJPjS6_EEENSE_IJSB_SB_EEENS0_18inequality_wrapperIN6hipcub16HIPCUB_304000_NS8EqualityEEEPlJS6_EEE10hipError_tPvRmT3_T4_T5_T6_T7_T9_mT8_P12ihipStream_tbDpT10_ENKUlT_T0_E_clISt17integral_constantIbLb0EES17_EEDaS12_S13_EUlS12_E_NS1_11comp_targetILNS1_3genE0ELNS1_11target_archE4294967295ELNS1_3gpuE0ELNS1_3repE0EEENS1_30default_config_static_selectorELNS0_4arch9wavefront6targetE0EEEvT1_, .Lfunc_end617-_ZN7rocprim17ROCPRIM_400000_NS6detail17trampoline_kernelINS0_14default_configENS1_25partition_config_selectorILNS1_17partition_subalgoE8EjNS0_10empty_typeEbEEZZNS1_14partition_implILS5_8ELb0ES3_jPKjPS6_PKS6_NS0_5tupleIJPjS6_EEENSE_IJSB_SB_EEENS0_18inequality_wrapperIN6hipcub16HIPCUB_304000_NS8EqualityEEEPlJS6_EEE10hipError_tPvRmT3_T4_T5_T6_T7_T9_mT8_P12ihipStream_tbDpT10_ENKUlT_T0_E_clISt17integral_constantIbLb0EES17_EEDaS12_S13_EUlS12_E_NS1_11comp_targetILNS1_3genE0ELNS1_11target_archE4294967295ELNS1_3gpuE0ELNS1_3repE0EEENS1_30default_config_static_selectorELNS0_4arch9wavefront6targetE0EEEvT1_
                                        ; -- End function
	.set _ZN7rocprim17ROCPRIM_400000_NS6detail17trampoline_kernelINS0_14default_configENS1_25partition_config_selectorILNS1_17partition_subalgoE8EjNS0_10empty_typeEbEEZZNS1_14partition_implILS5_8ELb0ES3_jPKjPS6_PKS6_NS0_5tupleIJPjS6_EEENSE_IJSB_SB_EEENS0_18inequality_wrapperIN6hipcub16HIPCUB_304000_NS8EqualityEEEPlJS6_EEE10hipError_tPvRmT3_T4_T5_T6_T7_T9_mT8_P12ihipStream_tbDpT10_ENKUlT_T0_E_clISt17integral_constantIbLb0EES17_EEDaS12_S13_EUlS12_E_NS1_11comp_targetILNS1_3genE0ELNS1_11target_archE4294967295ELNS1_3gpuE0ELNS1_3repE0EEENS1_30default_config_static_selectorELNS0_4arch9wavefront6targetE0EEEvT1_.num_vgpr, 58
	.set _ZN7rocprim17ROCPRIM_400000_NS6detail17trampoline_kernelINS0_14default_configENS1_25partition_config_selectorILNS1_17partition_subalgoE8EjNS0_10empty_typeEbEEZZNS1_14partition_implILS5_8ELb0ES3_jPKjPS6_PKS6_NS0_5tupleIJPjS6_EEENSE_IJSB_SB_EEENS0_18inequality_wrapperIN6hipcub16HIPCUB_304000_NS8EqualityEEEPlJS6_EEE10hipError_tPvRmT3_T4_T5_T6_T7_T9_mT8_P12ihipStream_tbDpT10_ENKUlT_T0_E_clISt17integral_constantIbLb0EES17_EEDaS12_S13_EUlS12_E_NS1_11comp_targetILNS1_3genE0ELNS1_11target_archE4294967295ELNS1_3gpuE0ELNS1_3repE0EEENS1_30default_config_static_selectorELNS0_4arch9wavefront6targetE0EEEvT1_.num_agpr, 0
	.set _ZN7rocprim17ROCPRIM_400000_NS6detail17trampoline_kernelINS0_14default_configENS1_25partition_config_selectorILNS1_17partition_subalgoE8EjNS0_10empty_typeEbEEZZNS1_14partition_implILS5_8ELb0ES3_jPKjPS6_PKS6_NS0_5tupleIJPjS6_EEENSE_IJSB_SB_EEENS0_18inequality_wrapperIN6hipcub16HIPCUB_304000_NS8EqualityEEEPlJS6_EEE10hipError_tPvRmT3_T4_T5_T6_T7_T9_mT8_P12ihipStream_tbDpT10_ENKUlT_T0_E_clISt17integral_constantIbLb0EES17_EEDaS12_S13_EUlS12_E_NS1_11comp_targetILNS1_3genE0ELNS1_11target_archE4294967295ELNS1_3gpuE0ELNS1_3repE0EEENS1_30default_config_static_selectorELNS0_4arch9wavefront6targetE0EEEvT1_.numbered_sgpr, 30
	.set _ZN7rocprim17ROCPRIM_400000_NS6detail17trampoline_kernelINS0_14default_configENS1_25partition_config_selectorILNS1_17partition_subalgoE8EjNS0_10empty_typeEbEEZZNS1_14partition_implILS5_8ELb0ES3_jPKjPS6_PKS6_NS0_5tupleIJPjS6_EEENSE_IJSB_SB_EEENS0_18inequality_wrapperIN6hipcub16HIPCUB_304000_NS8EqualityEEEPlJS6_EEE10hipError_tPvRmT3_T4_T5_T6_T7_T9_mT8_P12ihipStream_tbDpT10_ENKUlT_T0_E_clISt17integral_constantIbLb0EES17_EEDaS12_S13_EUlS12_E_NS1_11comp_targetILNS1_3genE0ELNS1_11target_archE4294967295ELNS1_3gpuE0ELNS1_3repE0EEENS1_30default_config_static_selectorELNS0_4arch9wavefront6targetE0EEEvT1_.num_named_barrier, 0
	.set _ZN7rocprim17ROCPRIM_400000_NS6detail17trampoline_kernelINS0_14default_configENS1_25partition_config_selectorILNS1_17partition_subalgoE8EjNS0_10empty_typeEbEEZZNS1_14partition_implILS5_8ELb0ES3_jPKjPS6_PKS6_NS0_5tupleIJPjS6_EEENSE_IJSB_SB_EEENS0_18inequality_wrapperIN6hipcub16HIPCUB_304000_NS8EqualityEEEPlJS6_EEE10hipError_tPvRmT3_T4_T5_T6_T7_T9_mT8_P12ihipStream_tbDpT10_ENKUlT_T0_E_clISt17integral_constantIbLb0EES17_EEDaS12_S13_EUlS12_E_NS1_11comp_targetILNS1_3genE0ELNS1_11target_archE4294967295ELNS1_3gpuE0ELNS1_3repE0EEENS1_30default_config_static_selectorELNS0_4arch9wavefront6targetE0EEEvT1_.private_seg_size, 0
	.set _ZN7rocprim17ROCPRIM_400000_NS6detail17trampoline_kernelINS0_14default_configENS1_25partition_config_selectorILNS1_17partition_subalgoE8EjNS0_10empty_typeEbEEZZNS1_14partition_implILS5_8ELb0ES3_jPKjPS6_PKS6_NS0_5tupleIJPjS6_EEENSE_IJSB_SB_EEENS0_18inequality_wrapperIN6hipcub16HIPCUB_304000_NS8EqualityEEEPlJS6_EEE10hipError_tPvRmT3_T4_T5_T6_T7_T9_mT8_P12ihipStream_tbDpT10_ENKUlT_T0_E_clISt17integral_constantIbLb0EES17_EEDaS12_S13_EUlS12_E_NS1_11comp_targetILNS1_3genE0ELNS1_11target_archE4294967295ELNS1_3gpuE0ELNS1_3repE0EEENS1_30default_config_static_selectorELNS0_4arch9wavefront6targetE0EEEvT1_.uses_vcc, 1
	.set _ZN7rocprim17ROCPRIM_400000_NS6detail17trampoline_kernelINS0_14default_configENS1_25partition_config_selectorILNS1_17partition_subalgoE8EjNS0_10empty_typeEbEEZZNS1_14partition_implILS5_8ELb0ES3_jPKjPS6_PKS6_NS0_5tupleIJPjS6_EEENSE_IJSB_SB_EEENS0_18inequality_wrapperIN6hipcub16HIPCUB_304000_NS8EqualityEEEPlJS6_EEE10hipError_tPvRmT3_T4_T5_T6_T7_T9_mT8_P12ihipStream_tbDpT10_ENKUlT_T0_E_clISt17integral_constantIbLb0EES17_EEDaS12_S13_EUlS12_E_NS1_11comp_targetILNS1_3genE0ELNS1_11target_archE4294967295ELNS1_3gpuE0ELNS1_3repE0EEENS1_30default_config_static_selectorELNS0_4arch9wavefront6targetE0EEEvT1_.uses_flat_scratch, 0
	.set _ZN7rocprim17ROCPRIM_400000_NS6detail17trampoline_kernelINS0_14default_configENS1_25partition_config_selectorILNS1_17partition_subalgoE8EjNS0_10empty_typeEbEEZZNS1_14partition_implILS5_8ELb0ES3_jPKjPS6_PKS6_NS0_5tupleIJPjS6_EEENSE_IJSB_SB_EEENS0_18inequality_wrapperIN6hipcub16HIPCUB_304000_NS8EqualityEEEPlJS6_EEE10hipError_tPvRmT3_T4_T5_T6_T7_T9_mT8_P12ihipStream_tbDpT10_ENKUlT_T0_E_clISt17integral_constantIbLb0EES17_EEDaS12_S13_EUlS12_E_NS1_11comp_targetILNS1_3genE0ELNS1_11target_archE4294967295ELNS1_3gpuE0ELNS1_3repE0EEENS1_30default_config_static_selectorELNS0_4arch9wavefront6targetE0EEEvT1_.has_dyn_sized_stack, 0
	.set _ZN7rocprim17ROCPRIM_400000_NS6detail17trampoline_kernelINS0_14default_configENS1_25partition_config_selectorILNS1_17partition_subalgoE8EjNS0_10empty_typeEbEEZZNS1_14partition_implILS5_8ELb0ES3_jPKjPS6_PKS6_NS0_5tupleIJPjS6_EEENSE_IJSB_SB_EEENS0_18inequality_wrapperIN6hipcub16HIPCUB_304000_NS8EqualityEEEPlJS6_EEE10hipError_tPvRmT3_T4_T5_T6_T7_T9_mT8_P12ihipStream_tbDpT10_ENKUlT_T0_E_clISt17integral_constantIbLb0EES17_EEDaS12_S13_EUlS12_E_NS1_11comp_targetILNS1_3genE0ELNS1_11target_archE4294967295ELNS1_3gpuE0ELNS1_3repE0EEENS1_30default_config_static_selectorELNS0_4arch9wavefront6targetE0EEEvT1_.has_recursion, 0
	.set _ZN7rocprim17ROCPRIM_400000_NS6detail17trampoline_kernelINS0_14default_configENS1_25partition_config_selectorILNS1_17partition_subalgoE8EjNS0_10empty_typeEbEEZZNS1_14partition_implILS5_8ELb0ES3_jPKjPS6_PKS6_NS0_5tupleIJPjS6_EEENSE_IJSB_SB_EEENS0_18inequality_wrapperIN6hipcub16HIPCUB_304000_NS8EqualityEEEPlJS6_EEE10hipError_tPvRmT3_T4_T5_T6_T7_T9_mT8_P12ihipStream_tbDpT10_ENKUlT_T0_E_clISt17integral_constantIbLb0EES17_EEDaS12_S13_EUlS12_E_NS1_11comp_targetILNS1_3genE0ELNS1_11target_archE4294967295ELNS1_3gpuE0ELNS1_3repE0EEENS1_30default_config_static_selectorELNS0_4arch9wavefront6targetE0EEEvT1_.has_indirect_call, 0
	.section	.AMDGPU.csdata,"",@progbits
; Kernel info:
; codeLenInByte = 8676
; TotalNumSgprs: 32
; NumVgprs: 58
; ScratchSize: 0
; MemoryBound: 0
; FloatMode: 240
; IeeeMode: 1
; LDSByteSize: 22536 bytes/workgroup (compile time only)
; SGPRBlocks: 0
; VGPRBlocks: 3
; NumSGPRsForWavesPerEU: 32
; NumVGPRsForWavesPerEU: 58
; NamedBarCnt: 0
; Occupancy: 16
; WaveLimiterHint : 1
; COMPUTE_PGM_RSRC2:SCRATCH_EN: 0
; COMPUTE_PGM_RSRC2:USER_SGPR: 2
; COMPUTE_PGM_RSRC2:TRAP_HANDLER: 0
; COMPUTE_PGM_RSRC2:TGID_X_EN: 1
; COMPUTE_PGM_RSRC2:TGID_Y_EN: 0
; COMPUTE_PGM_RSRC2:TGID_Z_EN: 0
; COMPUTE_PGM_RSRC2:TIDIG_COMP_CNT: 0
	.section	.text._ZN7rocprim17ROCPRIM_400000_NS6detail17trampoline_kernelINS0_14default_configENS1_25partition_config_selectorILNS1_17partition_subalgoE8EjNS0_10empty_typeEbEEZZNS1_14partition_implILS5_8ELb0ES3_jPKjPS6_PKS6_NS0_5tupleIJPjS6_EEENSE_IJSB_SB_EEENS0_18inequality_wrapperIN6hipcub16HIPCUB_304000_NS8EqualityEEEPlJS6_EEE10hipError_tPvRmT3_T4_T5_T6_T7_T9_mT8_P12ihipStream_tbDpT10_ENKUlT_T0_E_clISt17integral_constantIbLb0EES17_EEDaS12_S13_EUlS12_E_NS1_11comp_targetILNS1_3genE5ELNS1_11target_archE942ELNS1_3gpuE9ELNS1_3repE0EEENS1_30default_config_static_selectorELNS0_4arch9wavefront6targetE0EEEvT1_,"axG",@progbits,_ZN7rocprim17ROCPRIM_400000_NS6detail17trampoline_kernelINS0_14default_configENS1_25partition_config_selectorILNS1_17partition_subalgoE8EjNS0_10empty_typeEbEEZZNS1_14partition_implILS5_8ELb0ES3_jPKjPS6_PKS6_NS0_5tupleIJPjS6_EEENSE_IJSB_SB_EEENS0_18inequality_wrapperIN6hipcub16HIPCUB_304000_NS8EqualityEEEPlJS6_EEE10hipError_tPvRmT3_T4_T5_T6_T7_T9_mT8_P12ihipStream_tbDpT10_ENKUlT_T0_E_clISt17integral_constantIbLb0EES17_EEDaS12_S13_EUlS12_E_NS1_11comp_targetILNS1_3genE5ELNS1_11target_archE942ELNS1_3gpuE9ELNS1_3repE0EEENS1_30default_config_static_selectorELNS0_4arch9wavefront6targetE0EEEvT1_,comdat
	.protected	_ZN7rocprim17ROCPRIM_400000_NS6detail17trampoline_kernelINS0_14default_configENS1_25partition_config_selectorILNS1_17partition_subalgoE8EjNS0_10empty_typeEbEEZZNS1_14partition_implILS5_8ELb0ES3_jPKjPS6_PKS6_NS0_5tupleIJPjS6_EEENSE_IJSB_SB_EEENS0_18inequality_wrapperIN6hipcub16HIPCUB_304000_NS8EqualityEEEPlJS6_EEE10hipError_tPvRmT3_T4_T5_T6_T7_T9_mT8_P12ihipStream_tbDpT10_ENKUlT_T0_E_clISt17integral_constantIbLb0EES17_EEDaS12_S13_EUlS12_E_NS1_11comp_targetILNS1_3genE5ELNS1_11target_archE942ELNS1_3gpuE9ELNS1_3repE0EEENS1_30default_config_static_selectorELNS0_4arch9wavefront6targetE0EEEvT1_ ; -- Begin function _ZN7rocprim17ROCPRIM_400000_NS6detail17trampoline_kernelINS0_14default_configENS1_25partition_config_selectorILNS1_17partition_subalgoE8EjNS0_10empty_typeEbEEZZNS1_14partition_implILS5_8ELb0ES3_jPKjPS6_PKS6_NS0_5tupleIJPjS6_EEENSE_IJSB_SB_EEENS0_18inequality_wrapperIN6hipcub16HIPCUB_304000_NS8EqualityEEEPlJS6_EEE10hipError_tPvRmT3_T4_T5_T6_T7_T9_mT8_P12ihipStream_tbDpT10_ENKUlT_T0_E_clISt17integral_constantIbLb0EES17_EEDaS12_S13_EUlS12_E_NS1_11comp_targetILNS1_3genE5ELNS1_11target_archE942ELNS1_3gpuE9ELNS1_3repE0EEENS1_30default_config_static_selectorELNS0_4arch9wavefront6targetE0EEEvT1_
	.globl	_ZN7rocprim17ROCPRIM_400000_NS6detail17trampoline_kernelINS0_14default_configENS1_25partition_config_selectorILNS1_17partition_subalgoE8EjNS0_10empty_typeEbEEZZNS1_14partition_implILS5_8ELb0ES3_jPKjPS6_PKS6_NS0_5tupleIJPjS6_EEENSE_IJSB_SB_EEENS0_18inequality_wrapperIN6hipcub16HIPCUB_304000_NS8EqualityEEEPlJS6_EEE10hipError_tPvRmT3_T4_T5_T6_T7_T9_mT8_P12ihipStream_tbDpT10_ENKUlT_T0_E_clISt17integral_constantIbLb0EES17_EEDaS12_S13_EUlS12_E_NS1_11comp_targetILNS1_3genE5ELNS1_11target_archE942ELNS1_3gpuE9ELNS1_3repE0EEENS1_30default_config_static_selectorELNS0_4arch9wavefront6targetE0EEEvT1_
	.p2align	8
	.type	_ZN7rocprim17ROCPRIM_400000_NS6detail17trampoline_kernelINS0_14default_configENS1_25partition_config_selectorILNS1_17partition_subalgoE8EjNS0_10empty_typeEbEEZZNS1_14partition_implILS5_8ELb0ES3_jPKjPS6_PKS6_NS0_5tupleIJPjS6_EEENSE_IJSB_SB_EEENS0_18inequality_wrapperIN6hipcub16HIPCUB_304000_NS8EqualityEEEPlJS6_EEE10hipError_tPvRmT3_T4_T5_T6_T7_T9_mT8_P12ihipStream_tbDpT10_ENKUlT_T0_E_clISt17integral_constantIbLb0EES17_EEDaS12_S13_EUlS12_E_NS1_11comp_targetILNS1_3genE5ELNS1_11target_archE942ELNS1_3gpuE9ELNS1_3repE0EEENS1_30default_config_static_selectorELNS0_4arch9wavefront6targetE0EEEvT1_,@function
_ZN7rocprim17ROCPRIM_400000_NS6detail17trampoline_kernelINS0_14default_configENS1_25partition_config_selectorILNS1_17partition_subalgoE8EjNS0_10empty_typeEbEEZZNS1_14partition_implILS5_8ELb0ES3_jPKjPS6_PKS6_NS0_5tupleIJPjS6_EEENSE_IJSB_SB_EEENS0_18inequality_wrapperIN6hipcub16HIPCUB_304000_NS8EqualityEEEPlJS6_EEE10hipError_tPvRmT3_T4_T5_T6_T7_T9_mT8_P12ihipStream_tbDpT10_ENKUlT_T0_E_clISt17integral_constantIbLb0EES17_EEDaS12_S13_EUlS12_E_NS1_11comp_targetILNS1_3genE5ELNS1_11target_archE942ELNS1_3gpuE9ELNS1_3repE0EEENS1_30default_config_static_selectorELNS0_4arch9wavefront6targetE0EEEvT1_: ; @_ZN7rocprim17ROCPRIM_400000_NS6detail17trampoline_kernelINS0_14default_configENS1_25partition_config_selectorILNS1_17partition_subalgoE8EjNS0_10empty_typeEbEEZZNS1_14partition_implILS5_8ELb0ES3_jPKjPS6_PKS6_NS0_5tupleIJPjS6_EEENSE_IJSB_SB_EEENS0_18inequality_wrapperIN6hipcub16HIPCUB_304000_NS8EqualityEEEPlJS6_EEE10hipError_tPvRmT3_T4_T5_T6_T7_T9_mT8_P12ihipStream_tbDpT10_ENKUlT_T0_E_clISt17integral_constantIbLb0EES17_EEDaS12_S13_EUlS12_E_NS1_11comp_targetILNS1_3genE5ELNS1_11target_archE942ELNS1_3gpuE9ELNS1_3repE0EEENS1_30default_config_static_selectorELNS0_4arch9wavefront6targetE0EEEvT1_
; %bb.0:
	.section	.rodata,"a",@progbits
	.p2align	6, 0x0
	.amdhsa_kernel _ZN7rocprim17ROCPRIM_400000_NS6detail17trampoline_kernelINS0_14default_configENS1_25partition_config_selectorILNS1_17partition_subalgoE8EjNS0_10empty_typeEbEEZZNS1_14partition_implILS5_8ELb0ES3_jPKjPS6_PKS6_NS0_5tupleIJPjS6_EEENSE_IJSB_SB_EEENS0_18inequality_wrapperIN6hipcub16HIPCUB_304000_NS8EqualityEEEPlJS6_EEE10hipError_tPvRmT3_T4_T5_T6_T7_T9_mT8_P12ihipStream_tbDpT10_ENKUlT_T0_E_clISt17integral_constantIbLb0EES17_EEDaS12_S13_EUlS12_E_NS1_11comp_targetILNS1_3genE5ELNS1_11target_archE942ELNS1_3gpuE9ELNS1_3repE0EEENS1_30default_config_static_selectorELNS0_4arch9wavefront6targetE0EEEvT1_
		.amdhsa_group_segment_fixed_size 0
		.amdhsa_private_segment_fixed_size 0
		.amdhsa_kernarg_size 112
		.amdhsa_user_sgpr_count 2
		.amdhsa_user_sgpr_dispatch_ptr 0
		.amdhsa_user_sgpr_queue_ptr 0
		.amdhsa_user_sgpr_kernarg_segment_ptr 1
		.amdhsa_user_sgpr_dispatch_id 0
		.amdhsa_user_sgpr_kernarg_preload_length 0
		.amdhsa_user_sgpr_kernarg_preload_offset 0
		.amdhsa_user_sgpr_private_segment_size 0
		.amdhsa_wavefront_size32 1
		.amdhsa_uses_dynamic_stack 0
		.amdhsa_enable_private_segment 0
		.amdhsa_system_sgpr_workgroup_id_x 1
		.amdhsa_system_sgpr_workgroup_id_y 0
		.amdhsa_system_sgpr_workgroup_id_z 0
		.amdhsa_system_sgpr_workgroup_info 0
		.amdhsa_system_vgpr_workitem_id 0
		.amdhsa_next_free_vgpr 1
		.amdhsa_next_free_sgpr 1
		.amdhsa_named_barrier_count 0
		.amdhsa_reserve_vcc 0
		.amdhsa_float_round_mode_32 0
		.amdhsa_float_round_mode_16_64 0
		.amdhsa_float_denorm_mode_32 3
		.amdhsa_float_denorm_mode_16_64 3
		.amdhsa_fp16_overflow 0
		.amdhsa_memory_ordered 1
		.amdhsa_forward_progress 1
		.amdhsa_inst_pref_size 0
		.amdhsa_round_robin_scheduling 0
		.amdhsa_exception_fp_ieee_invalid_op 0
		.amdhsa_exception_fp_denorm_src 0
		.amdhsa_exception_fp_ieee_div_zero 0
		.amdhsa_exception_fp_ieee_overflow 0
		.amdhsa_exception_fp_ieee_underflow 0
		.amdhsa_exception_fp_ieee_inexact 0
		.amdhsa_exception_int_div_zero 0
	.end_amdhsa_kernel
	.section	.text._ZN7rocprim17ROCPRIM_400000_NS6detail17trampoline_kernelINS0_14default_configENS1_25partition_config_selectorILNS1_17partition_subalgoE8EjNS0_10empty_typeEbEEZZNS1_14partition_implILS5_8ELb0ES3_jPKjPS6_PKS6_NS0_5tupleIJPjS6_EEENSE_IJSB_SB_EEENS0_18inequality_wrapperIN6hipcub16HIPCUB_304000_NS8EqualityEEEPlJS6_EEE10hipError_tPvRmT3_T4_T5_T6_T7_T9_mT8_P12ihipStream_tbDpT10_ENKUlT_T0_E_clISt17integral_constantIbLb0EES17_EEDaS12_S13_EUlS12_E_NS1_11comp_targetILNS1_3genE5ELNS1_11target_archE942ELNS1_3gpuE9ELNS1_3repE0EEENS1_30default_config_static_selectorELNS0_4arch9wavefront6targetE0EEEvT1_,"axG",@progbits,_ZN7rocprim17ROCPRIM_400000_NS6detail17trampoline_kernelINS0_14default_configENS1_25partition_config_selectorILNS1_17partition_subalgoE8EjNS0_10empty_typeEbEEZZNS1_14partition_implILS5_8ELb0ES3_jPKjPS6_PKS6_NS0_5tupleIJPjS6_EEENSE_IJSB_SB_EEENS0_18inequality_wrapperIN6hipcub16HIPCUB_304000_NS8EqualityEEEPlJS6_EEE10hipError_tPvRmT3_T4_T5_T6_T7_T9_mT8_P12ihipStream_tbDpT10_ENKUlT_T0_E_clISt17integral_constantIbLb0EES17_EEDaS12_S13_EUlS12_E_NS1_11comp_targetILNS1_3genE5ELNS1_11target_archE942ELNS1_3gpuE9ELNS1_3repE0EEENS1_30default_config_static_selectorELNS0_4arch9wavefront6targetE0EEEvT1_,comdat
.Lfunc_end618:
	.size	_ZN7rocprim17ROCPRIM_400000_NS6detail17trampoline_kernelINS0_14default_configENS1_25partition_config_selectorILNS1_17partition_subalgoE8EjNS0_10empty_typeEbEEZZNS1_14partition_implILS5_8ELb0ES3_jPKjPS6_PKS6_NS0_5tupleIJPjS6_EEENSE_IJSB_SB_EEENS0_18inequality_wrapperIN6hipcub16HIPCUB_304000_NS8EqualityEEEPlJS6_EEE10hipError_tPvRmT3_T4_T5_T6_T7_T9_mT8_P12ihipStream_tbDpT10_ENKUlT_T0_E_clISt17integral_constantIbLb0EES17_EEDaS12_S13_EUlS12_E_NS1_11comp_targetILNS1_3genE5ELNS1_11target_archE942ELNS1_3gpuE9ELNS1_3repE0EEENS1_30default_config_static_selectorELNS0_4arch9wavefront6targetE0EEEvT1_, .Lfunc_end618-_ZN7rocprim17ROCPRIM_400000_NS6detail17trampoline_kernelINS0_14default_configENS1_25partition_config_selectorILNS1_17partition_subalgoE8EjNS0_10empty_typeEbEEZZNS1_14partition_implILS5_8ELb0ES3_jPKjPS6_PKS6_NS0_5tupleIJPjS6_EEENSE_IJSB_SB_EEENS0_18inequality_wrapperIN6hipcub16HIPCUB_304000_NS8EqualityEEEPlJS6_EEE10hipError_tPvRmT3_T4_T5_T6_T7_T9_mT8_P12ihipStream_tbDpT10_ENKUlT_T0_E_clISt17integral_constantIbLb0EES17_EEDaS12_S13_EUlS12_E_NS1_11comp_targetILNS1_3genE5ELNS1_11target_archE942ELNS1_3gpuE9ELNS1_3repE0EEENS1_30default_config_static_selectorELNS0_4arch9wavefront6targetE0EEEvT1_
                                        ; -- End function
	.set _ZN7rocprim17ROCPRIM_400000_NS6detail17trampoline_kernelINS0_14default_configENS1_25partition_config_selectorILNS1_17partition_subalgoE8EjNS0_10empty_typeEbEEZZNS1_14partition_implILS5_8ELb0ES3_jPKjPS6_PKS6_NS0_5tupleIJPjS6_EEENSE_IJSB_SB_EEENS0_18inequality_wrapperIN6hipcub16HIPCUB_304000_NS8EqualityEEEPlJS6_EEE10hipError_tPvRmT3_T4_T5_T6_T7_T9_mT8_P12ihipStream_tbDpT10_ENKUlT_T0_E_clISt17integral_constantIbLb0EES17_EEDaS12_S13_EUlS12_E_NS1_11comp_targetILNS1_3genE5ELNS1_11target_archE942ELNS1_3gpuE9ELNS1_3repE0EEENS1_30default_config_static_selectorELNS0_4arch9wavefront6targetE0EEEvT1_.num_vgpr, 0
	.set _ZN7rocprim17ROCPRIM_400000_NS6detail17trampoline_kernelINS0_14default_configENS1_25partition_config_selectorILNS1_17partition_subalgoE8EjNS0_10empty_typeEbEEZZNS1_14partition_implILS5_8ELb0ES3_jPKjPS6_PKS6_NS0_5tupleIJPjS6_EEENSE_IJSB_SB_EEENS0_18inequality_wrapperIN6hipcub16HIPCUB_304000_NS8EqualityEEEPlJS6_EEE10hipError_tPvRmT3_T4_T5_T6_T7_T9_mT8_P12ihipStream_tbDpT10_ENKUlT_T0_E_clISt17integral_constantIbLb0EES17_EEDaS12_S13_EUlS12_E_NS1_11comp_targetILNS1_3genE5ELNS1_11target_archE942ELNS1_3gpuE9ELNS1_3repE0EEENS1_30default_config_static_selectorELNS0_4arch9wavefront6targetE0EEEvT1_.num_agpr, 0
	.set _ZN7rocprim17ROCPRIM_400000_NS6detail17trampoline_kernelINS0_14default_configENS1_25partition_config_selectorILNS1_17partition_subalgoE8EjNS0_10empty_typeEbEEZZNS1_14partition_implILS5_8ELb0ES3_jPKjPS6_PKS6_NS0_5tupleIJPjS6_EEENSE_IJSB_SB_EEENS0_18inequality_wrapperIN6hipcub16HIPCUB_304000_NS8EqualityEEEPlJS6_EEE10hipError_tPvRmT3_T4_T5_T6_T7_T9_mT8_P12ihipStream_tbDpT10_ENKUlT_T0_E_clISt17integral_constantIbLb0EES17_EEDaS12_S13_EUlS12_E_NS1_11comp_targetILNS1_3genE5ELNS1_11target_archE942ELNS1_3gpuE9ELNS1_3repE0EEENS1_30default_config_static_selectorELNS0_4arch9wavefront6targetE0EEEvT1_.numbered_sgpr, 0
	.set _ZN7rocprim17ROCPRIM_400000_NS6detail17trampoline_kernelINS0_14default_configENS1_25partition_config_selectorILNS1_17partition_subalgoE8EjNS0_10empty_typeEbEEZZNS1_14partition_implILS5_8ELb0ES3_jPKjPS6_PKS6_NS0_5tupleIJPjS6_EEENSE_IJSB_SB_EEENS0_18inequality_wrapperIN6hipcub16HIPCUB_304000_NS8EqualityEEEPlJS6_EEE10hipError_tPvRmT3_T4_T5_T6_T7_T9_mT8_P12ihipStream_tbDpT10_ENKUlT_T0_E_clISt17integral_constantIbLb0EES17_EEDaS12_S13_EUlS12_E_NS1_11comp_targetILNS1_3genE5ELNS1_11target_archE942ELNS1_3gpuE9ELNS1_3repE0EEENS1_30default_config_static_selectorELNS0_4arch9wavefront6targetE0EEEvT1_.num_named_barrier, 0
	.set _ZN7rocprim17ROCPRIM_400000_NS6detail17trampoline_kernelINS0_14default_configENS1_25partition_config_selectorILNS1_17partition_subalgoE8EjNS0_10empty_typeEbEEZZNS1_14partition_implILS5_8ELb0ES3_jPKjPS6_PKS6_NS0_5tupleIJPjS6_EEENSE_IJSB_SB_EEENS0_18inequality_wrapperIN6hipcub16HIPCUB_304000_NS8EqualityEEEPlJS6_EEE10hipError_tPvRmT3_T4_T5_T6_T7_T9_mT8_P12ihipStream_tbDpT10_ENKUlT_T0_E_clISt17integral_constantIbLb0EES17_EEDaS12_S13_EUlS12_E_NS1_11comp_targetILNS1_3genE5ELNS1_11target_archE942ELNS1_3gpuE9ELNS1_3repE0EEENS1_30default_config_static_selectorELNS0_4arch9wavefront6targetE0EEEvT1_.private_seg_size, 0
	.set _ZN7rocprim17ROCPRIM_400000_NS6detail17trampoline_kernelINS0_14default_configENS1_25partition_config_selectorILNS1_17partition_subalgoE8EjNS0_10empty_typeEbEEZZNS1_14partition_implILS5_8ELb0ES3_jPKjPS6_PKS6_NS0_5tupleIJPjS6_EEENSE_IJSB_SB_EEENS0_18inequality_wrapperIN6hipcub16HIPCUB_304000_NS8EqualityEEEPlJS6_EEE10hipError_tPvRmT3_T4_T5_T6_T7_T9_mT8_P12ihipStream_tbDpT10_ENKUlT_T0_E_clISt17integral_constantIbLb0EES17_EEDaS12_S13_EUlS12_E_NS1_11comp_targetILNS1_3genE5ELNS1_11target_archE942ELNS1_3gpuE9ELNS1_3repE0EEENS1_30default_config_static_selectorELNS0_4arch9wavefront6targetE0EEEvT1_.uses_vcc, 0
	.set _ZN7rocprim17ROCPRIM_400000_NS6detail17trampoline_kernelINS0_14default_configENS1_25partition_config_selectorILNS1_17partition_subalgoE8EjNS0_10empty_typeEbEEZZNS1_14partition_implILS5_8ELb0ES3_jPKjPS6_PKS6_NS0_5tupleIJPjS6_EEENSE_IJSB_SB_EEENS0_18inequality_wrapperIN6hipcub16HIPCUB_304000_NS8EqualityEEEPlJS6_EEE10hipError_tPvRmT3_T4_T5_T6_T7_T9_mT8_P12ihipStream_tbDpT10_ENKUlT_T0_E_clISt17integral_constantIbLb0EES17_EEDaS12_S13_EUlS12_E_NS1_11comp_targetILNS1_3genE5ELNS1_11target_archE942ELNS1_3gpuE9ELNS1_3repE0EEENS1_30default_config_static_selectorELNS0_4arch9wavefront6targetE0EEEvT1_.uses_flat_scratch, 0
	.set _ZN7rocprim17ROCPRIM_400000_NS6detail17trampoline_kernelINS0_14default_configENS1_25partition_config_selectorILNS1_17partition_subalgoE8EjNS0_10empty_typeEbEEZZNS1_14partition_implILS5_8ELb0ES3_jPKjPS6_PKS6_NS0_5tupleIJPjS6_EEENSE_IJSB_SB_EEENS0_18inequality_wrapperIN6hipcub16HIPCUB_304000_NS8EqualityEEEPlJS6_EEE10hipError_tPvRmT3_T4_T5_T6_T7_T9_mT8_P12ihipStream_tbDpT10_ENKUlT_T0_E_clISt17integral_constantIbLb0EES17_EEDaS12_S13_EUlS12_E_NS1_11comp_targetILNS1_3genE5ELNS1_11target_archE942ELNS1_3gpuE9ELNS1_3repE0EEENS1_30default_config_static_selectorELNS0_4arch9wavefront6targetE0EEEvT1_.has_dyn_sized_stack, 0
	.set _ZN7rocprim17ROCPRIM_400000_NS6detail17trampoline_kernelINS0_14default_configENS1_25partition_config_selectorILNS1_17partition_subalgoE8EjNS0_10empty_typeEbEEZZNS1_14partition_implILS5_8ELb0ES3_jPKjPS6_PKS6_NS0_5tupleIJPjS6_EEENSE_IJSB_SB_EEENS0_18inequality_wrapperIN6hipcub16HIPCUB_304000_NS8EqualityEEEPlJS6_EEE10hipError_tPvRmT3_T4_T5_T6_T7_T9_mT8_P12ihipStream_tbDpT10_ENKUlT_T0_E_clISt17integral_constantIbLb0EES17_EEDaS12_S13_EUlS12_E_NS1_11comp_targetILNS1_3genE5ELNS1_11target_archE942ELNS1_3gpuE9ELNS1_3repE0EEENS1_30default_config_static_selectorELNS0_4arch9wavefront6targetE0EEEvT1_.has_recursion, 0
	.set _ZN7rocprim17ROCPRIM_400000_NS6detail17trampoline_kernelINS0_14default_configENS1_25partition_config_selectorILNS1_17partition_subalgoE8EjNS0_10empty_typeEbEEZZNS1_14partition_implILS5_8ELb0ES3_jPKjPS6_PKS6_NS0_5tupleIJPjS6_EEENSE_IJSB_SB_EEENS0_18inequality_wrapperIN6hipcub16HIPCUB_304000_NS8EqualityEEEPlJS6_EEE10hipError_tPvRmT3_T4_T5_T6_T7_T9_mT8_P12ihipStream_tbDpT10_ENKUlT_T0_E_clISt17integral_constantIbLb0EES17_EEDaS12_S13_EUlS12_E_NS1_11comp_targetILNS1_3genE5ELNS1_11target_archE942ELNS1_3gpuE9ELNS1_3repE0EEENS1_30default_config_static_selectorELNS0_4arch9wavefront6targetE0EEEvT1_.has_indirect_call, 0
	.section	.AMDGPU.csdata,"",@progbits
; Kernel info:
; codeLenInByte = 0
; TotalNumSgprs: 0
; NumVgprs: 0
; ScratchSize: 0
; MemoryBound: 0
; FloatMode: 240
; IeeeMode: 1
; LDSByteSize: 0 bytes/workgroup (compile time only)
; SGPRBlocks: 0
; VGPRBlocks: 0
; NumSGPRsForWavesPerEU: 1
; NumVGPRsForWavesPerEU: 1
; NamedBarCnt: 0
; Occupancy: 16
; WaveLimiterHint : 0
; COMPUTE_PGM_RSRC2:SCRATCH_EN: 0
; COMPUTE_PGM_RSRC2:USER_SGPR: 2
; COMPUTE_PGM_RSRC2:TRAP_HANDLER: 0
; COMPUTE_PGM_RSRC2:TGID_X_EN: 1
; COMPUTE_PGM_RSRC2:TGID_Y_EN: 0
; COMPUTE_PGM_RSRC2:TGID_Z_EN: 0
; COMPUTE_PGM_RSRC2:TIDIG_COMP_CNT: 0
	.section	.text._ZN7rocprim17ROCPRIM_400000_NS6detail17trampoline_kernelINS0_14default_configENS1_25partition_config_selectorILNS1_17partition_subalgoE8EjNS0_10empty_typeEbEEZZNS1_14partition_implILS5_8ELb0ES3_jPKjPS6_PKS6_NS0_5tupleIJPjS6_EEENSE_IJSB_SB_EEENS0_18inequality_wrapperIN6hipcub16HIPCUB_304000_NS8EqualityEEEPlJS6_EEE10hipError_tPvRmT3_T4_T5_T6_T7_T9_mT8_P12ihipStream_tbDpT10_ENKUlT_T0_E_clISt17integral_constantIbLb0EES17_EEDaS12_S13_EUlS12_E_NS1_11comp_targetILNS1_3genE4ELNS1_11target_archE910ELNS1_3gpuE8ELNS1_3repE0EEENS1_30default_config_static_selectorELNS0_4arch9wavefront6targetE0EEEvT1_,"axG",@progbits,_ZN7rocprim17ROCPRIM_400000_NS6detail17trampoline_kernelINS0_14default_configENS1_25partition_config_selectorILNS1_17partition_subalgoE8EjNS0_10empty_typeEbEEZZNS1_14partition_implILS5_8ELb0ES3_jPKjPS6_PKS6_NS0_5tupleIJPjS6_EEENSE_IJSB_SB_EEENS0_18inequality_wrapperIN6hipcub16HIPCUB_304000_NS8EqualityEEEPlJS6_EEE10hipError_tPvRmT3_T4_T5_T6_T7_T9_mT8_P12ihipStream_tbDpT10_ENKUlT_T0_E_clISt17integral_constantIbLb0EES17_EEDaS12_S13_EUlS12_E_NS1_11comp_targetILNS1_3genE4ELNS1_11target_archE910ELNS1_3gpuE8ELNS1_3repE0EEENS1_30default_config_static_selectorELNS0_4arch9wavefront6targetE0EEEvT1_,comdat
	.protected	_ZN7rocprim17ROCPRIM_400000_NS6detail17trampoline_kernelINS0_14default_configENS1_25partition_config_selectorILNS1_17partition_subalgoE8EjNS0_10empty_typeEbEEZZNS1_14partition_implILS5_8ELb0ES3_jPKjPS6_PKS6_NS0_5tupleIJPjS6_EEENSE_IJSB_SB_EEENS0_18inequality_wrapperIN6hipcub16HIPCUB_304000_NS8EqualityEEEPlJS6_EEE10hipError_tPvRmT3_T4_T5_T6_T7_T9_mT8_P12ihipStream_tbDpT10_ENKUlT_T0_E_clISt17integral_constantIbLb0EES17_EEDaS12_S13_EUlS12_E_NS1_11comp_targetILNS1_3genE4ELNS1_11target_archE910ELNS1_3gpuE8ELNS1_3repE0EEENS1_30default_config_static_selectorELNS0_4arch9wavefront6targetE0EEEvT1_ ; -- Begin function _ZN7rocprim17ROCPRIM_400000_NS6detail17trampoline_kernelINS0_14default_configENS1_25partition_config_selectorILNS1_17partition_subalgoE8EjNS0_10empty_typeEbEEZZNS1_14partition_implILS5_8ELb0ES3_jPKjPS6_PKS6_NS0_5tupleIJPjS6_EEENSE_IJSB_SB_EEENS0_18inequality_wrapperIN6hipcub16HIPCUB_304000_NS8EqualityEEEPlJS6_EEE10hipError_tPvRmT3_T4_T5_T6_T7_T9_mT8_P12ihipStream_tbDpT10_ENKUlT_T0_E_clISt17integral_constantIbLb0EES17_EEDaS12_S13_EUlS12_E_NS1_11comp_targetILNS1_3genE4ELNS1_11target_archE910ELNS1_3gpuE8ELNS1_3repE0EEENS1_30default_config_static_selectorELNS0_4arch9wavefront6targetE0EEEvT1_
	.globl	_ZN7rocprim17ROCPRIM_400000_NS6detail17trampoline_kernelINS0_14default_configENS1_25partition_config_selectorILNS1_17partition_subalgoE8EjNS0_10empty_typeEbEEZZNS1_14partition_implILS5_8ELb0ES3_jPKjPS6_PKS6_NS0_5tupleIJPjS6_EEENSE_IJSB_SB_EEENS0_18inequality_wrapperIN6hipcub16HIPCUB_304000_NS8EqualityEEEPlJS6_EEE10hipError_tPvRmT3_T4_T5_T6_T7_T9_mT8_P12ihipStream_tbDpT10_ENKUlT_T0_E_clISt17integral_constantIbLb0EES17_EEDaS12_S13_EUlS12_E_NS1_11comp_targetILNS1_3genE4ELNS1_11target_archE910ELNS1_3gpuE8ELNS1_3repE0EEENS1_30default_config_static_selectorELNS0_4arch9wavefront6targetE0EEEvT1_
	.p2align	8
	.type	_ZN7rocprim17ROCPRIM_400000_NS6detail17trampoline_kernelINS0_14default_configENS1_25partition_config_selectorILNS1_17partition_subalgoE8EjNS0_10empty_typeEbEEZZNS1_14partition_implILS5_8ELb0ES3_jPKjPS6_PKS6_NS0_5tupleIJPjS6_EEENSE_IJSB_SB_EEENS0_18inequality_wrapperIN6hipcub16HIPCUB_304000_NS8EqualityEEEPlJS6_EEE10hipError_tPvRmT3_T4_T5_T6_T7_T9_mT8_P12ihipStream_tbDpT10_ENKUlT_T0_E_clISt17integral_constantIbLb0EES17_EEDaS12_S13_EUlS12_E_NS1_11comp_targetILNS1_3genE4ELNS1_11target_archE910ELNS1_3gpuE8ELNS1_3repE0EEENS1_30default_config_static_selectorELNS0_4arch9wavefront6targetE0EEEvT1_,@function
_ZN7rocprim17ROCPRIM_400000_NS6detail17trampoline_kernelINS0_14default_configENS1_25partition_config_selectorILNS1_17partition_subalgoE8EjNS0_10empty_typeEbEEZZNS1_14partition_implILS5_8ELb0ES3_jPKjPS6_PKS6_NS0_5tupleIJPjS6_EEENSE_IJSB_SB_EEENS0_18inequality_wrapperIN6hipcub16HIPCUB_304000_NS8EqualityEEEPlJS6_EEE10hipError_tPvRmT3_T4_T5_T6_T7_T9_mT8_P12ihipStream_tbDpT10_ENKUlT_T0_E_clISt17integral_constantIbLb0EES17_EEDaS12_S13_EUlS12_E_NS1_11comp_targetILNS1_3genE4ELNS1_11target_archE910ELNS1_3gpuE8ELNS1_3repE0EEENS1_30default_config_static_selectorELNS0_4arch9wavefront6targetE0EEEvT1_: ; @_ZN7rocprim17ROCPRIM_400000_NS6detail17trampoline_kernelINS0_14default_configENS1_25partition_config_selectorILNS1_17partition_subalgoE8EjNS0_10empty_typeEbEEZZNS1_14partition_implILS5_8ELb0ES3_jPKjPS6_PKS6_NS0_5tupleIJPjS6_EEENSE_IJSB_SB_EEENS0_18inequality_wrapperIN6hipcub16HIPCUB_304000_NS8EqualityEEEPlJS6_EEE10hipError_tPvRmT3_T4_T5_T6_T7_T9_mT8_P12ihipStream_tbDpT10_ENKUlT_T0_E_clISt17integral_constantIbLb0EES17_EEDaS12_S13_EUlS12_E_NS1_11comp_targetILNS1_3genE4ELNS1_11target_archE910ELNS1_3gpuE8ELNS1_3repE0EEENS1_30default_config_static_selectorELNS0_4arch9wavefront6targetE0EEEvT1_
; %bb.0:
	.section	.rodata,"a",@progbits
	.p2align	6, 0x0
	.amdhsa_kernel _ZN7rocprim17ROCPRIM_400000_NS6detail17trampoline_kernelINS0_14default_configENS1_25partition_config_selectorILNS1_17partition_subalgoE8EjNS0_10empty_typeEbEEZZNS1_14partition_implILS5_8ELb0ES3_jPKjPS6_PKS6_NS0_5tupleIJPjS6_EEENSE_IJSB_SB_EEENS0_18inequality_wrapperIN6hipcub16HIPCUB_304000_NS8EqualityEEEPlJS6_EEE10hipError_tPvRmT3_T4_T5_T6_T7_T9_mT8_P12ihipStream_tbDpT10_ENKUlT_T0_E_clISt17integral_constantIbLb0EES17_EEDaS12_S13_EUlS12_E_NS1_11comp_targetILNS1_3genE4ELNS1_11target_archE910ELNS1_3gpuE8ELNS1_3repE0EEENS1_30default_config_static_selectorELNS0_4arch9wavefront6targetE0EEEvT1_
		.amdhsa_group_segment_fixed_size 0
		.amdhsa_private_segment_fixed_size 0
		.amdhsa_kernarg_size 112
		.amdhsa_user_sgpr_count 2
		.amdhsa_user_sgpr_dispatch_ptr 0
		.amdhsa_user_sgpr_queue_ptr 0
		.amdhsa_user_sgpr_kernarg_segment_ptr 1
		.amdhsa_user_sgpr_dispatch_id 0
		.amdhsa_user_sgpr_kernarg_preload_length 0
		.amdhsa_user_sgpr_kernarg_preload_offset 0
		.amdhsa_user_sgpr_private_segment_size 0
		.amdhsa_wavefront_size32 1
		.amdhsa_uses_dynamic_stack 0
		.amdhsa_enable_private_segment 0
		.amdhsa_system_sgpr_workgroup_id_x 1
		.amdhsa_system_sgpr_workgroup_id_y 0
		.amdhsa_system_sgpr_workgroup_id_z 0
		.amdhsa_system_sgpr_workgroup_info 0
		.amdhsa_system_vgpr_workitem_id 0
		.amdhsa_next_free_vgpr 1
		.amdhsa_next_free_sgpr 1
		.amdhsa_named_barrier_count 0
		.amdhsa_reserve_vcc 0
		.amdhsa_float_round_mode_32 0
		.amdhsa_float_round_mode_16_64 0
		.amdhsa_float_denorm_mode_32 3
		.amdhsa_float_denorm_mode_16_64 3
		.amdhsa_fp16_overflow 0
		.amdhsa_memory_ordered 1
		.amdhsa_forward_progress 1
		.amdhsa_inst_pref_size 0
		.amdhsa_round_robin_scheduling 0
		.amdhsa_exception_fp_ieee_invalid_op 0
		.amdhsa_exception_fp_denorm_src 0
		.amdhsa_exception_fp_ieee_div_zero 0
		.amdhsa_exception_fp_ieee_overflow 0
		.amdhsa_exception_fp_ieee_underflow 0
		.amdhsa_exception_fp_ieee_inexact 0
		.amdhsa_exception_int_div_zero 0
	.end_amdhsa_kernel
	.section	.text._ZN7rocprim17ROCPRIM_400000_NS6detail17trampoline_kernelINS0_14default_configENS1_25partition_config_selectorILNS1_17partition_subalgoE8EjNS0_10empty_typeEbEEZZNS1_14partition_implILS5_8ELb0ES3_jPKjPS6_PKS6_NS0_5tupleIJPjS6_EEENSE_IJSB_SB_EEENS0_18inequality_wrapperIN6hipcub16HIPCUB_304000_NS8EqualityEEEPlJS6_EEE10hipError_tPvRmT3_T4_T5_T6_T7_T9_mT8_P12ihipStream_tbDpT10_ENKUlT_T0_E_clISt17integral_constantIbLb0EES17_EEDaS12_S13_EUlS12_E_NS1_11comp_targetILNS1_3genE4ELNS1_11target_archE910ELNS1_3gpuE8ELNS1_3repE0EEENS1_30default_config_static_selectorELNS0_4arch9wavefront6targetE0EEEvT1_,"axG",@progbits,_ZN7rocprim17ROCPRIM_400000_NS6detail17trampoline_kernelINS0_14default_configENS1_25partition_config_selectorILNS1_17partition_subalgoE8EjNS0_10empty_typeEbEEZZNS1_14partition_implILS5_8ELb0ES3_jPKjPS6_PKS6_NS0_5tupleIJPjS6_EEENSE_IJSB_SB_EEENS0_18inequality_wrapperIN6hipcub16HIPCUB_304000_NS8EqualityEEEPlJS6_EEE10hipError_tPvRmT3_T4_T5_T6_T7_T9_mT8_P12ihipStream_tbDpT10_ENKUlT_T0_E_clISt17integral_constantIbLb0EES17_EEDaS12_S13_EUlS12_E_NS1_11comp_targetILNS1_3genE4ELNS1_11target_archE910ELNS1_3gpuE8ELNS1_3repE0EEENS1_30default_config_static_selectorELNS0_4arch9wavefront6targetE0EEEvT1_,comdat
.Lfunc_end619:
	.size	_ZN7rocprim17ROCPRIM_400000_NS6detail17trampoline_kernelINS0_14default_configENS1_25partition_config_selectorILNS1_17partition_subalgoE8EjNS0_10empty_typeEbEEZZNS1_14partition_implILS5_8ELb0ES3_jPKjPS6_PKS6_NS0_5tupleIJPjS6_EEENSE_IJSB_SB_EEENS0_18inequality_wrapperIN6hipcub16HIPCUB_304000_NS8EqualityEEEPlJS6_EEE10hipError_tPvRmT3_T4_T5_T6_T7_T9_mT8_P12ihipStream_tbDpT10_ENKUlT_T0_E_clISt17integral_constantIbLb0EES17_EEDaS12_S13_EUlS12_E_NS1_11comp_targetILNS1_3genE4ELNS1_11target_archE910ELNS1_3gpuE8ELNS1_3repE0EEENS1_30default_config_static_selectorELNS0_4arch9wavefront6targetE0EEEvT1_, .Lfunc_end619-_ZN7rocprim17ROCPRIM_400000_NS6detail17trampoline_kernelINS0_14default_configENS1_25partition_config_selectorILNS1_17partition_subalgoE8EjNS0_10empty_typeEbEEZZNS1_14partition_implILS5_8ELb0ES3_jPKjPS6_PKS6_NS0_5tupleIJPjS6_EEENSE_IJSB_SB_EEENS0_18inequality_wrapperIN6hipcub16HIPCUB_304000_NS8EqualityEEEPlJS6_EEE10hipError_tPvRmT3_T4_T5_T6_T7_T9_mT8_P12ihipStream_tbDpT10_ENKUlT_T0_E_clISt17integral_constantIbLb0EES17_EEDaS12_S13_EUlS12_E_NS1_11comp_targetILNS1_3genE4ELNS1_11target_archE910ELNS1_3gpuE8ELNS1_3repE0EEENS1_30default_config_static_selectorELNS0_4arch9wavefront6targetE0EEEvT1_
                                        ; -- End function
	.set _ZN7rocprim17ROCPRIM_400000_NS6detail17trampoline_kernelINS0_14default_configENS1_25partition_config_selectorILNS1_17partition_subalgoE8EjNS0_10empty_typeEbEEZZNS1_14partition_implILS5_8ELb0ES3_jPKjPS6_PKS6_NS0_5tupleIJPjS6_EEENSE_IJSB_SB_EEENS0_18inequality_wrapperIN6hipcub16HIPCUB_304000_NS8EqualityEEEPlJS6_EEE10hipError_tPvRmT3_T4_T5_T6_T7_T9_mT8_P12ihipStream_tbDpT10_ENKUlT_T0_E_clISt17integral_constantIbLb0EES17_EEDaS12_S13_EUlS12_E_NS1_11comp_targetILNS1_3genE4ELNS1_11target_archE910ELNS1_3gpuE8ELNS1_3repE0EEENS1_30default_config_static_selectorELNS0_4arch9wavefront6targetE0EEEvT1_.num_vgpr, 0
	.set _ZN7rocprim17ROCPRIM_400000_NS6detail17trampoline_kernelINS0_14default_configENS1_25partition_config_selectorILNS1_17partition_subalgoE8EjNS0_10empty_typeEbEEZZNS1_14partition_implILS5_8ELb0ES3_jPKjPS6_PKS6_NS0_5tupleIJPjS6_EEENSE_IJSB_SB_EEENS0_18inequality_wrapperIN6hipcub16HIPCUB_304000_NS8EqualityEEEPlJS6_EEE10hipError_tPvRmT3_T4_T5_T6_T7_T9_mT8_P12ihipStream_tbDpT10_ENKUlT_T0_E_clISt17integral_constantIbLb0EES17_EEDaS12_S13_EUlS12_E_NS1_11comp_targetILNS1_3genE4ELNS1_11target_archE910ELNS1_3gpuE8ELNS1_3repE0EEENS1_30default_config_static_selectorELNS0_4arch9wavefront6targetE0EEEvT1_.num_agpr, 0
	.set _ZN7rocprim17ROCPRIM_400000_NS6detail17trampoline_kernelINS0_14default_configENS1_25partition_config_selectorILNS1_17partition_subalgoE8EjNS0_10empty_typeEbEEZZNS1_14partition_implILS5_8ELb0ES3_jPKjPS6_PKS6_NS0_5tupleIJPjS6_EEENSE_IJSB_SB_EEENS0_18inequality_wrapperIN6hipcub16HIPCUB_304000_NS8EqualityEEEPlJS6_EEE10hipError_tPvRmT3_T4_T5_T6_T7_T9_mT8_P12ihipStream_tbDpT10_ENKUlT_T0_E_clISt17integral_constantIbLb0EES17_EEDaS12_S13_EUlS12_E_NS1_11comp_targetILNS1_3genE4ELNS1_11target_archE910ELNS1_3gpuE8ELNS1_3repE0EEENS1_30default_config_static_selectorELNS0_4arch9wavefront6targetE0EEEvT1_.numbered_sgpr, 0
	.set _ZN7rocprim17ROCPRIM_400000_NS6detail17trampoline_kernelINS0_14default_configENS1_25partition_config_selectorILNS1_17partition_subalgoE8EjNS0_10empty_typeEbEEZZNS1_14partition_implILS5_8ELb0ES3_jPKjPS6_PKS6_NS0_5tupleIJPjS6_EEENSE_IJSB_SB_EEENS0_18inequality_wrapperIN6hipcub16HIPCUB_304000_NS8EqualityEEEPlJS6_EEE10hipError_tPvRmT3_T4_T5_T6_T7_T9_mT8_P12ihipStream_tbDpT10_ENKUlT_T0_E_clISt17integral_constantIbLb0EES17_EEDaS12_S13_EUlS12_E_NS1_11comp_targetILNS1_3genE4ELNS1_11target_archE910ELNS1_3gpuE8ELNS1_3repE0EEENS1_30default_config_static_selectorELNS0_4arch9wavefront6targetE0EEEvT1_.num_named_barrier, 0
	.set _ZN7rocprim17ROCPRIM_400000_NS6detail17trampoline_kernelINS0_14default_configENS1_25partition_config_selectorILNS1_17partition_subalgoE8EjNS0_10empty_typeEbEEZZNS1_14partition_implILS5_8ELb0ES3_jPKjPS6_PKS6_NS0_5tupleIJPjS6_EEENSE_IJSB_SB_EEENS0_18inequality_wrapperIN6hipcub16HIPCUB_304000_NS8EqualityEEEPlJS6_EEE10hipError_tPvRmT3_T4_T5_T6_T7_T9_mT8_P12ihipStream_tbDpT10_ENKUlT_T0_E_clISt17integral_constantIbLb0EES17_EEDaS12_S13_EUlS12_E_NS1_11comp_targetILNS1_3genE4ELNS1_11target_archE910ELNS1_3gpuE8ELNS1_3repE0EEENS1_30default_config_static_selectorELNS0_4arch9wavefront6targetE0EEEvT1_.private_seg_size, 0
	.set _ZN7rocprim17ROCPRIM_400000_NS6detail17trampoline_kernelINS0_14default_configENS1_25partition_config_selectorILNS1_17partition_subalgoE8EjNS0_10empty_typeEbEEZZNS1_14partition_implILS5_8ELb0ES3_jPKjPS6_PKS6_NS0_5tupleIJPjS6_EEENSE_IJSB_SB_EEENS0_18inequality_wrapperIN6hipcub16HIPCUB_304000_NS8EqualityEEEPlJS6_EEE10hipError_tPvRmT3_T4_T5_T6_T7_T9_mT8_P12ihipStream_tbDpT10_ENKUlT_T0_E_clISt17integral_constantIbLb0EES17_EEDaS12_S13_EUlS12_E_NS1_11comp_targetILNS1_3genE4ELNS1_11target_archE910ELNS1_3gpuE8ELNS1_3repE0EEENS1_30default_config_static_selectorELNS0_4arch9wavefront6targetE0EEEvT1_.uses_vcc, 0
	.set _ZN7rocprim17ROCPRIM_400000_NS6detail17trampoline_kernelINS0_14default_configENS1_25partition_config_selectorILNS1_17partition_subalgoE8EjNS0_10empty_typeEbEEZZNS1_14partition_implILS5_8ELb0ES3_jPKjPS6_PKS6_NS0_5tupleIJPjS6_EEENSE_IJSB_SB_EEENS0_18inequality_wrapperIN6hipcub16HIPCUB_304000_NS8EqualityEEEPlJS6_EEE10hipError_tPvRmT3_T4_T5_T6_T7_T9_mT8_P12ihipStream_tbDpT10_ENKUlT_T0_E_clISt17integral_constantIbLb0EES17_EEDaS12_S13_EUlS12_E_NS1_11comp_targetILNS1_3genE4ELNS1_11target_archE910ELNS1_3gpuE8ELNS1_3repE0EEENS1_30default_config_static_selectorELNS0_4arch9wavefront6targetE0EEEvT1_.uses_flat_scratch, 0
	.set _ZN7rocprim17ROCPRIM_400000_NS6detail17trampoline_kernelINS0_14default_configENS1_25partition_config_selectorILNS1_17partition_subalgoE8EjNS0_10empty_typeEbEEZZNS1_14partition_implILS5_8ELb0ES3_jPKjPS6_PKS6_NS0_5tupleIJPjS6_EEENSE_IJSB_SB_EEENS0_18inequality_wrapperIN6hipcub16HIPCUB_304000_NS8EqualityEEEPlJS6_EEE10hipError_tPvRmT3_T4_T5_T6_T7_T9_mT8_P12ihipStream_tbDpT10_ENKUlT_T0_E_clISt17integral_constantIbLb0EES17_EEDaS12_S13_EUlS12_E_NS1_11comp_targetILNS1_3genE4ELNS1_11target_archE910ELNS1_3gpuE8ELNS1_3repE0EEENS1_30default_config_static_selectorELNS0_4arch9wavefront6targetE0EEEvT1_.has_dyn_sized_stack, 0
	.set _ZN7rocprim17ROCPRIM_400000_NS6detail17trampoline_kernelINS0_14default_configENS1_25partition_config_selectorILNS1_17partition_subalgoE8EjNS0_10empty_typeEbEEZZNS1_14partition_implILS5_8ELb0ES3_jPKjPS6_PKS6_NS0_5tupleIJPjS6_EEENSE_IJSB_SB_EEENS0_18inequality_wrapperIN6hipcub16HIPCUB_304000_NS8EqualityEEEPlJS6_EEE10hipError_tPvRmT3_T4_T5_T6_T7_T9_mT8_P12ihipStream_tbDpT10_ENKUlT_T0_E_clISt17integral_constantIbLb0EES17_EEDaS12_S13_EUlS12_E_NS1_11comp_targetILNS1_3genE4ELNS1_11target_archE910ELNS1_3gpuE8ELNS1_3repE0EEENS1_30default_config_static_selectorELNS0_4arch9wavefront6targetE0EEEvT1_.has_recursion, 0
	.set _ZN7rocprim17ROCPRIM_400000_NS6detail17trampoline_kernelINS0_14default_configENS1_25partition_config_selectorILNS1_17partition_subalgoE8EjNS0_10empty_typeEbEEZZNS1_14partition_implILS5_8ELb0ES3_jPKjPS6_PKS6_NS0_5tupleIJPjS6_EEENSE_IJSB_SB_EEENS0_18inequality_wrapperIN6hipcub16HIPCUB_304000_NS8EqualityEEEPlJS6_EEE10hipError_tPvRmT3_T4_T5_T6_T7_T9_mT8_P12ihipStream_tbDpT10_ENKUlT_T0_E_clISt17integral_constantIbLb0EES17_EEDaS12_S13_EUlS12_E_NS1_11comp_targetILNS1_3genE4ELNS1_11target_archE910ELNS1_3gpuE8ELNS1_3repE0EEENS1_30default_config_static_selectorELNS0_4arch9wavefront6targetE0EEEvT1_.has_indirect_call, 0
	.section	.AMDGPU.csdata,"",@progbits
; Kernel info:
; codeLenInByte = 0
; TotalNumSgprs: 0
; NumVgprs: 0
; ScratchSize: 0
; MemoryBound: 0
; FloatMode: 240
; IeeeMode: 1
; LDSByteSize: 0 bytes/workgroup (compile time only)
; SGPRBlocks: 0
; VGPRBlocks: 0
; NumSGPRsForWavesPerEU: 1
; NumVGPRsForWavesPerEU: 1
; NamedBarCnt: 0
; Occupancy: 16
; WaveLimiterHint : 0
; COMPUTE_PGM_RSRC2:SCRATCH_EN: 0
; COMPUTE_PGM_RSRC2:USER_SGPR: 2
; COMPUTE_PGM_RSRC2:TRAP_HANDLER: 0
; COMPUTE_PGM_RSRC2:TGID_X_EN: 1
; COMPUTE_PGM_RSRC2:TGID_Y_EN: 0
; COMPUTE_PGM_RSRC2:TGID_Z_EN: 0
; COMPUTE_PGM_RSRC2:TIDIG_COMP_CNT: 0
	.section	.text._ZN7rocprim17ROCPRIM_400000_NS6detail17trampoline_kernelINS0_14default_configENS1_25partition_config_selectorILNS1_17partition_subalgoE8EjNS0_10empty_typeEbEEZZNS1_14partition_implILS5_8ELb0ES3_jPKjPS6_PKS6_NS0_5tupleIJPjS6_EEENSE_IJSB_SB_EEENS0_18inequality_wrapperIN6hipcub16HIPCUB_304000_NS8EqualityEEEPlJS6_EEE10hipError_tPvRmT3_T4_T5_T6_T7_T9_mT8_P12ihipStream_tbDpT10_ENKUlT_T0_E_clISt17integral_constantIbLb0EES17_EEDaS12_S13_EUlS12_E_NS1_11comp_targetILNS1_3genE3ELNS1_11target_archE908ELNS1_3gpuE7ELNS1_3repE0EEENS1_30default_config_static_selectorELNS0_4arch9wavefront6targetE0EEEvT1_,"axG",@progbits,_ZN7rocprim17ROCPRIM_400000_NS6detail17trampoline_kernelINS0_14default_configENS1_25partition_config_selectorILNS1_17partition_subalgoE8EjNS0_10empty_typeEbEEZZNS1_14partition_implILS5_8ELb0ES3_jPKjPS6_PKS6_NS0_5tupleIJPjS6_EEENSE_IJSB_SB_EEENS0_18inequality_wrapperIN6hipcub16HIPCUB_304000_NS8EqualityEEEPlJS6_EEE10hipError_tPvRmT3_T4_T5_T6_T7_T9_mT8_P12ihipStream_tbDpT10_ENKUlT_T0_E_clISt17integral_constantIbLb0EES17_EEDaS12_S13_EUlS12_E_NS1_11comp_targetILNS1_3genE3ELNS1_11target_archE908ELNS1_3gpuE7ELNS1_3repE0EEENS1_30default_config_static_selectorELNS0_4arch9wavefront6targetE0EEEvT1_,comdat
	.protected	_ZN7rocprim17ROCPRIM_400000_NS6detail17trampoline_kernelINS0_14default_configENS1_25partition_config_selectorILNS1_17partition_subalgoE8EjNS0_10empty_typeEbEEZZNS1_14partition_implILS5_8ELb0ES3_jPKjPS6_PKS6_NS0_5tupleIJPjS6_EEENSE_IJSB_SB_EEENS0_18inequality_wrapperIN6hipcub16HIPCUB_304000_NS8EqualityEEEPlJS6_EEE10hipError_tPvRmT3_T4_T5_T6_T7_T9_mT8_P12ihipStream_tbDpT10_ENKUlT_T0_E_clISt17integral_constantIbLb0EES17_EEDaS12_S13_EUlS12_E_NS1_11comp_targetILNS1_3genE3ELNS1_11target_archE908ELNS1_3gpuE7ELNS1_3repE0EEENS1_30default_config_static_selectorELNS0_4arch9wavefront6targetE0EEEvT1_ ; -- Begin function _ZN7rocprim17ROCPRIM_400000_NS6detail17trampoline_kernelINS0_14default_configENS1_25partition_config_selectorILNS1_17partition_subalgoE8EjNS0_10empty_typeEbEEZZNS1_14partition_implILS5_8ELb0ES3_jPKjPS6_PKS6_NS0_5tupleIJPjS6_EEENSE_IJSB_SB_EEENS0_18inequality_wrapperIN6hipcub16HIPCUB_304000_NS8EqualityEEEPlJS6_EEE10hipError_tPvRmT3_T4_T5_T6_T7_T9_mT8_P12ihipStream_tbDpT10_ENKUlT_T0_E_clISt17integral_constantIbLb0EES17_EEDaS12_S13_EUlS12_E_NS1_11comp_targetILNS1_3genE3ELNS1_11target_archE908ELNS1_3gpuE7ELNS1_3repE0EEENS1_30default_config_static_selectorELNS0_4arch9wavefront6targetE0EEEvT1_
	.globl	_ZN7rocprim17ROCPRIM_400000_NS6detail17trampoline_kernelINS0_14default_configENS1_25partition_config_selectorILNS1_17partition_subalgoE8EjNS0_10empty_typeEbEEZZNS1_14partition_implILS5_8ELb0ES3_jPKjPS6_PKS6_NS0_5tupleIJPjS6_EEENSE_IJSB_SB_EEENS0_18inequality_wrapperIN6hipcub16HIPCUB_304000_NS8EqualityEEEPlJS6_EEE10hipError_tPvRmT3_T4_T5_T6_T7_T9_mT8_P12ihipStream_tbDpT10_ENKUlT_T0_E_clISt17integral_constantIbLb0EES17_EEDaS12_S13_EUlS12_E_NS1_11comp_targetILNS1_3genE3ELNS1_11target_archE908ELNS1_3gpuE7ELNS1_3repE0EEENS1_30default_config_static_selectorELNS0_4arch9wavefront6targetE0EEEvT1_
	.p2align	8
	.type	_ZN7rocprim17ROCPRIM_400000_NS6detail17trampoline_kernelINS0_14default_configENS1_25partition_config_selectorILNS1_17partition_subalgoE8EjNS0_10empty_typeEbEEZZNS1_14partition_implILS5_8ELb0ES3_jPKjPS6_PKS6_NS0_5tupleIJPjS6_EEENSE_IJSB_SB_EEENS0_18inequality_wrapperIN6hipcub16HIPCUB_304000_NS8EqualityEEEPlJS6_EEE10hipError_tPvRmT3_T4_T5_T6_T7_T9_mT8_P12ihipStream_tbDpT10_ENKUlT_T0_E_clISt17integral_constantIbLb0EES17_EEDaS12_S13_EUlS12_E_NS1_11comp_targetILNS1_3genE3ELNS1_11target_archE908ELNS1_3gpuE7ELNS1_3repE0EEENS1_30default_config_static_selectorELNS0_4arch9wavefront6targetE0EEEvT1_,@function
_ZN7rocprim17ROCPRIM_400000_NS6detail17trampoline_kernelINS0_14default_configENS1_25partition_config_selectorILNS1_17partition_subalgoE8EjNS0_10empty_typeEbEEZZNS1_14partition_implILS5_8ELb0ES3_jPKjPS6_PKS6_NS0_5tupleIJPjS6_EEENSE_IJSB_SB_EEENS0_18inequality_wrapperIN6hipcub16HIPCUB_304000_NS8EqualityEEEPlJS6_EEE10hipError_tPvRmT3_T4_T5_T6_T7_T9_mT8_P12ihipStream_tbDpT10_ENKUlT_T0_E_clISt17integral_constantIbLb0EES17_EEDaS12_S13_EUlS12_E_NS1_11comp_targetILNS1_3genE3ELNS1_11target_archE908ELNS1_3gpuE7ELNS1_3repE0EEENS1_30default_config_static_selectorELNS0_4arch9wavefront6targetE0EEEvT1_: ; @_ZN7rocprim17ROCPRIM_400000_NS6detail17trampoline_kernelINS0_14default_configENS1_25partition_config_selectorILNS1_17partition_subalgoE8EjNS0_10empty_typeEbEEZZNS1_14partition_implILS5_8ELb0ES3_jPKjPS6_PKS6_NS0_5tupleIJPjS6_EEENSE_IJSB_SB_EEENS0_18inequality_wrapperIN6hipcub16HIPCUB_304000_NS8EqualityEEEPlJS6_EEE10hipError_tPvRmT3_T4_T5_T6_T7_T9_mT8_P12ihipStream_tbDpT10_ENKUlT_T0_E_clISt17integral_constantIbLb0EES17_EEDaS12_S13_EUlS12_E_NS1_11comp_targetILNS1_3genE3ELNS1_11target_archE908ELNS1_3gpuE7ELNS1_3repE0EEENS1_30default_config_static_selectorELNS0_4arch9wavefront6targetE0EEEvT1_
; %bb.0:
	.section	.rodata,"a",@progbits
	.p2align	6, 0x0
	.amdhsa_kernel _ZN7rocprim17ROCPRIM_400000_NS6detail17trampoline_kernelINS0_14default_configENS1_25partition_config_selectorILNS1_17partition_subalgoE8EjNS0_10empty_typeEbEEZZNS1_14partition_implILS5_8ELb0ES3_jPKjPS6_PKS6_NS0_5tupleIJPjS6_EEENSE_IJSB_SB_EEENS0_18inequality_wrapperIN6hipcub16HIPCUB_304000_NS8EqualityEEEPlJS6_EEE10hipError_tPvRmT3_T4_T5_T6_T7_T9_mT8_P12ihipStream_tbDpT10_ENKUlT_T0_E_clISt17integral_constantIbLb0EES17_EEDaS12_S13_EUlS12_E_NS1_11comp_targetILNS1_3genE3ELNS1_11target_archE908ELNS1_3gpuE7ELNS1_3repE0EEENS1_30default_config_static_selectorELNS0_4arch9wavefront6targetE0EEEvT1_
		.amdhsa_group_segment_fixed_size 0
		.amdhsa_private_segment_fixed_size 0
		.amdhsa_kernarg_size 112
		.amdhsa_user_sgpr_count 2
		.amdhsa_user_sgpr_dispatch_ptr 0
		.amdhsa_user_sgpr_queue_ptr 0
		.amdhsa_user_sgpr_kernarg_segment_ptr 1
		.amdhsa_user_sgpr_dispatch_id 0
		.amdhsa_user_sgpr_kernarg_preload_length 0
		.amdhsa_user_sgpr_kernarg_preload_offset 0
		.amdhsa_user_sgpr_private_segment_size 0
		.amdhsa_wavefront_size32 1
		.amdhsa_uses_dynamic_stack 0
		.amdhsa_enable_private_segment 0
		.amdhsa_system_sgpr_workgroup_id_x 1
		.amdhsa_system_sgpr_workgroup_id_y 0
		.amdhsa_system_sgpr_workgroup_id_z 0
		.amdhsa_system_sgpr_workgroup_info 0
		.amdhsa_system_vgpr_workitem_id 0
		.amdhsa_next_free_vgpr 1
		.amdhsa_next_free_sgpr 1
		.amdhsa_named_barrier_count 0
		.amdhsa_reserve_vcc 0
		.amdhsa_float_round_mode_32 0
		.amdhsa_float_round_mode_16_64 0
		.amdhsa_float_denorm_mode_32 3
		.amdhsa_float_denorm_mode_16_64 3
		.amdhsa_fp16_overflow 0
		.amdhsa_memory_ordered 1
		.amdhsa_forward_progress 1
		.amdhsa_inst_pref_size 0
		.amdhsa_round_robin_scheduling 0
		.amdhsa_exception_fp_ieee_invalid_op 0
		.amdhsa_exception_fp_denorm_src 0
		.amdhsa_exception_fp_ieee_div_zero 0
		.amdhsa_exception_fp_ieee_overflow 0
		.amdhsa_exception_fp_ieee_underflow 0
		.amdhsa_exception_fp_ieee_inexact 0
		.amdhsa_exception_int_div_zero 0
	.end_amdhsa_kernel
	.section	.text._ZN7rocprim17ROCPRIM_400000_NS6detail17trampoline_kernelINS0_14default_configENS1_25partition_config_selectorILNS1_17partition_subalgoE8EjNS0_10empty_typeEbEEZZNS1_14partition_implILS5_8ELb0ES3_jPKjPS6_PKS6_NS0_5tupleIJPjS6_EEENSE_IJSB_SB_EEENS0_18inequality_wrapperIN6hipcub16HIPCUB_304000_NS8EqualityEEEPlJS6_EEE10hipError_tPvRmT3_T4_T5_T6_T7_T9_mT8_P12ihipStream_tbDpT10_ENKUlT_T0_E_clISt17integral_constantIbLb0EES17_EEDaS12_S13_EUlS12_E_NS1_11comp_targetILNS1_3genE3ELNS1_11target_archE908ELNS1_3gpuE7ELNS1_3repE0EEENS1_30default_config_static_selectorELNS0_4arch9wavefront6targetE0EEEvT1_,"axG",@progbits,_ZN7rocprim17ROCPRIM_400000_NS6detail17trampoline_kernelINS0_14default_configENS1_25partition_config_selectorILNS1_17partition_subalgoE8EjNS0_10empty_typeEbEEZZNS1_14partition_implILS5_8ELb0ES3_jPKjPS6_PKS6_NS0_5tupleIJPjS6_EEENSE_IJSB_SB_EEENS0_18inequality_wrapperIN6hipcub16HIPCUB_304000_NS8EqualityEEEPlJS6_EEE10hipError_tPvRmT3_T4_T5_T6_T7_T9_mT8_P12ihipStream_tbDpT10_ENKUlT_T0_E_clISt17integral_constantIbLb0EES17_EEDaS12_S13_EUlS12_E_NS1_11comp_targetILNS1_3genE3ELNS1_11target_archE908ELNS1_3gpuE7ELNS1_3repE0EEENS1_30default_config_static_selectorELNS0_4arch9wavefront6targetE0EEEvT1_,comdat
.Lfunc_end620:
	.size	_ZN7rocprim17ROCPRIM_400000_NS6detail17trampoline_kernelINS0_14default_configENS1_25partition_config_selectorILNS1_17partition_subalgoE8EjNS0_10empty_typeEbEEZZNS1_14partition_implILS5_8ELb0ES3_jPKjPS6_PKS6_NS0_5tupleIJPjS6_EEENSE_IJSB_SB_EEENS0_18inequality_wrapperIN6hipcub16HIPCUB_304000_NS8EqualityEEEPlJS6_EEE10hipError_tPvRmT3_T4_T5_T6_T7_T9_mT8_P12ihipStream_tbDpT10_ENKUlT_T0_E_clISt17integral_constantIbLb0EES17_EEDaS12_S13_EUlS12_E_NS1_11comp_targetILNS1_3genE3ELNS1_11target_archE908ELNS1_3gpuE7ELNS1_3repE0EEENS1_30default_config_static_selectorELNS0_4arch9wavefront6targetE0EEEvT1_, .Lfunc_end620-_ZN7rocprim17ROCPRIM_400000_NS6detail17trampoline_kernelINS0_14default_configENS1_25partition_config_selectorILNS1_17partition_subalgoE8EjNS0_10empty_typeEbEEZZNS1_14partition_implILS5_8ELb0ES3_jPKjPS6_PKS6_NS0_5tupleIJPjS6_EEENSE_IJSB_SB_EEENS0_18inequality_wrapperIN6hipcub16HIPCUB_304000_NS8EqualityEEEPlJS6_EEE10hipError_tPvRmT3_T4_T5_T6_T7_T9_mT8_P12ihipStream_tbDpT10_ENKUlT_T0_E_clISt17integral_constantIbLb0EES17_EEDaS12_S13_EUlS12_E_NS1_11comp_targetILNS1_3genE3ELNS1_11target_archE908ELNS1_3gpuE7ELNS1_3repE0EEENS1_30default_config_static_selectorELNS0_4arch9wavefront6targetE0EEEvT1_
                                        ; -- End function
	.set _ZN7rocprim17ROCPRIM_400000_NS6detail17trampoline_kernelINS0_14default_configENS1_25partition_config_selectorILNS1_17partition_subalgoE8EjNS0_10empty_typeEbEEZZNS1_14partition_implILS5_8ELb0ES3_jPKjPS6_PKS6_NS0_5tupleIJPjS6_EEENSE_IJSB_SB_EEENS0_18inequality_wrapperIN6hipcub16HIPCUB_304000_NS8EqualityEEEPlJS6_EEE10hipError_tPvRmT3_T4_T5_T6_T7_T9_mT8_P12ihipStream_tbDpT10_ENKUlT_T0_E_clISt17integral_constantIbLb0EES17_EEDaS12_S13_EUlS12_E_NS1_11comp_targetILNS1_3genE3ELNS1_11target_archE908ELNS1_3gpuE7ELNS1_3repE0EEENS1_30default_config_static_selectorELNS0_4arch9wavefront6targetE0EEEvT1_.num_vgpr, 0
	.set _ZN7rocprim17ROCPRIM_400000_NS6detail17trampoline_kernelINS0_14default_configENS1_25partition_config_selectorILNS1_17partition_subalgoE8EjNS0_10empty_typeEbEEZZNS1_14partition_implILS5_8ELb0ES3_jPKjPS6_PKS6_NS0_5tupleIJPjS6_EEENSE_IJSB_SB_EEENS0_18inequality_wrapperIN6hipcub16HIPCUB_304000_NS8EqualityEEEPlJS6_EEE10hipError_tPvRmT3_T4_T5_T6_T7_T9_mT8_P12ihipStream_tbDpT10_ENKUlT_T0_E_clISt17integral_constantIbLb0EES17_EEDaS12_S13_EUlS12_E_NS1_11comp_targetILNS1_3genE3ELNS1_11target_archE908ELNS1_3gpuE7ELNS1_3repE0EEENS1_30default_config_static_selectorELNS0_4arch9wavefront6targetE0EEEvT1_.num_agpr, 0
	.set _ZN7rocprim17ROCPRIM_400000_NS6detail17trampoline_kernelINS0_14default_configENS1_25partition_config_selectorILNS1_17partition_subalgoE8EjNS0_10empty_typeEbEEZZNS1_14partition_implILS5_8ELb0ES3_jPKjPS6_PKS6_NS0_5tupleIJPjS6_EEENSE_IJSB_SB_EEENS0_18inequality_wrapperIN6hipcub16HIPCUB_304000_NS8EqualityEEEPlJS6_EEE10hipError_tPvRmT3_T4_T5_T6_T7_T9_mT8_P12ihipStream_tbDpT10_ENKUlT_T0_E_clISt17integral_constantIbLb0EES17_EEDaS12_S13_EUlS12_E_NS1_11comp_targetILNS1_3genE3ELNS1_11target_archE908ELNS1_3gpuE7ELNS1_3repE0EEENS1_30default_config_static_selectorELNS0_4arch9wavefront6targetE0EEEvT1_.numbered_sgpr, 0
	.set _ZN7rocprim17ROCPRIM_400000_NS6detail17trampoline_kernelINS0_14default_configENS1_25partition_config_selectorILNS1_17partition_subalgoE8EjNS0_10empty_typeEbEEZZNS1_14partition_implILS5_8ELb0ES3_jPKjPS6_PKS6_NS0_5tupleIJPjS6_EEENSE_IJSB_SB_EEENS0_18inequality_wrapperIN6hipcub16HIPCUB_304000_NS8EqualityEEEPlJS6_EEE10hipError_tPvRmT3_T4_T5_T6_T7_T9_mT8_P12ihipStream_tbDpT10_ENKUlT_T0_E_clISt17integral_constantIbLb0EES17_EEDaS12_S13_EUlS12_E_NS1_11comp_targetILNS1_3genE3ELNS1_11target_archE908ELNS1_3gpuE7ELNS1_3repE0EEENS1_30default_config_static_selectorELNS0_4arch9wavefront6targetE0EEEvT1_.num_named_barrier, 0
	.set _ZN7rocprim17ROCPRIM_400000_NS6detail17trampoline_kernelINS0_14default_configENS1_25partition_config_selectorILNS1_17partition_subalgoE8EjNS0_10empty_typeEbEEZZNS1_14partition_implILS5_8ELb0ES3_jPKjPS6_PKS6_NS0_5tupleIJPjS6_EEENSE_IJSB_SB_EEENS0_18inequality_wrapperIN6hipcub16HIPCUB_304000_NS8EqualityEEEPlJS6_EEE10hipError_tPvRmT3_T4_T5_T6_T7_T9_mT8_P12ihipStream_tbDpT10_ENKUlT_T0_E_clISt17integral_constantIbLb0EES17_EEDaS12_S13_EUlS12_E_NS1_11comp_targetILNS1_3genE3ELNS1_11target_archE908ELNS1_3gpuE7ELNS1_3repE0EEENS1_30default_config_static_selectorELNS0_4arch9wavefront6targetE0EEEvT1_.private_seg_size, 0
	.set _ZN7rocprim17ROCPRIM_400000_NS6detail17trampoline_kernelINS0_14default_configENS1_25partition_config_selectorILNS1_17partition_subalgoE8EjNS0_10empty_typeEbEEZZNS1_14partition_implILS5_8ELb0ES3_jPKjPS6_PKS6_NS0_5tupleIJPjS6_EEENSE_IJSB_SB_EEENS0_18inequality_wrapperIN6hipcub16HIPCUB_304000_NS8EqualityEEEPlJS6_EEE10hipError_tPvRmT3_T4_T5_T6_T7_T9_mT8_P12ihipStream_tbDpT10_ENKUlT_T0_E_clISt17integral_constantIbLb0EES17_EEDaS12_S13_EUlS12_E_NS1_11comp_targetILNS1_3genE3ELNS1_11target_archE908ELNS1_3gpuE7ELNS1_3repE0EEENS1_30default_config_static_selectorELNS0_4arch9wavefront6targetE0EEEvT1_.uses_vcc, 0
	.set _ZN7rocprim17ROCPRIM_400000_NS6detail17trampoline_kernelINS0_14default_configENS1_25partition_config_selectorILNS1_17partition_subalgoE8EjNS0_10empty_typeEbEEZZNS1_14partition_implILS5_8ELb0ES3_jPKjPS6_PKS6_NS0_5tupleIJPjS6_EEENSE_IJSB_SB_EEENS0_18inequality_wrapperIN6hipcub16HIPCUB_304000_NS8EqualityEEEPlJS6_EEE10hipError_tPvRmT3_T4_T5_T6_T7_T9_mT8_P12ihipStream_tbDpT10_ENKUlT_T0_E_clISt17integral_constantIbLb0EES17_EEDaS12_S13_EUlS12_E_NS1_11comp_targetILNS1_3genE3ELNS1_11target_archE908ELNS1_3gpuE7ELNS1_3repE0EEENS1_30default_config_static_selectorELNS0_4arch9wavefront6targetE0EEEvT1_.uses_flat_scratch, 0
	.set _ZN7rocprim17ROCPRIM_400000_NS6detail17trampoline_kernelINS0_14default_configENS1_25partition_config_selectorILNS1_17partition_subalgoE8EjNS0_10empty_typeEbEEZZNS1_14partition_implILS5_8ELb0ES3_jPKjPS6_PKS6_NS0_5tupleIJPjS6_EEENSE_IJSB_SB_EEENS0_18inequality_wrapperIN6hipcub16HIPCUB_304000_NS8EqualityEEEPlJS6_EEE10hipError_tPvRmT3_T4_T5_T6_T7_T9_mT8_P12ihipStream_tbDpT10_ENKUlT_T0_E_clISt17integral_constantIbLb0EES17_EEDaS12_S13_EUlS12_E_NS1_11comp_targetILNS1_3genE3ELNS1_11target_archE908ELNS1_3gpuE7ELNS1_3repE0EEENS1_30default_config_static_selectorELNS0_4arch9wavefront6targetE0EEEvT1_.has_dyn_sized_stack, 0
	.set _ZN7rocprim17ROCPRIM_400000_NS6detail17trampoline_kernelINS0_14default_configENS1_25partition_config_selectorILNS1_17partition_subalgoE8EjNS0_10empty_typeEbEEZZNS1_14partition_implILS5_8ELb0ES3_jPKjPS6_PKS6_NS0_5tupleIJPjS6_EEENSE_IJSB_SB_EEENS0_18inequality_wrapperIN6hipcub16HIPCUB_304000_NS8EqualityEEEPlJS6_EEE10hipError_tPvRmT3_T4_T5_T6_T7_T9_mT8_P12ihipStream_tbDpT10_ENKUlT_T0_E_clISt17integral_constantIbLb0EES17_EEDaS12_S13_EUlS12_E_NS1_11comp_targetILNS1_3genE3ELNS1_11target_archE908ELNS1_3gpuE7ELNS1_3repE0EEENS1_30default_config_static_selectorELNS0_4arch9wavefront6targetE0EEEvT1_.has_recursion, 0
	.set _ZN7rocprim17ROCPRIM_400000_NS6detail17trampoline_kernelINS0_14default_configENS1_25partition_config_selectorILNS1_17partition_subalgoE8EjNS0_10empty_typeEbEEZZNS1_14partition_implILS5_8ELb0ES3_jPKjPS6_PKS6_NS0_5tupleIJPjS6_EEENSE_IJSB_SB_EEENS0_18inequality_wrapperIN6hipcub16HIPCUB_304000_NS8EqualityEEEPlJS6_EEE10hipError_tPvRmT3_T4_T5_T6_T7_T9_mT8_P12ihipStream_tbDpT10_ENKUlT_T0_E_clISt17integral_constantIbLb0EES17_EEDaS12_S13_EUlS12_E_NS1_11comp_targetILNS1_3genE3ELNS1_11target_archE908ELNS1_3gpuE7ELNS1_3repE0EEENS1_30default_config_static_selectorELNS0_4arch9wavefront6targetE0EEEvT1_.has_indirect_call, 0
	.section	.AMDGPU.csdata,"",@progbits
; Kernel info:
; codeLenInByte = 0
; TotalNumSgprs: 0
; NumVgprs: 0
; ScratchSize: 0
; MemoryBound: 0
; FloatMode: 240
; IeeeMode: 1
; LDSByteSize: 0 bytes/workgroup (compile time only)
; SGPRBlocks: 0
; VGPRBlocks: 0
; NumSGPRsForWavesPerEU: 1
; NumVGPRsForWavesPerEU: 1
; NamedBarCnt: 0
; Occupancy: 16
; WaveLimiterHint : 0
; COMPUTE_PGM_RSRC2:SCRATCH_EN: 0
; COMPUTE_PGM_RSRC2:USER_SGPR: 2
; COMPUTE_PGM_RSRC2:TRAP_HANDLER: 0
; COMPUTE_PGM_RSRC2:TGID_X_EN: 1
; COMPUTE_PGM_RSRC2:TGID_Y_EN: 0
; COMPUTE_PGM_RSRC2:TGID_Z_EN: 0
; COMPUTE_PGM_RSRC2:TIDIG_COMP_CNT: 0
	.section	.text._ZN7rocprim17ROCPRIM_400000_NS6detail17trampoline_kernelINS0_14default_configENS1_25partition_config_selectorILNS1_17partition_subalgoE8EjNS0_10empty_typeEbEEZZNS1_14partition_implILS5_8ELb0ES3_jPKjPS6_PKS6_NS0_5tupleIJPjS6_EEENSE_IJSB_SB_EEENS0_18inequality_wrapperIN6hipcub16HIPCUB_304000_NS8EqualityEEEPlJS6_EEE10hipError_tPvRmT3_T4_T5_T6_T7_T9_mT8_P12ihipStream_tbDpT10_ENKUlT_T0_E_clISt17integral_constantIbLb0EES17_EEDaS12_S13_EUlS12_E_NS1_11comp_targetILNS1_3genE2ELNS1_11target_archE906ELNS1_3gpuE6ELNS1_3repE0EEENS1_30default_config_static_selectorELNS0_4arch9wavefront6targetE0EEEvT1_,"axG",@progbits,_ZN7rocprim17ROCPRIM_400000_NS6detail17trampoline_kernelINS0_14default_configENS1_25partition_config_selectorILNS1_17partition_subalgoE8EjNS0_10empty_typeEbEEZZNS1_14partition_implILS5_8ELb0ES3_jPKjPS6_PKS6_NS0_5tupleIJPjS6_EEENSE_IJSB_SB_EEENS0_18inequality_wrapperIN6hipcub16HIPCUB_304000_NS8EqualityEEEPlJS6_EEE10hipError_tPvRmT3_T4_T5_T6_T7_T9_mT8_P12ihipStream_tbDpT10_ENKUlT_T0_E_clISt17integral_constantIbLb0EES17_EEDaS12_S13_EUlS12_E_NS1_11comp_targetILNS1_3genE2ELNS1_11target_archE906ELNS1_3gpuE6ELNS1_3repE0EEENS1_30default_config_static_selectorELNS0_4arch9wavefront6targetE0EEEvT1_,comdat
	.protected	_ZN7rocprim17ROCPRIM_400000_NS6detail17trampoline_kernelINS0_14default_configENS1_25partition_config_selectorILNS1_17partition_subalgoE8EjNS0_10empty_typeEbEEZZNS1_14partition_implILS5_8ELb0ES3_jPKjPS6_PKS6_NS0_5tupleIJPjS6_EEENSE_IJSB_SB_EEENS0_18inequality_wrapperIN6hipcub16HIPCUB_304000_NS8EqualityEEEPlJS6_EEE10hipError_tPvRmT3_T4_T5_T6_T7_T9_mT8_P12ihipStream_tbDpT10_ENKUlT_T0_E_clISt17integral_constantIbLb0EES17_EEDaS12_S13_EUlS12_E_NS1_11comp_targetILNS1_3genE2ELNS1_11target_archE906ELNS1_3gpuE6ELNS1_3repE0EEENS1_30default_config_static_selectorELNS0_4arch9wavefront6targetE0EEEvT1_ ; -- Begin function _ZN7rocprim17ROCPRIM_400000_NS6detail17trampoline_kernelINS0_14default_configENS1_25partition_config_selectorILNS1_17partition_subalgoE8EjNS0_10empty_typeEbEEZZNS1_14partition_implILS5_8ELb0ES3_jPKjPS6_PKS6_NS0_5tupleIJPjS6_EEENSE_IJSB_SB_EEENS0_18inequality_wrapperIN6hipcub16HIPCUB_304000_NS8EqualityEEEPlJS6_EEE10hipError_tPvRmT3_T4_T5_T6_T7_T9_mT8_P12ihipStream_tbDpT10_ENKUlT_T0_E_clISt17integral_constantIbLb0EES17_EEDaS12_S13_EUlS12_E_NS1_11comp_targetILNS1_3genE2ELNS1_11target_archE906ELNS1_3gpuE6ELNS1_3repE0EEENS1_30default_config_static_selectorELNS0_4arch9wavefront6targetE0EEEvT1_
	.globl	_ZN7rocprim17ROCPRIM_400000_NS6detail17trampoline_kernelINS0_14default_configENS1_25partition_config_selectorILNS1_17partition_subalgoE8EjNS0_10empty_typeEbEEZZNS1_14partition_implILS5_8ELb0ES3_jPKjPS6_PKS6_NS0_5tupleIJPjS6_EEENSE_IJSB_SB_EEENS0_18inequality_wrapperIN6hipcub16HIPCUB_304000_NS8EqualityEEEPlJS6_EEE10hipError_tPvRmT3_T4_T5_T6_T7_T9_mT8_P12ihipStream_tbDpT10_ENKUlT_T0_E_clISt17integral_constantIbLb0EES17_EEDaS12_S13_EUlS12_E_NS1_11comp_targetILNS1_3genE2ELNS1_11target_archE906ELNS1_3gpuE6ELNS1_3repE0EEENS1_30default_config_static_selectorELNS0_4arch9wavefront6targetE0EEEvT1_
	.p2align	8
	.type	_ZN7rocprim17ROCPRIM_400000_NS6detail17trampoline_kernelINS0_14default_configENS1_25partition_config_selectorILNS1_17partition_subalgoE8EjNS0_10empty_typeEbEEZZNS1_14partition_implILS5_8ELb0ES3_jPKjPS6_PKS6_NS0_5tupleIJPjS6_EEENSE_IJSB_SB_EEENS0_18inequality_wrapperIN6hipcub16HIPCUB_304000_NS8EqualityEEEPlJS6_EEE10hipError_tPvRmT3_T4_T5_T6_T7_T9_mT8_P12ihipStream_tbDpT10_ENKUlT_T0_E_clISt17integral_constantIbLb0EES17_EEDaS12_S13_EUlS12_E_NS1_11comp_targetILNS1_3genE2ELNS1_11target_archE906ELNS1_3gpuE6ELNS1_3repE0EEENS1_30default_config_static_selectorELNS0_4arch9wavefront6targetE0EEEvT1_,@function
_ZN7rocprim17ROCPRIM_400000_NS6detail17trampoline_kernelINS0_14default_configENS1_25partition_config_selectorILNS1_17partition_subalgoE8EjNS0_10empty_typeEbEEZZNS1_14partition_implILS5_8ELb0ES3_jPKjPS6_PKS6_NS0_5tupleIJPjS6_EEENSE_IJSB_SB_EEENS0_18inequality_wrapperIN6hipcub16HIPCUB_304000_NS8EqualityEEEPlJS6_EEE10hipError_tPvRmT3_T4_T5_T6_T7_T9_mT8_P12ihipStream_tbDpT10_ENKUlT_T0_E_clISt17integral_constantIbLb0EES17_EEDaS12_S13_EUlS12_E_NS1_11comp_targetILNS1_3genE2ELNS1_11target_archE906ELNS1_3gpuE6ELNS1_3repE0EEENS1_30default_config_static_selectorELNS0_4arch9wavefront6targetE0EEEvT1_: ; @_ZN7rocprim17ROCPRIM_400000_NS6detail17trampoline_kernelINS0_14default_configENS1_25partition_config_selectorILNS1_17partition_subalgoE8EjNS0_10empty_typeEbEEZZNS1_14partition_implILS5_8ELb0ES3_jPKjPS6_PKS6_NS0_5tupleIJPjS6_EEENSE_IJSB_SB_EEENS0_18inequality_wrapperIN6hipcub16HIPCUB_304000_NS8EqualityEEEPlJS6_EEE10hipError_tPvRmT3_T4_T5_T6_T7_T9_mT8_P12ihipStream_tbDpT10_ENKUlT_T0_E_clISt17integral_constantIbLb0EES17_EEDaS12_S13_EUlS12_E_NS1_11comp_targetILNS1_3genE2ELNS1_11target_archE906ELNS1_3gpuE6ELNS1_3repE0EEENS1_30default_config_static_selectorELNS0_4arch9wavefront6targetE0EEEvT1_
; %bb.0:
	.section	.rodata,"a",@progbits
	.p2align	6, 0x0
	.amdhsa_kernel _ZN7rocprim17ROCPRIM_400000_NS6detail17trampoline_kernelINS0_14default_configENS1_25partition_config_selectorILNS1_17partition_subalgoE8EjNS0_10empty_typeEbEEZZNS1_14partition_implILS5_8ELb0ES3_jPKjPS6_PKS6_NS0_5tupleIJPjS6_EEENSE_IJSB_SB_EEENS0_18inequality_wrapperIN6hipcub16HIPCUB_304000_NS8EqualityEEEPlJS6_EEE10hipError_tPvRmT3_T4_T5_T6_T7_T9_mT8_P12ihipStream_tbDpT10_ENKUlT_T0_E_clISt17integral_constantIbLb0EES17_EEDaS12_S13_EUlS12_E_NS1_11comp_targetILNS1_3genE2ELNS1_11target_archE906ELNS1_3gpuE6ELNS1_3repE0EEENS1_30default_config_static_selectorELNS0_4arch9wavefront6targetE0EEEvT1_
		.amdhsa_group_segment_fixed_size 0
		.amdhsa_private_segment_fixed_size 0
		.amdhsa_kernarg_size 112
		.amdhsa_user_sgpr_count 2
		.amdhsa_user_sgpr_dispatch_ptr 0
		.amdhsa_user_sgpr_queue_ptr 0
		.amdhsa_user_sgpr_kernarg_segment_ptr 1
		.amdhsa_user_sgpr_dispatch_id 0
		.amdhsa_user_sgpr_kernarg_preload_length 0
		.amdhsa_user_sgpr_kernarg_preload_offset 0
		.amdhsa_user_sgpr_private_segment_size 0
		.amdhsa_wavefront_size32 1
		.amdhsa_uses_dynamic_stack 0
		.amdhsa_enable_private_segment 0
		.amdhsa_system_sgpr_workgroup_id_x 1
		.amdhsa_system_sgpr_workgroup_id_y 0
		.amdhsa_system_sgpr_workgroup_id_z 0
		.amdhsa_system_sgpr_workgroup_info 0
		.amdhsa_system_vgpr_workitem_id 0
		.amdhsa_next_free_vgpr 1
		.amdhsa_next_free_sgpr 1
		.amdhsa_named_barrier_count 0
		.amdhsa_reserve_vcc 0
		.amdhsa_float_round_mode_32 0
		.amdhsa_float_round_mode_16_64 0
		.amdhsa_float_denorm_mode_32 3
		.amdhsa_float_denorm_mode_16_64 3
		.amdhsa_fp16_overflow 0
		.amdhsa_memory_ordered 1
		.amdhsa_forward_progress 1
		.amdhsa_inst_pref_size 0
		.amdhsa_round_robin_scheduling 0
		.amdhsa_exception_fp_ieee_invalid_op 0
		.amdhsa_exception_fp_denorm_src 0
		.amdhsa_exception_fp_ieee_div_zero 0
		.amdhsa_exception_fp_ieee_overflow 0
		.amdhsa_exception_fp_ieee_underflow 0
		.amdhsa_exception_fp_ieee_inexact 0
		.amdhsa_exception_int_div_zero 0
	.end_amdhsa_kernel
	.section	.text._ZN7rocprim17ROCPRIM_400000_NS6detail17trampoline_kernelINS0_14default_configENS1_25partition_config_selectorILNS1_17partition_subalgoE8EjNS0_10empty_typeEbEEZZNS1_14partition_implILS5_8ELb0ES3_jPKjPS6_PKS6_NS0_5tupleIJPjS6_EEENSE_IJSB_SB_EEENS0_18inequality_wrapperIN6hipcub16HIPCUB_304000_NS8EqualityEEEPlJS6_EEE10hipError_tPvRmT3_T4_T5_T6_T7_T9_mT8_P12ihipStream_tbDpT10_ENKUlT_T0_E_clISt17integral_constantIbLb0EES17_EEDaS12_S13_EUlS12_E_NS1_11comp_targetILNS1_3genE2ELNS1_11target_archE906ELNS1_3gpuE6ELNS1_3repE0EEENS1_30default_config_static_selectorELNS0_4arch9wavefront6targetE0EEEvT1_,"axG",@progbits,_ZN7rocprim17ROCPRIM_400000_NS6detail17trampoline_kernelINS0_14default_configENS1_25partition_config_selectorILNS1_17partition_subalgoE8EjNS0_10empty_typeEbEEZZNS1_14partition_implILS5_8ELb0ES3_jPKjPS6_PKS6_NS0_5tupleIJPjS6_EEENSE_IJSB_SB_EEENS0_18inequality_wrapperIN6hipcub16HIPCUB_304000_NS8EqualityEEEPlJS6_EEE10hipError_tPvRmT3_T4_T5_T6_T7_T9_mT8_P12ihipStream_tbDpT10_ENKUlT_T0_E_clISt17integral_constantIbLb0EES17_EEDaS12_S13_EUlS12_E_NS1_11comp_targetILNS1_3genE2ELNS1_11target_archE906ELNS1_3gpuE6ELNS1_3repE0EEENS1_30default_config_static_selectorELNS0_4arch9wavefront6targetE0EEEvT1_,comdat
.Lfunc_end621:
	.size	_ZN7rocprim17ROCPRIM_400000_NS6detail17trampoline_kernelINS0_14default_configENS1_25partition_config_selectorILNS1_17partition_subalgoE8EjNS0_10empty_typeEbEEZZNS1_14partition_implILS5_8ELb0ES3_jPKjPS6_PKS6_NS0_5tupleIJPjS6_EEENSE_IJSB_SB_EEENS0_18inequality_wrapperIN6hipcub16HIPCUB_304000_NS8EqualityEEEPlJS6_EEE10hipError_tPvRmT3_T4_T5_T6_T7_T9_mT8_P12ihipStream_tbDpT10_ENKUlT_T0_E_clISt17integral_constantIbLb0EES17_EEDaS12_S13_EUlS12_E_NS1_11comp_targetILNS1_3genE2ELNS1_11target_archE906ELNS1_3gpuE6ELNS1_3repE0EEENS1_30default_config_static_selectorELNS0_4arch9wavefront6targetE0EEEvT1_, .Lfunc_end621-_ZN7rocprim17ROCPRIM_400000_NS6detail17trampoline_kernelINS0_14default_configENS1_25partition_config_selectorILNS1_17partition_subalgoE8EjNS0_10empty_typeEbEEZZNS1_14partition_implILS5_8ELb0ES3_jPKjPS6_PKS6_NS0_5tupleIJPjS6_EEENSE_IJSB_SB_EEENS0_18inequality_wrapperIN6hipcub16HIPCUB_304000_NS8EqualityEEEPlJS6_EEE10hipError_tPvRmT3_T4_T5_T6_T7_T9_mT8_P12ihipStream_tbDpT10_ENKUlT_T0_E_clISt17integral_constantIbLb0EES17_EEDaS12_S13_EUlS12_E_NS1_11comp_targetILNS1_3genE2ELNS1_11target_archE906ELNS1_3gpuE6ELNS1_3repE0EEENS1_30default_config_static_selectorELNS0_4arch9wavefront6targetE0EEEvT1_
                                        ; -- End function
	.set _ZN7rocprim17ROCPRIM_400000_NS6detail17trampoline_kernelINS0_14default_configENS1_25partition_config_selectorILNS1_17partition_subalgoE8EjNS0_10empty_typeEbEEZZNS1_14partition_implILS5_8ELb0ES3_jPKjPS6_PKS6_NS0_5tupleIJPjS6_EEENSE_IJSB_SB_EEENS0_18inequality_wrapperIN6hipcub16HIPCUB_304000_NS8EqualityEEEPlJS6_EEE10hipError_tPvRmT3_T4_T5_T6_T7_T9_mT8_P12ihipStream_tbDpT10_ENKUlT_T0_E_clISt17integral_constantIbLb0EES17_EEDaS12_S13_EUlS12_E_NS1_11comp_targetILNS1_3genE2ELNS1_11target_archE906ELNS1_3gpuE6ELNS1_3repE0EEENS1_30default_config_static_selectorELNS0_4arch9wavefront6targetE0EEEvT1_.num_vgpr, 0
	.set _ZN7rocprim17ROCPRIM_400000_NS6detail17trampoline_kernelINS0_14default_configENS1_25partition_config_selectorILNS1_17partition_subalgoE8EjNS0_10empty_typeEbEEZZNS1_14partition_implILS5_8ELb0ES3_jPKjPS6_PKS6_NS0_5tupleIJPjS6_EEENSE_IJSB_SB_EEENS0_18inequality_wrapperIN6hipcub16HIPCUB_304000_NS8EqualityEEEPlJS6_EEE10hipError_tPvRmT3_T4_T5_T6_T7_T9_mT8_P12ihipStream_tbDpT10_ENKUlT_T0_E_clISt17integral_constantIbLb0EES17_EEDaS12_S13_EUlS12_E_NS1_11comp_targetILNS1_3genE2ELNS1_11target_archE906ELNS1_3gpuE6ELNS1_3repE0EEENS1_30default_config_static_selectorELNS0_4arch9wavefront6targetE0EEEvT1_.num_agpr, 0
	.set _ZN7rocprim17ROCPRIM_400000_NS6detail17trampoline_kernelINS0_14default_configENS1_25partition_config_selectorILNS1_17partition_subalgoE8EjNS0_10empty_typeEbEEZZNS1_14partition_implILS5_8ELb0ES3_jPKjPS6_PKS6_NS0_5tupleIJPjS6_EEENSE_IJSB_SB_EEENS0_18inequality_wrapperIN6hipcub16HIPCUB_304000_NS8EqualityEEEPlJS6_EEE10hipError_tPvRmT3_T4_T5_T6_T7_T9_mT8_P12ihipStream_tbDpT10_ENKUlT_T0_E_clISt17integral_constantIbLb0EES17_EEDaS12_S13_EUlS12_E_NS1_11comp_targetILNS1_3genE2ELNS1_11target_archE906ELNS1_3gpuE6ELNS1_3repE0EEENS1_30default_config_static_selectorELNS0_4arch9wavefront6targetE0EEEvT1_.numbered_sgpr, 0
	.set _ZN7rocprim17ROCPRIM_400000_NS6detail17trampoline_kernelINS0_14default_configENS1_25partition_config_selectorILNS1_17partition_subalgoE8EjNS0_10empty_typeEbEEZZNS1_14partition_implILS5_8ELb0ES3_jPKjPS6_PKS6_NS0_5tupleIJPjS6_EEENSE_IJSB_SB_EEENS0_18inequality_wrapperIN6hipcub16HIPCUB_304000_NS8EqualityEEEPlJS6_EEE10hipError_tPvRmT3_T4_T5_T6_T7_T9_mT8_P12ihipStream_tbDpT10_ENKUlT_T0_E_clISt17integral_constantIbLb0EES17_EEDaS12_S13_EUlS12_E_NS1_11comp_targetILNS1_3genE2ELNS1_11target_archE906ELNS1_3gpuE6ELNS1_3repE0EEENS1_30default_config_static_selectorELNS0_4arch9wavefront6targetE0EEEvT1_.num_named_barrier, 0
	.set _ZN7rocprim17ROCPRIM_400000_NS6detail17trampoline_kernelINS0_14default_configENS1_25partition_config_selectorILNS1_17partition_subalgoE8EjNS0_10empty_typeEbEEZZNS1_14partition_implILS5_8ELb0ES3_jPKjPS6_PKS6_NS0_5tupleIJPjS6_EEENSE_IJSB_SB_EEENS0_18inequality_wrapperIN6hipcub16HIPCUB_304000_NS8EqualityEEEPlJS6_EEE10hipError_tPvRmT3_T4_T5_T6_T7_T9_mT8_P12ihipStream_tbDpT10_ENKUlT_T0_E_clISt17integral_constantIbLb0EES17_EEDaS12_S13_EUlS12_E_NS1_11comp_targetILNS1_3genE2ELNS1_11target_archE906ELNS1_3gpuE6ELNS1_3repE0EEENS1_30default_config_static_selectorELNS0_4arch9wavefront6targetE0EEEvT1_.private_seg_size, 0
	.set _ZN7rocprim17ROCPRIM_400000_NS6detail17trampoline_kernelINS0_14default_configENS1_25partition_config_selectorILNS1_17partition_subalgoE8EjNS0_10empty_typeEbEEZZNS1_14partition_implILS5_8ELb0ES3_jPKjPS6_PKS6_NS0_5tupleIJPjS6_EEENSE_IJSB_SB_EEENS0_18inequality_wrapperIN6hipcub16HIPCUB_304000_NS8EqualityEEEPlJS6_EEE10hipError_tPvRmT3_T4_T5_T6_T7_T9_mT8_P12ihipStream_tbDpT10_ENKUlT_T0_E_clISt17integral_constantIbLb0EES17_EEDaS12_S13_EUlS12_E_NS1_11comp_targetILNS1_3genE2ELNS1_11target_archE906ELNS1_3gpuE6ELNS1_3repE0EEENS1_30default_config_static_selectorELNS0_4arch9wavefront6targetE0EEEvT1_.uses_vcc, 0
	.set _ZN7rocprim17ROCPRIM_400000_NS6detail17trampoline_kernelINS0_14default_configENS1_25partition_config_selectorILNS1_17partition_subalgoE8EjNS0_10empty_typeEbEEZZNS1_14partition_implILS5_8ELb0ES3_jPKjPS6_PKS6_NS0_5tupleIJPjS6_EEENSE_IJSB_SB_EEENS0_18inequality_wrapperIN6hipcub16HIPCUB_304000_NS8EqualityEEEPlJS6_EEE10hipError_tPvRmT3_T4_T5_T6_T7_T9_mT8_P12ihipStream_tbDpT10_ENKUlT_T0_E_clISt17integral_constantIbLb0EES17_EEDaS12_S13_EUlS12_E_NS1_11comp_targetILNS1_3genE2ELNS1_11target_archE906ELNS1_3gpuE6ELNS1_3repE0EEENS1_30default_config_static_selectorELNS0_4arch9wavefront6targetE0EEEvT1_.uses_flat_scratch, 0
	.set _ZN7rocprim17ROCPRIM_400000_NS6detail17trampoline_kernelINS0_14default_configENS1_25partition_config_selectorILNS1_17partition_subalgoE8EjNS0_10empty_typeEbEEZZNS1_14partition_implILS5_8ELb0ES3_jPKjPS6_PKS6_NS0_5tupleIJPjS6_EEENSE_IJSB_SB_EEENS0_18inequality_wrapperIN6hipcub16HIPCUB_304000_NS8EqualityEEEPlJS6_EEE10hipError_tPvRmT3_T4_T5_T6_T7_T9_mT8_P12ihipStream_tbDpT10_ENKUlT_T0_E_clISt17integral_constantIbLb0EES17_EEDaS12_S13_EUlS12_E_NS1_11comp_targetILNS1_3genE2ELNS1_11target_archE906ELNS1_3gpuE6ELNS1_3repE0EEENS1_30default_config_static_selectorELNS0_4arch9wavefront6targetE0EEEvT1_.has_dyn_sized_stack, 0
	.set _ZN7rocprim17ROCPRIM_400000_NS6detail17trampoline_kernelINS0_14default_configENS1_25partition_config_selectorILNS1_17partition_subalgoE8EjNS0_10empty_typeEbEEZZNS1_14partition_implILS5_8ELb0ES3_jPKjPS6_PKS6_NS0_5tupleIJPjS6_EEENSE_IJSB_SB_EEENS0_18inequality_wrapperIN6hipcub16HIPCUB_304000_NS8EqualityEEEPlJS6_EEE10hipError_tPvRmT3_T4_T5_T6_T7_T9_mT8_P12ihipStream_tbDpT10_ENKUlT_T0_E_clISt17integral_constantIbLb0EES17_EEDaS12_S13_EUlS12_E_NS1_11comp_targetILNS1_3genE2ELNS1_11target_archE906ELNS1_3gpuE6ELNS1_3repE0EEENS1_30default_config_static_selectorELNS0_4arch9wavefront6targetE0EEEvT1_.has_recursion, 0
	.set _ZN7rocprim17ROCPRIM_400000_NS6detail17trampoline_kernelINS0_14default_configENS1_25partition_config_selectorILNS1_17partition_subalgoE8EjNS0_10empty_typeEbEEZZNS1_14partition_implILS5_8ELb0ES3_jPKjPS6_PKS6_NS0_5tupleIJPjS6_EEENSE_IJSB_SB_EEENS0_18inequality_wrapperIN6hipcub16HIPCUB_304000_NS8EqualityEEEPlJS6_EEE10hipError_tPvRmT3_T4_T5_T6_T7_T9_mT8_P12ihipStream_tbDpT10_ENKUlT_T0_E_clISt17integral_constantIbLb0EES17_EEDaS12_S13_EUlS12_E_NS1_11comp_targetILNS1_3genE2ELNS1_11target_archE906ELNS1_3gpuE6ELNS1_3repE0EEENS1_30default_config_static_selectorELNS0_4arch9wavefront6targetE0EEEvT1_.has_indirect_call, 0
	.section	.AMDGPU.csdata,"",@progbits
; Kernel info:
; codeLenInByte = 0
; TotalNumSgprs: 0
; NumVgprs: 0
; ScratchSize: 0
; MemoryBound: 0
; FloatMode: 240
; IeeeMode: 1
; LDSByteSize: 0 bytes/workgroup (compile time only)
; SGPRBlocks: 0
; VGPRBlocks: 0
; NumSGPRsForWavesPerEU: 1
; NumVGPRsForWavesPerEU: 1
; NamedBarCnt: 0
; Occupancy: 16
; WaveLimiterHint : 0
; COMPUTE_PGM_RSRC2:SCRATCH_EN: 0
; COMPUTE_PGM_RSRC2:USER_SGPR: 2
; COMPUTE_PGM_RSRC2:TRAP_HANDLER: 0
; COMPUTE_PGM_RSRC2:TGID_X_EN: 1
; COMPUTE_PGM_RSRC2:TGID_Y_EN: 0
; COMPUTE_PGM_RSRC2:TGID_Z_EN: 0
; COMPUTE_PGM_RSRC2:TIDIG_COMP_CNT: 0
	.section	.text._ZN7rocprim17ROCPRIM_400000_NS6detail17trampoline_kernelINS0_14default_configENS1_25partition_config_selectorILNS1_17partition_subalgoE8EjNS0_10empty_typeEbEEZZNS1_14partition_implILS5_8ELb0ES3_jPKjPS6_PKS6_NS0_5tupleIJPjS6_EEENSE_IJSB_SB_EEENS0_18inequality_wrapperIN6hipcub16HIPCUB_304000_NS8EqualityEEEPlJS6_EEE10hipError_tPvRmT3_T4_T5_T6_T7_T9_mT8_P12ihipStream_tbDpT10_ENKUlT_T0_E_clISt17integral_constantIbLb0EES17_EEDaS12_S13_EUlS12_E_NS1_11comp_targetILNS1_3genE10ELNS1_11target_archE1200ELNS1_3gpuE4ELNS1_3repE0EEENS1_30default_config_static_selectorELNS0_4arch9wavefront6targetE0EEEvT1_,"axG",@progbits,_ZN7rocprim17ROCPRIM_400000_NS6detail17trampoline_kernelINS0_14default_configENS1_25partition_config_selectorILNS1_17partition_subalgoE8EjNS0_10empty_typeEbEEZZNS1_14partition_implILS5_8ELb0ES3_jPKjPS6_PKS6_NS0_5tupleIJPjS6_EEENSE_IJSB_SB_EEENS0_18inequality_wrapperIN6hipcub16HIPCUB_304000_NS8EqualityEEEPlJS6_EEE10hipError_tPvRmT3_T4_T5_T6_T7_T9_mT8_P12ihipStream_tbDpT10_ENKUlT_T0_E_clISt17integral_constantIbLb0EES17_EEDaS12_S13_EUlS12_E_NS1_11comp_targetILNS1_3genE10ELNS1_11target_archE1200ELNS1_3gpuE4ELNS1_3repE0EEENS1_30default_config_static_selectorELNS0_4arch9wavefront6targetE0EEEvT1_,comdat
	.protected	_ZN7rocprim17ROCPRIM_400000_NS6detail17trampoline_kernelINS0_14default_configENS1_25partition_config_selectorILNS1_17partition_subalgoE8EjNS0_10empty_typeEbEEZZNS1_14partition_implILS5_8ELb0ES3_jPKjPS6_PKS6_NS0_5tupleIJPjS6_EEENSE_IJSB_SB_EEENS0_18inequality_wrapperIN6hipcub16HIPCUB_304000_NS8EqualityEEEPlJS6_EEE10hipError_tPvRmT3_T4_T5_T6_T7_T9_mT8_P12ihipStream_tbDpT10_ENKUlT_T0_E_clISt17integral_constantIbLb0EES17_EEDaS12_S13_EUlS12_E_NS1_11comp_targetILNS1_3genE10ELNS1_11target_archE1200ELNS1_3gpuE4ELNS1_3repE0EEENS1_30default_config_static_selectorELNS0_4arch9wavefront6targetE0EEEvT1_ ; -- Begin function _ZN7rocprim17ROCPRIM_400000_NS6detail17trampoline_kernelINS0_14default_configENS1_25partition_config_selectorILNS1_17partition_subalgoE8EjNS0_10empty_typeEbEEZZNS1_14partition_implILS5_8ELb0ES3_jPKjPS6_PKS6_NS0_5tupleIJPjS6_EEENSE_IJSB_SB_EEENS0_18inequality_wrapperIN6hipcub16HIPCUB_304000_NS8EqualityEEEPlJS6_EEE10hipError_tPvRmT3_T4_T5_T6_T7_T9_mT8_P12ihipStream_tbDpT10_ENKUlT_T0_E_clISt17integral_constantIbLb0EES17_EEDaS12_S13_EUlS12_E_NS1_11comp_targetILNS1_3genE10ELNS1_11target_archE1200ELNS1_3gpuE4ELNS1_3repE0EEENS1_30default_config_static_selectorELNS0_4arch9wavefront6targetE0EEEvT1_
	.globl	_ZN7rocprim17ROCPRIM_400000_NS6detail17trampoline_kernelINS0_14default_configENS1_25partition_config_selectorILNS1_17partition_subalgoE8EjNS0_10empty_typeEbEEZZNS1_14partition_implILS5_8ELb0ES3_jPKjPS6_PKS6_NS0_5tupleIJPjS6_EEENSE_IJSB_SB_EEENS0_18inequality_wrapperIN6hipcub16HIPCUB_304000_NS8EqualityEEEPlJS6_EEE10hipError_tPvRmT3_T4_T5_T6_T7_T9_mT8_P12ihipStream_tbDpT10_ENKUlT_T0_E_clISt17integral_constantIbLb0EES17_EEDaS12_S13_EUlS12_E_NS1_11comp_targetILNS1_3genE10ELNS1_11target_archE1200ELNS1_3gpuE4ELNS1_3repE0EEENS1_30default_config_static_selectorELNS0_4arch9wavefront6targetE0EEEvT1_
	.p2align	8
	.type	_ZN7rocprim17ROCPRIM_400000_NS6detail17trampoline_kernelINS0_14default_configENS1_25partition_config_selectorILNS1_17partition_subalgoE8EjNS0_10empty_typeEbEEZZNS1_14partition_implILS5_8ELb0ES3_jPKjPS6_PKS6_NS0_5tupleIJPjS6_EEENSE_IJSB_SB_EEENS0_18inequality_wrapperIN6hipcub16HIPCUB_304000_NS8EqualityEEEPlJS6_EEE10hipError_tPvRmT3_T4_T5_T6_T7_T9_mT8_P12ihipStream_tbDpT10_ENKUlT_T0_E_clISt17integral_constantIbLb0EES17_EEDaS12_S13_EUlS12_E_NS1_11comp_targetILNS1_3genE10ELNS1_11target_archE1200ELNS1_3gpuE4ELNS1_3repE0EEENS1_30default_config_static_selectorELNS0_4arch9wavefront6targetE0EEEvT1_,@function
_ZN7rocprim17ROCPRIM_400000_NS6detail17trampoline_kernelINS0_14default_configENS1_25partition_config_selectorILNS1_17partition_subalgoE8EjNS0_10empty_typeEbEEZZNS1_14partition_implILS5_8ELb0ES3_jPKjPS6_PKS6_NS0_5tupleIJPjS6_EEENSE_IJSB_SB_EEENS0_18inequality_wrapperIN6hipcub16HIPCUB_304000_NS8EqualityEEEPlJS6_EEE10hipError_tPvRmT3_T4_T5_T6_T7_T9_mT8_P12ihipStream_tbDpT10_ENKUlT_T0_E_clISt17integral_constantIbLb0EES17_EEDaS12_S13_EUlS12_E_NS1_11comp_targetILNS1_3genE10ELNS1_11target_archE1200ELNS1_3gpuE4ELNS1_3repE0EEENS1_30default_config_static_selectorELNS0_4arch9wavefront6targetE0EEEvT1_: ; @_ZN7rocprim17ROCPRIM_400000_NS6detail17trampoline_kernelINS0_14default_configENS1_25partition_config_selectorILNS1_17partition_subalgoE8EjNS0_10empty_typeEbEEZZNS1_14partition_implILS5_8ELb0ES3_jPKjPS6_PKS6_NS0_5tupleIJPjS6_EEENSE_IJSB_SB_EEENS0_18inequality_wrapperIN6hipcub16HIPCUB_304000_NS8EqualityEEEPlJS6_EEE10hipError_tPvRmT3_T4_T5_T6_T7_T9_mT8_P12ihipStream_tbDpT10_ENKUlT_T0_E_clISt17integral_constantIbLb0EES17_EEDaS12_S13_EUlS12_E_NS1_11comp_targetILNS1_3genE10ELNS1_11target_archE1200ELNS1_3gpuE4ELNS1_3repE0EEENS1_30default_config_static_selectorELNS0_4arch9wavefront6targetE0EEEvT1_
; %bb.0:
	.section	.rodata,"a",@progbits
	.p2align	6, 0x0
	.amdhsa_kernel _ZN7rocprim17ROCPRIM_400000_NS6detail17trampoline_kernelINS0_14default_configENS1_25partition_config_selectorILNS1_17partition_subalgoE8EjNS0_10empty_typeEbEEZZNS1_14partition_implILS5_8ELb0ES3_jPKjPS6_PKS6_NS0_5tupleIJPjS6_EEENSE_IJSB_SB_EEENS0_18inequality_wrapperIN6hipcub16HIPCUB_304000_NS8EqualityEEEPlJS6_EEE10hipError_tPvRmT3_T4_T5_T6_T7_T9_mT8_P12ihipStream_tbDpT10_ENKUlT_T0_E_clISt17integral_constantIbLb0EES17_EEDaS12_S13_EUlS12_E_NS1_11comp_targetILNS1_3genE10ELNS1_11target_archE1200ELNS1_3gpuE4ELNS1_3repE0EEENS1_30default_config_static_selectorELNS0_4arch9wavefront6targetE0EEEvT1_
		.amdhsa_group_segment_fixed_size 0
		.amdhsa_private_segment_fixed_size 0
		.amdhsa_kernarg_size 112
		.amdhsa_user_sgpr_count 2
		.amdhsa_user_sgpr_dispatch_ptr 0
		.amdhsa_user_sgpr_queue_ptr 0
		.amdhsa_user_sgpr_kernarg_segment_ptr 1
		.amdhsa_user_sgpr_dispatch_id 0
		.amdhsa_user_sgpr_kernarg_preload_length 0
		.amdhsa_user_sgpr_kernarg_preload_offset 0
		.amdhsa_user_sgpr_private_segment_size 0
		.amdhsa_wavefront_size32 1
		.amdhsa_uses_dynamic_stack 0
		.amdhsa_enable_private_segment 0
		.amdhsa_system_sgpr_workgroup_id_x 1
		.amdhsa_system_sgpr_workgroup_id_y 0
		.amdhsa_system_sgpr_workgroup_id_z 0
		.amdhsa_system_sgpr_workgroup_info 0
		.amdhsa_system_vgpr_workitem_id 0
		.amdhsa_next_free_vgpr 1
		.amdhsa_next_free_sgpr 1
		.amdhsa_named_barrier_count 0
		.amdhsa_reserve_vcc 0
		.amdhsa_float_round_mode_32 0
		.amdhsa_float_round_mode_16_64 0
		.amdhsa_float_denorm_mode_32 3
		.amdhsa_float_denorm_mode_16_64 3
		.amdhsa_fp16_overflow 0
		.amdhsa_memory_ordered 1
		.amdhsa_forward_progress 1
		.amdhsa_inst_pref_size 0
		.amdhsa_round_robin_scheduling 0
		.amdhsa_exception_fp_ieee_invalid_op 0
		.amdhsa_exception_fp_denorm_src 0
		.amdhsa_exception_fp_ieee_div_zero 0
		.amdhsa_exception_fp_ieee_overflow 0
		.amdhsa_exception_fp_ieee_underflow 0
		.amdhsa_exception_fp_ieee_inexact 0
		.amdhsa_exception_int_div_zero 0
	.end_amdhsa_kernel
	.section	.text._ZN7rocprim17ROCPRIM_400000_NS6detail17trampoline_kernelINS0_14default_configENS1_25partition_config_selectorILNS1_17partition_subalgoE8EjNS0_10empty_typeEbEEZZNS1_14partition_implILS5_8ELb0ES3_jPKjPS6_PKS6_NS0_5tupleIJPjS6_EEENSE_IJSB_SB_EEENS0_18inequality_wrapperIN6hipcub16HIPCUB_304000_NS8EqualityEEEPlJS6_EEE10hipError_tPvRmT3_T4_T5_T6_T7_T9_mT8_P12ihipStream_tbDpT10_ENKUlT_T0_E_clISt17integral_constantIbLb0EES17_EEDaS12_S13_EUlS12_E_NS1_11comp_targetILNS1_3genE10ELNS1_11target_archE1200ELNS1_3gpuE4ELNS1_3repE0EEENS1_30default_config_static_selectorELNS0_4arch9wavefront6targetE0EEEvT1_,"axG",@progbits,_ZN7rocprim17ROCPRIM_400000_NS6detail17trampoline_kernelINS0_14default_configENS1_25partition_config_selectorILNS1_17partition_subalgoE8EjNS0_10empty_typeEbEEZZNS1_14partition_implILS5_8ELb0ES3_jPKjPS6_PKS6_NS0_5tupleIJPjS6_EEENSE_IJSB_SB_EEENS0_18inequality_wrapperIN6hipcub16HIPCUB_304000_NS8EqualityEEEPlJS6_EEE10hipError_tPvRmT3_T4_T5_T6_T7_T9_mT8_P12ihipStream_tbDpT10_ENKUlT_T0_E_clISt17integral_constantIbLb0EES17_EEDaS12_S13_EUlS12_E_NS1_11comp_targetILNS1_3genE10ELNS1_11target_archE1200ELNS1_3gpuE4ELNS1_3repE0EEENS1_30default_config_static_selectorELNS0_4arch9wavefront6targetE0EEEvT1_,comdat
.Lfunc_end622:
	.size	_ZN7rocprim17ROCPRIM_400000_NS6detail17trampoline_kernelINS0_14default_configENS1_25partition_config_selectorILNS1_17partition_subalgoE8EjNS0_10empty_typeEbEEZZNS1_14partition_implILS5_8ELb0ES3_jPKjPS6_PKS6_NS0_5tupleIJPjS6_EEENSE_IJSB_SB_EEENS0_18inequality_wrapperIN6hipcub16HIPCUB_304000_NS8EqualityEEEPlJS6_EEE10hipError_tPvRmT3_T4_T5_T6_T7_T9_mT8_P12ihipStream_tbDpT10_ENKUlT_T0_E_clISt17integral_constantIbLb0EES17_EEDaS12_S13_EUlS12_E_NS1_11comp_targetILNS1_3genE10ELNS1_11target_archE1200ELNS1_3gpuE4ELNS1_3repE0EEENS1_30default_config_static_selectorELNS0_4arch9wavefront6targetE0EEEvT1_, .Lfunc_end622-_ZN7rocprim17ROCPRIM_400000_NS6detail17trampoline_kernelINS0_14default_configENS1_25partition_config_selectorILNS1_17partition_subalgoE8EjNS0_10empty_typeEbEEZZNS1_14partition_implILS5_8ELb0ES3_jPKjPS6_PKS6_NS0_5tupleIJPjS6_EEENSE_IJSB_SB_EEENS0_18inequality_wrapperIN6hipcub16HIPCUB_304000_NS8EqualityEEEPlJS6_EEE10hipError_tPvRmT3_T4_T5_T6_T7_T9_mT8_P12ihipStream_tbDpT10_ENKUlT_T0_E_clISt17integral_constantIbLb0EES17_EEDaS12_S13_EUlS12_E_NS1_11comp_targetILNS1_3genE10ELNS1_11target_archE1200ELNS1_3gpuE4ELNS1_3repE0EEENS1_30default_config_static_selectorELNS0_4arch9wavefront6targetE0EEEvT1_
                                        ; -- End function
	.set _ZN7rocprim17ROCPRIM_400000_NS6detail17trampoline_kernelINS0_14default_configENS1_25partition_config_selectorILNS1_17partition_subalgoE8EjNS0_10empty_typeEbEEZZNS1_14partition_implILS5_8ELb0ES3_jPKjPS6_PKS6_NS0_5tupleIJPjS6_EEENSE_IJSB_SB_EEENS0_18inequality_wrapperIN6hipcub16HIPCUB_304000_NS8EqualityEEEPlJS6_EEE10hipError_tPvRmT3_T4_T5_T6_T7_T9_mT8_P12ihipStream_tbDpT10_ENKUlT_T0_E_clISt17integral_constantIbLb0EES17_EEDaS12_S13_EUlS12_E_NS1_11comp_targetILNS1_3genE10ELNS1_11target_archE1200ELNS1_3gpuE4ELNS1_3repE0EEENS1_30default_config_static_selectorELNS0_4arch9wavefront6targetE0EEEvT1_.num_vgpr, 0
	.set _ZN7rocprim17ROCPRIM_400000_NS6detail17trampoline_kernelINS0_14default_configENS1_25partition_config_selectorILNS1_17partition_subalgoE8EjNS0_10empty_typeEbEEZZNS1_14partition_implILS5_8ELb0ES3_jPKjPS6_PKS6_NS0_5tupleIJPjS6_EEENSE_IJSB_SB_EEENS0_18inequality_wrapperIN6hipcub16HIPCUB_304000_NS8EqualityEEEPlJS6_EEE10hipError_tPvRmT3_T4_T5_T6_T7_T9_mT8_P12ihipStream_tbDpT10_ENKUlT_T0_E_clISt17integral_constantIbLb0EES17_EEDaS12_S13_EUlS12_E_NS1_11comp_targetILNS1_3genE10ELNS1_11target_archE1200ELNS1_3gpuE4ELNS1_3repE0EEENS1_30default_config_static_selectorELNS0_4arch9wavefront6targetE0EEEvT1_.num_agpr, 0
	.set _ZN7rocprim17ROCPRIM_400000_NS6detail17trampoline_kernelINS0_14default_configENS1_25partition_config_selectorILNS1_17partition_subalgoE8EjNS0_10empty_typeEbEEZZNS1_14partition_implILS5_8ELb0ES3_jPKjPS6_PKS6_NS0_5tupleIJPjS6_EEENSE_IJSB_SB_EEENS0_18inequality_wrapperIN6hipcub16HIPCUB_304000_NS8EqualityEEEPlJS6_EEE10hipError_tPvRmT3_T4_T5_T6_T7_T9_mT8_P12ihipStream_tbDpT10_ENKUlT_T0_E_clISt17integral_constantIbLb0EES17_EEDaS12_S13_EUlS12_E_NS1_11comp_targetILNS1_3genE10ELNS1_11target_archE1200ELNS1_3gpuE4ELNS1_3repE0EEENS1_30default_config_static_selectorELNS0_4arch9wavefront6targetE0EEEvT1_.numbered_sgpr, 0
	.set _ZN7rocprim17ROCPRIM_400000_NS6detail17trampoline_kernelINS0_14default_configENS1_25partition_config_selectorILNS1_17partition_subalgoE8EjNS0_10empty_typeEbEEZZNS1_14partition_implILS5_8ELb0ES3_jPKjPS6_PKS6_NS0_5tupleIJPjS6_EEENSE_IJSB_SB_EEENS0_18inequality_wrapperIN6hipcub16HIPCUB_304000_NS8EqualityEEEPlJS6_EEE10hipError_tPvRmT3_T4_T5_T6_T7_T9_mT8_P12ihipStream_tbDpT10_ENKUlT_T0_E_clISt17integral_constantIbLb0EES17_EEDaS12_S13_EUlS12_E_NS1_11comp_targetILNS1_3genE10ELNS1_11target_archE1200ELNS1_3gpuE4ELNS1_3repE0EEENS1_30default_config_static_selectorELNS0_4arch9wavefront6targetE0EEEvT1_.num_named_barrier, 0
	.set _ZN7rocprim17ROCPRIM_400000_NS6detail17trampoline_kernelINS0_14default_configENS1_25partition_config_selectorILNS1_17partition_subalgoE8EjNS0_10empty_typeEbEEZZNS1_14partition_implILS5_8ELb0ES3_jPKjPS6_PKS6_NS0_5tupleIJPjS6_EEENSE_IJSB_SB_EEENS0_18inequality_wrapperIN6hipcub16HIPCUB_304000_NS8EqualityEEEPlJS6_EEE10hipError_tPvRmT3_T4_T5_T6_T7_T9_mT8_P12ihipStream_tbDpT10_ENKUlT_T0_E_clISt17integral_constantIbLb0EES17_EEDaS12_S13_EUlS12_E_NS1_11comp_targetILNS1_3genE10ELNS1_11target_archE1200ELNS1_3gpuE4ELNS1_3repE0EEENS1_30default_config_static_selectorELNS0_4arch9wavefront6targetE0EEEvT1_.private_seg_size, 0
	.set _ZN7rocprim17ROCPRIM_400000_NS6detail17trampoline_kernelINS0_14default_configENS1_25partition_config_selectorILNS1_17partition_subalgoE8EjNS0_10empty_typeEbEEZZNS1_14partition_implILS5_8ELb0ES3_jPKjPS6_PKS6_NS0_5tupleIJPjS6_EEENSE_IJSB_SB_EEENS0_18inequality_wrapperIN6hipcub16HIPCUB_304000_NS8EqualityEEEPlJS6_EEE10hipError_tPvRmT3_T4_T5_T6_T7_T9_mT8_P12ihipStream_tbDpT10_ENKUlT_T0_E_clISt17integral_constantIbLb0EES17_EEDaS12_S13_EUlS12_E_NS1_11comp_targetILNS1_3genE10ELNS1_11target_archE1200ELNS1_3gpuE4ELNS1_3repE0EEENS1_30default_config_static_selectorELNS0_4arch9wavefront6targetE0EEEvT1_.uses_vcc, 0
	.set _ZN7rocprim17ROCPRIM_400000_NS6detail17trampoline_kernelINS0_14default_configENS1_25partition_config_selectorILNS1_17partition_subalgoE8EjNS0_10empty_typeEbEEZZNS1_14partition_implILS5_8ELb0ES3_jPKjPS6_PKS6_NS0_5tupleIJPjS6_EEENSE_IJSB_SB_EEENS0_18inequality_wrapperIN6hipcub16HIPCUB_304000_NS8EqualityEEEPlJS6_EEE10hipError_tPvRmT3_T4_T5_T6_T7_T9_mT8_P12ihipStream_tbDpT10_ENKUlT_T0_E_clISt17integral_constantIbLb0EES17_EEDaS12_S13_EUlS12_E_NS1_11comp_targetILNS1_3genE10ELNS1_11target_archE1200ELNS1_3gpuE4ELNS1_3repE0EEENS1_30default_config_static_selectorELNS0_4arch9wavefront6targetE0EEEvT1_.uses_flat_scratch, 0
	.set _ZN7rocprim17ROCPRIM_400000_NS6detail17trampoline_kernelINS0_14default_configENS1_25partition_config_selectorILNS1_17partition_subalgoE8EjNS0_10empty_typeEbEEZZNS1_14partition_implILS5_8ELb0ES3_jPKjPS6_PKS6_NS0_5tupleIJPjS6_EEENSE_IJSB_SB_EEENS0_18inequality_wrapperIN6hipcub16HIPCUB_304000_NS8EqualityEEEPlJS6_EEE10hipError_tPvRmT3_T4_T5_T6_T7_T9_mT8_P12ihipStream_tbDpT10_ENKUlT_T0_E_clISt17integral_constantIbLb0EES17_EEDaS12_S13_EUlS12_E_NS1_11comp_targetILNS1_3genE10ELNS1_11target_archE1200ELNS1_3gpuE4ELNS1_3repE0EEENS1_30default_config_static_selectorELNS0_4arch9wavefront6targetE0EEEvT1_.has_dyn_sized_stack, 0
	.set _ZN7rocprim17ROCPRIM_400000_NS6detail17trampoline_kernelINS0_14default_configENS1_25partition_config_selectorILNS1_17partition_subalgoE8EjNS0_10empty_typeEbEEZZNS1_14partition_implILS5_8ELb0ES3_jPKjPS6_PKS6_NS0_5tupleIJPjS6_EEENSE_IJSB_SB_EEENS0_18inequality_wrapperIN6hipcub16HIPCUB_304000_NS8EqualityEEEPlJS6_EEE10hipError_tPvRmT3_T4_T5_T6_T7_T9_mT8_P12ihipStream_tbDpT10_ENKUlT_T0_E_clISt17integral_constantIbLb0EES17_EEDaS12_S13_EUlS12_E_NS1_11comp_targetILNS1_3genE10ELNS1_11target_archE1200ELNS1_3gpuE4ELNS1_3repE0EEENS1_30default_config_static_selectorELNS0_4arch9wavefront6targetE0EEEvT1_.has_recursion, 0
	.set _ZN7rocprim17ROCPRIM_400000_NS6detail17trampoline_kernelINS0_14default_configENS1_25partition_config_selectorILNS1_17partition_subalgoE8EjNS0_10empty_typeEbEEZZNS1_14partition_implILS5_8ELb0ES3_jPKjPS6_PKS6_NS0_5tupleIJPjS6_EEENSE_IJSB_SB_EEENS0_18inequality_wrapperIN6hipcub16HIPCUB_304000_NS8EqualityEEEPlJS6_EEE10hipError_tPvRmT3_T4_T5_T6_T7_T9_mT8_P12ihipStream_tbDpT10_ENKUlT_T0_E_clISt17integral_constantIbLb0EES17_EEDaS12_S13_EUlS12_E_NS1_11comp_targetILNS1_3genE10ELNS1_11target_archE1200ELNS1_3gpuE4ELNS1_3repE0EEENS1_30default_config_static_selectorELNS0_4arch9wavefront6targetE0EEEvT1_.has_indirect_call, 0
	.section	.AMDGPU.csdata,"",@progbits
; Kernel info:
; codeLenInByte = 0
; TotalNumSgprs: 0
; NumVgprs: 0
; ScratchSize: 0
; MemoryBound: 0
; FloatMode: 240
; IeeeMode: 1
; LDSByteSize: 0 bytes/workgroup (compile time only)
; SGPRBlocks: 0
; VGPRBlocks: 0
; NumSGPRsForWavesPerEU: 1
; NumVGPRsForWavesPerEU: 1
; NamedBarCnt: 0
; Occupancy: 16
; WaveLimiterHint : 0
; COMPUTE_PGM_RSRC2:SCRATCH_EN: 0
; COMPUTE_PGM_RSRC2:USER_SGPR: 2
; COMPUTE_PGM_RSRC2:TRAP_HANDLER: 0
; COMPUTE_PGM_RSRC2:TGID_X_EN: 1
; COMPUTE_PGM_RSRC2:TGID_Y_EN: 0
; COMPUTE_PGM_RSRC2:TGID_Z_EN: 0
; COMPUTE_PGM_RSRC2:TIDIG_COMP_CNT: 0
	.section	.text._ZN7rocprim17ROCPRIM_400000_NS6detail17trampoline_kernelINS0_14default_configENS1_25partition_config_selectorILNS1_17partition_subalgoE8EjNS0_10empty_typeEbEEZZNS1_14partition_implILS5_8ELb0ES3_jPKjPS6_PKS6_NS0_5tupleIJPjS6_EEENSE_IJSB_SB_EEENS0_18inequality_wrapperIN6hipcub16HIPCUB_304000_NS8EqualityEEEPlJS6_EEE10hipError_tPvRmT3_T4_T5_T6_T7_T9_mT8_P12ihipStream_tbDpT10_ENKUlT_T0_E_clISt17integral_constantIbLb0EES17_EEDaS12_S13_EUlS12_E_NS1_11comp_targetILNS1_3genE9ELNS1_11target_archE1100ELNS1_3gpuE3ELNS1_3repE0EEENS1_30default_config_static_selectorELNS0_4arch9wavefront6targetE0EEEvT1_,"axG",@progbits,_ZN7rocprim17ROCPRIM_400000_NS6detail17trampoline_kernelINS0_14default_configENS1_25partition_config_selectorILNS1_17partition_subalgoE8EjNS0_10empty_typeEbEEZZNS1_14partition_implILS5_8ELb0ES3_jPKjPS6_PKS6_NS0_5tupleIJPjS6_EEENSE_IJSB_SB_EEENS0_18inequality_wrapperIN6hipcub16HIPCUB_304000_NS8EqualityEEEPlJS6_EEE10hipError_tPvRmT3_T4_T5_T6_T7_T9_mT8_P12ihipStream_tbDpT10_ENKUlT_T0_E_clISt17integral_constantIbLb0EES17_EEDaS12_S13_EUlS12_E_NS1_11comp_targetILNS1_3genE9ELNS1_11target_archE1100ELNS1_3gpuE3ELNS1_3repE0EEENS1_30default_config_static_selectorELNS0_4arch9wavefront6targetE0EEEvT1_,comdat
	.protected	_ZN7rocprim17ROCPRIM_400000_NS6detail17trampoline_kernelINS0_14default_configENS1_25partition_config_selectorILNS1_17partition_subalgoE8EjNS0_10empty_typeEbEEZZNS1_14partition_implILS5_8ELb0ES3_jPKjPS6_PKS6_NS0_5tupleIJPjS6_EEENSE_IJSB_SB_EEENS0_18inequality_wrapperIN6hipcub16HIPCUB_304000_NS8EqualityEEEPlJS6_EEE10hipError_tPvRmT3_T4_T5_T6_T7_T9_mT8_P12ihipStream_tbDpT10_ENKUlT_T0_E_clISt17integral_constantIbLb0EES17_EEDaS12_S13_EUlS12_E_NS1_11comp_targetILNS1_3genE9ELNS1_11target_archE1100ELNS1_3gpuE3ELNS1_3repE0EEENS1_30default_config_static_selectorELNS0_4arch9wavefront6targetE0EEEvT1_ ; -- Begin function _ZN7rocprim17ROCPRIM_400000_NS6detail17trampoline_kernelINS0_14default_configENS1_25partition_config_selectorILNS1_17partition_subalgoE8EjNS0_10empty_typeEbEEZZNS1_14partition_implILS5_8ELb0ES3_jPKjPS6_PKS6_NS0_5tupleIJPjS6_EEENSE_IJSB_SB_EEENS0_18inequality_wrapperIN6hipcub16HIPCUB_304000_NS8EqualityEEEPlJS6_EEE10hipError_tPvRmT3_T4_T5_T6_T7_T9_mT8_P12ihipStream_tbDpT10_ENKUlT_T0_E_clISt17integral_constantIbLb0EES17_EEDaS12_S13_EUlS12_E_NS1_11comp_targetILNS1_3genE9ELNS1_11target_archE1100ELNS1_3gpuE3ELNS1_3repE0EEENS1_30default_config_static_selectorELNS0_4arch9wavefront6targetE0EEEvT1_
	.globl	_ZN7rocprim17ROCPRIM_400000_NS6detail17trampoline_kernelINS0_14default_configENS1_25partition_config_selectorILNS1_17partition_subalgoE8EjNS0_10empty_typeEbEEZZNS1_14partition_implILS5_8ELb0ES3_jPKjPS6_PKS6_NS0_5tupleIJPjS6_EEENSE_IJSB_SB_EEENS0_18inequality_wrapperIN6hipcub16HIPCUB_304000_NS8EqualityEEEPlJS6_EEE10hipError_tPvRmT3_T4_T5_T6_T7_T9_mT8_P12ihipStream_tbDpT10_ENKUlT_T0_E_clISt17integral_constantIbLb0EES17_EEDaS12_S13_EUlS12_E_NS1_11comp_targetILNS1_3genE9ELNS1_11target_archE1100ELNS1_3gpuE3ELNS1_3repE0EEENS1_30default_config_static_selectorELNS0_4arch9wavefront6targetE0EEEvT1_
	.p2align	8
	.type	_ZN7rocprim17ROCPRIM_400000_NS6detail17trampoline_kernelINS0_14default_configENS1_25partition_config_selectorILNS1_17partition_subalgoE8EjNS0_10empty_typeEbEEZZNS1_14partition_implILS5_8ELb0ES3_jPKjPS6_PKS6_NS0_5tupleIJPjS6_EEENSE_IJSB_SB_EEENS0_18inequality_wrapperIN6hipcub16HIPCUB_304000_NS8EqualityEEEPlJS6_EEE10hipError_tPvRmT3_T4_T5_T6_T7_T9_mT8_P12ihipStream_tbDpT10_ENKUlT_T0_E_clISt17integral_constantIbLb0EES17_EEDaS12_S13_EUlS12_E_NS1_11comp_targetILNS1_3genE9ELNS1_11target_archE1100ELNS1_3gpuE3ELNS1_3repE0EEENS1_30default_config_static_selectorELNS0_4arch9wavefront6targetE0EEEvT1_,@function
_ZN7rocprim17ROCPRIM_400000_NS6detail17trampoline_kernelINS0_14default_configENS1_25partition_config_selectorILNS1_17partition_subalgoE8EjNS0_10empty_typeEbEEZZNS1_14partition_implILS5_8ELb0ES3_jPKjPS6_PKS6_NS0_5tupleIJPjS6_EEENSE_IJSB_SB_EEENS0_18inequality_wrapperIN6hipcub16HIPCUB_304000_NS8EqualityEEEPlJS6_EEE10hipError_tPvRmT3_T4_T5_T6_T7_T9_mT8_P12ihipStream_tbDpT10_ENKUlT_T0_E_clISt17integral_constantIbLb0EES17_EEDaS12_S13_EUlS12_E_NS1_11comp_targetILNS1_3genE9ELNS1_11target_archE1100ELNS1_3gpuE3ELNS1_3repE0EEENS1_30default_config_static_selectorELNS0_4arch9wavefront6targetE0EEEvT1_: ; @_ZN7rocprim17ROCPRIM_400000_NS6detail17trampoline_kernelINS0_14default_configENS1_25partition_config_selectorILNS1_17partition_subalgoE8EjNS0_10empty_typeEbEEZZNS1_14partition_implILS5_8ELb0ES3_jPKjPS6_PKS6_NS0_5tupleIJPjS6_EEENSE_IJSB_SB_EEENS0_18inequality_wrapperIN6hipcub16HIPCUB_304000_NS8EqualityEEEPlJS6_EEE10hipError_tPvRmT3_T4_T5_T6_T7_T9_mT8_P12ihipStream_tbDpT10_ENKUlT_T0_E_clISt17integral_constantIbLb0EES17_EEDaS12_S13_EUlS12_E_NS1_11comp_targetILNS1_3genE9ELNS1_11target_archE1100ELNS1_3gpuE3ELNS1_3repE0EEENS1_30default_config_static_selectorELNS0_4arch9wavefront6targetE0EEEvT1_
; %bb.0:
	.section	.rodata,"a",@progbits
	.p2align	6, 0x0
	.amdhsa_kernel _ZN7rocprim17ROCPRIM_400000_NS6detail17trampoline_kernelINS0_14default_configENS1_25partition_config_selectorILNS1_17partition_subalgoE8EjNS0_10empty_typeEbEEZZNS1_14partition_implILS5_8ELb0ES3_jPKjPS6_PKS6_NS0_5tupleIJPjS6_EEENSE_IJSB_SB_EEENS0_18inequality_wrapperIN6hipcub16HIPCUB_304000_NS8EqualityEEEPlJS6_EEE10hipError_tPvRmT3_T4_T5_T6_T7_T9_mT8_P12ihipStream_tbDpT10_ENKUlT_T0_E_clISt17integral_constantIbLb0EES17_EEDaS12_S13_EUlS12_E_NS1_11comp_targetILNS1_3genE9ELNS1_11target_archE1100ELNS1_3gpuE3ELNS1_3repE0EEENS1_30default_config_static_selectorELNS0_4arch9wavefront6targetE0EEEvT1_
		.amdhsa_group_segment_fixed_size 0
		.amdhsa_private_segment_fixed_size 0
		.amdhsa_kernarg_size 112
		.amdhsa_user_sgpr_count 2
		.amdhsa_user_sgpr_dispatch_ptr 0
		.amdhsa_user_sgpr_queue_ptr 0
		.amdhsa_user_sgpr_kernarg_segment_ptr 1
		.amdhsa_user_sgpr_dispatch_id 0
		.amdhsa_user_sgpr_kernarg_preload_length 0
		.amdhsa_user_sgpr_kernarg_preload_offset 0
		.amdhsa_user_sgpr_private_segment_size 0
		.amdhsa_wavefront_size32 1
		.amdhsa_uses_dynamic_stack 0
		.amdhsa_enable_private_segment 0
		.amdhsa_system_sgpr_workgroup_id_x 1
		.amdhsa_system_sgpr_workgroup_id_y 0
		.amdhsa_system_sgpr_workgroup_id_z 0
		.amdhsa_system_sgpr_workgroup_info 0
		.amdhsa_system_vgpr_workitem_id 0
		.amdhsa_next_free_vgpr 1
		.amdhsa_next_free_sgpr 1
		.amdhsa_named_barrier_count 0
		.amdhsa_reserve_vcc 0
		.amdhsa_float_round_mode_32 0
		.amdhsa_float_round_mode_16_64 0
		.amdhsa_float_denorm_mode_32 3
		.amdhsa_float_denorm_mode_16_64 3
		.amdhsa_fp16_overflow 0
		.amdhsa_memory_ordered 1
		.amdhsa_forward_progress 1
		.amdhsa_inst_pref_size 0
		.amdhsa_round_robin_scheduling 0
		.amdhsa_exception_fp_ieee_invalid_op 0
		.amdhsa_exception_fp_denorm_src 0
		.amdhsa_exception_fp_ieee_div_zero 0
		.amdhsa_exception_fp_ieee_overflow 0
		.amdhsa_exception_fp_ieee_underflow 0
		.amdhsa_exception_fp_ieee_inexact 0
		.amdhsa_exception_int_div_zero 0
	.end_amdhsa_kernel
	.section	.text._ZN7rocprim17ROCPRIM_400000_NS6detail17trampoline_kernelINS0_14default_configENS1_25partition_config_selectorILNS1_17partition_subalgoE8EjNS0_10empty_typeEbEEZZNS1_14partition_implILS5_8ELb0ES3_jPKjPS6_PKS6_NS0_5tupleIJPjS6_EEENSE_IJSB_SB_EEENS0_18inequality_wrapperIN6hipcub16HIPCUB_304000_NS8EqualityEEEPlJS6_EEE10hipError_tPvRmT3_T4_T5_T6_T7_T9_mT8_P12ihipStream_tbDpT10_ENKUlT_T0_E_clISt17integral_constantIbLb0EES17_EEDaS12_S13_EUlS12_E_NS1_11comp_targetILNS1_3genE9ELNS1_11target_archE1100ELNS1_3gpuE3ELNS1_3repE0EEENS1_30default_config_static_selectorELNS0_4arch9wavefront6targetE0EEEvT1_,"axG",@progbits,_ZN7rocprim17ROCPRIM_400000_NS6detail17trampoline_kernelINS0_14default_configENS1_25partition_config_selectorILNS1_17partition_subalgoE8EjNS0_10empty_typeEbEEZZNS1_14partition_implILS5_8ELb0ES3_jPKjPS6_PKS6_NS0_5tupleIJPjS6_EEENSE_IJSB_SB_EEENS0_18inequality_wrapperIN6hipcub16HIPCUB_304000_NS8EqualityEEEPlJS6_EEE10hipError_tPvRmT3_T4_T5_T6_T7_T9_mT8_P12ihipStream_tbDpT10_ENKUlT_T0_E_clISt17integral_constantIbLb0EES17_EEDaS12_S13_EUlS12_E_NS1_11comp_targetILNS1_3genE9ELNS1_11target_archE1100ELNS1_3gpuE3ELNS1_3repE0EEENS1_30default_config_static_selectorELNS0_4arch9wavefront6targetE0EEEvT1_,comdat
.Lfunc_end623:
	.size	_ZN7rocprim17ROCPRIM_400000_NS6detail17trampoline_kernelINS0_14default_configENS1_25partition_config_selectorILNS1_17partition_subalgoE8EjNS0_10empty_typeEbEEZZNS1_14partition_implILS5_8ELb0ES3_jPKjPS6_PKS6_NS0_5tupleIJPjS6_EEENSE_IJSB_SB_EEENS0_18inequality_wrapperIN6hipcub16HIPCUB_304000_NS8EqualityEEEPlJS6_EEE10hipError_tPvRmT3_T4_T5_T6_T7_T9_mT8_P12ihipStream_tbDpT10_ENKUlT_T0_E_clISt17integral_constantIbLb0EES17_EEDaS12_S13_EUlS12_E_NS1_11comp_targetILNS1_3genE9ELNS1_11target_archE1100ELNS1_3gpuE3ELNS1_3repE0EEENS1_30default_config_static_selectorELNS0_4arch9wavefront6targetE0EEEvT1_, .Lfunc_end623-_ZN7rocprim17ROCPRIM_400000_NS6detail17trampoline_kernelINS0_14default_configENS1_25partition_config_selectorILNS1_17partition_subalgoE8EjNS0_10empty_typeEbEEZZNS1_14partition_implILS5_8ELb0ES3_jPKjPS6_PKS6_NS0_5tupleIJPjS6_EEENSE_IJSB_SB_EEENS0_18inequality_wrapperIN6hipcub16HIPCUB_304000_NS8EqualityEEEPlJS6_EEE10hipError_tPvRmT3_T4_T5_T6_T7_T9_mT8_P12ihipStream_tbDpT10_ENKUlT_T0_E_clISt17integral_constantIbLb0EES17_EEDaS12_S13_EUlS12_E_NS1_11comp_targetILNS1_3genE9ELNS1_11target_archE1100ELNS1_3gpuE3ELNS1_3repE0EEENS1_30default_config_static_selectorELNS0_4arch9wavefront6targetE0EEEvT1_
                                        ; -- End function
	.set _ZN7rocprim17ROCPRIM_400000_NS6detail17trampoline_kernelINS0_14default_configENS1_25partition_config_selectorILNS1_17partition_subalgoE8EjNS0_10empty_typeEbEEZZNS1_14partition_implILS5_8ELb0ES3_jPKjPS6_PKS6_NS0_5tupleIJPjS6_EEENSE_IJSB_SB_EEENS0_18inequality_wrapperIN6hipcub16HIPCUB_304000_NS8EqualityEEEPlJS6_EEE10hipError_tPvRmT3_T4_T5_T6_T7_T9_mT8_P12ihipStream_tbDpT10_ENKUlT_T0_E_clISt17integral_constantIbLb0EES17_EEDaS12_S13_EUlS12_E_NS1_11comp_targetILNS1_3genE9ELNS1_11target_archE1100ELNS1_3gpuE3ELNS1_3repE0EEENS1_30default_config_static_selectorELNS0_4arch9wavefront6targetE0EEEvT1_.num_vgpr, 0
	.set _ZN7rocprim17ROCPRIM_400000_NS6detail17trampoline_kernelINS0_14default_configENS1_25partition_config_selectorILNS1_17partition_subalgoE8EjNS0_10empty_typeEbEEZZNS1_14partition_implILS5_8ELb0ES3_jPKjPS6_PKS6_NS0_5tupleIJPjS6_EEENSE_IJSB_SB_EEENS0_18inequality_wrapperIN6hipcub16HIPCUB_304000_NS8EqualityEEEPlJS6_EEE10hipError_tPvRmT3_T4_T5_T6_T7_T9_mT8_P12ihipStream_tbDpT10_ENKUlT_T0_E_clISt17integral_constantIbLb0EES17_EEDaS12_S13_EUlS12_E_NS1_11comp_targetILNS1_3genE9ELNS1_11target_archE1100ELNS1_3gpuE3ELNS1_3repE0EEENS1_30default_config_static_selectorELNS0_4arch9wavefront6targetE0EEEvT1_.num_agpr, 0
	.set _ZN7rocprim17ROCPRIM_400000_NS6detail17trampoline_kernelINS0_14default_configENS1_25partition_config_selectorILNS1_17partition_subalgoE8EjNS0_10empty_typeEbEEZZNS1_14partition_implILS5_8ELb0ES3_jPKjPS6_PKS6_NS0_5tupleIJPjS6_EEENSE_IJSB_SB_EEENS0_18inequality_wrapperIN6hipcub16HIPCUB_304000_NS8EqualityEEEPlJS6_EEE10hipError_tPvRmT3_T4_T5_T6_T7_T9_mT8_P12ihipStream_tbDpT10_ENKUlT_T0_E_clISt17integral_constantIbLb0EES17_EEDaS12_S13_EUlS12_E_NS1_11comp_targetILNS1_3genE9ELNS1_11target_archE1100ELNS1_3gpuE3ELNS1_3repE0EEENS1_30default_config_static_selectorELNS0_4arch9wavefront6targetE0EEEvT1_.numbered_sgpr, 0
	.set _ZN7rocprim17ROCPRIM_400000_NS6detail17trampoline_kernelINS0_14default_configENS1_25partition_config_selectorILNS1_17partition_subalgoE8EjNS0_10empty_typeEbEEZZNS1_14partition_implILS5_8ELb0ES3_jPKjPS6_PKS6_NS0_5tupleIJPjS6_EEENSE_IJSB_SB_EEENS0_18inequality_wrapperIN6hipcub16HIPCUB_304000_NS8EqualityEEEPlJS6_EEE10hipError_tPvRmT3_T4_T5_T6_T7_T9_mT8_P12ihipStream_tbDpT10_ENKUlT_T0_E_clISt17integral_constantIbLb0EES17_EEDaS12_S13_EUlS12_E_NS1_11comp_targetILNS1_3genE9ELNS1_11target_archE1100ELNS1_3gpuE3ELNS1_3repE0EEENS1_30default_config_static_selectorELNS0_4arch9wavefront6targetE0EEEvT1_.num_named_barrier, 0
	.set _ZN7rocprim17ROCPRIM_400000_NS6detail17trampoline_kernelINS0_14default_configENS1_25partition_config_selectorILNS1_17partition_subalgoE8EjNS0_10empty_typeEbEEZZNS1_14partition_implILS5_8ELb0ES3_jPKjPS6_PKS6_NS0_5tupleIJPjS6_EEENSE_IJSB_SB_EEENS0_18inequality_wrapperIN6hipcub16HIPCUB_304000_NS8EqualityEEEPlJS6_EEE10hipError_tPvRmT3_T4_T5_T6_T7_T9_mT8_P12ihipStream_tbDpT10_ENKUlT_T0_E_clISt17integral_constantIbLb0EES17_EEDaS12_S13_EUlS12_E_NS1_11comp_targetILNS1_3genE9ELNS1_11target_archE1100ELNS1_3gpuE3ELNS1_3repE0EEENS1_30default_config_static_selectorELNS0_4arch9wavefront6targetE0EEEvT1_.private_seg_size, 0
	.set _ZN7rocprim17ROCPRIM_400000_NS6detail17trampoline_kernelINS0_14default_configENS1_25partition_config_selectorILNS1_17partition_subalgoE8EjNS0_10empty_typeEbEEZZNS1_14partition_implILS5_8ELb0ES3_jPKjPS6_PKS6_NS0_5tupleIJPjS6_EEENSE_IJSB_SB_EEENS0_18inequality_wrapperIN6hipcub16HIPCUB_304000_NS8EqualityEEEPlJS6_EEE10hipError_tPvRmT3_T4_T5_T6_T7_T9_mT8_P12ihipStream_tbDpT10_ENKUlT_T0_E_clISt17integral_constantIbLb0EES17_EEDaS12_S13_EUlS12_E_NS1_11comp_targetILNS1_3genE9ELNS1_11target_archE1100ELNS1_3gpuE3ELNS1_3repE0EEENS1_30default_config_static_selectorELNS0_4arch9wavefront6targetE0EEEvT1_.uses_vcc, 0
	.set _ZN7rocprim17ROCPRIM_400000_NS6detail17trampoline_kernelINS0_14default_configENS1_25partition_config_selectorILNS1_17partition_subalgoE8EjNS0_10empty_typeEbEEZZNS1_14partition_implILS5_8ELb0ES3_jPKjPS6_PKS6_NS0_5tupleIJPjS6_EEENSE_IJSB_SB_EEENS0_18inequality_wrapperIN6hipcub16HIPCUB_304000_NS8EqualityEEEPlJS6_EEE10hipError_tPvRmT3_T4_T5_T6_T7_T9_mT8_P12ihipStream_tbDpT10_ENKUlT_T0_E_clISt17integral_constantIbLb0EES17_EEDaS12_S13_EUlS12_E_NS1_11comp_targetILNS1_3genE9ELNS1_11target_archE1100ELNS1_3gpuE3ELNS1_3repE0EEENS1_30default_config_static_selectorELNS0_4arch9wavefront6targetE0EEEvT1_.uses_flat_scratch, 0
	.set _ZN7rocprim17ROCPRIM_400000_NS6detail17trampoline_kernelINS0_14default_configENS1_25partition_config_selectorILNS1_17partition_subalgoE8EjNS0_10empty_typeEbEEZZNS1_14partition_implILS5_8ELb0ES3_jPKjPS6_PKS6_NS0_5tupleIJPjS6_EEENSE_IJSB_SB_EEENS0_18inequality_wrapperIN6hipcub16HIPCUB_304000_NS8EqualityEEEPlJS6_EEE10hipError_tPvRmT3_T4_T5_T6_T7_T9_mT8_P12ihipStream_tbDpT10_ENKUlT_T0_E_clISt17integral_constantIbLb0EES17_EEDaS12_S13_EUlS12_E_NS1_11comp_targetILNS1_3genE9ELNS1_11target_archE1100ELNS1_3gpuE3ELNS1_3repE0EEENS1_30default_config_static_selectorELNS0_4arch9wavefront6targetE0EEEvT1_.has_dyn_sized_stack, 0
	.set _ZN7rocprim17ROCPRIM_400000_NS6detail17trampoline_kernelINS0_14default_configENS1_25partition_config_selectorILNS1_17partition_subalgoE8EjNS0_10empty_typeEbEEZZNS1_14partition_implILS5_8ELb0ES3_jPKjPS6_PKS6_NS0_5tupleIJPjS6_EEENSE_IJSB_SB_EEENS0_18inequality_wrapperIN6hipcub16HIPCUB_304000_NS8EqualityEEEPlJS6_EEE10hipError_tPvRmT3_T4_T5_T6_T7_T9_mT8_P12ihipStream_tbDpT10_ENKUlT_T0_E_clISt17integral_constantIbLb0EES17_EEDaS12_S13_EUlS12_E_NS1_11comp_targetILNS1_3genE9ELNS1_11target_archE1100ELNS1_3gpuE3ELNS1_3repE0EEENS1_30default_config_static_selectorELNS0_4arch9wavefront6targetE0EEEvT1_.has_recursion, 0
	.set _ZN7rocprim17ROCPRIM_400000_NS6detail17trampoline_kernelINS0_14default_configENS1_25partition_config_selectorILNS1_17partition_subalgoE8EjNS0_10empty_typeEbEEZZNS1_14partition_implILS5_8ELb0ES3_jPKjPS6_PKS6_NS0_5tupleIJPjS6_EEENSE_IJSB_SB_EEENS0_18inequality_wrapperIN6hipcub16HIPCUB_304000_NS8EqualityEEEPlJS6_EEE10hipError_tPvRmT3_T4_T5_T6_T7_T9_mT8_P12ihipStream_tbDpT10_ENKUlT_T0_E_clISt17integral_constantIbLb0EES17_EEDaS12_S13_EUlS12_E_NS1_11comp_targetILNS1_3genE9ELNS1_11target_archE1100ELNS1_3gpuE3ELNS1_3repE0EEENS1_30default_config_static_selectorELNS0_4arch9wavefront6targetE0EEEvT1_.has_indirect_call, 0
	.section	.AMDGPU.csdata,"",@progbits
; Kernel info:
; codeLenInByte = 0
; TotalNumSgprs: 0
; NumVgprs: 0
; ScratchSize: 0
; MemoryBound: 0
; FloatMode: 240
; IeeeMode: 1
; LDSByteSize: 0 bytes/workgroup (compile time only)
; SGPRBlocks: 0
; VGPRBlocks: 0
; NumSGPRsForWavesPerEU: 1
; NumVGPRsForWavesPerEU: 1
; NamedBarCnt: 0
; Occupancy: 16
; WaveLimiterHint : 0
; COMPUTE_PGM_RSRC2:SCRATCH_EN: 0
; COMPUTE_PGM_RSRC2:USER_SGPR: 2
; COMPUTE_PGM_RSRC2:TRAP_HANDLER: 0
; COMPUTE_PGM_RSRC2:TGID_X_EN: 1
; COMPUTE_PGM_RSRC2:TGID_Y_EN: 0
; COMPUTE_PGM_RSRC2:TGID_Z_EN: 0
; COMPUTE_PGM_RSRC2:TIDIG_COMP_CNT: 0
	.section	.text._ZN7rocprim17ROCPRIM_400000_NS6detail17trampoline_kernelINS0_14default_configENS1_25partition_config_selectorILNS1_17partition_subalgoE8EjNS0_10empty_typeEbEEZZNS1_14partition_implILS5_8ELb0ES3_jPKjPS6_PKS6_NS0_5tupleIJPjS6_EEENSE_IJSB_SB_EEENS0_18inequality_wrapperIN6hipcub16HIPCUB_304000_NS8EqualityEEEPlJS6_EEE10hipError_tPvRmT3_T4_T5_T6_T7_T9_mT8_P12ihipStream_tbDpT10_ENKUlT_T0_E_clISt17integral_constantIbLb0EES17_EEDaS12_S13_EUlS12_E_NS1_11comp_targetILNS1_3genE8ELNS1_11target_archE1030ELNS1_3gpuE2ELNS1_3repE0EEENS1_30default_config_static_selectorELNS0_4arch9wavefront6targetE0EEEvT1_,"axG",@progbits,_ZN7rocprim17ROCPRIM_400000_NS6detail17trampoline_kernelINS0_14default_configENS1_25partition_config_selectorILNS1_17partition_subalgoE8EjNS0_10empty_typeEbEEZZNS1_14partition_implILS5_8ELb0ES3_jPKjPS6_PKS6_NS0_5tupleIJPjS6_EEENSE_IJSB_SB_EEENS0_18inequality_wrapperIN6hipcub16HIPCUB_304000_NS8EqualityEEEPlJS6_EEE10hipError_tPvRmT3_T4_T5_T6_T7_T9_mT8_P12ihipStream_tbDpT10_ENKUlT_T0_E_clISt17integral_constantIbLb0EES17_EEDaS12_S13_EUlS12_E_NS1_11comp_targetILNS1_3genE8ELNS1_11target_archE1030ELNS1_3gpuE2ELNS1_3repE0EEENS1_30default_config_static_selectorELNS0_4arch9wavefront6targetE0EEEvT1_,comdat
	.protected	_ZN7rocprim17ROCPRIM_400000_NS6detail17trampoline_kernelINS0_14default_configENS1_25partition_config_selectorILNS1_17partition_subalgoE8EjNS0_10empty_typeEbEEZZNS1_14partition_implILS5_8ELb0ES3_jPKjPS6_PKS6_NS0_5tupleIJPjS6_EEENSE_IJSB_SB_EEENS0_18inequality_wrapperIN6hipcub16HIPCUB_304000_NS8EqualityEEEPlJS6_EEE10hipError_tPvRmT3_T4_T5_T6_T7_T9_mT8_P12ihipStream_tbDpT10_ENKUlT_T0_E_clISt17integral_constantIbLb0EES17_EEDaS12_S13_EUlS12_E_NS1_11comp_targetILNS1_3genE8ELNS1_11target_archE1030ELNS1_3gpuE2ELNS1_3repE0EEENS1_30default_config_static_selectorELNS0_4arch9wavefront6targetE0EEEvT1_ ; -- Begin function _ZN7rocprim17ROCPRIM_400000_NS6detail17trampoline_kernelINS0_14default_configENS1_25partition_config_selectorILNS1_17partition_subalgoE8EjNS0_10empty_typeEbEEZZNS1_14partition_implILS5_8ELb0ES3_jPKjPS6_PKS6_NS0_5tupleIJPjS6_EEENSE_IJSB_SB_EEENS0_18inequality_wrapperIN6hipcub16HIPCUB_304000_NS8EqualityEEEPlJS6_EEE10hipError_tPvRmT3_T4_T5_T6_T7_T9_mT8_P12ihipStream_tbDpT10_ENKUlT_T0_E_clISt17integral_constantIbLb0EES17_EEDaS12_S13_EUlS12_E_NS1_11comp_targetILNS1_3genE8ELNS1_11target_archE1030ELNS1_3gpuE2ELNS1_3repE0EEENS1_30default_config_static_selectorELNS0_4arch9wavefront6targetE0EEEvT1_
	.globl	_ZN7rocprim17ROCPRIM_400000_NS6detail17trampoline_kernelINS0_14default_configENS1_25partition_config_selectorILNS1_17partition_subalgoE8EjNS0_10empty_typeEbEEZZNS1_14partition_implILS5_8ELb0ES3_jPKjPS6_PKS6_NS0_5tupleIJPjS6_EEENSE_IJSB_SB_EEENS0_18inequality_wrapperIN6hipcub16HIPCUB_304000_NS8EqualityEEEPlJS6_EEE10hipError_tPvRmT3_T4_T5_T6_T7_T9_mT8_P12ihipStream_tbDpT10_ENKUlT_T0_E_clISt17integral_constantIbLb0EES17_EEDaS12_S13_EUlS12_E_NS1_11comp_targetILNS1_3genE8ELNS1_11target_archE1030ELNS1_3gpuE2ELNS1_3repE0EEENS1_30default_config_static_selectorELNS0_4arch9wavefront6targetE0EEEvT1_
	.p2align	8
	.type	_ZN7rocprim17ROCPRIM_400000_NS6detail17trampoline_kernelINS0_14default_configENS1_25partition_config_selectorILNS1_17partition_subalgoE8EjNS0_10empty_typeEbEEZZNS1_14partition_implILS5_8ELb0ES3_jPKjPS6_PKS6_NS0_5tupleIJPjS6_EEENSE_IJSB_SB_EEENS0_18inequality_wrapperIN6hipcub16HIPCUB_304000_NS8EqualityEEEPlJS6_EEE10hipError_tPvRmT3_T4_T5_T6_T7_T9_mT8_P12ihipStream_tbDpT10_ENKUlT_T0_E_clISt17integral_constantIbLb0EES17_EEDaS12_S13_EUlS12_E_NS1_11comp_targetILNS1_3genE8ELNS1_11target_archE1030ELNS1_3gpuE2ELNS1_3repE0EEENS1_30default_config_static_selectorELNS0_4arch9wavefront6targetE0EEEvT1_,@function
_ZN7rocprim17ROCPRIM_400000_NS6detail17trampoline_kernelINS0_14default_configENS1_25partition_config_selectorILNS1_17partition_subalgoE8EjNS0_10empty_typeEbEEZZNS1_14partition_implILS5_8ELb0ES3_jPKjPS6_PKS6_NS0_5tupleIJPjS6_EEENSE_IJSB_SB_EEENS0_18inequality_wrapperIN6hipcub16HIPCUB_304000_NS8EqualityEEEPlJS6_EEE10hipError_tPvRmT3_T4_T5_T6_T7_T9_mT8_P12ihipStream_tbDpT10_ENKUlT_T0_E_clISt17integral_constantIbLb0EES17_EEDaS12_S13_EUlS12_E_NS1_11comp_targetILNS1_3genE8ELNS1_11target_archE1030ELNS1_3gpuE2ELNS1_3repE0EEENS1_30default_config_static_selectorELNS0_4arch9wavefront6targetE0EEEvT1_: ; @_ZN7rocprim17ROCPRIM_400000_NS6detail17trampoline_kernelINS0_14default_configENS1_25partition_config_selectorILNS1_17partition_subalgoE8EjNS0_10empty_typeEbEEZZNS1_14partition_implILS5_8ELb0ES3_jPKjPS6_PKS6_NS0_5tupleIJPjS6_EEENSE_IJSB_SB_EEENS0_18inequality_wrapperIN6hipcub16HIPCUB_304000_NS8EqualityEEEPlJS6_EEE10hipError_tPvRmT3_T4_T5_T6_T7_T9_mT8_P12ihipStream_tbDpT10_ENKUlT_T0_E_clISt17integral_constantIbLb0EES17_EEDaS12_S13_EUlS12_E_NS1_11comp_targetILNS1_3genE8ELNS1_11target_archE1030ELNS1_3gpuE2ELNS1_3repE0EEENS1_30default_config_static_selectorELNS0_4arch9wavefront6targetE0EEEvT1_
; %bb.0:
	.section	.rodata,"a",@progbits
	.p2align	6, 0x0
	.amdhsa_kernel _ZN7rocprim17ROCPRIM_400000_NS6detail17trampoline_kernelINS0_14default_configENS1_25partition_config_selectorILNS1_17partition_subalgoE8EjNS0_10empty_typeEbEEZZNS1_14partition_implILS5_8ELb0ES3_jPKjPS6_PKS6_NS0_5tupleIJPjS6_EEENSE_IJSB_SB_EEENS0_18inequality_wrapperIN6hipcub16HIPCUB_304000_NS8EqualityEEEPlJS6_EEE10hipError_tPvRmT3_T4_T5_T6_T7_T9_mT8_P12ihipStream_tbDpT10_ENKUlT_T0_E_clISt17integral_constantIbLb0EES17_EEDaS12_S13_EUlS12_E_NS1_11comp_targetILNS1_3genE8ELNS1_11target_archE1030ELNS1_3gpuE2ELNS1_3repE0EEENS1_30default_config_static_selectorELNS0_4arch9wavefront6targetE0EEEvT1_
		.amdhsa_group_segment_fixed_size 0
		.amdhsa_private_segment_fixed_size 0
		.amdhsa_kernarg_size 112
		.amdhsa_user_sgpr_count 2
		.amdhsa_user_sgpr_dispatch_ptr 0
		.amdhsa_user_sgpr_queue_ptr 0
		.amdhsa_user_sgpr_kernarg_segment_ptr 1
		.amdhsa_user_sgpr_dispatch_id 0
		.amdhsa_user_sgpr_kernarg_preload_length 0
		.amdhsa_user_sgpr_kernarg_preload_offset 0
		.amdhsa_user_sgpr_private_segment_size 0
		.amdhsa_wavefront_size32 1
		.amdhsa_uses_dynamic_stack 0
		.amdhsa_enable_private_segment 0
		.amdhsa_system_sgpr_workgroup_id_x 1
		.amdhsa_system_sgpr_workgroup_id_y 0
		.amdhsa_system_sgpr_workgroup_id_z 0
		.amdhsa_system_sgpr_workgroup_info 0
		.amdhsa_system_vgpr_workitem_id 0
		.amdhsa_next_free_vgpr 1
		.amdhsa_next_free_sgpr 1
		.amdhsa_named_barrier_count 0
		.amdhsa_reserve_vcc 0
		.amdhsa_float_round_mode_32 0
		.amdhsa_float_round_mode_16_64 0
		.amdhsa_float_denorm_mode_32 3
		.amdhsa_float_denorm_mode_16_64 3
		.amdhsa_fp16_overflow 0
		.amdhsa_memory_ordered 1
		.amdhsa_forward_progress 1
		.amdhsa_inst_pref_size 0
		.amdhsa_round_robin_scheduling 0
		.amdhsa_exception_fp_ieee_invalid_op 0
		.amdhsa_exception_fp_denorm_src 0
		.amdhsa_exception_fp_ieee_div_zero 0
		.amdhsa_exception_fp_ieee_overflow 0
		.amdhsa_exception_fp_ieee_underflow 0
		.amdhsa_exception_fp_ieee_inexact 0
		.amdhsa_exception_int_div_zero 0
	.end_amdhsa_kernel
	.section	.text._ZN7rocprim17ROCPRIM_400000_NS6detail17trampoline_kernelINS0_14default_configENS1_25partition_config_selectorILNS1_17partition_subalgoE8EjNS0_10empty_typeEbEEZZNS1_14partition_implILS5_8ELb0ES3_jPKjPS6_PKS6_NS0_5tupleIJPjS6_EEENSE_IJSB_SB_EEENS0_18inequality_wrapperIN6hipcub16HIPCUB_304000_NS8EqualityEEEPlJS6_EEE10hipError_tPvRmT3_T4_T5_T6_T7_T9_mT8_P12ihipStream_tbDpT10_ENKUlT_T0_E_clISt17integral_constantIbLb0EES17_EEDaS12_S13_EUlS12_E_NS1_11comp_targetILNS1_3genE8ELNS1_11target_archE1030ELNS1_3gpuE2ELNS1_3repE0EEENS1_30default_config_static_selectorELNS0_4arch9wavefront6targetE0EEEvT1_,"axG",@progbits,_ZN7rocprim17ROCPRIM_400000_NS6detail17trampoline_kernelINS0_14default_configENS1_25partition_config_selectorILNS1_17partition_subalgoE8EjNS0_10empty_typeEbEEZZNS1_14partition_implILS5_8ELb0ES3_jPKjPS6_PKS6_NS0_5tupleIJPjS6_EEENSE_IJSB_SB_EEENS0_18inequality_wrapperIN6hipcub16HIPCUB_304000_NS8EqualityEEEPlJS6_EEE10hipError_tPvRmT3_T4_T5_T6_T7_T9_mT8_P12ihipStream_tbDpT10_ENKUlT_T0_E_clISt17integral_constantIbLb0EES17_EEDaS12_S13_EUlS12_E_NS1_11comp_targetILNS1_3genE8ELNS1_11target_archE1030ELNS1_3gpuE2ELNS1_3repE0EEENS1_30default_config_static_selectorELNS0_4arch9wavefront6targetE0EEEvT1_,comdat
.Lfunc_end624:
	.size	_ZN7rocprim17ROCPRIM_400000_NS6detail17trampoline_kernelINS0_14default_configENS1_25partition_config_selectorILNS1_17partition_subalgoE8EjNS0_10empty_typeEbEEZZNS1_14partition_implILS5_8ELb0ES3_jPKjPS6_PKS6_NS0_5tupleIJPjS6_EEENSE_IJSB_SB_EEENS0_18inequality_wrapperIN6hipcub16HIPCUB_304000_NS8EqualityEEEPlJS6_EEE10hipError_tPvRmT3_T4_T5_T6_T7_T9_mT8_P12ihipStream_tbDpT10_ENKUlT_T0_E_clISt17integral_constantIbLb0EES17_EEDaS12_S13_EUlS12_E_NS1_11comp_targetILNS1_3genE8ELNS1_11target_archE1030ELNS1_3gpuE2ELNS1_3repE0EEENS1_30default_config_static_selectorELNS0_4arch9wavefront6targetE0EEEvT1_, .Lfunc_end624-_ZN7rocprim17ROCPRIM_400000_NS6detail17trampoline_kernelINS0_14default_configENS1_25partition_config_selectorILNS1_17partition_subalgoE8EjNS0_10empty_typeEbEEZZNS1_14partition_implILS5_8ELb0ES3_jPKjPS6_PKS6_NS0_5tupleIJPjS6_EEENSE_IJSB_SB_EEENS0_18inequality_wrapperIN6hipcub16HIPCUB_304000_NS8EqualityEEEPlJS6_EEE10hipError_tPvRmT3_T4_T5_T6_T7_T9_mT8_P12ihipStream_tbDpT10_ENKUlT_T0_E_clISt17integral_constantIbLb0EES17_EEDaS12_S13_EUlS12_E_NS1_11comp_targetILNS1_3genE8ELNS1_11target_archE1030ELNS1_3gpuE2ELNS1_3repE0EEENS1_30default_config_static_selectorELNS0_4arch9wavefront6targetE0EEEvT1_
                                        ; -- End function
	.set _ZN7rocprim17ROCPRIM_400000_NS6detail17trampoline_kernelINS0_14default_configENS1_25partition_config_selectorILNS1_17partition_subalgoE8EjNS0_10empty_typeEbEEZZNS1_14partition_implILS5_8ELb0ES3_jPKjPS6_PKS6_NS0_5tupleIJPjS6_EEENSE_IJSB_SB_EEENS0_18inequality_wrapperIN6hipcub16HIPCUB_304000_NS8EqualityEEEPlJS6_EEE10hipError_tPvRmT3_T4_T5_T6_T7_T9_mT8_P12ihipStream_tbDpT10_ENKUlT_T0_E_clISt17integral_constantIbLb0EES17_EEDaS12_S13_EUlS12_E_NS1_11comp_targetILNS1_3genE8ELNS1_11target_archE1030ELNS1_3gpuE2ELNS1_3repE0EEENS1_30default_config_static_selectorELNS0_4arch9wavefront6targetE0EEEvT1_.num_vgpr, 0
	.set _ZN7rocprim17ROCPRIM_400000_NS6detail17trampoline_kernelINS0_14default_configENS1_25partition_config_selectorILNS1_17partition_subalgoE8EjNS0_10empty_typeEbEEZZNS1_14partition_implILS5_8ELb0ES3_jPKjPS6_PKS6_NS0_5tupleIJPjS6_EEENSE_IJSB_SB_EEENS0_18inequality_wrapperIN6hipcub16HIPCUB_304000_NS8EqualityEEEPlJS6_EEE10hipError_tPvRmT3_T4_T5_T6_T7_T9_mT8_P12ihipStream_tbDpT10_ENKUlT_T0_E_clISt17integral_constantIbLb0EES17_EEDaS12_S13_EUlS12_E_NS1_11comp_targetILNS1_3genE8ELNS1_11target_archE1030ELNS1_3gpuE2ELNS1_3repE0EEENS1_30default_config_static_selectorELNS0_4arch9wavefront6targetE0EEEvT1_.num_agpr, 0
	.set _ZN7rocprim17ROCPRIM_400000_NS6detail17trampoline_kernelINS0_14default_configENS1_25partition_config_selectorILNS1_17partition_subalgoE8EjNS0_10empty_typeEbEEZZNS1_14partition_implILS5_8ELb0ES3_jPKjPS6_PKS6_NS0_5tupleIJPjS6_EEENSE_IJSB_SB_EEENS0_18inequality_wrapperIN6hipcub16HIPCUB_304000_NS8EqualityEEEPlJS6_EEE10hipError_tPvRmT3_T4_T5_T6_T7_T9_mT8_P12ihipStream_tbDpT10_ENKUlT_T0_E_clISt17integral_constantIbLb0EES17_EEDaS12_S13_EUlS12_E_NS1_11comp_targetILNS1_3genE8ELNS1_11target_archE1030ELNS1_3gpuE2ELNS1_3repE0EEENS1_30default_config_static_selectorELNS0_4arch9wavefront6targetE0EEEvT1_.numbered_sgpr, 0
	.set _ZN7rocprim17ROCPRIM_400000_NS6detail17trampoline_kernelINS0_14default_configENS1_25partition_config_selectorILNS1_17partition_subalgoE8EjNS0_10empty_typeEbEEZZNS1_14partition_implILS5_8ELb0ES3_jPKjPS6_PKS6_NS0_5tupleIJPjS6_EEENSE_IJSB_SB_EEENS0_18inequality_wrapperIN6hipcub16HIPCUB_304000_NS8EqualityEEEPlJS6_EEE10hipError_tPvRmT3_T4_T5_T6_T7_T9_mT8_P12ihipStream_tbDpT10_ENKUlT_T0_E_clISt17integral_constantIbLb0EES17_EEDaS12_S13_EUlS12_E_NS1_11comp_targetILNS1_3genE8ELNS1_11target_archE1030ELNS1_3gpuE2ELNS1_3repE0EEENS1_30default_config_static_selectorELNS0_4arch9wavefront6targetE0EEEvT1_.num_named_barrier, 0
	.set _ZN7rocprim17ROCPRIM_400000_NS6detail17trampoline_kernelINS0_14default_configENS1_25partition_config_selectorILNS1_17partition_subalgoE8EjNS0_10empty_typeEbEEZZNS1_14partition_implILS5_8ELb0ES3_jPKjPS6_PKS6_NS0_5tupleIJPjS6_EEENSE_IJSB_SB_EEENS0_18inequality_wrapperIN6hipcub16HIPCUB_304000_NS8EqualityEEEPlJS6_EEE10hipError_tPvRmT3_T4_T5_T6_T7_T9_mT8_P12ihipStream_tbDpT10_ENKUlT_T0_E_clISt17integral_constantIbLb0EES17_EEDaS12_S13_EUlS12_E_NS1_11comp_targetILNS1_3genE8ELNS1_11target_archE1030ELNS1_3gpuE2ELNS1_3repE0EEENS1_30default_config_static_selectorELNS0_4arch9wavefront6targetE0EEEvT1_.private_seg_size, 0
	.set _ZN7rocprim17ROCPRIM_400000_NS6detail17trampoline_kernelINS0_14default_configENS1_25partition_config_selectorILNS1_17partition_subalgoE8EjNS0_10empty_typeEbEEZZNS1_14partition_implILS5_8ELb0ES3_jPKjPS6_PKS6_NS0_5tupleIJPjS6_EEENSE_IJSB_SB_EEENS0_18inequality_wrapperIN6hipcub16HIPCUB_304000_NS8EqualityEEEPlJS6_EEE10hipError_tPvRmT3_T4_T5_T6_T7_T9_mT8_P12ihipStream_tbDpT10_ENKUlT_T0_E_clISt17integral_constantIbLb0EES17_EEDaS12_S13_EUlS12_E_NS1_11comp_targetILNS1_3genE8ELNS1_11target_archE1030ELNS1_3gpuE2ELNS1_3repE0EEENS1_30default_config_static_selectorELNS0_4arch9wavefront6targetE0EEEvT1_.uses_vcc, 0
	.set _ZN7rocprim17ROCPRIM_400000_NS6detail17trampoline_kernelINS0_14default_configENS1_25partition_config_selectorILNS1_17partition_subalgoE8EjNS0_10empty_typeEbEEZZNS1_14partition_implILS5_8ELb0ES3_jPKjPS6_PKS6_NS0_5tupleIJPjS6_EEENSE_IJSB_SB_EEENS0_18inequality_wrapperIN6hipcub16HIPCUB_304000_NS8EqualityEEEPlJS6_EEE10hipError_tPvRmT3_T4_T5_T6_T7_T9_mT8_P12ihipStream_tbDpT10_ENKUlT_T0_E_clISt17integral_constantIbLb0EES17_EEDaS12_S13_EUlS12_E_NS1_11comp_targetILNS1_3genE8ELNS1_11target_archE1030ELNS1_3gpuE2ELNS1_3repE0EEENS1_30default_config_static_selectorELNS0_4arch9wavefront6targetE0EEEvT1_.uses_flat_scratch, 0
	.set _ZN7rocprim17ROCPRIM_400000_NS6detail17trampoline_kernelINS0_14default_configENS1_25partition_config_selectorILNS1_17partition_subalgoE8EjNS0_10empty_typeEbEEZZNS1_14partition_implILS5_8ELb0ES3_jPKjPS6_PKS6_NS0_5tupleIJPjS6_EEENSE_IJSB_SB_EEENS0_18inequality_wrapperIN6hipcub16HIPCUB_304000_NS8EqualityEEEPlJS6_EEE10hipError_tPvRmT3_T4_T5_T6_T7_T9_mT8_P12ihipStream_tbDpT10_ENKUlT_T0_E_clISt17integral_constantIbLb0EES17_EEDaS12_S13_EUlS12_E_NS1_11comp_targetILNS1_3genE8ELNS1_11target_archE1030ELNS1_3gpuE2ELNS1_3repE0EEENS1_30default_config_static_selectorELNS0_4arch9wavefront6targetE0EEEvT1_.has_dyn_sized_stack, 0
	.set _ZN7rocprim17ROCPRIM_400000_NS6detail17trampoline_kernelINS0_14default_configENS1_25partition_config_selectorILNS1_17partition_subalgoE8EjNS0_10empty_typeEbEEZZNS1_14partition_implILS5_8ELb0ES3_jPKjPS6_PKS6_NS0_5tupleIJPjS6_EEENSE_IJSB_SB_EEENS0_18inequality_wrapperIN6hipcub16HIPCUB_304000_NS8EqualityEEEPlJS6_EEE10hipError_tPvRmT3_T4_T5_T6_T7_T9_mT8_P12ihipStream_tbDpT10_ENKUlT_T0_E_clISt17integral_constantIbLb0EES17_EEDaS12_S13_EUlS12_E_NS1_11comp_targetILNS1_3genE8ELNS1_11target_archE1030ELNS1_3gpuE2ELNS1_3repE0EEENS1_30default_config_static_selectorELNS0_4arch9wavefront6targetE0EEEvT1_.has_recursion, 0
	.set _ZN7rocprim17ROCPRIM_400000_NS6detail17trampoline_kernelINS0_14default_configENS1_25partition_config_selectorILNS1_17partition_subalgoE8EjNS0_10empty_typeEbEEZZNS1_14partition_implILS5_8ELb0ES3_jPKjPS6_PKS6_NS0_5tupleIJPjS6_EEENSE_IJSB_SB_EEENS0_18inequality_wrapperIN6hipcub16HIPCUB_304000_NS8EqualityEEEPlJS6_EEE10hipError_tPvRmT3_T4_T5_T6_T7_T9_mT8_P12ihipStream_tbDpT10_ENKUlT_T0_E_clISt17integral_constantIbLb0EES17_EEDaS12_S13_EUlS12_E_NS1_11comp_targetILNS1_3genE8ELNS1_11target_archE1030ELNS1_3gpuE2ELNS1_3repE0EEENS1_30default_config_static_selectorELNS0_4arch9wavefront6targetE0EEEvT1_.has_indirect_call, 0
	.section	.AMDGPU.csdata,"",@progbits
; Kernel info:
; codeLenInByte = 0
; TotalNumSgprs: 0
; NumVgprs: 0
; ScratchSize: 0
; MemoryBound: 0
; FloatMode: 240
; IeeeMode: 1
; LDSByteSize: 0 bytes/workgroup (compile time only)
; SGPRBlocks: 0
; VGPRBlocks: 0
; NumSGPRsForWavesPerEU: 1
; NumVGPRsForWavesPerEU: 1
; NamedBarCnt: 0
; Occupancy: 16
; WaveLimiterHint : 0
; COMPUTE_PGM_RSRC2:SCRATCH_EN: 0
; COMPUTE_PGM_RSRC2:USER_SGPR: 2
; COMPUTE_PGM_RSRC2:TRAP_HANDLER: 0
; COMPUTE_PGM_RSRC2:TGID_X_EN: 1
; COMPUTE_PGM_RSRC2:TGID_Y_EN: 0
; COMPUTE_PGM_RSRC2:TGID_Z_EN: 0
; COMPUTE_PGM_RSRC2:TIDIG_COMP_CNT: 0
	.section	.text._ZN7rocprim17ROCPRIM_400000_NS6detail17trampoline_kernelINS0_14default_configENS1_25partition_config_selectorILNS1_17partition_subalgoE8EjNS0_10empty_typeEbEEZZNS1_14partition_implILS5_8ELb0ES3_jPKjPS6_PKS6_NS0_5tupleIJPjS6_EEENSE_IJSB_SB_EEENS0_18inequality_wrapperIN6hipcub16HIPCUB_304000_NS8EqualityEEEPlJS6_EEE10hipError_tPvRmT3_T4_T5_T6_T7_T9_mT8_P12ihipStream_tbDpT10_ENKUlT_T0_E_clISt17integral_constantIbLb1EES17_EEDaS12_S13_EUlS12_E_NS1_11comp_targetILNS1_3genE0ELNS1_11target_archE4294967295ELNS1_3gpuE0ELNS1_3repE0EEENS1_30default_config_static_selectorELNS0_4arch9wavefront6targetE0EEEvT1_,"axG",@progbits,_ZN7rocprim17ROCPRIM_400000_NS6detail17trampoline_kernelINS0_14default_configENS1_25partition_config_selectorILNS1_17partition_subalgoE8EjNS0_10empty_typeEbEEZZNS1_14partition_implILS5_8ELb0ES3_jPKjPS6_PKS6_NS0_5tupleIJPjS6_EEENSE_IJSB_SB_EEENS0_18inequality_wrapperIN6hipcub16HIPCUB_304000_NS8EqualityEEEPlJS6_EEE10hipError_tPvRmT3_T4_T5_T6_T7_T9_mT8_P12ihipStream_tbDpT10_ENKUlT_T0_E_clISt17integral_constantIbLb1EES17_EEDaS12_S13_EUlS12_E_NS1_11comp_targetILNS1_3genE0ELNS1_11target_archE4294967295ELNS1_3gpuE0ELNS1_3repE0EEENS1_30default_config_static_selectorELNS0_4arch9wavefront6targetE0EEEvT1_,comdat
	.protected	_ZN7rocprim17ROCPRIM_400000_NS6detail17trampoline_kernelINS0_14default_configENS1_25partition_config_selectorILNS1_17partition_subalgoE8EjNS0_10empty_typeEbEEZZNS1_14partition_implILS5_8ELb0ES3_jPKjPS6_PKS6_NS0_5tupleIJPjS6_EEENSE_IJSB_SB_EEENS0_18inequality_wrapperIN6hipcub16HIPCUB_304000_NS8EqualityEEEPlJS6_EEE10hipError_tPvRmT3_T4_T5_T6_T7_T9_mT8_P12ihipStream_tbDpT10_ENKUlT_T0_E_clISt17integral_constantIbLb1EES17_EEDaS12_S13_EUlS12_E_NS1_11comp_targetILNS1_3genE0ELNS1_11target_archE4294967295ELNS1_3gpuE0ELNS1_3repE0EEENS1_30default_config_static_selectorELNS0_4arch9wavefront6targetE0EEEvT1_ ; -- Begin function _ZN7rocprim17ROCPRIM_400000_NS6detail17trampoline_kernelINS0_14default_configENS1_25partition_config_selectorILNS1_17partition_subalgoE8EjNS0_10empty_typeEbEEZZNS1_14partition_implILS5_8ELb0ES3_jPKjPS6_PKS6_NS0_5tupleIJPjS6_EEENSE_IJSB_SB_EEENS0_18inequality_wrapperIN6hipcub16HIPCUB_304000_NS8EqualityEEEPlJS6_EEE10hipError_tPvRmT3_T4_T5_T6_T7_T9_mT8_P12ihipStream_tbDpT10_ENKUlT_T0_E_clISt17integral_constantIbLb1EES17_EEDaS12_S13_EUlS12_E_NS1_11comp_targetILNS1_3genE0ELNS1_11target_archE4294967295ELNS1_3gpuE0ELNS1_3repE0EEENS1_30default_config_static_selectorELNS0_4arch9wavefront6targetE0EEEvT1_
	.globl	_ZN7rocprim17ROCPRIM_400000_NS6detail17trampoline_kernelINS0_14default_configENS1_25partition_config_selectorILNS1_17partition_subalgoE8EjNS0_10empty_typeEbEEZZNS1_14partition_implILS5_8ELb0ES3_jPKjPS6_PKS6_NS0_5tupleIJPjS6_EEENSE_IJSB_SB_EEENS0_18inequality_wrapperIN6hipcub16HIPCUB_304000_NS8EqualityEEEPlJS6_EEE10hipError_tPvRmT3_T4_T5_T6_T7_T9_mT8_P12ihipStream_tbDpT10_ENKUlT_T0_E_clISt17integral_constantIbLb1EES17_EEDaS12_S13_EUlS12_E_NS1_11comp_targetILNS1_3genE0ELNS1_11target_archE4294967295ELNS1_3gpuE0ELNS1_3repE0EEENS1_30default_config_static_selectorELNS0_4arch9wavefront6targetE0EEEvT1_
	.p2align	8
	.type	_ZN7rocprim17ROCPRIM_400000_NS6detail17trampoline_kernelINS0_14default_configENS1_25partition_config_selectorILNS1_17partition_subalgoE8EjNS0_10empty_typeEbEEZZNS1_14partition_implILS5_8ELb0ES3_jPKjPS6_PKS6_NS0_5tupleIJPjS6_EEENSE_IJSB_SB_EEENS0_18inequality_wrapperIN6hipcub16HIPCUB_304000_NS8EqualityEEEPlJS6_EEE10hipError_tPvRmT3_T4_T5_T6_T7_T9_mT8_P12ihipStream_tbDpT10_ENKUlT_T0_E_clISt17integral_constantIbLb1EES17_EEDaS12_S13_EUlS12_E_NS1_11comp_targetILNS1_3genE0ELNS1_11target_archE4294967295ELNS1_3gpuE0ELNS1_3repE0EEENS1_30default_config_static_selectorELNS0_4arch9wavefront6targetE0EEEvT1_,@function
_ZN7rocprim17ROCPRIM_400000_NS6detail17trampoline_kernelINS0_14default_configENS1_25partition_config_selectorILNS1_17partition_subalgoE8EjNS0_10empty_typeEbEEZZNS1_14partition_implILS5_8ELb0ES3_jPKjPS6_PKS6_NS0_5tupleIJPjS6_EEENSE_IJSB_SB_EEENS0_18inequality_wrapperIN6hipcub16HIPCUB_304000_NS8EqualityEEEPlJS6_EEE10hipError_tPvRmT3_T4_T5_T6_T7_T9_mT8_P12ihipStream_tbDpT10_ENKUlT_T0_E_clISt17integral_constantIbLb1EES17_EEDaS12_S13_EUlS12_E_NS1_11comp_targetILNS1_3genE0ELNS1_11target_archE4294967295ELNS1_3gpuE0ELNS1_3repE0EEENS1_30default_config_static_selectorELNS0_4arch9wavefront6targetE0EEEvT1_: ; @_ZN7rocprim17ROCPRIM_400000_NS6detail17trampoline_kernelINS0_14default_configENS1_25partition_config_selectorILNS1_17partition_subalgoE8EjNS0_10empty_typeEbEEZZNS1_14partition_implILS5_8ELb0ES3_jPKjPS6_PKS6_NS0_5tupleIJPjS6_EEENSE_IJSB_SB_EEENS0_18inequality_wrapperIN6hipcub16HIPCUB_304000_NS8EqualityEEEPlJS6_EEE10hipError_tPvRmT3_T4_T5_T6_T7_T9_mT8_P12ihipStream_tbDpT10_ENKUlT_T0_E_clISt17integral_constantIbLb1EES17_EEDaS12_S13_EUlS12_E_NS1_11comp_targetILNS1_3genE0ELNS1_11target_archE4294967295ELNS1_3gpuE0ELNS1_3repE0EEENS1_30default_config_static_selectorELNS0_4arch9wavefront6targetE0EEEvT1_
; %bb.0:
	s_endpgm
	.section	.rodata,"a",@progbits
	.p2align	6, 0x0
	.amdhsa_kernel _ZN7rocprim17ROCPRIM_400000_NS6detail17trampoline_kernelINS0_14default_configENS1_25partition_config_selectorILNS1_17partition_subalgoE8EjNS0_10empty_typeEbEEZZNS1_14partition_implILS5_8ELb0ES3_jPKjPS6_PKS6_NS0_5tupleIJPjS6_EEENSE_IJSB_SB_EEENS0_18inequality_wrapperIN6hipcub16HIPCUB_304000_NS8EqualityEEEPlJS6_EEE10hipError_tPvRmT3_T4_T5_T6_T7_T9_mT8_P12ihipStream_tbDpT10_ENKUlT_T0_E_clISt17integral_constantIbLb1EES17_EEDaS12_S13_EUlS12_E_NS1_11comp_targetILNS1_3genE0ELNS1_11target_archE4294967295ELNS1_3gpuE0ELNS1_3repE0EEENS1_30default_config_static_selectorELNS0_4arch9wavefront6targetE0EEEvT1_
		.amdhsa_group_segment_fixed_size 0
		.amdhsa_private_segment_fixed_size 0
		.amdhsa_kernarg_size 128
		.amdhsa_user_sgpr_count 2
		.amdhsa_user_sgpr_dispatch_ptr 0
		.amdhsa_user_sgpr_queue_ptr 0
		.amdhsa_user_sgpr_kernarg_segment_ptr 1
		.amdhsa_user_sgpr_dispatch_id 0
		.amdhsa_user_sgpr_kernarg_preload_length 0
		.amdhsa_user_sgpr_kernarg_preload_offset 0
		.amdhsa_user_sgpr_private_segment_size 0
		.amdhsa_wavefront_size32 1
		.amdhsa_uses_dynamic_stack 0
		.amdhsa_enable_private_segment 0
		.amdhsa_system_sgpr_workgroup_id_x 1
		.amdhsa_system_sgpr_workgroup_id_y 0
		.amdhsa_system_sgpr_workgroup_id_z 0
		.amdhsa_system_sgpr_workgroup_info 0
		.amdhsa_system_vgpr_workitem_id 0
		.amdhsa_next_free_vgpr 1
		.amdhsa_next_free_sgpr 1
		.amdhsa_named_barrier_count 0
		.amdhsa_reserve_vcc 0
		.amdhsa_float_round_mode_32 0
		.amdhsa_float_round_mode_16_64 0
		.amdhsa_float_denorm_mode_32 3
		.amdhsa_float_denorm_mode_16_64 3
		.amdhsa_fp16_overflow 0
		.amdhsa_memory_ordered 1
		.amdhsa_forward_progress 1
		.amdhsa_inst_pref_size 1
		.amdhsa_round_robin_scheduling 0
		.amdhsa_exception_fp_ieee_invalid_op 0
		.amdhsa_exception_fp_denorm_src 0
		.amdhsa_exception_fp_ieee_div_zero 0
		.amdhsa_exception_fp_ieee_overflow 0
		.amdhsa_exception_fp_ieee_underflow 0
		.amdhsa_exception_fp_ieee_inexact 0
		.amdhsa_exception_int_div_zero 0
	.end_amdhsa_kernel
	.section	.text._ZN7rocprim17ROCPRIM_400000_NS6detail17trampoline_kernelINS0_14default_configENS1_25partition_config_selectorILNS1_17partition_subalgoE8EjNS0_10empty_typeEbEEZZNS1_14partition_implILS5_8ELb0ES3_jPKjPS6_PKS6_NS0_5tupleIJPjS6_EEENSE_IJSB_SB_EEENS0_18inequality_wrapperIN6hipcub16HIPCUB_304000_NS8EqualityEEEPlJS6_EEE10hipError_tPvRmT3_T4_T5_T6_T7_T9_mT8_P12ihipStream_tbDpT10_ENKUlT_T0_E_clISt17integral_constantIbLb1EES17_EEDaS12_S13_EUlS12_E_NS1_11comp_targetILNS1_3genE0ELNS1_11target_archE4294967295ELNS1_3gpuE0ELNS1_3repE0EEENS1_30default_config_static_selectorELNS0_4arch9wavefront6targetE0EEEvT1_,"axG",@progbits,_ZN7rocprim17ROCPRIM_400000_NS6detail17trampoline_kernelINS0_14default_configENS1_25partition_config_selectorILNS1_17partition_subalgoE8EjNS0_10empty_typeEbEEZZNS1_14partition_implILS5_8ELb0ES3_jPKjPS6_PKS6_NS0_5tupleIJPjS6_EEENSE_IJSB_SB_EEENS0_18inequality_wrapperIN6hipcub16HIPCUB_304000_NS8EqualityEEEPlJS6_EEE10hipError_tPvRmT3_T4_T5_T6_T7_T9_mT8_P12ihipStream_tbDpT10_ENKUlT_T0_E_clISt17integral_constantIbLb1EES17_EEDaS12_S13_EUlS12_E_NS1_11comp_targetILNS1_3genE0ELNS1_11target_archE4294967295ELNS1_3gpuE0ELNS1_3repE0EEENS1_30default_config_static_selectorELNS0_4arch9wavefront6targetE0EEEvT1_,comdat
.Lfunc_end625:
	.size	_ZN7rocprim17ROCPRIM_400000_NS6detail17trampoline_kernelINS0_14default_configENS1_25partition_config_selectorILNS1_17partition_subalgoE8EjNS0_10empty_typeEbEEZZNS1_14partition_implILS5_8ELb0ES3_jPKjPS6_PKS6_NS0_5tupleIJPjS6_EEENSE_IJSB_SB_EEENS0_18inequality_wrapperIN6hipcub16HIPCUB_304000_NS8EqualityEEEPlJS6_EEE10hipError_tPvRmT3_T4_T5_T6_T7_T9_mT8_P12ihipStream_tbDpT10_ENKUlT_T0_E_clISt17integral_constantIbLb1EES17_EEDaS12_S13_EUlS12_E_NS1_11comp_targetILNS1_3genE0ELNS1_11target_archE4294967295ELNS1_3gpuE0ELNS1_3repE0EEENS1_30default_config_static_selectorELNS0_4arch9wavefront6targetE0EEEvT1_, .Lfunc_end625-_ZN7rocprim17ROCPRIM_400000_NS6detail17trampoline_kernelINS0_14default_configENS1_25partition_config_selectorILNS1_17partition_subalgoE8EjNS0_10empty_typeEbEEZZNS1_14partition_implILS5_8ELb0ES3_jPKjPS6_PKS6_NS0_5tupleIJPjS6_EEENSE_IJSB_SB_EEENS0_18inequality_wrapperIN6hipcub16HIPCUB_304000_NS8EqualityEEEPlJS6_EEE10hipError_tPvRmT3_T4_T5_T6_T7_T9_mT8_P12ihipStream_tbDpT10_ENKUlT_T0_E_clISt17integral_constantIbLb1EES17_EEDaS12_S13_EUlS12_E_NS1_11comp_targetILNS1_3genE0ELNS1_11target_archE4294967295ELNS1_3gpuE0ELNS1_3repE0EEENS1_30default_config_static_selectorELNS0_4arch9wavefront6targetE0EEEvT1_
                                        ; -- End function
	.set _ZN7rocprim17ROCPRIM_400000_NS6detail17trampoline_kernelINS0_14default_configENS1_25partition_config_selectorILNS1_17partition_subalgoE8EjNS0_10empty_typeEbEEZZNS1_14partition_implILS5_8ELb0ES3_jPKjPS6_PKS6_NS0_5tupleIJPjS6_EEENSE_IJSB_SB_EEENS0_18inequality_wrapperIN6hipcub16HIPCUB_304000_NS8EqualityEEEPlJS6_EEE10hipError_tPvRmT3_T4_T5_T6_T7_T9_mT8_P12ihipStream_tbDpT10_ENKUlT_T0_E_clISt17integral_constantIbLb1EES17_EEDaS12_S13_EUlS12_E_NS1_11comp_targetILNS1_3genE0ELNS1_11target_archE4294967295ELNS1_3gpuE0ELNS1_3repE0EEENS1_30default_config_static_selectorELNS0_4arch9wavefront6targetE0EEEvT1_.num_vgpr, 0
	.set _ZN7rocprim17ROCPRIM_400000_NS6detail17trampoline_kernelINS0_14default_configENS1_25partition_config_selectorILNS1_17partition_subalgoE8EjNS0_10empty_typeEbEEZZNS1_14partition_implILS5_8ELb0ES3_jPKjPS6_PKS6_NS0_5tupleIJPjS6_EEENSE_IJSB_SB_EEENS0_18inequality_wrapperIN6hipcub16HIPCUB_304000_NS8EqualityEEEPlJS6_EEE10hipError_tPvRmT3_T4_T5_T6_T7_T9_mT8_P12ihipStream_tbDpT10_ENKUlT_T0_E_clISt17integral_constantIbLb1EES17_EEDaS12_S13_EUlS12_E_NS1_11comp_targetILNS1_3genE0ELNS1_11target_archE4294967295ELNS1_3gpuE0ELNS1_3repE0EEENS1_30default_config_static_selectorELNS0_4arch9wavefront6targetE0EEEvT1_.num_agpr, 0
	.set _ZN7rocprim17ROCPRIM_400000_NS6detail17trampoline_kernelINS0_14default_configENS1_25partition_config_selectorILNS1_17partition_subalgoE8EjNS0_10empty_typeEbEEZZNS1_14partition_implILS5_8ELb0ES3_jPKjPS6_PKS6_NS0_5tupleIJPjS6_EEENSE_IJSB_SB_EEENS0_18inequality_wrapperIN6hipcub16HIPCUB_304000_NS8EqualityEEEPlJS6_EEE10hipError_tPvRmT3_T4_T5_T6_T7_T9_mT8_P12ihipStream_tbDpT10_ENKUlT_T0_E_clISt17integral_constantIbLb1EES17_EEDaS12_S13_EUlS12_E_NS1_11comp_targetILNS1_3genE0ELNS1_11target_archE4294967295ELNS1_3gpuE0ELNS1_3repE0EEENS1_30default_config_static_selectorELNS0_4arch9wavefront6targetE0EEEvT1_.numbered_sgpr, 0
	.set _ZN7rocprim17ROCPRIM_400000_NS6detail17trampoline_kernelINS0_14default_configENS1_25partition_config_selectorILNS1_17partition_subalgoE8EjNS0_10empty_typeEbEEZZNS1_14partition_implILS5_8ELb0ES3_jPKjPS6_PKS6_NS0_5tupleIJPjS6_EEENSE_IJSB_SB_EEENS0_18inequality_wrapperIN6hipcub16HIPCUB_304000_NS8EqualityEEEPlJS6_EEE10hipError_tPvRmT3_T4_T5_T6_T7_T9_mT8_P12ihipStream_tbDpT10_ENKUlT_T0_E_clISt17integral_constantIbLb1EES17_EEDaS12_S13_EUlS12_E_NS1_11comp_targetILNS1_3genE0ELNS1_11target_archE4294967295ELNS1_3gpuE0ELNS1_3repE0EEENS1_30default_config_static_selectorELNS0_4arch9wavefront6targetE0EEEvT1_.num_named_barrier, 0
	.set _ZN7rocprim17ROCPRIM_400000_NS6detail17trampoline_kernelINS0_14default_configENS1_25partition_config_selectorILNS1_17partition_subalgoE8EjNS0_10empty_typeEbEEZZNS1_14partition_implILS5_8ELb0ES3_jPKjPS6_PKS6_NS0_5tupleIJPjS6_EEENSE_IJSB_SB_EEENS0_18inequality_wrapperIN6hipcub16HIPCUB_304000_NS8EqualityEEEPlJS6_EEE10hipError_tPvRmT3_T4_T5_T6_T7_T9_mT8_P12ihipStream_tbDpT10_ENKUlT_T0_E_clISt17integral_constantIbLb1EES17_EEDaS12_S13_EUlS12_E_NS1_11comp_targetILNS1_3genE0ELNS1_11target_archE4294967295ELNS1_3gpuE0ELNS1_3repE0EEENS1_30default_config_static_selectorELNS0_4arch9wavefront6targetE0EEEvT1_.private_seg_size, 0
	.set _ZN7rocprim17ROCPRIM_400000_NS6detail17trampoline_kernelINS0_14default_configENS1_25partition_config_selectorILNS1_17partition_subalgoE8EjNS0_10empty_typeEbEEZZNS1_14partition_implILS5_8ELb0ES3_jPKjPS6_PKS6_NS0_5tupleIJPjS6_EEENSE_IJSB_SB_EEENS0_18inequality_wrapperIN6hipcub16HIPCUB_304000_NS8EqualityEEEPlJS6_EEE10hipError_tPvRmT3_T4_T5_T6_T7_T9_mT8_P12ihipStream_tbDpT10_ENKUlT_T0_E_clISt17integral_constantIbLb1EES17_EEDaS12_S13_EUlS12_E_NS1_11comp_targetILNS1_3genE0ELNS1_11target_archE4294967295ELNS1_3gpuE0ELNS1_3repE0EEENS1_30default_config_static_selectorELNS0_4arch9wavefront6targetE0EEEvT1_.uses_vcc, 0
	.set _ZN7rocprim17ROCPRIM_400000_NS6detail17trampoline_kernelINS0_14default_configENS1_25partition_config_selectorILNS1_17partition_subalgoE8EjNS0_10empty_typeEbEEZZNS1_14partition_implILS5_8ELb0ES3_jPKjPS6_PKS6_NS0_5tupleIJPjS6_EEENSE_IJSB_SB_EEENS0_18inequality_wrapperIN6hipcub16HIPCUB_304000_NS8EqualityEEEPlJS6_EEE10hipError_tPvRmT3_T4_T5_T6_T7_T9_mT8_P12ihipStream_tbDpT10_ENKUlT_T0_E_clISt17integral_constantIbLb1EES17_EEDaS12_S13_EUlS12_E_NS1_11comp_targetILNS1_3genE0ELNS1_11target_archE4294967295ELNS1_3gpuE0ELNS1_3repE0EEENS1_30default_config_static_selectorELNS0_4arch9wavefront6targetE0EEEvT1_.uses_flat_scratch, 0
	.set _ZN7rocprim17ROCPRIM_400000_NS6detail17trampoline_kernelINS0_14default_configENS1_25partition_config_selectorILNS1_17partition_subalgoE8EjNS0_10empty_typeEbEEZZNS1_14partition_implILS5_8ELb0ES3_jPKjPS6_PKS6_NS0_5tupleIJPjS6_EEENSE_IJSB_SB_EEENS0_18inequality_wrapperIN6hipcub16HIPCUB_304000_NS8EqualityEEEPlJS6_EEE10hipError_tPvRmT3_T4_T5_T6_T7_T9_mT8_P12ihipStream_tbDpT10_ENKUlT_T0_E_clISt17integral_constantIbLb1EES17_EEDaS12_S13_EUlS12_E_NS1_11comp_targetILNS1_3genE0ELNS1_11target_archE4294967295ELNS1_3gpuE0ELNS1_3repE0EEENS1_30default_config_static_selectorELNS0_4arch9wavefront6targetE0EEEvT1_.has_dyn_sized_stack, 0
	.set _ZN7rocprim17ROCPRIM_400000_NS6detail17trampoline_kernelINS0_14default_configENS1_25partition_config_selectorILNS1_17partition_subalgoE8EjNS0_10empty_typeEbEEZZNS1_14partition_implILS5_8ELb0ES3_jPKjPS6_PKS6_NS0_5tupleIJPjS6_EEENSE_IJSB_SB_EEENS0_18inequality_wrapperIN6hipcub16HIPCUB_304000_NS8EqualityEEEPlJS6_EEE10hipError_tPvRmT3_T4_T5_T6_T7_T9_mT8_P12ihipStream_tbDpT10_ENKUlT_T0_E_clISt17integral_constantIbLb1EES17_EEDaS12_S13_EUlS12_E_NS1_11comp_targetILNS1_3genE0ELNS1_11target_archE4294967295ELNS1_3gpuE0ELNS1_3repE0EEENS1_30default_config_static_selectorELNS0_4arch9wavefront6targetE0EEEvT1_.has_recursion, 0
	.set _ZN7rocprim17ROCPRIM_400000_NS6detail17trampoline_kernelINS0_14default_configENS1_25partition_config_selectorILNS1_17partition_subalgoE8EjNS0_10empty_typeEbEEZZNS1_14partition_implILS5_8ELb0ES3_jPKjPS6_PKS6_NS0_5tupleIJPjS6_EEENSE_IJSB_SB_EEENS0_18inequality_wrapperIN6hipcub16HIPCUB_304000_NS8EqualityEEEPlJS6_EEE10hipError_tPvRmT3_T4_T5_T6_T7_T9_mT8_P12ihipStream_tbDpT10_ENKUlT_T0_E_clISt17integral_constantIbLb1EES17_EEDaS12_S13_EUlS12_E_NS1_11comp_targetILNS1_3genE0ELNS1_11target_archE4294967295ELNS1_3gpuE0ELNS1_3repE0EEENS1_30default_config_static_selectorELNS0_4arch9wavefront6targetE0EEEvT1_.has_indirect_call, 0
	.section	.AMDGPU.csdata,"",@progbits
; Kernel info:
; codeLenInByte = 4
; TotalNumSgprs: 0
; NumVgprs: 0
; ScratchSize: 0
; MemoryBound: 0
; FloatMode: 240
; IeeeMode: 1
; LDSByteSize: 0 bytes/workgroup (compile time only)
; SGPRBlocks: 0
; VGPRBlocks: 0
; NumSGPRsForWavesPerEU: 1
; NumVGPRsForWavesPerEU: 1
; NamedBarCnt: 0
; Occupancy: 16
; WaveLimiterHint : 0
; COMPUTE_PGM_RSRC2:SCRATCH_EN: 0
; COMPUTE_PGM_RSRC2:USER_SGPR: 2
; COMPUTE_PGM_RSRC2:TRAP_HANDLER: 0
; COMPUTE_PGM_RSRC2:TGID_X_EN: 1
; COMPUTE_PGM_RSRC2:TGID_Y_EN: 0
; COMPUTE_PGM_RSRC2:TGID_Z_EN: 0
; COMPUTE_PGM_RSRC2:TIDIG_COMP_CNT: 0
	.section	.text._ZN7rocprim17ROCPRIM_400000_NS6detail17trampoline_kernelINS0_14default_configENS1_25partition_config_selectorILNS1_17partition_subalgoE8EjNS0_10empty_typeEbEEZZNS1_14partition_implILS5_8ELb0ES3_jPKjPS6_PKS6_NS0_5tupleIJPjS6_EEENSE_IJSB_SB_EEENS0_18inequality_wrapperIN6hipcub16HIPCUB_304000_NS8EqualityEEEPlJS6_EEE10hipError_tPvRmT3_T4_T5_T6_T7_T9_mT8_P12ihipStream_tbDpT10_ENKUlT_T0_E_clISt17integral_constantIbLb1EES17_EEDaS12_S13_EUlS12_E_NS1_11comp_targetILNS1_3genE5ELNS1_11target_archE942ELNS1_3gpuE9ELNS1_3repE0EEENS1_30default_config_static_selectorELNS0_4arch9wavefront6targetE0EEEvT1_,"axG",@progbits,_ZN7rocprim17ROCPRIM_400000_NS6detail17trampoline_kernelINS0_14default_configENS1_25partition_config_selectorILNS1_17partition_subalgoE8EjNS0_10empty_typeEbEEZZNS1_14partition_implILS5_8ELb0ES3_jPKjPS6_PKS6_NS0_5tupleIJPjS6_EEENSE_IJSB_SB_EEENS0_18inequality_wrapperIN6hipcub16HIPCUB_304000_NS8EqualityEEEPlJS6_EEE10hipError_tPvRmT3_T4_T5_T6_T7_T9_mT8_P12ihipStream_tbDpT10_ENKUlT_T0_E_clISt17integral_constantIbLb1EES17_EEDaS12_S13_EUlS12_E_NS1_11comp_targetILNS1_3genE5ELNS1_11target_archE942ELNS1_3gpuE9ELNS1_3repE0EEENS1_30default_config_static_selectorELNS0_4arch9wavefront6targetE0EEEvT1_,comdat
	.protected	_ZN7rocprim17ROCPRIM_400000_NS6detail17trampoline_kernelINS0_14default_configENS1_25partition_config_selectorILNS1_17partition_subalgoE8EjNS0_10empty_typeEbEEZZNS1_14partition_implILS5_8ELb0ES3_jPKjPS6_PKS6_NS0_5tupleIJPjS6_EEENSE_IJSB_SB_EEENS0_18inequality_wrapperIN6hipcub16HIPCUB_304000_NS8EqualityEEEPlJS6_EEE10hipError_tPvRmT3_T4_T5_T6_T7_T9_mT8_P12ihipStream_tbDpT10_ENKUlT_T0_E_clISt17integral_constantIbLb1EES17_EEDaS12_S13_EUlS12_E_NS1_11comp_targetILNS1_3genE5ELNS1_11target_archE942ELNS1_3gpuE9ELNS1_3repE0EEENS1_30default_config_static_selectorELNS0_4arch9wavefront6targetE0EEEvT1_ ; -- Begin function _ZN7rocprim17ROCPRIM_400000_NS6detail17trampoline_kernelINS0_14default_configENS1_25partition_config_selectorILNS1_17partition_subalgoE8EjNS0_10empty_typeEbEEZZNS1_14partition_implILS5_8ELb0ES3_jPKjPS6_PKS6_NS0_5tupleIJPjS6_EEENSE_IJSB_SB_EEENS0_18inequality_wrapperIN6hipcub16HIPCUB_304000_NS8EqualityEEEPlJS6_EEE10hipError_tPvRmT3_T4_T5_T6_T7_T9_mT8_P12ihipStream_tbDpT10_ENKUlT_T0_E_clISt17integral_constantIbLb1EES17_EEDaS12_S13_EUlS12_E_NS1_11comp_targetILNS1_3genE5ELNS1_11target_archE942ELNS1_3gpuE9ELNS1_3repE0EEENS1_30default_config_static_selectorELNS0_4arch9wavefront6targetE0EEEvT1_
	.globl	_ZN7rocprim17ROCPRIM_400000_NS6detail17trampoline_kernelINS0_14default_configENS1_25partition_config_selectorILNS1_17partition_subalgoE8EjNS0_10empty_typeEbEEZZNS1_14partition_implILS5_8ELb0ES3_jPKjPS6_PKS6_NS0_5tupleIJPjS6_EEENSE_IJSB_SB_EEENS0_18inequality_wrapperIN6hipcub16HIPCUB_304000_NS8EqualityEEEPlJS6_EEE10hipError_tPvRmT3_T4_T5_T6_T7_T9_mT8_P12ihipStream_tbDpT10_ENKUlT_T0_E_clISt17integral_constantIbLb1EES17_EEDaS12_S13_EUlS12_E_NS1_11comp_targetILNS1_3genE5ELNS1_11target_archE942ELNS1_3gpuE9ELNS1_3repE0EEENS1_30default_config_static_selectorELNS0_4arch9wavefront6targetE0EEEvT1_
	.p2align	8
	.type	_ZN7rocprim17ROCPRIM_400000_NS6detail17trampoline_kernelINS0_14default_configENS1_25partition_config_selectorILNS1_17partition_subalgoE8EjNS0_10empty_typeEbEEZZNS1_14partition_implILS5_8ELb0ES3_jPKjPS6_PKS6_NS0_5tupleIJPjS6_EEENSE_IJSB_SB_EEENS0_18inequality_wrapperIN6hipcub16HIPCUB_304000_NS8EqualityEEEPlJS6_EEE10hipError_tPvRmT3_T4_T5_T6_T7_T9_mT8_P12ihipStream_tbDpT10_ENKUlT_T0_E_clISt17integral_constantIbLb1EES17_EEDaS12_S13_EUlS12_E_NS1_11comp_targetILNS1_3genE5ELNS1_11target_archE942ELNS1_3gpuE9ELNS1_3repE0EEENS1_30default_config_static_selectorELNS0_4arch9wavefront6targetE0EEEvT1_,@function
_ZN7rocprim17ROCPRIM_400000_NS6detail17trampoline_kernelINS0_14default_configENS1_25partition_config_selectorILNS1_17partition_subalgoE8EjNS0_10empty_typeEbEEZZNS1_14partition_implILS5_8ELb0ES3_jPKjPS6_PKS6_NS0_5tupleIJPjS6_EEENSE_IJSB_SB_EEENS0_18inequality_wrapperIN6hipcub16HIPCUB_304000_NS8EqualityEEEPlJS6_EEE10hipError_tPvRmT3_T4_T5_T6_T7_T9_mT8_P12ihipStream_tbDpT10_ENKUlT_T0_E_clISt17integral_constantIbLb1EES17_EEDaS12_S13_EUlS12_E_NS1_11comp_targetILNS1_3genE5ELNS1_11target_archE942ELNS1_3gpuE9ELNS1_3repE0EEENS1_30default_config_static_selectorELNS0_4arch9wavefront6targetE0EEEvT1_: ; @_ZN7rocprim17ROCPRIM_400000_NS6detail17trampoline_kernelINS0_14default_configENS1_25partition_config_selectorILNS1_17partition_subalgoE8EjNS0_10empty_typeEbEEZZNS1_14partition_implILS5_8ELb0ES3_jPKjPS6_PKS6_NS0_5tupleIJPjS6_EEENSE_IJSB_SB_EEENS0_18inequality_wrapperIN6hipcub16HIPCUB_304000_NS8EqualityEEEPlJS6_EEE10hipError_tPvRmT3_T4_T5_T6_T7_T9_mT8_P12ihipStream_tbDpT10_ENKUlT_T0_E_clISt17integral_constantIbLb1EES17_EEDaS12_S13_EUlS12_E_NS1_11comp_targetILNS1_3genE5ELNS1_11target_archE942ELNS1_3gpuE9ELNS1_3repE0EEENS1_30default_config_static_selectorELNS0_4arch9wavefront6targetE0EEEvT1_
; %bb.0:
	.section	.rodata,"a",@progbits
	.p2align	6, 0x0
	.amdhsa_kernel _ZN7rocprim17ROCPRIM_400000_NS6detail17trampoline_kernelINS0_14default_configENS1_25partition_config_selectorILNS1_17partition_subalgoE8EjNS0_10empty_typeEbEEZZNS1_14partition_implILS5_8ELb0ES3_jPKjPS6_PKS6_NS0_5tupleIJPjS6_EEENSE_IJSB_SB_EEENS0_18inequality_wrapperIN6hipcub16HIPCUB_304000_NS8EqualityEEEPlJS6_EEE10hipError_tPvRmT3_T4_T5_T6_T7_T9_mT8_P12ihipStream_tbDpT10_ENKUlT_T0_E_clISt17integral_constantIbLb1EES17_EEDaS12_S13_EUlS12_E_NS1_11comp_targetILNS1_3genE5ELNS1_11target_archE942ELNS1_3gpuE9ELNS1_3repE0EEENS1_30default_config_static_selectorELNS0_4arch9wavefront6targetE0EEEvT1_
		.amdhsa_group_segment_fixed_size 0
		.amdhsa_private_segment_fixed_size 0
		.amdhsa_kernarg_size 128
		.amdhsa_user_sgpr_count 2
		.amdhsa_user_sgpr_dispatch_ptr 0
		.amdhsa_user_sgpr_queue_ptr 0
		.amdhsa_user_sgpr_kernarg_segment_ptr 1
		.amdhsa_user_sgpr_dispatch_id 0
		.amdhsa_user_sgpr_kernarg_preload_length 0
		.amdhsa_user_sgpr_kernarg_preload_offset 0
		.amdhsa_user_sgpr_private_segment_size 0
		.amdhsa_wavefront_size32 1
		.amdhsa_uses_dynamic_stack 0
		.amdhsa_enable_private_segment 0
		.amdhsa_system_sgpr_workgroup_id_x 1
		.amdhsa_system_sgpr_workgroup_id_y 0
		.amdhsa_system_sgpr_workgroup_id_z 0
		.amdhsa_system_sgpr_workgroup_info 0
		.amdhsa_system_vgpr_workitem_id 0
		.amdhsa_next_free_vgpr 1
		.amdhsa_next_free_sgpr 1
		.amdhsa_named_barrier_count 0
		.amdhsa_reserve_vcc 0
		.amdhsa_float_round_mode_32 0
		.amdhsa_float_round_mode_16_64 0
		.amdhsa_float_denorm_mode_32 3
		.amdhsa_float_denorm_mode_16_64 3
		.amdhsa_fp16_overflow 0
		.amdhsa_memory_ordered 1
		.amdhsa_forward_progress 1
		.amdhsa_inst_pref_size 0
		.amdhsa_round_robin_scheduling 0
		.amdhsa_exception_fp_ieee_invalid_op 0
		.amdhsa_exception_fp_denorm_src 0
		.amdhsa_exception_fp_ieee_div_zero 0
		.amdhsa_exception_fp_ieee_overflow 0
		.amdhsa_exception_fp_ieee_underflow 0
		.amdhsa_exception_fp_ieee_inexact 0
		.amdhsa_exception_int_div_zero 0
	.end_amdhsa_kernel
	.section	.text._ZN7rocprim17ROCPRIM_400000_NS6detail17trampoline_kernelINS0_14default_configENS1_25partition_config_selectorILNS1_17partition_subalgoE8EjNS0_10empty_typeEbEEZZNS1_14partition_implILS5_8ELb0ES3_jPKjPS6_PKS6_NS0_5tupleIJPjS6_EEENSE_IJSB_SB_EEENS0_18inequality_wrapperIN6hipcub16HIPCUB_304000_NS8EqualityEEEPlJS6_EEE10hipError_tPvRmT3_T4_T5_T6_T7_T9_mT8_P12ihipStream_tbDpT10_ENKUlT_T0_E_clISt17integral_constantIbLb1EES17_EEDaS12_S13_EUlS12_E_NS1_11comp_targetILNS1_3genE5ELNS1_11target_archE942ELNS1_3gpuE9ELNS1_3repE0EEENS1_30default_config_static_selectorELNS0_4arch9wavefront6targetE0EEEvT1_,"axG",@progbits,_ZN7rocprim17ROCPRIM_400000_NS6detail17trampoline_kernelINS0_14default_configENS1_25partition_config_selectorILNS1_17partition_subalgoE8EjNS0_10empty_typeEbEEZZNS1_14partition_implILS5_8ELb0ES3_jPKjPS6_PKS6_NS0_5tupleIJPjS6_EEENSE_IJSB_SB_EEENS0_18inequality_wrapperIN6hipcub16HIPCUB_304000_NS8EqualityEEEPlJS6_EEE10hipError_tPvRmT3_T4_T5_T6_T7_T9_mT8_P12ihipStream_tbDpT10_ENKUlT_T0_E_clISt17integral_constantIbLb1EES17_EEDaS12_S13_EUlS12_E_NS1_11comp_targetILNS1_3genE5ELNS1_11target_archE942ELNS1_3gpuE9ELNS1_3repE0EEENS1_30default_config_static_selectorELNS0_4arch9wavefront6targetE0EEEvT1_,comdat
.Lfunc_end626:
	.size	_ZN7rocprim17ROCPRIM_400000_NS6detail17trampoline_kernelINS0_14default_configENS1_25partition_config_selectorILNS1_17partition_subalgoE8EjNS0_10empty_typeEbEEZZNS1_14partition_implILS5_8ELb0ES3_jPKjPS6_PKS6_NS0_5tupleIJPjS6_EEENSE_IJSB_SB_EEENS0_18inequality_wrapperIN6hipcub16HIPCUB_304000_NS8EqualityEEEPlJS6_EEE10hipError_tPvRmT3_T4_T5_T6_T7_T9_mT8_P12ihipStream_tbDpT10_ENKUlT_T0_E_clISt17integral_constantIbLb1EES17_EEDaS12_S13_EUlS12_E_NS1_11comp_targetILNS1_3genE5ELNS1_11target_archE942ELNS1_3gpuE9ELNS1_3repE0EEENS1_30default_config_static_selectorELNS0_4arch9wavefront6targetE0EEEvT1_, .Lfunc_end626-_ZN7rocprim17ROCPRIM_400000_NS6detail17trampoline_kernelINS0_14default_configENS1_25partition_config_selectorILNS1_17partition_subalgoE8EjNS0_10empty_typeEbEEZZNS1_14partition_implILS5_8ELb0ES3_jPKjPS6_PKS6_NS0_5tupleIJPjS6_EEENSE_IJSB_SB_EEENS0_18inequality_wrapperIN6hipcub16HIPCUB_304000_NS8EqualityEEEPlJS6_EEE10hipError_tPvRmT3_T4_T5_T6_T7_T9_mT8_P12ihipStream_tbDpT10_ENKUlT_T0_E_clISt17integral_constantIbLb1EES17_EEDaS12_S13_EUlS12_E_NS1_11comp_targetILNS1_3genE5ELNS1_11target_archE942ELNS1_3gpuE9ELNS1_3repE0EEENS1_30default_config_static_selectorELNS0_4arch9wavefront6targetE0EEEvT1_
                                        ; -- End function
	.set _ZN7rocprim17ROCPRIM_400000_NS6detail17trampoline_kernelINS0_14default_configENS1_25partition_config_selectorILNS1_17partition_subalgoE8EjNS0_10empty_typeEbEEZZNS1_14partition_implILS5_8ELb0ES3_jPKjPS6_PKS6_NS0_5tupleIJPjS6_EEENSE_IJSB_SB_EEENS0_18inequality_wrapperIN6hipcub16HIPCUB_304000_NS8EqualityEEEPlJS6_EEE10hipError_tPvRmT3_T4_T5_T6_T7_T9_mT8_P12ihipStream_tbDpT10_ENKUlT_T0_E_clISt17integral_constantIbLb1EES17_EEDaS12_S13_EUlS12_E_NS1_11comp_targetILNS1_3genE5ELNS1_11target_archE942ELNS1_3gpuE9ELNS1_3repE0EEENS1_30default_config_static_selectorELNS0_4arch9wavefront6targetE0EEEvT1_.num_vgpr, 0
	.set _ZN7rocprim17ROCPRIM_400000_NS6detail17trampoline_kernelINS0_14default_configENS1_25partition_config_selectorILNS1_17partition_subalgoE8EjNS0_10empty_typeEbEEZZNS1_14partition_implILS5_8ELb0ES3_jPKjPS6_PKS6_NS0_5tupleIJPjS6_EEENSE_IJSB_SB_EEENS0_18inequality_wrapperIN6hipcub16HIPCUB_304000_NS8EqualityEEEPlJS6_EEE10hipError_tPvRmT3_T4_T5_T6_T7_T9_mT8_P12ihipStream_tbDpT10_ENKUlT_T0_E_clISt17integral_constantIbLb1EES17_EEDaS12_S13_EUlS12_E_NS1_11comp_targetILNS1_3genE5ELNS1_11target_archE942ELNS1_3gpuE9ELNS1_3repE0EEENS1_30default_config_static_selectorELNS0_4arch9wavefront6targetE0EEEvT1_.num_agpr, 0
	.set _ZN7rocprim17ROCPRIM_400000_NS6detail17trampoline_kernelINS0_14default_configENS1_25partition_config_selectorILNS1_17partition_subalgoE8EjNS0_10empty_typeEbEEZZNS1_14partition_implILS5_8ELb0ES3_jPKjPS6_PKS6_NS0_5tupleIJPjS6_EEENSE_IJSB_SB_EEENS0_18inequality_wrapperIN6hipcub16HIPCUB_304000_NS8EqualityEEEPlJS6_EEE10hipError_tPvRmT3_T4_T5_T6_T7_T9_mT8_P12ihipStream_tbDpT10_ENKUlT_T0_E_clISt17integral_constantIbLb1EES17_EEDaS12_S13_EUlS12_E_NS1_11comp_targetILNS1_3genE5ELNS1_11target_archE942ELNS1_3gpuE9ELNS1_3repE0EEENS1_30default_config_static_selectorELNS0_4arch9wavefront6targetE0EEEvT1_.numbered_sgpr, 0
	.set _ZN7rocprim17ROCPRIM_400000_NS6detail17trampoline_kernelINS0_14default_configENS1_25partition_config_selectorILNS1_17partition_subalgoE8EjNS0_10empty_typeEbEEZZNS1_14partition_implILS5_8ELb0ES3_jPKjPS6_PKS6_NS0_5tupleIJPjS6_EEENSE_IJSB_SB_EEENS0_18inequality_wrapperIN6hipcub16HIPCUB_304000_NS8EqualityEEEPlJS6_EEE10hipError_tPvRmT3_T4_T5_T6_T7_T9_mT8_P12ihipStream_tbDpT10_ENKUlT_T0_E_clISt17integral_constantIbLb1EES17_EEDaS12_S13_EUlS12_E_NS1_11comp_targetILNS1_3genE5ELNS1_11target_archE942ELNS1_3gpuE9ELNS1_3repE0EEENS1_30default_config_static_selectorELNS0_4arch9wavefront6targetE0EEEvT1_.num_named_barrier, 0
	.set _ZN7rocprim17ROCPRIM_400000_NS6detail17trampoline_kernelINS0_14default_configENS1_25partition_config_selectorILNS1_17partition_subalgoE8EjNS0_10empty_typeEbEEZZNS1_14partition_implILS5_8ELb0ES3_jPKjPS6_PKS6_NS0_5tupleIJPjS6_EEENSE_IJSB_SB_EEENS0_18inequality_wrapperIN6hipcub16HIPCUB_304000_NS8EqualityEEEPlJS6_EEE10hipError_tPvRmT3_T4_T5_T6_T7_T9_mT8_P12ihipStream_tbDpT10_ENKUlT_T0_E_clISt17integral_constantIbLb1EES17_EEDaS12_S13_EUlS12_E_NS1_11comp_targetILNS1_3genE5ELNS1_11target_archE942ELNS1_3gpuE9ELNS1_3repE0EEENS1_30default_config_static_selectorELNS0_4arch9wavefront6targetE0EEEvT1_.private_seg_size, 0
	.set _ZN7rocprim17ROCPRIM_400000_NS6detail17trampoline_kernelINS0_14default_configENS1_25partition_config_selectorILNS1_17partition_subalgoE8EjNS0_10empty_typeEbEEZZNS1_14partition_implILS5_8ELb0ES3_jPKjPS6_PKS6_NS0_5tupleIJPjS6_EEENSE_IJSB_SB_EEENS0_18inequality_wrapperIN6hipcub16HIPCUB_304000_NS8EqualityEEEPlJS6_EEE10hipError_tPvRmT3_T4_T5_T6_T7_T9_mT8_P12ihipStream_tbDpT10_ENKUlT_T0_E_clISt17integral_constantIbLb1EES17_EEDaS12_S13_EUlS12_E_NS1_11comp_targetILNS1_3genE5ELNS1_11target_archE942ELNS1_3gpuE9ELNS1_3repE0EEENS1_30default_config_static_selectorELNS0_4arch9wavefront6targetE0EEEvT1_.uses_vcc, 0
	.set _ZN7rocprim17ROCPRIM_400000_NS6detail17trampoline_kernelINS0_14default_configENS1_25partition_config_selectorILNS1_17partition_subalgoE8EjNS0_10empty_typeEbEEZZNS1_14partition_implILS5_8ELb0ES3_jPKjPS6_PKS6_NS0_5tupleIJPjS6_EEENSE_IJSB_SB_EEENS0_18inequality_wrapperIN6hipcub16HIPCUB_304000_NS8EqualityEEEPlJS6_EEE10hipError_tPvRmT3_T4_T5_T6_T7_T9_mT8_P12ihipStream_tbDpT10_ENKUlT_T0_E_clISt17integral_constantIbLb1EES17_EEDaS12_S13_EUlS12_E_NS1_11comp_targetILNS1_3genE5ELNS1_11target_archE942ELNS1_3gpuE9ELNS1_3repE0EEENS1_30default_config_static_selectorELNS0_4arch9wavefront6targetE0EEEvT1_.uses_flat_scratch, 0
	.set _ZN7rocprim17ROCPRIM_400000_NS6detail17trampoline_kernelINS0_14default_configENS1_25partition_config_selectorILNS1_17partition_subalgoE8EjNS0_10empty_typeEbEEZZNS1_14partition_implILS5_8ELb0ES3_jPKjPS6_PKS6_NS0_5tupleIJPjS6_EEENSE_IJSB_SB_EEENS0_18inequality_wrapperIN6hipcub16HIPCUB_304000_NS8EqualityEEEPlJS6_EEE10hipError_tPvRmT3_T4_T5_T6_T7_T9_mT8_P12ihipStream_tbDpT10_ENKUlT_T0_E_clISt17integral_constantIbLb1EES17_EEDaS12_S13_EUlS12_E_NS1_11comp_targetILNS1_3genE5ELNS1_11target_archE942ELNS1_3gpuE9ELNS1_3repE0EEENS1_30default_config_static_selectorELNS0_4arch9wavefront6targetE0EEEvT1_.has_dyn_sized_stack, 0
	.set _ZN7rocprim17ROCPRIM_400000_NS6detail17trampoline_kernelINS0_14default_configENS1_25partition_config_selectorILNS1_17partition_subalgoE8EjNS0_10empty_typeEbEEZZNS1_14partition_implILS5_8ELb0ES3_jPKjPS6_PKS6_NS0_5tupleIJPjS6_EEENSE_IJSB_SB_EEENS0_18inequality_wrapperIN6hipcub16HIPCUB_304000_NS8EqualityEEEPlJS6_EEE10hipError_tPvRmT3_T4_T5_T6_T7_T9_mT8_P12ihipStream_tbDpT10_ENKUlT_T0_E_clISt17integral_constantIbLb1EES17_EEDaS12_S13_EUlS12_E_NS1_11comp_targetILNS1_3genE5ELNS1_11target_archE942ELNS1_3gpuE9ELNS1_3repE0EEENS1_30default_config_static_selectorELNS0_4arch9wavefront6targetE0EEEvT1_.has_recursion, 0
	.set _ZN7rocprim17ROCPRIM_400000_NS6detail17trampoline_kernelINS0_14default_configENS1_25partition_config_selectorILNS1_17partition_subalgoE8EjNS0_10empty_typeEbEEZZNS1_14partition_implILS5_8ELb0ES3_jPKjPS6_PKS6_NS0_5tupleIJPjS6_EEENSE_IJSB_SB_EEENS0_18inequality_wrapperIN6hipcub16HIPCUB_304000_NS8EqualityEEEPlJS6_EEE10hipError_tPvRmT3_T4_T5_T6_T7_T9_mT8_P12ihipStream_tbDpT10_ENKUlT_T0_E_clISt17integral_constantIbLb1EES17_EEDaS12_S13_EUlS12_E_NS1_11comp_targetILNS1_3genE5ELNS1_11target_archE942ELNS1_3gpuE9ELNS1_3repE0EEENS1_30default_config_static_selectorELNS0_4arch9wavefront6targetE0EEEvT1_.has_indirect_call, 0
	.section	.AMDGPU.csdata,"",@progbits
; Kernel info:
; codeLenInByte = 0
; TotalNumSgprs: 0
; NumVgprs: 0
; ScratchSize: 0
; MemoryBound: 0
; FloatMode: 240
; IeeeMode: 1
; LDSByteSize: 0 bytes/workgroup (compile time only)
; SGPRBlocks: 0
; VGPRBlocks: 0
; NumSGPRsForWavesPerEU: 1
; NumVGPRsForWavesPerEU: 1
; NamedBarCnt: 0
; Occupancy: 16
; WaveLimiterHint : 0
; COMPUTE_PGM_RSRC2:SCRATCH_EN: 0
; COMPUTE_PGM_RSRC2:USER_SGPR: 2
; COMPUTE_PGM_RSRC2:TRAP_HANDLER: 0
; COMPUTE_PGM_RSRC2:TGID_X_EN: 1
; COMPUTE_PGM_RSRC2:TGID_Y_EN: 0
; COMPUTE_PGM_RSRC2:TGID_Z_EN: 0
; COMPUTE_PGM_RSRC2:TIDIG_COMP_CNT: 0
	.section	.text._ZN7rocprim17ROCPRIM_400000_NS6detail17trampoline_kernelINS0_14default_configENS1_25partition_config_selectorILNS1_17partition_subalgoE8EjNS0_10empty_typeEbEEZZNS1_14partition_implILS5_8ELb0ES3_jPKjPS6_PKS6_NS0_5tupleIJPjS6_EEENSE_IJSB_SB_EEENS0_18inequality_wrapperIN6hipcub16HIPCUB_304000_NS8EqualityEEEPlJS6_EEE10hipError_tPvRmT3_T4_T5_T6_T7_T9_mT8_P12ihipStream_tbDpT10_ENKUlT_T0_E_clISt17integral_constantIbLb1EES17_EEDaS12_S13_EUlS12_E_NS1_11comp_targetILNS1_3genE4ELNS1_11target_archE910ELNS1_3gpuE8ELNS1_3repE0EEENS1_30default_config_static_selectorELNS0_4arch9wavefront6targetE0EEEvT1_,"axG",@progbits,_ZN7rocprim17ROCPRIM_400000_NS6detail17trampoline_kernelINS0_14default_configENS1_25partition_config_selectorILNS1_17partition_subalgoE8EjNS0_10empty_typeEbEEZZNS1_14partition_implILS5_8ELb0ES3_jPKjPS6_PKS6_NS0_5tupleIJPjS6_EEENSE_IJSB_SB_EEENS0_18inequality_wrapperIN6hipcub16HIPCUB_304000_NS8EqualityEEEPlJS6_EEE10hipError_tPvRmT3_T4_T5_T6_T7_T9_mT8_P12ihipStream_tbDpT10_ENKUlT_T0_E_clISt17integral_constantIbLb1EES17_EEDaS12_S13_EUlS12_E_NS1_11comp_targetILNS1_3genE4ELNS1_11target_archE910ELNS1_3gpuE8ELNS1_3repE0EEENS1_30default_config_static_selectorELNS0_4arch9wavefront6targetE0EEEvT1_,comdat
	.protected	_ZN7rocprim17ROCPRIM_400000_NS6detail17trampoline_kernelINS0_14default_configENS1_25partition_config_selectorILNS1_17partition_subalgoE8EjNS0_10empty_typeEbEEZZNS1_14partition_implILS5_8ELb0ES3_jPKjPS6_PKS6_NS0_5tupleIJPjS6_EEENSE_IJSB_SB_EEENS0_18inequality_wrapperIN6hipcub16HIPCUB_304000_NS8EqualityEEEPlJS6_EEE10hipError_tPvRmT3_T4_T5_T6_T7_T9_mT8_P12ihipStream_tbDpT10_ENKUlT_T0_E_clISt17integral_constantIbLb1EES17_EEDaS12_S13_EUlS12_E_NS1_11comp_targetILNS1_3genE4ELNS1_11target_archE910ELNS1_3gpuE8ELNS1_3repE0EEENS1_30default_config_static_selectorELNS0_4arch9wavefront6targetE0EEEvT1_ ; -- Begin function _ZN7rocprim17ROCPRIM_400000_NS6detail17trampoline_kernelINS0_14default_configENS1_25partition_config_selectorILNS1_17partition_subalgoE8EjNS0_10empty_typeEbEEZZNS1_14partition_implILS5_8ELb0ES3_jPKjPS6_PKS6_NS0_5tupleIJPjS6_EEENSE_IJSB_SB_EEENS0_18inequality_wrapperIN6hipcub16HIPCUB_304000_NS8EqualityEEEPlJS6_EEE10hipError_tPvRmT3_T4_T5_T6_T7_T9_mT8_P12ihipStream_tbDpT10_ENKUlT_T0_E_clISt17integral_constantIbLb1EES17_EEDaS12_S13_EUlS12_E_NS1_11comp_targetILNS1_3genE4ELNS1_11target_archE910ELNS1_3gpuE8ELNS1_3repE0EEENS1_30default_config_static_selectorELNS0_4arch9wavefront6targetE0EEEvT1_
	.globl	_ZN7rocprim17ROCPRIM_400000_NS6detail17trampoline_kernelINS0_14default_configENS1_25partition_config_selectorILNS1_17partition_subalgoE8EjNS0_10empty_typeEbEEZZNS1_14partition_implILS5_8ELb0ES3_jPKjPS6_PKS6_NS0_5tupleIJPjS6_EEENSE_IJSB_SB_EEENS0_18inequality_wrapperIN6hipcub16HIPCUB_304000_NS8EqualityEEEPlJS6_EEE10hipError_tPvRmT3_T4_T5_T6_T7_T9_mT8_P12ihipStream_tbDpT10_ENKUlT_T0_E_clISt17integral_constantIbLb1EES17_EEDaS12_S13_EUlS12_E_NS1_11comp_targetILNS1_3genE4ELNS1_11target_archE910ELNS1_3gpuE8ELNS1_3repE0EEENS1_30default_config_static_selectorELNS0_4arch9wavefront6targetE0EEEvT1_
	.p2align	8
	.type	_ZN7rocprim17ROCPRIM_400000_NS6detail17trampoline_kernelINS0_14default_configENS1_25partition_config_selectorILNS1_17partition_subalgoE8EjNS0_10empty_typeEbEEZZNS1_14partition_implILS5_8ELb0ES3_jPKjPS6_PKS6_NS0_5tupleIJPjS6_EEENSE_IJSB_SB_EEENS0_18inequality_wrapperIN6hipcub16HIPCUB_304000_NS8EqualityEEEPlJS6_EEE10hipError_tPvRmT3_T4_T5_T6_T7_T9_mT8_P12ihipStream_tbDpT10_ENKUlT_T0_E_clISt17integral_constantIbLb1EES17_EEDaS12_S13_EUlS12_E_NS1_11comp_targetILNS1_3genE4ELNS1_11target_archE910ELNS1_3gpuE8ELNS1_3repE0EEENS1_30default_config_static_selectorELNS0_4arch9wavefront6targetE0EEEvT1_,@function
_ZN7rocprim17ROCPRIM_400000_NS6detail17trampoline_kernelINS0_14default_configENS1_25partition_config_selectorILNS1_17partition_subalgoE8EjNS0_10empty_typeEbEEZZNS1_14partition_implILS5_8ELb0ES3_jPKjPS6_PKS6_NS0_5tupleIJPjS6_EEENSE_IJSB_SB_EEENS0_18inequality_wrapperIN6hipcub16HIPCUB_304000_NS8EqualityEEEPlJS6_EEE10hipError_tPvRmT3_T4_T5_T6_T7_T9_mT8_P12ihipStream_tbDpT10_ENKUlT_T0_E_clISt17integral_constantIbLb1EES17_EEDaS12_S13_EUlS12_E_NS1_11comp_targetILNS1_3genE4ELNS1_11target_archE910ELNS1_3gpuE8ELNS1_3repE0EEENS1_30default_config_static_selectorELNS0_4arch9wavefront6targetE0EEEvT1_: ; @_ZN7rocprim17ROCPRIM_400000_NS6detail17trampoline_kernelINS0_14default_configENS1_25partition_config_selectorILNS1_17partition_subalgoE8EjNS0_10empty_typeEbEEZZNS1_14partition_implILS5_8ELb0ES3_jPKjPS6_PKS6_NS0_5tupleIJPjS6_EEENSE_IJSB_SB_EEENS0_18inequality_wrapperIN6hipcub16HIPCUB_304000_NS8EqualityEEEPlJS6_EEE10hipError_tPvRmT3_T4_T5_T6_T7_T9_mT8_P12ihipStream_tbDpT10_ENKUlT_T0_E_clISt17integral_constantIbLb1EES17_EEDaS12_S13_EUlS12_E_NS1_11comp_targetILNS1_3genE4ELNS1_11target_archE910ELNS1_3gpuE8ELNS1_3repE0EEENS1_30default_config_static_selectorELNS0_4arch9wavefront6targetE0EEEvT1_
; %bb.0:
	.section	.rodata,"a",@progbits
	.p2align	6, 0x0
	.amdhsa_kernel _ZN7rocprim17ROCPRIM_400000_NS6detail17trampoline_kernelINS0_14default_configENS1_25partition_config_selectorILNS1_17partition_subalgoE8EjNS0_10empty_typeEbEEZZNS1_14partition_implILS5_8ELb0ES3_jPKjPS6_PKS6_NS0_5tupleIJPjS6_EEENSE_IJSB_SB_EEENS0_18inequality_wrapperIN6hipcub16HIPCUB_304000_NS8EqualityEEEPlJS6_EEE10hipError_tPvRmT3_T4_T5_T6_T7_T9_mT8_P12ihipStream_tbDpT10_ENKUlT_T0_E_clISt17integral_constantIbLb1EES17_EEDaS12_S13_EUlS12_E_NS1_11comp_targetILNS1_3genE4ELNS1_11target_archE910ELNS1_3gpuE8ELNS1_3repE0EEENS1_30default_config_static_selectorELNS0_4arch9wavefront6targetE0EEEvT1_
		.amdhsa_group_segment_fixed_size 0
		.amdhsa_private_segment_fixed_size 0
		.amdhsa_kernarg_size 128
		.amdhsa_user_sgpr_count 2
		.amdhsa_user_sgpr_dispatch_ptr 0
		.amdhsa_user_sgpr_queue_ptr 0
		.amdhsa_user_sgpr_kernarg_segment_ptr 1
		.amdhsa_user_sgpr_dispatch_id 0
		.amdhsa_user_sgpr_kernarg_preload_length 0
		.amdhsa_user_sgpr_kernarg_preload_offset 0
		.amdhsa_user_sgpr_private_segment_size 0
		.amdhsa_wavefront_size32 1
		.amdhsa_uses_dynamic_stack 0
		.amdhsa_enable_private_segment 0
		.amdhsa_system_sgpr_workgroup_id_x 1
		.amdhsa_system_sgpr_workgroup_id_y 0
		.amdhsa_system_sgpr_workgroup_id_z 0
		.amdhsa_system_sgpr_workgroup_info 0
		.amdhsa_system_vgpr_workitem_id 0
		.amdhsa_next_free_vgpr 1
		.amdhsa_next_free_sgpr 1
		.amdhsa_named_barrier_count 0
		.amdhsa_reserve_vcc 0
		.amdhsa_float_round_mode_32 0
		.amdhsa_float_round_mode_16_64 0
		.amdhsa_float_denorm_mode_32 3
		.amdhsa_float_denorm_mode_16_64 3
		.amdhsa_fp16_overflow 0
		.amdhsa_memory_ordered 1
		.amdhsa_forward_progress 1
		.amdhsa_inst_pref_size 0
		.amdhsa_round_robin_scheduling 0
		.amdhsa_exception_fp_ieee_invalid_op 0
		.amdhsa_exception_fp_denorm_src 0
		.amdhsa_exception_fp_ieee_div_zero 0
		.amdhsa_exception_fp_ieee_overflow 0
		.amdhsa_exception_fp_ieee_underflow 0
		.amdhsa_exception_fp_ieee_inexact 0
		.amdhsa_exception_int_div_zero 0
	.end_amdhsa_kernel
	.section	.text._ZN7rocprim17ROCPRIM_400000_NS6detail17trampoline_kernelINS0_14default_configENS1_25partition_config_selectorILNS1_17partition_subalgoE8EjNS0_10empty_typeEbEEZZNS1_14partition_implILS5_8ELb0ES3_jPKjPS6_PKS6_NS0_5tupleIJPjS6_EEENSE_IJSB_SB_EEENS0_18inequality_wrapperIN6hipcub16HIPCUB_304000_NS8EqualityEEEPlJS6_EEE10hipError_tPvRmT3_T4_T5_T6_T7_T9_mT8_P12ihipStream_tbDpT10_ENKUlT_T0_E_clISt17integral_constantIbLb1EES17_EEDaS12_S13_EUlS12_E_NS1_11comp_targetILNS1_3genE4ELNS1_11target_archE910ELNS1_3gpuE8ELNS1_3repE0EEENS1_30default_config_static_selectorELNS0_4arch9wavefront6targetE0EEEvT1_,"axG",@progbits,_ZN7rocprim17ROCPRIM_400000_NS6detail17trampoline_kernelINS0_14default_configENS1_25partition_config_selectorILNS1_17partition_subalgoE8EjNS0_10empty_typeEbEEZZNS1_14partition_implILS5_8ELb0ES3_jPKjPS6_PKS6_NS0_5tupleIJPjS6_EEENSE_IJSB_SB_EEENS0_18inequality_wrapperIN6hipcub16HIPCUB_304000_NS8EqualityEEEPlJS6_EEE10hipError_tPvRmT3_T4_T5_T6_T7_T9_mT8_P12ihipStream_tbDpT10_ENKUlT_T0_E_clISt17integral_constantIbLb1EES17_EEDaS12_S13_EUlS12_E_NS1_11comp_targetILNS1_3genE4ELNS1_11target_archE910ELNS1_3gpuE8ELNS1_3repE0EEENS1_30default_config_static_selectorELNS0_4arch9wavefront6targetE0EEEvT1_,comdat
.Lfunc_end627:
	.size	_ZN7rocprim17ROCPRIM_400000_NS6detail17trampoline_kernelINS0_14default_configENS1_25partition_config_selectorILNS1_17partition_subalgoE8EjNS0_10empty_typeEbEEZZNS1_14partition_implILS5_8ELb0ES3_jPKjPS6_PKS6_NS0_5tupleIJPjS6_EEENSE_IJSB_SB_EEENS0_18inequality_wrapperIN6hipcub16HIPCUB_304000_NS8EqualityEEEPlJS6_EEE10hipError_tPvRmT3_T4_T5_T6_T7_T9_mT8_P12ihipStream_tbDpT10_ENKUlT_T0_E_clISt17integral_constantIbLb1EES17_EEDaS12_S13_EUlS12_E_NS1_11comp_targetILNS1_3genE4ELNS1_11target_archE910ELNS1_3gpuE8ELNS1_3repE0EEENS1_30default_config_static_selectorELNS0_4arch9wavefront6targetE0EEEvT1_, .Lfunc_end627-_ZN7rocprim17ROCPRIM_400000_NS6detail17trampoline_kernelINS0_14default_configENS1_25partition_config_selectorILNS1_17partition_subalgoE8EjNS0_10empty_typeEbEEZZNS1_14partition_implILS5_8ELb0ES3_jPKjPS6_PKS6_NS0_5tupleIJPjS6_EEENSE_IJSB_SB_EEENS0_18inequality_wrapperIN6hipcub16HIPCUB_304000_NS8EqualityEEEPlJS6_EEE10hipError_tPvRmT3_T4_T5_T6_T7_T9_mT8_P12ihipStream_tbDpT10_ENKUlT_T0_E_clISt17integral_constantIbLb1EES17_EEDaS12_S13_EUlS12_E_NS1_11comp_targetILNS1_3genE4ELNS1_11target_archE910ELNS1_3gpuE8ELNS1_3repE0EEENS1_30default_config_static_selectorELNS0_4arch9wavefront6targetE0EEEvT1_
                                        ; -- End function
	.set _ZN7rocprim17ROCPRIM_400000_NS6detail17trampoline_kernelINS0_14default_configENS1_25partition_config_selectorILNS1_17partition_subalgoE8EjNS0_10empty_typeEbEEZZNS1_14partition_implILS5_8ELb0ES3_jPKjPS6_PKS6_NS0_5tupleIJPjS6_EEENSE_IJSB_SB_EEENS0_18inequality_wrapperIN6hipcub16HIPCUB_304000_NS8EqualityEEEPlJS6_EEE10hipError_tPvRmT3_T4_T5_T6_T7_T9_mT8_P12ihipStream_tbDpT10_ENKUlT_T0_E_clISt17integral_constantIbLb1EES17_EEDaS12_S13_EUlS12_E_NS1_11comp_targetILNS1_3genE4ELNS1_11target_archE910ELNS1_3gpuE8ELNS1_3repE0EEENS1_30default_config_static_selectorELNS0_4arch9wavefront6targetE0EEEvT1_.num_vgpr, 0
	.set _ZN7rocprim17ROCPRIM_400000_NS6detail17trampoline_kernelINS0_14default_configENS1_25partition_config_selectorILNS1_17partition_subalgoE8EjNS0_10empty_typeEbEEZZNS1_14partition_implILS5_8ELb0ES3_jPKjPS6_PKS6_NS0_5tupleIJPjS6_EEENSE_IJSB_SB_EEENS0_18inequality_wrapperIN6hipcub16HIPCUB_304000_NS8EqualityEEEPlJS6_EEE10hipError_tPvRmT3_T4_T5_T6_T7_T9_mT8_P12ihipStream_tbDpT10_ENKUlT_T0_E_clISt17integral_constantIbLb1EES17_EEDaS12_S13_EUlS12_E_NS1_11comp_targetILNS1_3genE4ELNS1_11target_archE910ELNS1_3gpuE8ELNS1_3repE0EEENS1_30default_config_static_selectorELNS0_4arch9wavefront6targetE0EEEvT1_.num_agpr, 0
	.set _ZN7rocprim17ROCPRIM_400000_NS6detail17trampoline_kernelINS0_14default_configENS1_25partition_config_selectorILNS1_17partition_subalgoE8EjNS0_10empty_typeEbEEZZNS1_14partition_implILS5_8ELb0ES3_jPKjPS6_PKS6_NS0_5tupleIJPjS6_EEENSE_IJSB_SB_EEENS0_18inequality_wrapperIN6hipcub16HIPCUB_304000_NS8EqualityEEEPlJS6_EEE10hipError_tPvRmT3_T4_T5_T6_T7_T9_mT8_P12ihipStream_tbDpT10_ENKUlT_T0_E_clISt17integral_constantIbLb1EES17_EEDaS12_S13_EUlS12_E_NS1_11comp_targetILNS1_3genE4ELNS1_11target_archE910ELNS1_3gpuE8ELNS1_3repE0EEENS1_30default_config_static_selectorELNS0_4arch9wavefront6targetE0EEEvT1_.numbered_sgpr, 0
	.set _ZN7rocprim17ROCPRIM_400000_NS6detail17trampoline_kernelINS0_14default_configENS1_25partition_config_selectorILNS1_17partition_subalgoE8EjNS0_10empty_typeEbEEZZNS1_14partition_implILS5_8ELb0ES3_jPKjPS6_PKS6_NS0_5tupleIJPjS6_EEENSE_IJSB_SB_EEENS0_18inequality_wrapperIN6hipcub16HIPCUB_304000_NS8EqualityEEEPlJS6_EEE10hipError_tPvRmT3_T4_T5_T6_T7_T9_mT8_P12ihipStream_tbDpT10_ENKUlT_T0_E_clISt17integral_constantIbLb1EES17_EEDaS12_S13_EUlS12_E_NS1_11comp_targetILNS1_3genE4ELNS1_11target_archE910ELNS1_3gpuE8ELNS1_3repE0EEENS1_30default_config_static_selectorELNS0_4arch9wavefront6targetE0EEEvT1_.num_named_barrier, 0
	.set _ZN7rocprim17ROCPRIM_400000_NS6detail17trampoline_kernelINS0_14default_configENS1_25partition_config_selectorILNS1_17partition_subalgoE8EjNS0_10empty_typeEbEEZZNS1_14partition_implILS5_8ELb0ES3_jPKjPS6_PKS6_NS0_5tupleIJPjS6_EEENSE_IJSB_SB_EEENS0_18inequality_wrapperIN6hipcub16HIPCUB_304000_NS8EqualityEEEPlJS6_EEE10hipError_tPvRmT3_T4_T5_T6_T7_T9_mT8_P12ihipStream_tbDpT10_ENKUlT_T0_E_clISt17integral_constantIbLb1EES17_EEDaS12_S13_EUlS12_E_NS1_11comp_targetILNS1_3genE4ELNS1_11target_archE910ELNS1_3gpuE8ELNS1_3repE0EEENS1_30default_config_static_selectorELNS0_4arch9wavefront6targetE0EEEvT1_.private_seg_size, 0
	.set _ZN7rocprim17ROCPRIM_400000_NS6detail17trampoline_kernelINS0_14default_configENS1_25partition_config_selectorILNS1_17partition_subalgoE8EjNS0_10empty_typeEbEEZZNS1_14partition_implILS5_8ELb0ES3_jPKjPS6_PKS6_NS0_5tupleIJPjS6_EEENSE_IJSB_SB_EEENS0_18inequality_wrapperIN6hipcub16HIPCUB_304000_NS8EqualityEEEPlJS6_EEE10hipError_tPvRmT3_T4_T5_T6_T7_T9_mT8_P12ihipStream_tbDpT10_ENKUlT_T0_E_clISt17integral_constantIbLb1EES17_EEDaS12_S13_EUlS12_E_NS1_11comp_targetILNS1_3genE4ELNS1_11target_archE910ELNS1_3gpuE8ELNS1_3repE0EEENS1_30default_config_static_selectorELNS0_4arch9wavefront6targetE0EEEvT1_.uses_vcc, 0
	.set _ZN7rocprim17ROCPRIM_400000_NS6detail17trampoline_kernelINS0_14default_configENS1_25partition_config_selectorILNS1_17partition_subalgoE8EjNS0_10empty_typeEbEEZZNS1_14partition_implILS5_8ELb0ES3_jPKjPS6_PKS6_NS0_5tupleIJPjS6_EEENSE_IJSB_SB_EEENS0_18inequality_wrapperIN6hipcub16HIPCUB_304000_NS8EqualityEEEPlJS6_EEE10hipError_tPvRmT3_T4_T5_T6_T7_T9_mT8_P12ihipStream_tbDpT10_ENKUlT_T0_E_clISt17integral_constantIbLb1EES17_EEDaS12_S13_EUlS12_E_NS1_11comp_targetILNS1_3genE4ELNS1_11target_archE910ELNS1_3gpuE8ELNS1_3repE0EEENS1_30default_config_static_selectorELNS0_4arch9wavefront6targetE0EEEvT1_.uses_flat_scratch, 0
	.set _ZN7rocprim17ROCPRIM_400000_NS6detail17trampoline_kernelINS0_14default_configENS1_25partition_config_selectorILNS1_17partition_subalgoE8EjNS0_10empty_typeEbEEZZNS1_14partition_implILS5_8ELb0ES3_jPKjPS6_PKS6_NS0_5tupleIJPjS6_EEENSE_IJSB_SB_EEENS0_18inequality_wrapperIN6hipcub16HIPCUB_304000_NS8EqualityEEEPlJS6_EEE10hipError_tPvRmT3_T4_T5_T6_T7_T9_mT8_P12ihipStream_tbDpT10_ENKUlT_T0_E_clISt17integral_constantIbLb1EES17_EEDaS12_S13_EUlS12_E_NS1_11comp_targetILNS1_3genE4ELNS1_11target_archE910ELNS1_3gpuE8ELNS1_3repE0EEENS1_30default_config_static_selectorELNS0_4arch9wavefront6targetE0EEEvT1_.has_dyn_sized_stack, 0
	.set _ZN7rocprim17ROCPRIM_400000_NS6detail17trampoline_kernelINS0_14default_configENS1_25partition_config_selectorILNS1_17partition_subalgoE8EjNS0_10empty_typeEbEEZZNS1_14partition_implILS5_8ELb0ES3_jPKjPS6_PKS6_NS0_5tupleIJPjS6_EEENSE_IJSB_SB_EEENS0_18inequality_wrapperIN6hipcub16HIPCUB_304000_NS8EqualityEEEPlJS6_EEE10hipError_tPvRmT3_T4_T5_T6_T7_T9_mT8_P12ihipStream_tbDpT10_ENKUlT_T0_E_clISt17integral_constantIbLb1EES17_EEDaS12_S13_EUlS12_E_NS1_11comp_targetILNS1_3genE4ELNS1_11target_archE910ELNS1_3gpuE8ELNS1_3repE0EEENS1_30default_config_static_selectorELNS0_4arch9wavefront6targetE0EEEvT1_.has_recursion, 0
	.set _ZN7rocprim17ROCPRIM_400000_NS6detail17trampoline_kernelINS0_14default_configENS1_25partition_config_selectorILNS1_17partition_subalgoE8EjNS0_10empty_typeEbEEZZNS1_14partition_implILS5_8ELb0ES3_jPKjPS6_PKS6_NS0_5tupleIJPjS6_EEENSE_IJSB_SB_EEENS0_18inequality_wrapperIN6hipcub16HIPCUB_304000_NS8EqualityEEEPlJS6_EEE10hipError_tPvRmT3_T4_T5_T6_T7_T9_mT8_P12ihipStream_tbDpT10_ENKUlT_T0_E_clISt17integral_constantIbLb1EES17_EEDaS12_S13_EUlS12_E_NS1_11comp_targetILNS1_3genE4ELNS1_11target_archE910ELNS1_3gpuE8ELNS1_3repE0EEENS1_30default_config_static_selectorELNS0_4arch9wavefront6targetE0EEEvT1_.has_indirect_call, 0
	.section	.AMDGPU.csdata,"",@progbits
; Kernel info:
; codeLenInByte = 0
; TotalNumSgprs: 0
; NumVgprs: 0
; ScratchSize: 0
; MemoryBound: 0
; FloatMode: 240
; IeeeMode: 1
; LDSByteSize: 0 bytes/workgroup (compile time only)
; SGPRBlocks: 0
; VGPRBlocks: 0
; NumSGPRsForWavesPerEU: 1
; NumVGPRsForWavesPerEU: 1
; NamedBarCnt: 0
; Occupancy: 16
; WaveLimiterHint : 0
; COMPUTE_PGM_RSRC2:SCRATCH_EN: 0
; COMPUTE_PGM_RSRC2:USER_SGPR: 2
; COMPUTE_PGM_RSRC2:TRAP_HANDLER: 0
; COMPUTE_PGM_RSRC2:TGID_X_EN: 1
; COMPUTE_PGM_RSRC2:TGID_Y_EN: 0
; COMPUTE_PGM_RSRC2:TGID_Z_EN: 0
; COMPUTE_PGM_RSRC2:TIDIG_COMP_CNT: 0
	.section	.text._ZN7rocprim17ROCPRIM_400000_NS6detail17trampoline_kernelINS0_14default_configENS1_25partition_config_selectorILNS1_17partition_subalgoE8EjNS0_10empty_typeEbEEZZNS1_14partition_implILS5_8ELb0ES3_jPKjPS6_PKS6_NS0_5tupleIJPjS6_EEENSE_IJSB_SB_EEENS0_18inequality_wrapperIN6hipcub16HIPCUB_304000_NS8EqualityEEEPlJS6_EEE10hipError_tPvRmT3_T4_T5_T6_T7_T9_mT8_P12ihipStream_tbDpT10_ENKUlT_T0_E_clISt17integral_constantIbLb1EES17_EEDaS12_S13_EUlS12_E_NS1_11comp_targetILNS1_3genE3ELNS1_11target_archE908ELNS1_3gpuE7ELNS1_3repE0EEENS1_30default_config_static_selectorELNS0_4arch9wavefront6targetE0EEEvT1_,"axG",@progbits,_ZN7rocprim17ROCPRIM_400000_NS6detail17trampoline_kernelINS0_14default_configENS1_25partition_config_selectorILNS1_17partition_subalgoE8EjNS0_10empty_typeEbEEZZNS1_14partition_implILS5_8ELb0ES3_jPKjPS6_PKS6_NS0_5tupleIJPjS6_EEENSE_IJSB_SB_EEENS0_18inequality_wrapperIN6hipcub16HIPCUB_304000_NS8EqualityEEEPlJS6_EEE10hipError_tPvRmT3_T4_T5_T6_T7_T9_mT8_P12ihipStream_tbDpT10_ENKUlT_T0_E_clISt17integral_constantIbLb1EES17_EEDaS12_S13_EUlS12_E_NS1_11comp_targetILNS1_3genE3ELNS1_11target_archE908ELNS1_3gpuE7ELNS1_3repE0EEENS1_30default_config_static_selectorELNS0_4arch9wavefront6targetE0EEEvT1_,comdat
	.protected	_ZN7rocprim17ROCPRIM_400000_NS6detail17trampoline_kernelINS0_14default_configENS1_25partition_config_selectorILNS1_17partition_subalgoE8EjNS0_10empty_typeEbEEZZNS1_14partition_implILS5_8ELb0ES3_jPKjPS6_PKS6_NS0_5tupleIJPjS6_EEENSE_IJSB_SB_EEENS0_18inequality_wrapperIN6hipcub16HIPCUB_304000_NS8EqualityEEEPlJS6_EEE10hipError_tPvRmT3_T4_T5_T6_T7_T9_mT8_P12ihipStream_tbDpT10_ENKUlT_T0_E_clISt17integral_constantIbLb1EES17_EEDaS12_S13_EUlS12_E_NS1_11comp_targetILNS1_3genE3ELNS1_11target_archE908ELNS1_3gpuE7ELNS1_3repE0EEENS1_30default_config_static_selectorELNS0_4arch9wavefront6targetE0EEEvT1_ ; -- Begin function _ZN7rocprim17ROCPRIM_400000_NS6detail17trampoline_kernelINS0_14default_configENS1_25partition_config_selectorILNS1_17partition_subalgoE8EjNS0_10empty_typeEbEEZZNS1_14partition_implILS5_8ELb0ES3_jPKjPS6_PKS6_NS0_5tupleIJPjS6_EEENSE_IJSB_SB_EEENS0_18inequality_wrapperIN6hipcub16HIPCUB_304000_NS8EqualityEEEPlJS6_EEE10hipError_tPvRmT3_T4_T5_T6_T7_T9_mT8_P12ihipStream_tbDpT10_ENKUlT_T0_E_clISt17integral_constantIbLb1EES17_EEDaS12_S13_EUlS12_E_NS1_11comp_targetILNS1_3genE3ELNS1_11target_archE908ELNS1_3gpuE7ELNS1_3repE0EEENS1_30default_config_static_selectorELNS0_4arch9wavefront6targetE0EEEvT1_
	.globl	_ZN7rocprim17ROCPRIM_400000_NS6detail17trampoline_kernelINS0_14default_configENS1_25partition_config_selectorILNS1_17partition_subalgoE8EjNS0_10empty_typeEbEEZZNS1_14partition_implILS5_8ELb0ES3_jPKjPS6_PKS6_NS0_5tupleIJPjS6_EEENSE_IJSB_SB_EEENS0_18inequality_wrapperIN6hipcub16HIPCUB_304000_NS8EqualityEEEPlJS6_EEE10hipError_tPvRmT3_T4_T5_T6_T7_T9_mT8_P12ihipStream_tbDpT10_ENKUlT_T0_E_clISt17integral_constantIbLb1EES17_EEDaS12_S13_EUlS12_E_NS1_11comp_targetILNS1_3genE3ELNS1_11target_archE908ELNS1_3gpuE7ELNS1_3repE0EEENS1_30default_config_static_selectorELNS0_4arch9wavefront6targetE0EEEvT1_
	.p2align	8
	.type	_ZN7rocprim17ROCPRIM_400000_NS6detail17trampoline_kernelINS0_14default_configENS1_25partition_config_selectorILNS1_17partition_subalgoE8EjNS0_10empty_typeEbEEZZNS1_14partition_implILS5_8ELb0ES3_jPKjPS6_PKS6_NS0_5tupleIJPjS6_EEENSE_IJSB_SB_EEENS0_18inequality_wrapperIN6hipcub16HIPCUB_304000_NS8EqualityEEEPlJS6_EEE10hipError_tPvRmT3_T4_T5_T6_T7_T9_mT8_P12ihipStream_tbDpT10_ENKUlT_T0_E_clISt17integral_constantIbLb1EES17_EEDaS12_S13_EUlS12_E_NS1_11comp_targetILNS1_3genE3ELNS1_11target_archE908ELNS1_3gpuE7ELNS1_3repE0EEENS1_30default_config_static_selectorELNS0_4arch9wavefront6targetE0EEEvT1_,@function
_ZN7rocprim17ROCPRIM_400000_NS6detail17trampoline_kernelINS0_14default_configENS1_25partition_config_selectorILNS1_17partition_subalgoE8EjNS0_10empty_typeEbEEZZNS1_14partition_implILS5_8ELb0ES3_jPKjPS6_PKS6_NS0_5tupleIJPjS6_EEENSE_IJSB_SB_EEENS0_18inequality_wrapperIN6hipcub16HIPCUB_304000_NS8EqualityEEEPlJS6_EEE10hipError_tPvRmT3_T4_T5_T6_T7_T9_mT8_P12ihipStream_tbDpT10_ENKUlT_T0_E_clISt17integral_constantIbLb1EES17_EEDaS12_S13_EUlS12_E_NS1_11comp_targetILNS1_3genE3ELNS1_11target_archE908ELNS1_3gpuE7ELNS1_3repE0EEENS1_30default_config_static_selectorELNS0_4arch9wavefront6targetE0EEEvT1_: ; @_ZN7rocprim17ROCPRIM_400000_NS6detail17trampoline_kernelINS0_14default_configENS1_25partition_config_selectorILNS1_17partition_subalgoE8EjNS0_10empty_typeEbEEZZNS1_14partition_implILS5_8ELb0ES3_jPKjPS6_PKS6_NS0_5tupleIJPjS6_EEENSE_IJSB_SB_EEENS0_18inequality_wrapperIN6hipcub16HIPCUB_304000_NS8EqualityEEEPlJS6_EEE10hipError_tPvRmT3_T4_T5_T6_T7_T9_mT8_P12ihipStream_tbDpT10_ENKUlT_T0_E_clISt17integral_constantIbLb1EES17_EEDaS12_S13_EUlS12_E_NS1_11comp_targetILNS1_3genE3ELNS1_11target_archE908ELNS1_3gpuE7ELNS1_3repE0EEENS1_30default_config_static_selectorELNS0_4arch9wavefront6targetE0EEEvT1_
; %bb.0:
	.section	.rodata,"a",@progbits
	.p2align	6, 0x0
	.amdhsa_kernel _ZN7rocprim17ROCPRIM_400000_NS6detail17trampoline_kernelINS0_14default_configENS1_25partition_config_selectorILNS1_17partition_subalgoE8EjNS0_10empty_typeEbEEZZNS1_14partition_implILS5_8ELb0ES3_jPKjPS6_PKS6_NS0_5tupleIJPjS6_EEENSE_IJSB_SB_EEENS0_18inequality_wrapperIN6hipcub16HIPCUB_304000_NS8EqualityEEEPlJS6_EEE10hipError_tPvRmT3_T4_T5_T6_T7_T9_mT8_P12ihipStream_tbDpT10_ENKUlT_T0_E_clISt17integral_constantIbLb1EES17_EEDaS12_S13_EUlS12_E_NS1_11comp_targetILNS1_3genE3ELNS1_11target_archE908ELNS1_3gpuE7ELNS1_3repE0EEENS1_30default_config_static_selectorELNS0_4arch9wavefront6targetE0EEEvT1_
		.amdhsa_group_segment_fixed_size 0
		.amdhsa_private_segment_fixed_size 0
		.amdhsa_kernarg_size 128
		.amdhsa_user_sgpr_count 2
		.amdhsa_user_sgpr_dispatch_ptr 0
		.amdhsa_user_sgpr_queue_ptr 0
		.amdhsa_user_sgpr_kernarg_segment_ptr 1
		.amdhsa_user_sgpr_dispatch_id 0
		.amdhsa_user_sgpr_kernarg_preload_length 0
		.amdhsa_user_sgpr_kernarg_preload_offset 0
		.amdhsa_user_sgpr_private_segment_size 0
		.amdhsa_wavefront_size32 1
		.amdhsa_uses_dynamic_stack 0
		.amdhsa_enable_private_segment 0
		.amdhsa_system_sgpr_workgroup_id_x 1
		.amdhsa_system_sgpr_workgroup_id_y 0
		.amdhsa_system_sgpr_workgroup_id_z 0
		.amdhsa_system_sgpr_workgroup_info 0
		.amdhsa_system_vgpr_workitem_id 0
		.amdhsa_next_free_vgpr 1
		.amdhsa_next_free_sgpr 1
		.amdhsa_named_barrier_count 0
		.amdhsa_reserve_vcc 0
		.amdhsa_float_round_mode_32 0
		.amdhsa_float_round_mode_16_64 0
		.amdhsa_float_denorm_mode_32 3
		.amdhsa_float_denorm_mode_16_64 3
		.amdhsa_fp16_overflow 0
		.amdhsa_memory_ordered 1
		.amdhsa_forward_progress 1
		.amdhsa_inst_pref_size 0
		.amdhsa_round_robin_scheduling 0
		.amdhsa_exception_fp_ieee_invalid_op 0
		.amdhsa_exception_fp_denorm_src 0
		.amdhsa_exception_fp_ieee_div_zero 0
		.amdhsa_exception_fp_ieee_overflow 0
		.amdhsa_exception_fp_ieee_underflow 0
		.amdhsa_exception_fp_ieee_inexact 0
		.amdhsa_exception_int_div_zero 0
	.end_amdhsa_kernel
	.section	.text._ZN7rocprim17ROCPRIM_400000_NS6detail17trampoline_kernelINS0_14default_configENS1_25partition_config_selectorILNS1_17partition_subalgoE8EjNS0_10empty_typeEbEEZZNS1_14partition_implILS5_8ELb0ES3_jPKjPS6_PKS6_NS0_5tupleIJPjS6_EEENSE_IJSB_SB_EEENS0_18inequality_wrapperIN6hipcub16HIPCUB_304000_NS8EqualityEEEPlJS6_EEE10hipError_tPvRmT3_T4_T5_T6_T7_T9_mT8_P12ihipStream_tbDpT10_ENKUlT_T0_E_clISt17integral_constantIbLb1EES17_EEDaS12_S13_EUlS12_E_NS1_11comp_targetILNS1_3genE3ELNS1_11target_archE908ELNS1_3gpuE7ELNS1_3repE0EEENS1_30default_config_static_selectorELNS0_4arch9wavefront6targetE0EEEvT1_,"axG",@progbits,_ZN7rocprim17ROCPRIM_400000_NS6detail17trampoline_kernelINS0_14default_configENS1_25partition_config_selectorILNS1_17partition_subalgoE8EjNS0_10empty_typeEbEEZZNS1_14partition_implILS5_8ELb0ES3_jPKjPS6_PKS6_NS0_5tupleIJPjS6_EEENSE_IJSB_SB_EEENS0_18inequality_wrapperIN6hipcub16HIPCUB_304000_NS8EqualityEEEPlJS6_EEE10hipError_tPvRmT3_T4_T5_T6_T7_T9_mT8_P12ihipStream_tbDpT10_ENKUlT_T0_E_clISt17integral_constantIbLb1EES17_EEDaS12_S13_EUlS12_E_NS1_11comp_targetILNS1_3genE3ELNS1_11target_archE908ELNS1_3gpuE7ELNS1_3repE0EEENS1_30default_config_static_selectorELNS0_4arch9wavefront6targetE0EEEvT1_,comdat
.Lfunc_end628:
	.size	_ZN7rocprim17ROCPRIM_400000_NS6detail17trampoline_kernelINS0_14default_configENS1_25partition_config_selectorILNS1_17partition_subalgoE8EjNS0_10empty_typeEbEEZZNS1_14partition_implILS5_8ELb0ES3_jPKjPS6_PKS6_NS0_5tupleIJPjS6_EEENSE_IJSB_SB_EEENS0_18inequality_wrapperIN6hipcub16HIPCUB_304000_NS8EqualityEEEPlJS6_EEE10hipError_tPvRmT3_T4_T5_T6_T7_T9_mT8_P12ihipStream_tbDpT10_ENKUlT_T0_E_clISt17integral_constantIbLb1EES17_EEDaS12_S13_EUlS12_E_NS1_11comp_targetILNS1_3genE3ELNS1_11target_archE908ELNS1_3gpuE7ELNS1_3repE0EEENS1_30default_config_static_selectorELNS0_4arch9wavefront6targetE0EEEvT1_, .Lfunc_end628-_ZN7rocprim17ROCPRIM_400000_NS6detail17trampoline_kernelINS0_14default_configENS1_25partition_config_selectorILNS1_17partition_subalgoE8EjNS0_10empty_typeEbEEZZNS1_14partition_implILS5_8ELb0ES3_jPKjPS6_PKS6_NS0_5tupleIJPjS6_EEENSE_IJSB_SB_EEENS0_18inequality_wrapperIN6hipcub16HIPCUB_304000_NS8EqualityEEEPlJS6_EEE10hipError_tPvRmT3_T4_T5_T6_T7_T9_mT8_P12ihipStream_tbDpT10_ENKUlT_T0_E_clISt17integral_constantIbLb1EES17_EEDaS12_S13_EUlS12_E_NS1_11comp_targetILNS1_3genE3ELNS1_11target_archE908ELNS1_3gpuE7ELNS1_3repE0EEENS1_30default_config_static_selectorELNS0_4arch9wavefront6targetE0EEEvT1_
                                        ; -- End function
	.set _ZN7rocprim17ROCPRIM_400000_NS6detail17trampoline_kernelINS0_14default_configENS1_25partition_config_selectorILNS1_17partition_subalgoE8EjNS0_10empty_typeEbEEZZNS1_14partition_implILS5_8ELb0ES3_jPKjPS6_PKS6_NS0_5tupleIJPjS6_EEENSE_IJSB_SB_EEENS0_18inequality_wrapperIN6hipcub16HIPCUB_304000_NS8EqualityEEEPlJS6_EEE10hipError_tPvRmT3_T4_T5_T6_T7_T9_mT8_P12ihipStream_tbDpT10_ENKUlT_T0_E_clISt17integral_constantIbLb1EES17_EEDaS12_S13_EUlS12_E_NS1_11comp_targetILNS1_3genE3ELNS1_11target_archE908ELNS1_3gpuE7ELNS1_3repE0EEENS1_30default_config_static_selectorELNS0_4arch9wavefront6targetE0EEEvT1_.num_vgpr, 0
	.set _ZN7rocprim17ROCPRIM_400000_NS6detail17trampoline_kernelINS0_14default_configENS1_25partition_config_selectorILNS1_17partition_subalgoE8EjNS0_10empty_typeEbEEZZNS1_14partition_implILS5_8ELb0ES3_jPKjPS6_PKS6_NS0_5tupleIJPjS6_EEENSE_IJSB_SB_EEENS0_18inequality_wrapperIN6hipcub16HIPCUB_304000_NS8EqualityEEEPlJS6_EEE10hipError_tPvRmT3_T4_T5_T6_T7_T9_mT8_P12ihipStream_tbDpT10_ENKUlT_T0_E_clISt17integral_constantIbLb1EES17_EEDaS12_S13_EUlS12_E_NS1_11comp_targetILNS1_3genE3ELNS1_11target_archE908ELNS1_3gpuE7ELNS1_3repE0EEENS1_30default_config_static_selectorELNS0_4arch9wavefront6targetE0EEEvT1_.num_agpr, 0
	.set _ZN7rocprim17ROCPRIM_400000_NS6detail17trampoline_kernelINS0_14default_configENS1_25partition_config_selectorILNS1_17partition_subalgoE8EjNS0_10empty_typeEbEEZZNS1_14partition_implILS5_8ELb0ES3_jPKjPS6_PKS6_NS0_5tupleIJPjS6_EEENSE_IJSB_SB_EEENS0_18inequality_wrapperIN6hipcub16HIPCUB_304000_NS8EqualityEEEPlJS6_EEE10hipError_tPvRmT3_T4_T5_T6_T7_T9_mT8_P12ihipStream_tbDpT10_ENKUlT_T0_E_clISt17integral_constantIbLb1EES17_EEDaS12_S13_EUlS12_E_NS1_11comp_targetILNS1_3genE3ELNS1_11target_archE908ELNS1_3gpuE7ELNS1_3repE0EEENS1_30default_config_static_selectorELNS0_4arch9wavefront6targetE0EEEvT1_.numbered_sgpr, 0
	.set _ZN7rocprim17ROCPRIM_400000_NS6detail17trampoline_kernelINS0_14default_configENS1_25partition_config_selectorILNS1_17partition_subalgoE8EjNS0_10empty_typeEbEEZZNS1_14partition_implILS5_8ELb0ES3_jPKjPS6_PKS6_NS0_5tupleIJPjS6_EEENSE_IJSB_SB_EEENS0_18inequality_wrapperIN6hipcub16HIPCUB_304000_NS8EqualityEEEPlJS6_EEE10hipError_tPvRmT3_T4_T5_T6_T7_T9_mT8_P12ihipStream_tbDpT10_ENKUlT_T0_E_clISt17integral_constantIbLb1EES17_EEDaS12_S13_EUlS12_E_NS1_11comp_targetILNS1_3genE3ELNS1_11target_archE908ELNS1_3gpuE7ELNS1_3repE0EEENS1_30default_config_static_selectorELNS0_4arch9wavefront6targetE0EEEvT1_.num_named_barrier, 0
	.set _ZN7rocprim17ROCPRIM_400000_NS6detail17trampoline_kernelINS0_14default_configENS1_25partition_config_selectorILNS1_17partition_subalgoE8EjNS0_10empty_typeEbEEZZNS1_14partition_implILS5_8ELb0ES3_jPKjPS6_PKS6_NS0_5tupleIJPjS6_EEENSE_IJSB_SB_EEENS0_18inequality_wrapperIN6hipcub16HIPCUB_304000_NS8EqualityEEEPlJS6_EEE10hipError_tPvRmT3_T4_T5_T6_T7_T9_mT8_P12ihipStream_tbDpT10_ENKUlT_T0_E_clISt17integral_constantIbLb1EES17_EEDaS12_S13_EUlS12_E_NS1_11comp_targetILNS1_3genE3ELNS1_11target_archE908ELNS1_3gpuE7ELNS1_3repE0EEENS1_30default_config_static_selectorELNS0_4arch9wavefront6targetE0EEEvT1_.private_seg_size, 0
	.set _ZN7rocprim17ROCPRIM_400000_NS6detail17trampoline_kernelINS0_14default_configENS1_25partition_config_selectorILNS1_17partition_subalgoE8EjNS0_10empty_typeEbEEZZNS1_14partition_implILS5_8ELb0ES3_jPKjPS6_PKS6_NS0_5tupleIJPjS6_EEENSE_IJSB_SB_EEENS0_18inequality_wrapperIN6hipcub16HIPCUB_304000_NS8EqualityEEEPlJS6_EEE10hipError_tPvRmT3_T4_T5_T6_T7_T9_mT8_P12ihipStream_tbDpT10_ENKUlT_T0_E_clISt17integral_constantIbLb1EES17_EEDaS12_S13_EUlS12_E_NS1_11comp_targetILNS1_3genE3ELNS1_11target_archE908ELNS1_3gpuE7ELNS1_3repE0EEENS1_30default_config_static_selectorELNS0_4arch9wavefront6targetE0EEEvT1_.uses_vcc, 0
	.set _ZN7rocprim17ROCPRIM_400000_NS6detail17trampoline_kernelINS0_14default_configENS1_25partition_config_selectorILNS1_17partition_subalgoE8EjNS0_10empty_typeEbEEZZNS1_14partition_implILS5_8ELb0ES3_jPKjPS6_PKS6_NS0_5tupleIJPjS6_EEENSE_IJSB_SB_EEENS0_18inequality_wrapperIN6hipcub16HIPCUB_304000_NS8EqualityEEEPlJS6_EEE10hipError_tPvRmT3_T4_T5_T6_T7_T9_mT8_P12ihipStream_tbDpT10_ENKUlT_T0_E_clISt17integral_constantIbLb1EES17_EEDaS12_S13_EUlS12_E_NS1_11comp_targetILNS1_3genE3ELNS1_11target_archE908ELNS1_3gpuE7ELNS1_3repE0EEENS1_30default_config_static_selectorELNS0_4arch9wavefront6targetE0EEEvT1_.uses_flat_scratch, 0
	.set _ZN7rocprim17ROCPRIM_400000_NS6detail17trampoline_kernelINS0_14default_configENS1_25partition_config_selectorILNS1_17partition_subalgoE8EjNS0_10empty_typeEbEEZZNS1_14partition_implILS5_8ELb0ES3_jPKjPS6_PKS6_NS0_5tupleIJPjS6_EEENSE_IJSB_SB_EEENS0_18inequality_wrapperIN6hipcub16HIPCUB_304000_NS8EqualityEEEPlJS6_EEE10hipError_tPvRmT3_T4_T5_T6_T7_T9_mT8_P12ihipStream_tbDpT10_ENKUlT_T0_E_clISt17integral_constantIbLb1EES17_EEDaS12_S13_EUlS12_E_NS1_11comp_targetILNS1_3genE3ELNS1_11target_archE908ELNS1_3gpuE7ELNS1_3repE0EEENS1_30default_config_static_selectorELNS0_4arch9wavefront6targetE0EEEvT1_.has_dyn_sized_stack, 0
	.set _ZN7rocprim17ROCPRIM_400000_NS6detail17trampoline_kernelINS0_14default_configENS1_25partition_config_selectorILNS1_17partition_subalgoE8EjNS0_10empty_typeEbEEZZNS1_14partition_implILS5_8ELb0ES3_jPKjPS6_PKS6_NS0_5tupleIJPjS6_EEENSE_IJSB_SB_EEENS0_18inequality_wrapperIN6hipcub16HIPCUB_304000_NS8EqualityEEEPlJS6_EEE10hipError_tPvRmT3_T4_T5_T6_T7_T9_mT8_P12ihipStream_tbDpT10_ENKUlT_T0_E_clISt17integral_constantIbLb1EES17_EEDaS12_S13_EUlS12_E_NS1_11comp_targetILNS1_3genE3ELNS1_11target_archE908ELNS1_3gpuE7ELNS1_3repE0EEENS1_30default_config_static_selectorELNS0_4arch9wavefront6targetE0EEEvT1_.has_recursion, 0
	.set _ZN7rocprim17ROCPRIM_400000_NS6detail17trampoline_kernelINS0_14default_configENS1_25partition_config_selectorILNS1_17partition_subalgoE8EjNS0_10empty_typeEbEEZZNS1_14partition_implILS5_8ELb0ES3_jPKjPS6_PKS6_NS0_5tupleIJPjS6_EEENSE_IJSB_SB_EEENS0_18inequality_wrapperIN6hipcub16HIPCUB_304000_NS8EqualityEEEPlJS6_EEE10hipError_tPvRmT3_T4_T5_T6_T7_T9_mT8_P12ihipStream_tbDpT10_ENKUlT_T0_E_clISt17integral_constantIbLb1EES17_EEDaS12_S13_EUlS12_E_NS1_11comp_targetILNS1_3genE3ELNS1_11target_archE908ELNS1_3gpuE7ELNS1_3repE0EEENS1_30default_config_static_selectorELNS0_4arch9wavefront6targetE0EEEvT1_.has_indirect_call, 0
	.section	.AMDGPU.csdata,"",@progbits
; Kernel info:
; codeLenInByte = 0
; TotalNumSgprs: 0
; NumVgprs: 0
; ScratchSize: 0
; MemoryBound: 0
; FloatMode: 240
; IeeeMode: 1
; LDSByteSize: 0 bytes/workgroup (compile time only)
; SGPRBlocks: 0
; VGPRBlocks: 0
; NumSGPRsForWavesPerEU: 1
; NumVGPRsForWavesPerEU: 1
; NamedBarCnt: 0
; Occupancy: 16
; WaveLimiterHint : 0
; COMPUTE_PGM_RSRC2:SCRATCH_EN: 0
; COMPUTE_PGM_RSRC2:USER_SGPR: 2
; COMPUTE_PGM_RSRC2:TRAP_HANDLER: 0
; COMPUTE_PGM_RSRC2:TGID_X_EN: 1
; COMPUTE_PGM_RSRC2:TGID_Y_EN: 0
; COMPUTE_PGM_RSRC2:TGID_Z_EN: 0
; COMPUTE_PGM_RSRC2:TIDIG_COMP_CNT: 0
	.section	.text._ZN7rocprim17ROCPRIM_400000_NS6detail17trampoline_kernelINS0_14default_configENS1_25partition_config_selectorILNS1_17partition_subalgoE8EjNS0_10empty_typeEbEEZZNS1_14partition_implILS5_8ELb0ES3_jPKjPS6_PKS6_NS0_5tupleIJPjS6_EEENSE_IJSB_SB_EEENS0_18inequality_wrapperIN6hipcub16HIPCUB_304000_NS8EqualityEEEPlJS6_EEE10hipError_tPvRmT3_T4_T5_T6_T7_T9_mT8_P12ihipStream_tbDpT10_ENKUlT_T0_E_clISt17integral_constantIbLb1EES17_EEDaS12_S13_EUlS12_E_NS1_11comp_targetILNS1_3genE2ELNS1_11target_archE906ELNS1_3gpuE6ELNS1_3repE0EEENS1_30default_config_static_selectorELNS0_4arch9wavefront6targetE0EEEvT1_,"axG",@progbits,_ZN7rocprim17ROCPRIM_400000_NS6detail17trampoline_kernelINS0_14default_configENS1_25partition_config_selectorILNS1_17partition_subalgoE8EjNS0_10empty_typeEbEEZZNS1_14partition_implILS5_8ELb0ES3_jPKjPS6_PKS6_NS0_5tupleIJPjS6_EEENSE_IJSB_SB_EEENS0_18inequality_wrapperIN6hipcub16HIPCUB_304000_NS8EqualityEEEPlJS6_EEE10hipError_tPvRmT3_T4_T5_T6_T7_T9_mT8_P12ihipStream_tbDpT10_ENKUlT_T0_E_clISt17integral_constantIbLb1EES17_EEDaS12_S13_EUlS12_E_NS1_11comp_targetILNS1_3genE2ELNS1_11target_archE906ELNS1_3gpuE6ELNS1_3repE0EEENS1_30default_config_static_selectorELNS0_4arch9wavefront6targetE0EEEvT1_,comdat
	.protected	_ZN7rocprim17ROCPRIM_400000_NS6detail17trampoline_kernelINS0_14default_configENS1_25partition_config_selectorILNS1_17partition_subalgoE8EjNS0_10empty_typeEbEEZZNS1_14partition_implILS5_8ELb0ES3_jPKjPS6_PKS6_NS0_5tupleIJPjS6_EEENSE_IJSB_SB_EEENS0_18inequality_wrapperIN6hipcub16HIPCUB_304000_NS8EqualityEEEPlJS6_EEE10hipError_tPvRmT3_T4_T5_T6_T7_T9_mT8_P12ihipStream_tbDpT10_ENKUlT_T0_E_clISt17integral_constantIbLb1EES17_EEDaS12_S13_EUlS12_E_NS1_11comp_targetILNS1_3genE2ELNS1_11target_archE906ELNS1_3gpuE6ELNS1_3repE0EEENS1_30default_config_static_selectorELNS0_4arch9wavefront6targetE0EEEvT1_ ; -- Begin function _ZN7rocprim17ROCPRIM_400000_NS6detail17trampoline_kernelINS0_14default_configENS1_25partition_config_selectorILNS1_17partition_subalgoE8EjNS0_10empty_typeEbEEZZNS1_14partition_implILS5_8ELb0ES3_jPKjPS6_PKS6_NS0_5tupleIJPjS6_EEENSE_IJSB_SB_EEENS0_18inequality_wrapperIN6hipcub16HIPCUB_304000_NS8EqualityEEEPlJS6_EEE10hipError_tPvRmT3_T4_T5_T6_T7_T9_mT8_P12ihipStream_tbDpT10_ENKUlT_T0_E_clISt17integral_constantIbLb1EES17_EEDaS12_S13_EUlS12_E_NS1_11comp_targetILNS1_3genE2ELNS1_11target_archE906ELNS1_3gpuE6ELNS1_3repE0EEENS1_30default_config_static_selectorELNS0_4arch9wavefront6targetE0EEEvT1_
	.globl	_ZN7rocprim17ROCPRIM_400000_NS6detail17trampoline_kernelINS0_14default_configENS1_25partition_config_selectorILNS1_17partition_subalgoE8EjNS0_10empty_typeEbEEZZNS1_14partition_implILS5_8ELb0ES3_jPKjPS6_PKS6_NS0_5tupleIJPjS6_EEENSE_IJSB_SB_EEENS0_18inequality_wrapperIN6hipcub16HIPCUB_304000_NS8EqualityEEEPlJS6_EEE10hipError_tPvRmT3_T4_T5_T6_T7_T9_mT8_P12ihipStream_tbDpT10_ENKUlT_T0_E_clISt17integral_constantIbLb1EES17_EEDaS12_S13_EUlS12_E_NS1_11comp_targetILNS1_3genE2ELNS1_11target_archE906ELNS1_3gpuE6ELNS1_3repE0EEENS1_30default_config_static_selectorELNS0_4arch9wavefront6targetE0EEEvT1_
	.p2align	8
	.type	_ZN7rocprim17ROCPRIM_400000_NS6detail17trampoline_kernelINS0_14default_configENS1_25partition_config_selectorILNS1_17partition_subalgoE8EjNS0_10empty_typeEbEEZZNS1_14partition_implILS5_8ELb0ES3_jPKjPS6_PKS6_NS0_5tupleIJPjS6_EEENSE_IJSB_SB_EEENS0_18inequality_wrapperIN6hipcub16HIPCUB_304000_NS8EqualityEEEPlJS6_EEE10hipError_tPvRmT3_T4_T5_T6_T7_T9_mT8_P12ihipStream_tbDpT10_ENKUlT_T0_E_clISt17integral_constantIbLb1EES17_EEDaS12_S13_EUlS12_E_NS1_11comp_targetILNS1_3genE2ELNS1_11target_archE906ELNS1_3gpuE6ELNS1_3repE0EEENS1_30default_config_static_selectorELNS0_4arch9wavefront6targetE0EEEvT1_,@function
_ZN7rocprim17ROCPRIM_400000_NS6detail17trampoline_kernelINS0_14default_configENS1_25partition_config_selectorILNS1_17partition_subalgoE8EjNS0_10empty_typeEbEEZZNS1_14partition_implILS5_8ELb0ES3_jPKjPS6_PKS6_NS0_5tupleIJPjS6_EEENSE_IJSB_SB_EEENS0_18inequality_wrapperIN6hipcub16HIPCUB_304000_NS8EqualityEEEPlJS6_EEE10hipError_tPvRmT3_T4_T5_T6_T7_T9_mT8_P12ihipStream_tbDpT10_ENKUlT_T0_E_clISt17integral_constantIbLb1EES17_EEDaS12_S13_EUlS12_E_NS1_11comp_targetILNS1_3genE2ELNS1_11target_archE906ELNS1_3gpuE6ELNS1_3repE0EEENS1_30default_config_static_selectorELNS0_4arch9wavefront6targetE0EEEvT1_: ; @_ZN7rocprim17ROCPRIM_400000_NS6detail17trampoline_kernelINS0_14default_configENS1_25partition_config_selectorILNS1_17partition_subalgoE8EjNS0_10empty_typeEbEEZZNS1_14partition_implILS5_8ELb0ES3_jPKjPS6_PKS6_NS0_5tupleIJPjS6_EEENSE_IJSB_SB_EEENS0_18inequality_wrapperIN6hipcub16HIPCUB_304000_NS8EqualityEEEPlJS6_EEE10hipError_tPvRmT3_T4_T5_T6_T7_T9_mT8_P12ihipStream_tbDpT10_ENKUlT_T0_E_clISt17integral_constantIbLb1EES17_EEDaS12_S13_EUlS12_E_NS1_11comp_targetILNS1_3genE2ELNS1_11target_archE906ELNS1_3gpuE6ELNS1_3repE0EEENS1_30default_config_static_selectorELNS0_4arch9wavefront6targetE0EEEvT1_
; %bb.0:
	.section	.rodata,"a",@progbits
	.p2align	6, 0x0
	.amdhsa_kernel _ZN7rocprim17ROCPRIM_400000_NS6detail17trampoline_kernelINS0_14default_configENS1_25partition_config_selectorILNS1_17partition_subalgoE8EjNS0_10empty_typeEbEEZZNS1_14partition_implILS5_8ELb0ES3_jPKjPS6_PKS6_NS0_5tupleIJPjS6_EEENSE_IJSB_SB_EEENS0_18inequality_wrapperIN6hipcub16HIPCUB_304000_NS8EqualityEEEPlJS6_EEE10hipError_tPvRmT3_T4_T5_T6_T7_T9_mT8_P12ihipStream_tbDpT10_ENKUlT_T0_E_clISt17integral_constantIbLb1EES17_EEDaS12_S13_EUlS12_E_NS1_11comp_targetILNS1_3genE2ELNS1_11target_archE906ELNS1_3gpuE6ELNS1_3repE0EEENS1_30default_config_static_selectorELNS0_4arch9wavefront6targetE0EEEvT1_
		.amdhsa_group_segment_fixed_size 0
		.amdhsa_private_segment_fixed_size 0
		.amdhsa_kernarg_size 128
		.amdhsa_user_sgpr_count 2
		.amdhsa_user_sgpr_dispatch_ptr 0
		.amdhsa_user_sgpr_queue_ptr 0
		.amdhsa_user_sgpr_kernarg_segment_ptr 1
		.amdhsa_user_sgpr_dispatch_id 0
		.amdhsa_user_sgpr_kernarg_preload_length 0
		.amdhsa_user_sgpr_kernarg_preload_offset 0
		.amdhsa_user_sgpr_private_segment_size 0
		.amdhsa_wavefront_size32 1
		.amdhsa_uses_dynamic_stack 0
		.amdhsa_enable_private_segment 0
		.amdhsa_system_sgpr_workgroup_id_x 1
		.amdhsa_system_sgpr_workgroup_id_y 0
		.amdhsa_system_sgpr_workgroup_id_z 0
		.amdhsa_system_sgpr_workgroup_info 0
		.amdhsa_system_vgpr_workitem_id 0
		.amdhsa_next_free_vgpr 1
		.amdhsa_next_free_sgpr 1
		.amdhsa_named_barrier_count 0
		.amdhsa_reserve_vcc 0
		.amdhsa_float_round_mode_32 0
		.amdhsa_float_round_mode_16_64 0
		.amdhsa_float_denorm_mode_32 3
		.amdhsa_float_denorm_mode_16_64 3
		.amdhsa_fp16_overflow 0
		.amdhsa_memory_ordered 1
		.amdhsa_forward_progress 1
		.amdhsa_inst_pref_size 0
		.amdhsa_round_robin_scheduling 0
		.amdhsa_exception_fp_ieee_invalid_op 0
		.amdhsa_exception_fp_denorm_src 0
		.amdhsa_exception_fp_ieee_div_zero 0
		.amdhsa_exception_fp_ieee_overflow 0
		.amdhsa_exception_fp_ieee_underflow 0
		.amdhsa_exception_fp_ieee_inexact 0
		.amdhsa_exception_int_div_zero 0
	.end_amdhsa_kernel
	.section	.text._ZN7rocprim17ROCPRIM_400000_NS6detail17trampoline_kernelINS0_14default_configENS1_25partition_config_selectorILNS1_17partition_subalgoE8EjNS0_10empty_typeEbEEZZNS1_14partition_implILS5_8ELb0ES3_jPKjPS6_PKS6_NS0_5tupleIJPjS6_EEENSE_IJSB_SB_EEENS0_18inequality_wrapperIN6hipcub16HIPCUB_304000_NS8EqualityEEEPlJS6_EEE10hipError_tPvRmT3_T4_T5_T6_T7_T9_mT8_P12ihipStream_tbDpT10_ENKUlT_T0_E_clISt17integral_constantIbLb1EES17_EEDaS12_S13_EUlS12_E_NS1_11comp_targetILNS1_3genE2ELNS1_11target_archE906ELNS1_3gpuE6ELNS1_3repE0EEENS1_30default_config_static_selectorELNS0_4arch9wavefront6targetE0EEEvT1_,"axG",@progbits,_ZN7rocprim17ROCPRIM_400000_NS6detail17trampoline_kernelINS0_14default_configENS1_25partition_config_selectorILNS1_17partition_subalgoE8EjNS0_10empty_typeEbEEZZNS1_14partition_implILS5_8ELb0ES3_jPKjPS6_PKS6_NS0_5tupleIJPjS6_EEENSE_IJSB_SB_EEENS0_18inequality_wrapperIN6hipcub16HIPCUB_304000_NS8EqualityEEEPlJS6_EEE10hipError_tPvRmT3_T4_T5_T6_T7_T9_mT8_P12ihipStream_tbDpT10_ENKUlT_T0_E_clISt17integral_constantIbLb1EES17_EEDaS12_S13_EUlS12_E_NS1_11comp_targetILNS1_3genE2ELNS1_11target_archE906ELNS1_3gpuE6ELNS1_3repE0EEENS1_30default_config_static_selectorELNS0_4arch9wavefront6targetE0EEEvT1_,comdat
.Lfunc_end629:
	.size	_ZN7rocprim17ROCPRIM_400000_NS6detail17trampoline_kernelINS0_14default_configENS1_25partition_config_selectorILNS1_17partition_subalgoE8EjNS0_10empty_typeEbEEZZNS1_14partition_implILS5_8ELb0ES3_jPKjPS6_PKS6_NS0_5tupleIJPjS6_EEENSE_IJSB_SB_EEENS0_18inequality_wrapperIN6hipcub16HIPCUB_304000_NS8EqualityEEEPlJS6_EEE10hipError_tPvRmT3_T4_T5_T6_T7_T9_mT8_P12ihipStream_tbDpT10_ENKUlT_T0_E_clISt17integral_constantIbLb1EES17_EEDaS12_S13_EUlS12_E_NS1_11comp_targetILNS1_3genE2ELNS1_11target_archE906ELNS1_3gpuE6ELNS1_3repE0EEENS1_30default_config_static_selectorELNS0_4arch9wavefront6targetE0EEEvT1_, .Lfunc_end629-_ZN7rocprim17ROCPRIM_400000_NS6detail17trampoline_kernelINS0_14default_configENS1_25partition_config_selectorILNS1_17partition_subalgoE8EjNS0_10empty_typeEbEEZZNS1_14partition_implILS5_8ELb0ES3_jPKjPS6_PKS6_NS0_5tupleIJPjS6_EEENSE_IJSB_SB_EEENS0_18inequality_wrapperIN6hipcub16HIPCUB_304000_NS8EqualityEEEPlJS6_EEE10hipError_tPvRmT3_T4_T5_T6_T7_T9_mT8_P12ihipStream_tbDpT10_ENKUlT_T0_E_clISt17integral_constantIbLb1EES17_EEDaS12_S13_EUlS12_E_NS1_11comp_targetILNS1_3genE2ELNS1_11target_archE906ELNS1_3gpuE6ELNS1_3repE0EEENS1_30default_config_static_selectorELNS0_4arch9wavefront6targetE0EEEvT1_
                                        ; -- End function
	.set _ZN7rocprim17ROCPRIM_400000_NS6detail17trampoline_kernelINS0_14default_configENS1_25partition_config_selectorILNS1_17partition_subalgoE8EjNS0_10empty_typeEbEEZZNS1_14partition_implILS5_8ELb0ES3_jPKjPS6_PKS6_NS0_5tupleIJPjS6_EEENSE_IJSB_SB_EEENS0_18inequality_wrapperIN6hipcub16HIPCUB_304000_NS8EqualityEEEPlJS6_EEE10hipError_tPvRmT3_T4_T5_T6_T7_T9_mT8_P12ihipStream_tbDpT10_ENKUlT_T0_E_clISt17integral_constantIbLb1EES17_EEDaS12_S13_EUlS12_E_NS1_11comp_targetILNS1_3genE2ELNS1_11target_archE906ELNS1_3gpuE6ELNS1_3repE0EEENS1_30default_config_static_selectorELNS0_4arch9wavefront6targetE0EEEvT1_.num_vgpr, 0
	.set _ZN7rocprim17ROCPRIM_400000_NS6detail17trampoline_kernelINS0_14default_configENS1_25partition_config_selectorILNS1_17partition_subalgoE8EjNS0_10empty_typeEbEEZZNS1_14partition_implILS5_8ELb0ES3_jPKjPS6_PKS6_NS0_5tupleIJPjS6_EEENSE_IJSB_SB_EEENS0_18inequality_wrapperIN6hipcub16HIPCUB_304000_NS8EqualityEEEPlJS6_EEE10hipError_tPvRmT3_T4_T5_T6_T7_T9_mT8_P12ihipStream_tbDpT10_ENKUlT_T0_E_clISt17integral_constantIbLb1EES17_EEDaS12_S13_EUlS12_E_NS1_11comp_targetILNS1_3genE2ELNS1_11target_archE906ELNS1_3gpuE6ELNS1_3repE0EEENS1_30default_config_static_selectorELNS0_4arch9wavefront6targetE0EEEvT1_.num_agpr, 0
	.set _ZN7rocprim17ROCPRIM_400000_NS6detail17trampoline_kernelINS0_14default_configENS1_25partition_config_selectorILNS1_17partition_subalgoE8EjNS0_10empty_typeEbEEZZNS1_14partition_implILS5_8ELb0ES3_jPKjPS6_PKS6_NS0_5tupleIJPjS6_EEENSE_IJSB_SB_EEENS0_18inequality_wrapperIN6hipcub16HIPCUB_304000_NS8EqualityEEEPlJS6_EEE10hipError_tPvRmT3_T4_T5_T6_T7_T9_mT8_P12ihipStream_tbDpT10_ENKUlT_T0_E_clISt17integral_constantIbLb1EES17_EEDaS12_S13_EUlS12_E_NS1_11comp_targetILNS1_3genE2ELNS1_11target_archE906ELNS1_3gpuE6ELNS1_3repE0EEENS1_30default_config_static_selectorELNS0_4arch9wavefront6targetE0EEEvT1_.numbered_sgpr, 0
	.set _ZN7rocprim17ROCPRIM_400000_NS6detail17trampoline_kernelINS0_14default_configENS1_25partition_config_selectorILNS1_17partition_subalgoE8EjNS0_10empty_typeEbEEZZNS1_14partition_implILS5_8ELb0ES3_jPKjPS6_PKS6_NS0_5tupleIJPjS6_EEENSE_IJSB_SB_EEENS0_18inequality_wrapperIN6hipcub16HIPCUB_304000_NS8EqualityEEEPlJS6_EEE10hipError_tPvRmT3_T4_T5_T6_T7_T9_mT8_P12ihipStream_tbDpT10_ENKUlT_T0_E_clISt17integral_constantIbLb1EES17_EEDaS12_S13_EUlS12_E_NS1_11comp_targetILNS1_3genE2ELNS1_11target_archE906ELNS1_3gpuE6ELNS1_3repE0EEENS1_30default_config_static_selectorELNS0_4arch9wavefront6targetE0EEEvT1_.num_named_barrier, 0
	.set _ZN7rocprim17ROCPRIM_400000_NS6detail17trampoline_kernelINS0_14default_configENS1_25partition_config_selectorILNS1_17partition_subalgoE8EjNS0_10empty_typeEbEEZZNS1_14partition_implILS5_8ELb0ES3_jPKjPS6_PKS6_NS0_5tupleIJPjS6_EEENSE_IJSB_SB_EEENS0_18inequality_wrapperIN6hipcub16HIPCUB_304000_NS8EqualityEEEPlJS6_EEE10hipError_tPvRmT3_T4_T5_T6_T7_T9_mT8_P12ihipStream_tbDpT10_ENKUlT_T0_E_clISt17integral_constantIbLb1EES17_EEDaS12_S13_EUlS12_E_NS1_11comp_targetILNS1_3genE2ELNS1_11target_archE906ELNS1_3gpuE6ELNS1_3repE0EEENS1_30default_config_static_selectorELNS0_4arch9wavefront6targetE0EEEvT1_.private_seg_size, 0
	.set _ZN7rocprim17ROCPRIM_400000_NS6detail17trampoline_kernelINS0_14default_configENS1_25partition_config_selectorILNS1_17partition_subalgoE8EjNS0_10empty_typeEbEEZZNS1_14partition_implILS5_8ELb0ES3_jPKjPS6_PKS6_NS0_5tupleIJPjS6_EEENSE_IJSB_SB_EEENS0_18inequality_wrapperIN6hipcub16HIPCUB_304000_NS8EqualityEEEPlJS6_EEE10hipError_tPvRmT3_T4_T5_T6_T7_T9_mT8_P12ihipStream_tbDpT10_ENKUlT_T0_E_clISt17integral_constantIbLb1EES17_EEDaS12_S13_EUlS12_E_NS1_11comp_targetILNS1_3genE2ELNS1_11target_archE906ELNS1_3gpuE6ELNS1_3repE0EEENS1_30default_config_static_selectorELNS0_4arch9wavefront6targetE0EEEvT1_.uses_vcc, 0
	.set _ZN7rocprim17ROCPRIM_400000_NS6detail17trampoline_kernelINS0_14default_configENS1_25partition_config_selectorILNS1_17partition_subalgoE8EjNS0_10empty_typeEbEEZZNS1_14partition_implILS5_8ELb0ES3_jPKjPS6_PKS6_NS0_5tupleIJPjS6_EEENSE_IJSB_SB_EEENS0_18inequality_wrapperIN6hipcub16HIPCUB_304000_NS8EqualityEEEPlJS6_EEE10hipError_tPvRmT3_T4_T5_T6_T7_T9_mT8_P12ihipStream_tbDpT10_ENKUlT_T0_E_clISt17integral_constantIbLb1EES17_EEDaS12_S13_EUlS12_E_NS1_11comp_targetILNS1_3genE2ELNS1_11target_archE906ELNS1_3gpuE6ELNS1_3repE0EEENS1_30default_config_static_selectorELNS0_4arch9wavefront6targetE0EEEvT1_.uses_flat_scratch, 0
	.set _ZN7rocprim17ROCPRIM_400000_NS6detail17trampoline_kernelINS0_14default_configENS1_25partition_config_selectorILNS1_17partition_subalgoE8EjNS0_10empty_typeEbEEZZNS1_14partition_implILS5_8ELb0ES3_jPKjPS6_PKS6_NS0_5tupleIJPjS6_EEENSE_IJSB_SB_EEENS0_18inequality_wrapperIN6hipcub16HIPCUB_304000_NS8EqualityEEEPlJS6_EEE10hipError_tPvRmT3_T4_T5_T6_T7_T9_mT8_P12ihipStream_tbDpT10_ENKUlT_T0_E_clISt17integral_constantIbLb1EES17_EEDaS12_S13_EUlS12_E_NS1_11comp_targetILNS1_3genE2ELNS1_11target_archE906ELNS1_3gpuE6ELNS1_3repE0EEENS1_30default_config_static_selectorELNS0_4arch9wavefront6targetE0EEEvT1_.has_dyn_sized_stack, 0
	.set _ZN7rocprim17ROCPRIM_400000_NS6detail17trampoline_kernelINS0_14default_configENS1_25partition_config_selectorILNS1_17partition_subalgoE8EjNS0_10empty_typeEbEEZZNS1_14partition_implILS5_8ELb0ES3_jPKjPS6_PKS6_NS0_5tupleIJPjS6_EEENSE_IJSB_SB_EEENS0_18inequality_wrapperIN6hipcub16HIPCUB_304000_NS8EqualityEEEPlJS6_EEE10hipError_tPvRmT3_T4_T5_T6_T7_T9_mT8_P12ihipStream_tbDpT10_ENKUlT_T0_E_clISt17integral_constantIbLb1EES17_EEDaS12_S13_EUlS12_E_NS1_11comp_targetILNS1_3genE2ELNS1_11target_archE906ELNS1_3gpuE6ELNS1_3repE0EEENS1_30default_config_static_selectorELNS0_4arch9wavefront6targetE0EEEvT1_.has_recursion, 0
	.set _ZN7rocprim17ROCPRIM_400000_NS6detail17trampoline_kernelINS0_14default_configENS1_25partition_config_selectorILNS1_17partition_subalgoE8EjNS0_10empty_typeEbEEZZNS1_14partition_implILS5_8ELb0ES3_jPKjPS6_PKS6_NS0_5tupleIJPjS6_EEENSE_IJSB_SB_EEENS0_18inequality_wrapperIN6hipcub16HIPCUB_304000_NS8EqualityEEEPlJS6_EEE10hipError_tPvRmT3_T4_T5_T6_T7_T9_mT8_P12ihipStream_tbDpT10_ENKUlT_T0_E_clISt17integral_constantIbLb1EES17_EEDaS12_S13_EUlS12_E_NS1_11comp_targetILNS1_3genE2ELNS1_11target_archE906ELNS1_3gpuE6ELNS1_3repE0EEENS1_30default_config_static_selectorELNS0_4arch9wavefront6targetE0EEEvT1_.has_indirect_call, 0
	.section	.AMDGPU.csdata,"",@progbits
; Kernel info:
; codeLenInByte = 0
; TotalNumSgprs: 0
; NumVgprs: 0
; ScratchSize: 0
; MemoryBound: 0
; FloatMode: 240
; IeeeMode: 1
; LDSByteSize: 0 bytes/workgroup (compile time only)
; SGPRBlocks: 0
; VGPRBlocks: 0
; NumSGPRsForWavesPerEU: 1
; NumVGPRsForWavesPerEU: 1
; NamedBarCnt: 0
; Occupancy: 16
; WaveLimiterHint : 0
; COMPUTE_PGM_RSRC2:SCRATCH_EN: 0
; COMPUTE_PGM_RSRC2:USER_SGPR: 2
; COMPUTE_PGM_RSRC2:TRAP_HANDLER: 0
; COMPUTE_PGM_RSRC2:TGID_X_EN: 1
; COMPUTE_PGM_RSRC2:TGID_Y_EN: 0
; COMPUTE_PGM_RSRC2:TGID_Z_EN: 0
; COMPUTE_PGM_RSRC2:TIDIG_COMP_CNT: 0
	.section	.text._ZN7rocprim17ROCPRIM_400000_NS6detail17trampoline_kernelINS0_14default_configENS1_25partition_config_selectorILNS1_17partition_subalgoE8EjNS0_10empty_typeEbEEZZNS1_14partition_implILS5_8ELb0ES3_jPKjPS6_PKS6_NS0_5tupleIJPjS6_EEENSE_IJSB_SB_EEENS0_18inequality_wrapperIN6hipcub16HIPCUB_304000_NS8EqualityEEEPlJS6_EEE10hipError_tPvRmT3_T4_T5_T6_T7_T9_mT8_P12ihipStream_tbDpT10_ENKUlT_T0_E_clISt17integral_constantIbLb1EES17_EEDaS12_S13_EUlS12_E_NS1_11comp_targetILNS1_3genE10ELNS1_11target_archE1200ELNS1_3gpuE4ELNS1_3repE0EEENS1_30default_config_static_selectorELNS0_4arch9wavefront6targetE0EEEvT1_,"axG",@progbits,_ZN7rocprim17ROCPRIM_400000_NS6detail17trampoline_kernelINS0_14default_configENS1_25partition_config_selectorILNS1_17partition_subalgoE8EjNS0_10empty_typeEbEEZZNS1_14partition_implILS5_8ELb0ES3_jPKjPS6_PKS6_NS0_5tupleIJPjS6_EEENSE_IJSB_SB_EEENS0_18inequality_wrapperIN6hipcub16HIPCUB_304000_NS8EqualityEEEPlJS6_EEE10hipError_tPvRmT3_T4_T5_T6_T7_T9_mT8_P12ihipStream_tbDpT10_ENKUlT_T0_E_clISt17integral_constantIbLb1EES17_EEDaS12_S13_EUlS12_E_NS1_11comp_targetILNS1_3genE10ELNS1_11target_archE1200ELNS1_3gpuE4ELNS1_3repE0EEENS1_30default_config_static_selectorELNS0_4arch9wavefront6targetE0EEEvT1_,comdat
	.protected	_ZN7rocprim17ROCPRIM_400000_NS6detail17trampoline_kernelINS0_14default_configENS1_25partition_config_selectorILNS1_17partition_subalgoE8EjNS0_10empty_typeEbEEZZNS1_14partition_implILS5_8ELb0ES3_jPKjPS6_PKS6_NS0_5tupleIJPjS6_EEENSE_IJSB_SB_EEENS0_18inequality_wrapperIN6hipcub16HIPCUB_304000_NS8EqualityEEEPlJS6_EEE10hipError_tPvRmT3_T4_T5_T6_T7_T9_mT8_P12ihipStream_tbDpT10_ENKUlT_T0_E_clISt17integral_constantIbLb1EES17_EEDaS12_S13_EUlS12_E_NS1_11comp_targetILNS1_3genE10ELNS1_11target_archE1200ELNS1_3gpuE4ELNS1_3repE0EEENS1_30default_config_static_selectorELNS0_4arch9wavefront6targetE0EEEvT1_ ; -- Begin function _ZN7rocprim17ROCPRIM_400000_NS6detail17trampoline_kernelINS0_14default_configENS1_25partition_config_selectorILNS1_17partition_subalgoE8EjNS0_10empty_typeEbEEZZNS1_14partition_implILS5_8ELb0ES3_jPKjPS6_PKS6_NS0_5tupleIJPjS6_EEENSE_IJSB_SB_EEENS0_18inequality_wrapperIN6hipcub16HIPCUB_304000_NS8EqualityEEEPlJS6_EEE10hipError_tPvRmT3_T4_T5_T6_T7_T9_mT8_P12ihipStream_tbDpT10_ENKUlT_T0_E_clISt17integral_constantIbLb1EES17_EEDaS12_S13_EUlS12_E_NS1_11comp_targetILNS1_3genE10ELNS1_11target_archE1200ELNS1_3gpuE4ELNS1_3repE0EEENS1_30default_config_static_selectorELNS0_4arch9wavefront6targetE0EEEvT1_
	.globl	_ZN7rocprim17ROCPRIM_400000_NS6detail17trampoline_kernelINS0_14default_configENS1_25partition_config_selectorILNS1_17partition_subalgoE8EjNS0_10empty_typeEbEEZZNS1_14partition_implILS5_8ELb0ES3_jPKjPS6_PKS6_NS0_5tupleIJPjS6_EEENSE_IJSB_SB_EEENS0_18inequality_wrapperIN6hipcub16HIPCUB_304000_NS8EqualityEEEPlJS6_EEE10hipError_tPvRmT3_T4_T5_T6_T7_T9_mT8_P12ihipStream_tbDpT10_ENKUlT_T0_E_clISt17integral_constantIbLb1EES17_EEDaS12_S13_EUlS12_E_NS1_11comp_targetILNS1_3genE10ELNS1_11target_archE1200ELNS1_3gpuE4ELNS1_3repE0EEENS1_30default_config_static_selectorELNS0_4arch9wavefront6targetE0EEEvT1_
	.p2align	8
	.type	_ZN7rocprim17ROCPRIM_400000_NS6detail17trampoline_kernelINS0_14default_configENS1_25partition_config_selectorILNS1_17partition_subalgoE8EjNS0_10empty_typeEbEEZZNS1_14partition_implILS5_8ELb0ES3_jPKjPS6_PKS6_NS0_5tupleIJPjS6_EEENSE_IJSB_SB_EEENS0_18inequality_wrapperIN6hipcub16HIPCUB_304000_NS8EqualityEEEPlJS6_EEE10hipError_tPvRmT3_T4_T5_T6_T7_T9_mT8_P12ihipStream_tbDpT10_ENKUlT_T0_E_clISt17integral_constantIbLb1EES17_EEDaS12_S13_EUlS12_E_NS1_11comp_targetILNS1_3genE10ELNS1_11target_archE1200ELNS1_3gpuE4ELNS1_3repE0EEENS1_30default_config_static_selectorELNS0_4arch9wavefront6targetE0EEEvT1_,@function
_ZN7rocprim17ROCPRIM_400000_NS6detail17trampoline_kernelINS0_14default_configENS1_25partition_config_selectorILNS1_17partition_subalgoE8EjNS0_10empty_typeEbEEZZNS1_14partition_implILS5_8ELb0ES3_jPKjPS6_PKS6_NS0_5tupleIJPjS6_EEENSE_IJSB_SB_EEENS0_18inequality_wrapperIN6hipcub16HIPCUB_304000_NS8EqualityEEEPlJS6_EEE10hipError_tPvRmT3_T4_T5_T6_T7_T9_mT8_P12ihipStream_tbDpT10_ENKUlT_T0_E_clISt17integral_constantIbLb1EES17_EEDaS12_S13_EUlS12_E_NS1_11comp_targetILNS1_3genE10ELNS1_11target_archE1200ELNS1_3gpuE4ELNS1_3repE0EEENS1_30default_config_static_selectorELNS0_4arch9wavefront6targetE0EEEvT1_: ; @_ZN7rocprim17ROCPRIM_400000_NS6detail17trampoline_kernelINS0_14default_configENS1_25partition_config_selectorILNS1_17partition_subalgoE8EjNS0_10empty_typeEbEEZZNS1_14partition_implILS5_8ELb0ES3_jPKjPS6_PKS6_NS0_5tupleIJPjS6_EEENSE_IJSB_SB_EEENS0_18inequality_wrapperIN6hipcub16HIPCUB_304000_NS8EqualityEEEPlJS6_EEE10hipError_tPvRmT3_T4_T5_T6_T7_T9_mT8_P12ihipStream_tbDpT10_ENKUlT_T0_E_clISt17integral_constantIbLb1EES17_EEDaS12_S13_EUlS12_E_NS1_11comp_targetILNS1_3genE10ELNS1_11target_archE1200ELNS1_3gpuE4ELNS1_3repE0EEENS1_30default_config_static_selectorELNS0_4arch9wavefront6targetE0EEEvT1_
; %bb.0:
	.section	.rodata,"a",@progbits
	.p2align	6, 0x0
	.amdhsa_kernel _ZN7rocprim17ROCPRIM_400000_NS6detail17trampoline_kernelINS0_14default_configENS1_25partition_config_selectorILNS1_17partition_subalgoE8EjNS0_10empty_typeEbEEZZNS1_14partition_implILS5_8ELb0ES3_jPKjPS6_PKS6_NS0_5tupleIJPjS6_EEENSE_IJSB_SB_EEENS0_18inequality_wrapperIN6hipcub16HIPCUB_304000_NS8EqualityEEEPlJS6_EEE10hipError_tPvRmT3_T4_T5_T6_T7_T9_mT8_P12ihipStream_tbDpT10_ENKUlT_T0_E_clISt17integral_constantIbLb1EES17_EEDaS12_S13_EUlS12_E_NS1_11comp_targetILNS1_3genE10ELNS1_11target_archE1200ELNS1_3gpuE4ELNS1_3repE0EEENS1_30default_config_static_selectorELNS0_4arch9wavefront6targetE0EEEvT1_
		.amdhsa_group_segment_fixed_size 0
		.amdhsa_private_segment_fixed_size 0
		.amdhsa_kernarg_size 128
		.amdhsa_user_sgpr_count 2
		.amdhsa_user_sgpr_dispatch_ptr 0
		.amdhsa_user_sgpr_queue_ptr 0
		.amdhsa_user_sgpr_kernarg_segment_ptr 1
		.amdhsa_user_sgpr_dispatch_id 0
		.amdhsa_user_sgpr_kernarg_preload_length 0
		.amdhsa_user_sgpr_kernarg_preload_offset 0
		.amdhsa_user_sgpr_private_segment_size 0
		.amdhsa_wavefront_size32 1
		.amdhsa_uses_dynamic_stack 0
		.amdhsa_enable_private_segment 0
		.amdhsa_system_sgpr_workgroup_id_x 1
		.amdhsa_system_sgpr_workgroup_id_y 0
		.amdhsa_system_sgpr_workgroup_id_z 0
		.amdhsa_system_sgpr_workgroup_info 0
		.amdhsa_system_vgpr_workitem_id 0
		.amdhsa_next_free_vgpr 1
		.amdhsa_next_free_sgpr 1
		.amdhsa_named_barrier_count 0
		.amdhsa_reserve_vcc 0
		.amdhsa_float_round_mode_32 0
		.amdhsa_float_round_mode_16_64 0
		.amdhsa_float_denorm_mode_32 3
		.amdhsa_float_denorm_mode_16_64 3
		.amdhsa_fp16_overflow 0
		.amdhsa_memory_ordered 1
		.amdhsa_forward_progress 1
		.amdhsa_inst_pref_size 0
		.amdhsa_round_robin_scheduling 0
		.amdhsa_exception_fp_ieee_invalid_op 0
		.amdhsa_exception_fp_denorm_src 0
		.amdhsa_exception_fp_ieee_div_zero 0
		.amdhsa_exception_fp_ieee_overflow 0
		.amdhsa_exception_fp_ieee_underflow 0
		.amdhsa_exception_fp_ieee_inexact 0
		.amdhsa_exception_int_div_zero 0
	.end_amdhsa_kernel
	.section	.text._ZN7rocprim17ROCPRIM_400000_NS6detail17trampoline_kernelINS0_14default_configENS1_25partition_config_selectorILNS1_17partition_subalgoE8EjNS0_10empty_typeEbEEZZNS1_14partition_implILS5_8ELb0ES3_jPKjPS6_PKS6_NS0_5tupleIJPjS6_EEENSE_IJSB_SB_EEENS0_18inequality_wrapperIN6hipcub16HIPCUB_304000_NS8EqualityEEEPlJS6_EEE10hipError_tPvRmT3_T4_T5_T6_T7_T9_mT8_P12ihipStream_tbDpT10_ENKUlT_T0_E_clISt17integral_constantIbLb1EES17_EEDaS12_S13_EUlS12_E_NS1_11comp_targetILNS1_3genE10ELNS1_11target_archE1200ELNS1_3gpuE4ELNS1_3repE0EEENS1_30default_config_static_selectorELNS0_4arch9wavefront6targetE0EEEvT1_,"axG",@progbits,_ZN7rocprim17ROCPRIM_400000_NS6detail17trampoline_kernelINS0_14default_configENS1_25partition_config_selectorILNS1_17partition_subalgoE8EjNS0_10empty_typeEbEEZZNS1_14partition_implILS5_8ELb0ES3_jPKjPS6_PKS6_NS0_5tupleIJPjS6_EEENSE_IJSB_SB_EEENS0_18inequality_wrapperIN6hipcub16HIPCUB_304000_NS8EqualityEEEPlJS6_EEE10hipError_tPvRmT3_T4_T5_T6_T7_T9_mT8_P12ihipStream_tbDpT10_ENKUlT_T0_E_clISt17integral_constantIbLb1EES17_EEDaS12_S13_EUlS12_E_NS1_11comp_targetILNS1_3genE10ELNS1_11target_archE1200ELNS1_3gpuE4ELNS1_3repE0EEENS1_30default_config_static_selectorELNS0_4arch9wavefront6targetE0EEEvT1_,comdat
.Lfunc_end630:
	.size	_ZN7rocprim17ROCPRIM_400000_NS6detail17trampoline_kernelINS0_14default_configENS1_25partition_config_selectorILNS1_17partition_subalgoE8EjNS0_10empty_typeEbEEZZNS1_14partition_implILS5_8ELb0ES3_jPKjPS6_PKS6_NS0_5tupleIJPjS6_EEENSE_IJSB_SB_EEENS0_18inequality_wrapperIN6hipcub16HIPCUB_304000_NS8EqualityEEEPlJS6_EEE10hipError_tPvRmT3_T4_T5_T6_T7_T9_mT8_P12ihipStream_tbDpT10_ENKUlT_T0_E_clISt17integral_constantIbLb1EES17_EEDaS12_S13_EUlS12_E_NS1_11comp_targetILNS1_3genE10ELNS1_11target_archE1200ELNS1_3gpuE4ELNS1_3repE0EEENS1_30default_config_static_selectorELNS0_4arch9wavefront6targetE0EEEvT1_, .Lfunc_end630-_ZN7rocprim17ROCPRIM_400000_NS6detail17trampoline_kernelINS0_14default_configENS1_25partition_config_selectorILNS1_17partition_subalgoE8EjNS0_10empty_typeEbEEZZNS1_14partition_implILS5_8ELb0ES3_jPKjPS6_PKS6_NS0_5tupleIJPjS6_EEENSE_IJSB_SB_EEENS0_18inequality_wrapperIN6hipcub16HIPCUB_304000_NS8EqualityEEEPlJS6_EEE10hipError_tPvRmT3_T4_T5_T6_T7_T9_mT8_P12ihipStream_tbDpT10_ENKUlT_T0_E_clISt17integral_constantIbLb1EES17_EEDaS12_S13_EUlS12_E_NS1_11comp_targetILNS1_3genE10ELNS1_11target_archE1200ELNS1_3gpuE4ELNS1_3repE0EEENS1_30default_config_static_selectorELNS0_4arch9wavefront6targetE0EEEvT1_
                                        ; -- End function
	.set _ZN7rocprim17ROCPRIM_400000_NS6detail17trampoline_kernelINS0_14default_configENS1_25partition_config_selectorILNS1_17partition_subalgoE8EjNS0_10empty_typeEbEEZZNS1_14partition_implILS5_8ELb0ES3_jPKjPS6_PKS6_NS0_5tupleIJPjS6_EEENSE_IJSB_SB_EEENS0_18inequality_wrapperIN6hipcub16HIPCUB_304000_NS8EqualityEEEPlJS6_EEE10hipError_tPvRmT3_T4_T5_T6_T7_T9_mT8_P12ihipStream_tbDpT10_ENKUlT_T0_E_clISt17integral_constantIbLb1EES17_EEDaS12_S13_EUlS12_E_NS1_11comp_targetILNS1_3genE10ELNS1_11target_archE1200ELNS1_3gpuE4ELNS1_3repE0EEENS1_30default_config_static_selectorELNS0_4arch9wavefront6targetE0EEEvT1_.num_vgpr, 0
	.set _ZN7rocprim17ROCPRIM_400000_NS6detail17trampoline_kernelINS0_14default_configENS1_25partition_config_selectorILNS1_17partition_subalgoE8EjNS0_10empty_typeEbEEZZNS1_14partition_implILS5_8ELb0ES3_jPKjPS6_PKS6_NS0_5tupleIJPjS6_EEENSE_IJSB_SB_EEENS0_18inequality_wrapperIN6hipcub16HIPCUB_304000_NS8EqualityEEEPlJS6_EEE10hipError_tPvRmT3_T4_T5_T6_T7_T9_mT8_P12ihipStream_tbDpT10_ENKUlT_T0_E_clISt17integral_constantIbLb1EES17_EEDaS12_S13_EUlS12_E_NS1_11comp_targetILNS1_3genE10ELNS1_11target_archE1200ELNS1_3gpuE4ELNS1_3repE0EEENS1_30default_config_static_selectorELNS0_4arch9wavefront6targetE0EEEvT1_.num_agpr, 0
	.set _ZN7rocprim17ROCPRIM_400000_NS6detail17trampoline_kernelINS0_14default_configENS1_25partition_config_selectorILNS1_17partition_subalgoE8EjNS0_10empty_typeEbEEZZNS1_14partition_implILS5_8ELb0ES3_jPKjPS6_PKS6_NS0_5tupleIJPjS6_EEENSE_IJSB_SB_EEENS0_18inequality_wrapperIN6hipcub16HIPCUB_304000_NS8EqualityEEEPlJS6_EEE10hipError_tPvRmT3_T4_T5_T6_T7_T9_mT8_P12ihipStream_tbDpT10_ENKUlT_T0_E_clISt17integral_constantIbLb1EES17_EEDaS12_S13_EUlS12_E_NS1_11comp_targetILNS1_3genE10ELNS1_11target_archE1200ELNS1_3gpuE4ELNS1_3repE0EEENS1_30default_config_static_selectorELNS0_4arch9wavefront6targetE0EEEvT1_.numbered_sgpr, 0
	.set _ZN7rocprim17ROCPRIM_400000_NS6detail17trampoline_kernelINS0_14default_configENS1_25partition_config_selectorILNS1_17partition_subalgoE8EjNS0_10empty_typeEbEEZZNS1_14partition_implILS5_8ELb0ES3_jPKjPS6_PKS6_NS0_5tupleIJPjS6_EEENSE_IJSB_SB_EEENS0_18inequality_wrapperIN6hipcub16HIPCUB_304000_NS8EqualityEEEPlJS6_EEE10hipError_tPvRmT3_T4_T5_T6_T7_T9_mT8_P12ihipStream_tbDpT10_ENKUlT_T0_E_clISt17integral_constantIbLb1EES17_EEDaS12_S13_EUlS12_E_NS1_11comp_targetILNS1_3genE10ELNS1_11target_archE1200ELNS1_3gpuE4ELNS1_3repE0EEENS1_30default_config_static_selectorELNS0_4arch9wavefront6targetE0EEEvT1_.num_named_barrier, 0
	.set _ZN7rocprim17ROCPRIM_400000_NS6detail17trampoline_kernelINS0_14default_configENS1_25partition_config_selectorILNS1_17partition_subalgoE8EjNS0_10empty_typeEbEEZZNS1_14partition_implILS5_8ELb0ES3_jPKjPS6_PKS6_NS0_5tupleIJPjS6_EEENSE_IJSB_SB_EEENS0_18inequality_wrapperIN6hipcub16HIPCUB_304000_NS8EqualityEEEPlJS6_EEE10hipError_tPvRmT3_T4_T5_T6_T7_T9_mT8_P12ihipStream_tbDpT10_ENKUlT_T0_E_clISt17integral_constantIbLb1EES17_EEDaS12_S13_EUlS12_E_NS1_11comp_targetILNS1_3genE10ELNS1_11target_archE1200ELNS1_3gpuE4ELNS1_3repE0EEENS1_30default_config_static_selectorELNS0_4arch9wavefront6targetE0EEEvT1_.private_seg_size, 0
	.set _ZN7rocprim17ROCPRIM_400000_NS6detail17trampoline_kernelINS0_14default_configENS1_25partition_config_selectorILNS1_17partition_subalgoE8EjNS0_10empty_typeEbEEZZNS1_14partition_implILS5_8ELb0ES3_jPKjPS6_PKS6_NS0_5tupleIJPjS6_EEENSE_IJSB_SB_EEENS0_18inequality_wrapperIN6hipcub16HIPCUB_304000_NS8EqualityEEEPlJS6_EEE10hipError_tPvRmT3_T4_T5_T6_T7_T9_mT8_P12ihipStream_tbDpT10_ENKUlT_T0_E_clISt17integral_constantIbLb1EES17_EEDaS12_S13_EUlS12_E_NS1_11comp_targetILNS1_3genE10ELNS1_11target_archE1200ELNS1_3gpuE4ELNS1_3repE0EEENS1_30default_config_static_selectorELNS0_4arch9wavefront6targetE0EEEvT1_.uses_vcc, 0
	.set _ZN7rocprim17ROCPRIM_400000_NS6detail17trampoline_kernelINS0_14default_configENS1_25partition_config_selectorILNS1_17partition_subalgoE8EjNS0_10empty_typeEbEEZZNS1_14partition_implILS5_8ELb0ES3_jPKjPS6_PKS6_NS0_5tupleIJPjS6_EEENSE_IJSB_SB_EEENS0_18inequality_wrapperIN6hipcub16HIPCUB_304000_NS8EqualityEEEPlJS6_EEE10hipError_tPvRmT3_T4_T5_T6_T7_T9_mT8_P12ihipStream_tbDpT10_ENKUlT_T0_E_clISt17integral_constantIbLb1EES17_EEDaS12_S13_EUlS12_E_NS1_11comp_targetILNS1_3genE10ELNS1_11target_archE1200ELNS1_3gpuE4ELNS1_3repE0EEENS1_30default_config_static_selectorELNS0_4arch9wavefront6targetE0EEEvT1_.uses_flat_scratch, 0
	.set _ZN7rocprim17ROCPRIM_400000_NS6detail17trampoline_kernelINS0_14default_configENS1_25partition_config_selectorILNS1_17partition_subalgoE8EjNS0_10empty_typeEbEEZZNS1_14partition_implILS5_8ELb0ES3_jPKjPS6_PKS6_NS0_5tupleIJPjS6_EEENSE_IJSB_SB_EEENS0_18inequality_wrapperIN6hipcub16HIPCUB_304000_NS8EqualityEEEPlJS6_EEE10hipError_tPvRmT3_T4_T5_T6_T7_T9_mT8_P12ihipStream_tbDpT10_ENKUlT_T0_E_clISt17integral_constantIbLb1EES17_EEDaS12_S13_EUlS12_E_NS1_11comp_targetILNS1_3genE10ELNS1_11target_archE1200ELNS1_3gpuE4ELNS1_3repE0EEENS1_30default_config_static_selectorELNS0_4arch9wavefront6targetE0EEEvT1_.has_dyn_sized_stack, 0
	.set _ZN7rocprim17ROCPRIM_400000_NS6detail17trampoline_kernelINS0_14default_configENS1_25partition_config_selectorILNS1_17partition_subalgoE8EjNS0_10empty_typeEbEEZZNS1_14partition_implILS5_8ELb0ES3_jPKjPS6_PKS6_NS0_5tupleIJPjS6_EEENSE_IJSB_SB_EEENS0_18inequality_wrapperIN6hipcub16HIPCUB_304000_NS8EqualityEEEPlJS6_EEE10hipError_tPvRmT3_T4_T5_T6_T7_T9_mT8_P12ihipStream_tbDpT10_ENKUlT_T0_E_clISt17integral_constantIbLb1EES17_EEDaS12_S13_EUlS12_E_NS1_11comp_targetILNS1_3genE10ELNS1_11target_archE1200ELNS1_3gpuE4ELNS1_3repE0EEENS1_30default_config_static_selectorELNS0_4arch9wavefront6targetE0EEEvT1_.has_recursion, 0
	.set _ZN7rocprim17ROCPRIM_400000_NS6detail17trampoline_kernelINS0_14default_configENS1_25partition_config_selectorILNS1_17partition_subalgoE8EjNS0_10empty_typeEbEEZZNS1_14partition_implILS5_8ELb0ES3_jPKjPS6_PKS6_NS0_5tupleIJPjS6_EEENSE_IJSB_SB_EEENS0_18inequality_wrapperIN6hipcub16HIPCUB_304000_NS8EqualityEEEPlJS6_EEE10hipError_tPvRmT3_T4_T5_T6_T7_T9_mT8_P12ihipStream_tbDpT10_ENKUlT_T0_E_clISt17integral_constantIbLb1EES17_EEDaS12_S13_EUlS12_E_NS1_11comp_targetILNS1_3genE10ELNS1_11target_archE1200ELNS1_3gpuE4ELNS1_3repE0EEENS1_30default_config_static_selectorELNS0_4arch9wavefront6targetE0EEEvT1_.has_indirect_call, 0
	.section	.AMDGPU.csdata,"",@progbits
; Kernel info:
; codeLenInByte = 0
; TotalNumSgprs: 0
; NumVgprs: 0
; ScratchSize: 0
; MemoryBound: 0
; FloatMode: 240
; IeeeMode: 1
; LDSByteSize: 0 bytes/workgroup (compile time only)
; SGPRBlocks: 0
; VGPRBlocks: 0
; NumSGPRsForWavesPerEU: 1
; NumVGPRsForWavesPerEU: 1
; NamedBarCnt: 0
; Occupancy: 16
; WaveLimiterHint : 0
; COMPUTE_PGM_RSRC2:SCRATCH_EN: 0
; COMPUTE_PGM_RSRC2:USER_SGPR: 2
; COMPUTE_PGM_RSRC2:TRAP_HANDLER: 0
; COMPUTE_PGM_RSRC2:TGID_X_EN: 1
; COMPUTE_PGM_RSRC2:TGID_Y_EN: 0
; COMPUTE_PGM_RSRC2:TGID_Z_EN: 0
; COMPUTE_PGM_RSRC2:TIDIG_COMP_CNT: 0
	.section	.text._ZN7rocprim17ROCPRIM_400000_NS6detail17trampoline_kernelINS0_14default_configENS1_25partition_config_selectorILNS1_17partition_subalgoE8EjNS0_10empty_typeEbEEZZNS1_14partition_implILS5_8ELb0ES3_jPKjPS6_PKS6_NS0_5tupleIJPjS6_EEENSE_IJSB_SB_EEENS0_18inequality_wrapperIN6hipcub16HIPCUB_304000_NS8EqualityEEEPlJS6_EEE10hipError_tPvRmT3_T4_T5_T6_T7_T9_mT8_P12ihipStream_tbDpT10_ENKUlT_T0_E_clISt17integral_constantIbLb1EES17_EEDaS12_S13_EUlS12_E_NS1_11comp_targetILNS1_3genE9ELNS1_11target_archE1100ELNS1_3gpuE3ELNS1_3repE0EEENS1_30default_config_static_selectorELNS0_4arch9wavefront6targetE0EEEvT1_,"axG",@progbits,_ZN7rocprim17ROCPRIM_400000_NS6detail17trampoline_kernelINS0_14default_configENS1_25partition_config_selectorILNS1_17partition_subalgoE8EjNS0_10empty_typeEbEEZZNS1_14partition_implILS5_8ELb0ES3_jPKjPS6_PKS6_NS0_5tupleIJPjS6_EEENSE_IJSB_SB_EEENS0_18inequality_wrapperIN6hipcub16HIPCUB_304000_NS8EqualityEEEPlJS6_EEE10hipError_tPvRmT3_T4_T5_T6_T7_T9_mT8_P12ihipStream_tbDpT10_ENKUlT_T0_E_clISt17integral_constantIbLb1EES17_EEDaS12_S13_EUlS12_E_NS1_11comp_targetILNS1_3genE9ELNS1_11target_archE1100ELNS1_3gpuE3ELNS1_3repE0EEENS1_30default_config_static_selectorELNS0_4arch9wavefront6targetE0EEEvT1_,comdat
	.protected	_ZN7rocprim17ROCPRIM_400000_NS6detail17trampoline_kernelINS0_14default_configENS1_25partition_config_selectorILNS1_17partition_subalgoE8EjNS0_10empty_typeEbEEZZNS1_14partition_implILS5_8ELb0ES3_jPKjPS6_PKS6_NS0_5tupleIJPjS6_EEENSE_IJSB_SB_EEENS0_18inequality_wrapperIN6hipcub16HIPCUB_304000_NS8EqualityEEEPlJS6_EEE10hipError_tPvRmT3_T4_T5_T6_T7_T9_mT8_P12ihipStream_tbDpT10_ENKUlT_T0_E_clISt17integral_constantIbLb1EES17_EEDaS12_S13_EUlS12_E_NS1_11comp_targetILNS1_3genE9ELNS1_11target_archE1100ELNS1_3gpuE3ELNS1_3repE0EEENS1_30default_config_static_selectorELNS0_4arch9wavefront6targetE0EEEvT1_ ; -- Begin function _ZN7rocprim17ROCPRIM_400000_NS6detail17trampoline_kernelINS0_14default_configENS1_25partition_config_selectorILNS1_17partition_subalgoE8EjNS0_10empty_typeEbEEZZNS1_14partition_implILS5_8ELb0ES3_jPKjPS6_PKS6_NS0_5tupleIJPjS6_EEENSE_IJSB_SB_EEENS0_18inequality_wrapperIN6hipcub16HIPCUB_304000_NS8EqualityEEEPlJS6_EEE10hipError_tPvRmT3_T4_T5_T6_T7_T9_mT8_P12ihipStream_tbDpT10_ENKUlT_T0_E_clISt17integral_constantIbLb1EES17_EEDaS12_S13_EUlS12_E_NS1_11comp_targetILNS1_3genE9ELNS1_11target_archE1100ELNS1_3gpuE3ELNS1_3repE0EEENS1_30default_config_static_selectorELNS0_4arch9wavefront6targetE0EEEvT1_
	.globl	_ZN7rocprim17ROCPRIM_400000_NS6detail17trampoline_kernelINS0_14default_configENS1_25partition_config_selectorILNS1_17partition_subalgoE8EjNS0_10empty_typeEbEEZZNS1_14partition_implILS5_8ELb0ES3_jPKjPS6_PKS6_NS0_5tupleIJPjS6_EEENSE_IJSB_SB_EEENS0_18inequality_wrapperIN6hipcub16HIPCUB_304000_NS8EqualityEEEPlJS6_EEE10hipError_tPvRmT3_T4_T5_T6_T7_T9_mT8_P12ihipStream_tbDpT10_ENKUlT_T0_E_clISt17integral_constantIbLb1EES17_EEDaS12_S13_EUlS12_E_NS1_11comp_targetILNS1_3genE9ELNS1_11target_archE1100ELNS1_3gpuE3ELNS1_3repE0EEENS1_30default_config_static_selectorELNS0_4arch9wavefront6targetE0EEEvT1_
	.p2align	8
	.type	_ZN7rocprim17ROCPRIM_400000_NS6detail17trampoline_kernelINS0_14default_configENS1_25partition_config_selectorILNS1_17partition_subalgoE8EjNS0_10empty_typeEbEEZZNS1_14partition_implILS5_8ELb0ES3_jPKjPS6_PKS6_NS0_5tupleIJPjS6_EEENSE_IJSB_SB_EEENS0_18inequality_wrapperIN6hipcub16HIPCUB_304000_NS8EqualityEEEPlJS6_EEE10hipError_tPvRmT3_T4_T5_T6_T7_T9_mT8_P12ihipStream_tbDpT10_ENKUlT_T0_E_clISt17integral_constantIbLb1EES17_EEDaS12_S13_EUlS12_E_NS1_11comp_targetILNS1_3genE9ELNS1_11target_archE1100ELNS1_3gpuE3ELNS1_3repE0EEENS1_30default_config_static_selectorELNS0_4arch9wavefront6targetE0EEEvT1_,@function
_ZN7rocprim17ROCPRIM_400000_NS6detail17trampoline_kernelINS0_14default_configENS1_25partition_config_selectorILNS1_17partition_subalgoE8EjNS0_10empty_typeEbEEZZNS1_14partition_implILS5_8ELb0ES3_jPKjPS6_PKS6_NS0_5tupleIJPjS6_EEENSE_IJSB_SB_EEENS0_18inequality_wrapperIN6hipcub16HIPCUB_304000_NS8EqualityEEEPlJS6_EEE10hipError_tPvRmT3_T4_T5_T6_T7_T9_mT8_P12ihipStream_tbDpT10_ENKUlT_T0_E_clISt17integral_constantIbLb1EES17_EEDaS12_S13_EUlS12_E_NS1_11comp_targetILNS1_3genE9ELNS1_11target_archE1100ELNS1_3gpuE3ELNS1_3repE0EEENS1_30default_config_static_selectorELNS0_4arch9wavefront6targetE0EEEvT1_: ; @_ZN7rocprim17ROCPRIM_400000_NS6detail17trampoline_kernelINS0_14default_configENS1_25partition_config_selectorILNS1_17partition_subalgoE8EjNS0_10empty_typeEbEEZZNS1_14partition_implILS5_8ELb0ES3_jPKjPS6_PKS6_NS0_5tupleIJPjS6_EEENSE_IJSB_SB_EEENS0_18inequality_wrapperIN6hipcub16HIPCUB_304000_NS8EqualityEEEPlJS6_EEE10hipError_tPvRmT3_T4_T5_T6_T7_T9_mT8_P12ihipStream_tbDpT10_ENKUlT_T0_E_clISt17integral_constantIbLb1EES17_EEDaS12_S13_EUlS12_E_NS1_11comp_targetILNS1_3genE9ELNS1_11target_archE1100ELNS1_3gpuE3ELNS1_3repE0EEENS1_30default_config_static_selectorELNS0_4arch9wavefront6targetE0EEEvT1_
; %bb.0:
	.section	.rodata,"a",@progbits
	.p2align	6, 0x0
	.amdhsa_kernel _ZN7rocprim17ROCPRIM_400000_NS6detail17trampoline_kernelINS0_14default_configENS1_25partition_config_selectorILNS1_17partition_subalgoE8EjNS0_10empty_typeEbEEZZNS1_14partition_implILS5_8ELb0ES3_jPKjPS6_PKS6_NS0_5tupleIJPjS6_EEENSE_IJSB_SB_EEENS0_18inequality_wrapperIN6hipcub16HIPCUB_304000_NS8EqualityEEEPlJS6_EEE10hipError_tPvRmT3_T4_T5_T6_T7_T9_mT8_P12ihipStream_tbDpT10_ENKUlT_T0_E_clISt17integral_constantIbLb1EES17_EEDaS12_S13_EUlS12_E_NS1_11comp_targetILNS1_3genE9ELNS1_11target_archE1100ELNS1_3gpuE3ELNS1_3repE0EEENS1_30default_config_static_selectorELNS0_4arch9wavefront6targetE0EEEvT1_
		.amdhsa_group_segment_fixed_size 0
		.amdhsa_private_segment_fixed_size 0
		.amdhsa_kernarg_size 128
		.amdhsa_user_sgpr_count 2
		.amdhsa_user_sgpr_dispatch_ptr 0
		.amdhsa_user_sgpr_queue_ptr 0
		.amdhsa_user_sgpr_kernarg_segment_ptr 1
		.amdhsa_user_sgpr_dispatch_id 0
		.amdhsa_user_sgpr_kernarg_preload_length 0
		.amdhsa_user_sgpr_kernarg_preload_offset 0
		.amdhsa_user_sgpr_private_segment_size 0
		.amdhsa_wavefront_size32 1
		.amdhsa_uses_dynamic_stack 0
		.amdhsa_enable_private_segment 0
		.amdhsa_system_sgpr_workgroup_id_x 1
		.amdhsa_system_sgpr_workgroup_id_y 0
		.amdhsa_system_sgpr_workgroup_id_z 0
		.amdhsa_system_sgpr_workgroup_info 0
		.amdhsa_system_vgpr_workitem_id 0
		.amdhsa_next_free_vgpr 1
		.amdhsa_next_free_sgpr 1
		.amdhsa_named_barrier_count 0
		.amdhsa_reserve_vcc 0
		.amdhsa_float_round_mode_32 0
		.amdhsa_float_round_mode_16_64 0
		.amdhsa_float_denorm_mode_32 3
		.amdhsa_float_denorm_mode_16_64 3
		.amdhsa_fp16_overflow 0
		.amdhsa_memory_ordered 1
		.amdhsa_forward_progress 1
		.amdhsa_inst_pref_size 0
		.amdhsa_round_robin_scheduling 0
		.amdhsa_exception_fp_ieee_invalid_op 0
		.amdhsa_exception_fp_denorm_src 0
		.amdhsa_exception_fp_ieee_div_zero 0
		.amdhsa_exception_fp_ieee_overflow 0
		.amdhsa_exception_fp_ieee_underflow 0
		.amdhsa_exception_fp_ieee_inexact 0
		.amdhsa_exception_int_div_zero 0
	.end_amdhsa_kernel
	.section	.text._ZN7rocprim17ROCPRIM_400000_NS6detail17trampoline_kernelINS0_14default_configENS1_25partition_config_selectorILNS1_17partition_subalgoE8EjNS0_10empty_typeEbEEZZNS1_14partition_implILS5_8ELb0ES3_jPKjPS6_PKS6_NS0_5tupleIJPjS6_EEENSE_IJSB_SB_EEENS0_18inequality_wrapperIN6hipcub16HIPCUB_304000_NS8EqualityEEEPlJS6_EEE10hipError_tPvRmT3_T4_T5_T6_T7_T9_mT8_P12ihipStream_tbDpT10_ENKUlT_T0_E_clISt17integral_constantIbLb1EES17_EEDaS12_S13_EUlS12_E_NS1_11comp_targetILNS1_3genE9ELNS1_11target_archE1100ELNS1_3gpuE3ELNS1_3repE0EEENS1_30default_config_static_selectorELNS0_4arch9wavefront6targetE0EEEvT1_,"axG",@progbits,_ZN7rocprim17ROCPRIM_400000_NS6detail17trampoline_kernelINS0_14default_configENS1_25partition_config_selectorILNS1_17partition_subalgoE8EjNS0_10empty_typeEbEEZZNS1_14partition_implILS5_8ELb0ES3_jPKjPS6_PKS6_NS0_5tupleIJPjS6_EEENSE_IJSB_SB_EEENS0_18inequality_wrapperIN6hipcub16HIPCUB_304000_NS8EqualityEEEPlJS6_EEE10hipError_tPvRmT3_T4_T5_T6_T7_T9_mT8_P12ihipStream_tbDpT10_ENKUlT_T0_E_clISt17integral_constantIbLb1EES17_EEDaS12_S13_EUlS12_E_NS1_11comp_targetILNS1_3genE9ELNS1_11target_archE1100ELNS1_3gpuE3ELNS1_3repE0EEENS1_30default_config_static_selectorELNS0_4arch9wavefront6targetE0EEEvT1_,comdat
.Lfunc_end631:
	.size	_ZN7rocprim17ROCPRIM_400000_NS6detail17trampoline_kernelINS0_14default_configENS1_25partition_config_selectorILNS1_17partition_subalgoE8EjNS0_10empty_typeEbEEZZNS1_14partition_implILS5_8ELb0ES3_jPKjPS6_PKS6_NS0_5tupleIJPjS6_EEENSE_IJSB_SB_EEENS0_18inequality_wrapperIN6hipcub16HIPCUB_304000_NS8EqualityEEEPlJS6_EEE10hipError_tPvRmT3_T4_T5_T6_T7_T9_mT8_P12ihipStream_tbDpT10_ENKUlT_T0_E_clISt17integral_constantIbLb1EES17_EEDaS12_S13_EUlS12_E_NS1_11comp_targetILNS1_3genE9ELNS1_11target_archE1100ELNS1_3gpuE3ELNS1_3repE0EEENS1_30default_config_static_selectorELNS0_4arch9wavefront6targetE0EEEvT1_, .Lfunc_end631-_ZN7rocprim17ROCPRIM_400000_NS6detail17trampoline_kernelINS0_14default_configENS1_25partition_config_selectorILNS1_17partition_subalgoE8EjNS0_10empty_typeEbEEZZNS1_14partition_implILS5_8ELb0ES3_jPKjPS6_PKS6_NS0_5tupleIJPjS6_EEENSE_IJSB_SB_EEENS0_18inequality_wrapperIN6hipcub16HIPCUB_304000_NS8EqualityEEEPlJS6_EEE10hipError_tPvRmT3_T4_T5_T6_T7_T9_mT8_P12ihipStream_tbDpT10_ENKUlT_T0_E_clISt17integral_constantIbLb1EES17_EEDaS12_S13_EUlS12_E_NS1_11comp_targetILNS1_3genE9ELNS1_11target_archE1100ELNS1_3gpuE3ELNS1_3repE0EEENS1_30default_config_static_selectorELNS0_4arch9wavefront6targetE0EEEvT1_
                                        ; -- End function
	.set _ZN7rocprim17ROCPRIM_400000_NS6detail17trampoline_kernelINS0_14default_configENS1_25partition_config_selectorILNS1_17partition_subalgoE8EjNS0_10empty_typeEbEEZZNS1_14partition_implILS5_8ELb0ES3_jPKjPS6_PKS6_NS0_5tupleIJPjS6_EEENSE_IJSB_SB_EEENS0_18inequality_wrapperIN6hipcub16HIPCUB_304000_NS8EqualityEEEPlJS6_EEE10hipError_tPvRmT3_T4_T5_T6_T7_T9_mT8_P12ihipStream_tbDpT10_ENKUlT_T0_E_clISt17integral_constantIbLb1EES17_EEDaS12_S13_EUlS12_E_NS1_11comp_targetILNS1_3genE9ELNS1_11target_archE1100ELNS1_3gpuE3ELNS1_3repE0EEENS1_30default_config_static_selectorELNS0_4arch9wavefront6targetE0EEEvT1_.num_vgpr, 0
	.set _ZN7rocprim17ROCPRIM_400000_NS6detail17trampoline_kernelINS0_14default_configENS1_25partition_config_selectorILNS1_17partition_subalgoE8EjNS0_10empty_typeEbEEZZNS1_14partition_implILS5_8ELb0ES3_jPKjPS6_PKS6_NS0_5tupleIJPjS6_EEENSE_IJSB_SB_EEENS0_18inequality_wrapperIN6hipcub16HIPCUB_304000_NS8EqualityEEEPlJS6_EEE10hipError_tPvRmT3_T4_T5_T6_T7_T9_mT8_P12ihipStream_tbDpT10_ENKUlT_T0_E_clISt17integral_constantIbLb1EES17_EEDaS12_S13_EUlS12_E_NS1_11comp_targetILNS1_3genE9ELNS1_11target_archE1100ELNS1_3gpuE3ELNS1_3repE0EEENS1_30default_config_static_selectorELNS0_4arch9wavefront6targetE0EEEvT1_.num_agpr, 0
	.set _ZN7rocprim17ROCPRIM_400000_NS6detail17trampoline_kernelINS0_14default_configENS1_25partition_config_selectorILNS1_17partition_subalgoE8EjNS0_10empty_typeEbEEZZNS1_14partition_implILS5_8ELb0ES3_jPKjPS6_PKS6_NS0_5tupleIJPjS6_EEENSE_IJSB_SB_EEENS0_18inequality_wrapperIN6hipcub16HIPCUB_304000_NS8EqualityEEEPlJS6_EEE10hipError_tPvRmT3_T4_T5_T6_T7_T9_mT8_P12ihipStream_tbDpT10_ENKUlT_T0_E_clISt17integral_constantIbLb1EES17_EEDaS12_S13_EUlS12_E_NS1_11comp_targetILNS1_3genE9ELNS1_11target_archE1100ELNS1_3gpuE3ELNS1_3repE0EEENS1_30default_config_static_selectorELNS0_4arch9wavefront6targetE0EEEvT1_.numbered_sgpr, 0
	.set _ZN7rocprim17ROCPRIM_400000_NS6detail17trampoline_kernelINS0_14default_configENS1_25partition_config_selectorILNS1_17partition_subalgoE8EjNS0_10empty_typeEbEEZZNS1_14partition_implILS5_8ELb0ES3_jPKjPS6_PKS6_NS0_5tupleIJPjS6_EEENSE_IJSB_SB_EEENS0_18inequality_wrapperIN6hipcub16HIPCUB_304000_NS8EqualityEEEPlJS6_EEE10hipError_tPvRmT3_T4_T5_T6_T7_T9_mT8_P12ihipStream_tbDpT10_ENKUlT_T0_E_clISt17integral_constantIbLb1EES17_EEDaS12_S13_EUlS12_E_NS1_11comp_targetILNS1_3genE9ELNS1_11target_archE1100ELNS1_3gpuE3ELNS1_3repE0EEENS1_30default_config_static_selectorELNS0_4arch9wavefront6targetE0EEEvT1_.num_named_barrier, 0
	.set _ZN7rocprim17ROCPRIM_400000_NS6detail17trampoline_kernelINS0_14default_configENS1_25partition_config_selectorILNS1_17partition_subalgoE8EjNS0_10empty_typeEbEEZZNS1_14partition_implILS5_8ELb0ES3_jPKjPS6_PKS6_NS0_5tupleIJPjS6_EEENSE_IJSB_SB_EEENS0_18inequality_wrapperIN6hipcub16HIPCUB_304000_NS8EqualityEEEPlJS6_EEE10hipError_tPvRmT3_T4_T5_T6_T7_T9_mT8_P12ihipStream_tbDpT10_ENKUlT_T0_E_clISt17integral_constantIbLb1EES17_EEDaS12_S13_EUlS12_E_NS1_11comp_targetILNS1_3genE9ELNS1_11target_archE1100ELNS1_3gpuE3ELNS1_3repE0EEENS1_30default_config_static_selectorELNS0_4arch9wavefront6targetE0EEEvT1_.private_seg_size, 0
	.set _ZN7rocprim17ROCPRIM_400000_NS6detail17trampoline_kernelINS0_14default_configENS1_25partition_config_selectorILNS1_17partition_subalgoE8EjNS0_10empty_typeEbEEZZNS1_14partition_implILS5_8ELb0ES3_jPKjPS6_PKS6_NS0_5tupleIJPjS6_EEENSE_IJSB_SB_EEENS0_18inequality_wrapperIN6hipcub16HIPCUB_304000_NS8EqualityEEEPlJS6_EEE10hipError_tPvRmT3_T4_T5_T6_T7_T9_mT8_P12ihipStream_tbDpT10_ENKUlT_T0_E_clISt17integral_constantIbLb1EES17_EEDaS12_S13_EUlS12_E_NS1_11comp_targetILNS1_3genE9ELNS1_11target_archE1100ELNS1_3gpuE3ELNS1_3repE0EEENS1_30default_config_static_selectorELNS0_4arch9wavefront6targetE0EEEvT1_.uses_vcc, 0
	.set _ZN7rocprim17ROCPRIM_400000_NS6detail17trampoline_kernelINS0_14default_configENS1_25partition_config_selectorILNS1_17partition_subalgoE8EjNS0_10empty_typeEbEEZZNS1_14partition_implILS5_8ELb0ES3_jPKjPS6_PKS6_NS0_5tupleIJPjS6_EEENSE_IJSB_SB_EEENS0_18inequality_wrapperIN6hipcub16HIPCUB_304000_NS8EqualityEEEPlJS6_EEE10hipError_tPvRmT3_T4_T5_T6_T7_T9_mT8_P12ihipStream_tbDpT10_ENKUlT_T0_E_clISt17integral_constantIbLb1EES17_EEDaS12_S13_EUlS12_E_NS1_11comp_targetILNS1_3genE9ELNS1_11target_archE1100ELNS1_3gpuE3ELNS1_3repE0EEENS1_30default_config_static_selectorELNS0_4arch9wavefront6targetE0EEEvT1_.uses_flat_scratch, 0
	.set _ZN7rocprim17ROCPRIM_400000_NS6detail17trampoline_kernelINS0_14default_configENS1_25partition_config_selectorILNS1_17partition_subalgoE8EjNS0_10empty_typeEbEEZZNS1_14partition_implILS5_8ELb0ES3_jPKjPS6_PKS6_NS0_5tupleIJPjS6_EEENSE_IJSB_SB_EEENS0_18inequality_wrapperIN6hipcub16HIPCUB_304000_NS8EqualityEEEPlJS6_EEE10hipError_tPvRmT3_T4_T5_T6_T7_T9_mT8_P12ihipStream_tbDpT10_ENKUlT_T0_E_clISt17integral_constantIbLb1EES17_EEDaS12_S13_EUlS12_E_NS1_11comp_targetILNS1_3genE9ELNS1_11target_archE1100ELNS1_3gpuE3ELNS1_3repE0EEENS1_30default_config_static_selectorELNS0_4arch9wavefront6targetE0EEEvT1_.has_dyn_sized_stack, 0
	.set _ZN7rocprim17ROCPRIM_400000_NS6detail17trampoline_kernelINS0_14default_configENS1_25partition_config_selectorILNS1_17partition_subalgoE8EjNS0_10empty_typeEbEEZZNS1_14partition_implILS5_8ELb0ES3_jPKjPS6_PKS6_NS0_5tupleIJPjS6_EEENSE_IJSB_SB_EEENS0_18inequality_wrapperIN6hipcub16HIPCUB_304000_NS8EqualityEEEPlJS6_EEE10hipError_tPvRmT3_T4_T5_T6_T7_T9_mT8_P12ihipStream_tbDpT10_ENKUlT_T0_E_clISt17integral_constantIbLb1EES17_EEDaS12_S13_EUlS12_E_NS1_11comp_targetILNS1_3genE9ELNS1_11target_archE1100ELNS1_3gpuE3ELNS1_3repE0EEENS1_30default_config_static_selectorELNS0_4arch9wavefront6targetE0EEEvT1_.has_recursion, 0
	.set _ZN7rocprim17ROCPRIM_400000_NS6detail17trampoline_kernelINS0_14default_configENS1_25partition_config_selectorILNS1_17partition_subalgoE8EjNS0_10empty_typeEbEEZZNS1_14partition_implILS5_8ELb0ES3_jPKjPS6_PKS6_NS0_5tupleIJPjS6_EEENSE_IJSB_SB_EEENS0_18inequality_wrapperIN6hipcub16HIPCUB_304000_NS8EqualityEEEPlJS6_EEE10hipError_tPvRmT3_T4_T5_T6_T7_T9_mT8_P12ihipStream_tbDpT10_ENKUlT_T0_E_clISt17integral_constantIbLb1EES17_EEDaS12_S13_EUlS12_E_NS1_11comp_targetILNS1_3genE9ELNS1_11target_archE1100ELNS1_3gpuE3ELNS1_3repE0EEENS1_30default_config_static_selectorELNS0_4arch9wavefront6targetE0EEEvT1_.has_indirect_call, 0
	.section	.AMDGPU.csdata,"",@progbits
; Kernel info:
; codeLenInByte = 0
; TotalNumSgprs: 0
; NumVgprs: 0
; ScratchSize: 0
; MemoryBound: 0
; FloatMode: 240
; IeeeMode: 1
; LDSByteSize: 0 bytes/workgroup (compile time only)
; SGPRBlocks: 0
; VGPRBlocks: 0
; NumSGPRsForWavesPerEU: 1
; NumVGPRsForWavesPerEU: 1
; NamedBarCnt: 0
; Occupancy: 16
; WaveLimiterHint : 0
; COMPUTE_PGM_RSRC2:SCRATCH_EN: 0
; COMPUTE_PGM_RSRC2:USER_SGPR: 2
; COMPUTE_PGM_RSRC2:TRAP_HANDLER: 0
; COMPUTE_PGM_RSRC2:TGID_X_EN: 1
; COMPUTE_PGM_RSRC2:TGID_Y_EN: 0
; COMPUTE_PGM_RSRC2:TGID_Z_EN: 0
; COMPUTE_PGM_RSRC2:TIDIG_COMP_CNT: 0
	.section	.text._ZN7rocprim17ROCPRIM_400000_NS6detail17trampoline_kernelINS0_14default_configENS1_25partition_config_selectorILNS1_17partition_subalgoE8EjNS0_10empty_typeEbEEZZNS1_14partition_implILS5_8ELb0ES3_jPKjPS6_PKS6_NS0_5tupleIJPjS6_EEENSE_IJSB_SB_EEENS0_18inequality_wrapperIN6hipcub16HIPCUB_304000_NS8EqualityEEEPlJS6_EEE10hipError_tPvRmT3_T4_T5_T6_T7_T9_mT8_P12ihipStream_tbDpT10_ENKUlT_T0_E_clISt17integral_constantIbLb1EES17_EEDaS12_S13_EUlS12_E_NS1_11comp_targetILNS1_3genE8ELNS1_11target_archE1030ELNS1_3gpuE2ELNS1_3repE0EEENS1_30default_config_static_selectorELNS0_4arch9wavefront6targetE0EEEvT1_,"axG",@progbits,_ZN7rocprim17ROCPRIM_400000_NS6detail17trampoline_kernelINS0_14default_configENS1_25partition_config_selectorILNS1_17partition_subalgoE8EjNS0_10empty_typeEbEEZZNS1_14partition_implILS5_8ELb0ES3_jPKjPS6_PKS6_NS0_5tupleIJPjS6_EEENSE_IJSB_SB_EEENS0_18inequality_wrapperIN6hipcub16HIPCUB_304000_NS8EqualityEEEPlJS6_EEE10hipError_tPvRmT3_T4_T5_T6_T7_T9_mT8_P12ihipStream_tbDpT10_ENKUlT_T0_E_clISt17integral_constantIbLb1EES17_EEDaS12_S13_EUlS12_E_NS1_11comp_targetILNS1_3genE8ELNS1_11target_archE1030ELNS1_3gpuE2ELNS1_3repE0EEENS1_30default_config_static_selectorELNS0_4arch9wavefront6targetE0EEEvT1_,comdat
	.protected	_ZN7rocprim17ROCPRIM_400000_NS6detail17trampoline_kernelINS0_14default_configENS1_25partition_config_selectorILNS1_17partition_subalgoE8EjNS0_10empty_typeEbEEZZNS1_14partition_implILS5_8ELb0ES3_jPKjPS6_PKS6_NS0_5tupleIJPjS6_EEENSE_IJSB_SB_EEENS0_18inequality_wrapperIN6hipcub16HIPCUB_304000_NS8EqualityEEEPlJS6_EEE10hipError_tPvRmT3_T4_T5_T6_T7_T9_mT8_P12ihipStream_tbDpT10_ENKUlT_T0_E_clISt17integral_constantIbLb1EES17_EEDaS12_S13_EUlS12_E_NS1_11comp_targetILNS1_3genE8ELNS1_11target_archE1030ELNS1_3gpuE2ELNS1_3repE0EEENS1_30default_config_static_selectorELNS0_4arch9wavefront6targetE0EEEvT1_ ; -- Begin function _ZN7rocprim17ROCPRIM_400000_NS6detail17trampoline_kernelINS0_14default_configENS1_25partition_config_selectorILNS1_17partition_subalgoE8EjNS0_10empty_typeEbEEZZNS1_14partition_implILS5_8ELb0ES3_jPKjPS6_PKS6_NS0_5tupleIJPjS6_EEENSE_IJSB_SB_EEENS0_18inequality_wrapperIN6hipcub16HIPCUB_304000_NS8EqualityEEEPlJS6_EEE10hipError_tPvRmT3_T4_T5_T6_T7_T9_mT8_P12ihipStream_tbDpT10_ENKUlT_T0_E_clISt17integral_constantIbLb1EES17_EEDaS12_S13_EUlS12_E_NS1_11comp_targetILNS1_3genE8ELNS1_11target_archE1030ELNS1_3gpuE2ELNS1_3repE0EEENS1_30default_config_static_selectorELNS0_4arch9wavefront6targetE0EEEvT1_
	.globl	_ZN7rocprim17ROCPRIM_400000_NS6detail17trampoline_kernelINS0_14default_configENS1_25partition_config_selectorILNS1_17partition_subalgoE8EjNS0_10empty_typeEbEEZZNS1_14partition_implILS5_8ELb0ES3_jPKjPS6_PKS6_NS0_5tupleIJPjS6_EEENSE_IJSB_SB_EEENS0_18inequality_wrapperIN6hipcub16HIPCUB_304000_NS8EqualityEEEPlJS6_EEE10hipError_tPvRmT3_T4_T5_T6_T7_T9_mT8_P12ihipStream_tbDpT10_ENKUlT_T0_E_clISt17integral_constantIbLb1EES17_EEDaS12_S13_EUlS12_E_NS1_11comp_targetILNS1_3genE8ELNS1_11target_archE1030ELNS1_3gpuE2ELNS1_3repE0EEENS1_30default_config_static_selectorELNS0_4arch9wavefront6targetE0EEEvT1_
	.p2align	8
	.type	_ZN7rocprim17ROCPRIM_400000_NS6detail17trampoline_kernelINS0_14default_configENS1_25partition_config_selectorILNS1_17partition_subalgoE8EjNS0_10empty_typeEbEEZZNS1_14partition_implILS5_8ELb0ES3_jPKjPS6_PKS6_NS0_5tupleIJPjS6_EEENSE_IJSB_SB_EEENS0_18inequality_wrapperIN6hipcub16HIPCUB_304000_NS8EqualityEEEPlJS6_EEE10hipError_tPvRmT3_T4_T5_T6_T7_T9_mT8_P12ihipStream_tbDpT10_ENKUlT_T0_E_clISt17integral_constantIbLb1EES17_EEDaS12_S13_EUlS12_E_NS1_11comp_targetILNS1_3genE8ELNS1_11target_archE1030ELNS1_3gpuE2ELNS1_3repE0EEENS1_30default_config_static_selectorELNS0_4arch9wavefront6targetE0EEEvT1_,@function
_ZN7rocprim17ROCPRIM_400000_NS6detail17trampoline_kernelINS0_14default_configENS1_25partition_config_selectorILNS1_17partition_subalgoE8EjNS0_10empty_typeEbEEZZNS1_14partition_implILS5_8ELb0ES3_jPKjPS6_PKS6_NS0_5tupleIJPjS6_EEENSE_IJSB_SB_EEENS0_18inequality_wrapperIN6hipcub16HIPCUB_304000_NS8EqualityEEEPlJS6_EEE10hipError_tPvRmT3_T4_T5_T6_T7_T9_mT8_P12ihipStream_tbDpT10_ENKUlT_T0_E_clISt17integral_constantIbLb1EES17_EEDaS12_S13_EUlS12_E_NS1_11comp_targetILNS1_3genE8ELNS1_11target_archE1030ELNS1_3gpuE2ELNS1_3repE0EEENS1_30default_config_static_selectorELNS0_4arch9wavefront6targetE0EEEvT1_: ; @_ZN7rocprim17ROCPRIM_400000_NS6detail17trampoline_kernelINS0_14default_configENS1_25partition_config_selectorILNS1_17partition_subalgoE8EjNS0_10empty_typeEbEEZZNS1_14partition_implILS5_8ELb0ES3_jPKjPS6_PKS6_NS0_5tupleIJPjS6_EEENSE_IJSB_SB_EEENS0_18inequality_wrapperIN6hipcub16HIPCUB_304000_NS8EqualityEEEPlJS6_EEE10hipError_tPvRmT3_T4_T5_T6_T7_T9_mT8_P12ihipStream_tbDpT10_ENKUlT_T0_E_clISt17integral_constantIbLb1EES17_EEDaS12_S13_EUlS12_E_NS1_11comp_targetILNS1_3genE8ELNS1_11target_archE1030ELNS1_3gpuE2ELNS1_3repE0EEENS1_30default_config_static_selectorELNS0_4arch9wavefront6targetE0EEEvT1_
; %bb.0:
	.section	.rodata,"a",@progbits
	.p2align	6, 0x0
	.amdhsa_kernel _ZN7rocprim17ROCPRIM_400000_NS6detail17trampoline_kernelINS0_14default_configENS1_25partition_config_selectorILNS1_17partition_subalgoE8EjNS0_10empty_typeEbEEZZNS1_14partition_implILS5_8ELb0ES3_jPKjPS6_PKS6_NS0_5tupleIJPjS6_EEENSE_IJSB_SB_EEENS0_18inequality_wrapperIN6hipcub16HIPCUB_304000_NS8EqualityEEEPlJS6_EEE10hipError_tPvRmT3_T4_T5_T6_T7_T9_mT8_P12ihipStream_tbDpT10_ENKUlT_T0_E_clISt17integral_constantIbLb1EES17_EEDaS12_S13_EUlS12_E_NS1_11comp_targetILNS1_3genE8ELNS1_11target_archE1030ELNS1_3gpuE2ELNS1_3repE0EEENS1_30default_config_static_selectorELNS0_4arch9wavefront6targetE0EEEvT1_
		.amdhsa_group_segment_fixed_size 0
		.amdhsa_private_segment_fixed_size 0
		.amdhsa_kernarg_size 128
		.amdhsa_user_sgpr_count 2
		.amdhsa_user_sgpr_dispatch_ptr 0
		.amdhsa_user_sgpr_queue_ptr 0
		.amdhsa_user_sgpr_kernarg_segment_ptr 1
		.amdhsa_user_sgpr_dispatch_id 0
		.amdhsa_user_sgpr_kernarg_preload_length 0
		.amdhsa_user_sgpr_kernarg_preload_offset 0
		.amdhsa_user_sgpr_private_segment_size 0
		.amdhsa_wavefront_size32 1
		.amdhsa_uses_dynamic_stack 0
		.amdhsa_enable_private_segment 0
		.amdhsa_system_sgpr_workgroup_id_x 1
		.amdhsa_system_sgpr_workgroup_id_y 0
		.amdhsa_system_sgpr_workgroup_id_z 0
		.amdhsa_system_sgpr_workgroup_info 0
		.amdhsa_system_vgpr_workitem_id 0
		.amdhsa_next_free_vgpr 1
		.amdhsa_next_free_sgpr 1
		.amdhsa_named_barrier_count 0
		.amdhsa_reserve_vcc 0
		.amdhsa_float_round_mode_32 0
		.amdhsa_float_round_mode_16_64 0
		.amdhsa_float_denorm_mode_32 3
		.amdhsa_float_denorm_mode_16_64 3
		.amdhsa_fp16_overflow 0
		.amdhsa_memory_ordered 1
		.amdhsa_forward_progress 1
		.amdhsa_inst_pref_size 0
		.amdhsa_round_robin_scheduling 0
		.amdhsa_exception_fp_ieee_invalid_op 0
		.amdhsa_exception_fp_denorm_src 0
		.amdhsa_exception_fp_ieee_div_zero 0
		.amdhsa_exception_fp_ieee_overflow 0
		.amdhsa_exception_fp_ieee_underflow 0
		.amdhsa_exception_fp_ieee_inexact 0
		.amdhsa_exception_int_div_zero 0
	.end_amdhsa_kernel
	.section	.text._ZN7rocprim17ROCPRIM_400000_NS6detail17trampoline_kernelINS0_14default_configENS1_25partition_config_selectorILNS1_17partition_subalgoE8EjNS0_10empty_typeEbEEZZNS1_14partition_implILS5_8ELb0ES3_jPKjPS6_PKS6_NS0_5tupleIJPjS6_EEENSE_IJSB_SB_EEENS0_18inequality_wrapperIN6hipcub16HIPCUB_304000_NS8EqualityEEEPlJS6_EEE10hipError_tPvRmT3_T4_T5_T6_T7_T9_mT8_P12ihipStream_tbDpT10_ENKUlT_T0_E_clISt17integral_constantIbLb1EES17_EEDaS12_S13_EUlS12_E_NS1_11comp_targetILNS1_3genE8ELNS1_11target_archE1030ELNS1_3gpuE2ELNS1_3repE0EEENS1_30default_config_static_selectorELNS0_4arch9wavefront6targetE0EEEvT1_,"axG",@progbits,_ZN7rocprim17ROCPRIM_400000_NS6detail17trampoline_kernelINS0_14default_configENS1_25partition_config_selectorILNS1_17partition_subalgoE8EjNS0_10empty_typeEbEEZZNS1_14partition_implILS5_8ELb0ES3_jPKjPS6_PKS6_NS0_5tupleIJPjS6_EEENSE_IJSB_SB_EEENS0_18inequality_wrapperIN6hipcub16HIPCUB_304000_NS8EqualityEEEPlJS6_EEE10hipError_tPvRmT3_T4_T5_T6_T7_T9_mT8_P12ihipStream_tbDpT10_ENKUlT_T0_E_clISt17integral_constantIbLb1EES17_EEDaS12_S13_EUlS12_E_NS1_11comp_targetILNS1_3genE8ELNS1_11target_archE1030ELNS1_3gpuE2ELNS1_3repE0EEENS1_30default_config_static_selectorELNS0_4arch9wavefront6targetE0EEEvT1_,comdat
.Lfunc_end632:
	.size	_ZN7rocprim17ROCPRIM_400000_NS6detail17trampoline_kernelINS0_14default_configENS1_25partition_config_selectorILNS1_17partition_subalgoE8EjNS0_10empty_typeEbEEZZNS1_14partition_implILS5_8ELb0ES3_jPKjPS6_PKS6_NS0_5tupleIJPjS6_EEENSE_IJSB_SB_EEENS0_18inequality_wrapperIN6hipcub16HIPCUB_304000_NS8EqualityEEEPlJS6_EEE10hipError_tPvRmT3_T4_T5_T6_T7_T9_mT8_P12ihipStream_tbDpT10_ENKUlT_T0_E_clISt17integral_constantIbLb1EES17_EEDaS12_S13_EUlS12_E_NS1_11comp_targetILNS1_3genE8ELNS1_11target_archE1030ELNS1_3gpuE2ELNS1_3repE0EEENS1_30default_config_static_selectorELNS0_4arch9wavefront6targetE0EEEvT1_, .Lfunc_end632-_ZN7rocprim17ROCPRIM_400000_NS6detail17trampoline_kernelINS0_14default_configENS1_25partition_config_selectorILNS1_17partition_subalgoE8EjNS0_10empty_typeEbEEZZNS1_14partition_implILS5_8ELb0ES3_jPKjPS6_PKS6_NS0_5tupleIJPjS6_EEENSE_IJSB_SB_EEENS0_18inequality_wrapperIN6hipcub16HIPCUB_304000_NS8EqualityEEEPlJS6_EEE10hipError_tPvRmT3_T4_T5_T6_T7_T9_mT8_P12ihipStream_tbDpT10_ENKUlT_T0_E_clISt17integral_constantIbLb1EES17_EEDaS12_S13_EUlS12_E_NS1_11comp_targetILNS1_3genE8ELNS1_11target_archE1030ELNS1_3gpuE2ELNS1_3repE0EEENS1_30default_config_static_selectorELNS0_4arch9wavefront6targetE0EEEvT1_
                                        ; -- End function
	.set _ZN7rocprim17ROCPRIM_400000_NS6detail17trampoline_kernelINS0_14default_configENS1_25partition_config_selectorILNS1_17partition_subalgoE8EjNS0_10empty_typeEbEEZZNS1_14partition_implILS5_8ELb0ES3_jPKjPS6_PKS6_NS0_5tupleIJPjS6_EEENSE_IJSB_SB_EEENS0_18inequality_wrapperIN6hipcub16HIPCUB_304000_NS8EqualityEEEPlJS6_EEE10hipError_tPvRmT3_T4_T5_T6_T7_T9_mT8_P12ihipStream_tbDpT10_ENKUlT_T0_E_clISt17integral_constantIbLb1EES17_EEDaS12_S13_EUlS12_E_NS1_11comp_targetILNS1_3genE8ELNS1_11target_archE1030ELNS1_3gpuE2ELNS1_3repE0EEENS1_30default_config_static_selectorELNS0_4arch9wavefront6targetE0EEEvT1_.num_vgpr, 0
	.set _ZN7rocprim17ROCPRIM_400000_NS6detail17trampoline_kernelINS0_14default_configENS1_25partition_config_selectorILNS1_17partition_subalgoE8EjNS0_10empty_typeEbEEZZNS1_14partition_implILS5_8ELb0ES3_jPKjPS6_PKS6_NS0_5tupleIJPjS6_EEENSE_IJSB_SB_EEENS0_18inequality_wrapperIN6hipcub16HIPCUB_304000_NS8EqualityEEEPlJS6_EEE10hipError_tPvRmT3_T4_T5_T6_T7_T9_mT8_P12ihipStream_tbDpT10_ENKUlT_T0_E_clISt17integral_constantIbLb1EES17_EEDaS12_S13_EUlS12_E_NS1_11comp_targetILNS1_3genE8ELNS1_11target_archE1030ELNS1_3gpuE2ELNS1_3repE0EEENS1_30default_config_static_selectorELNS0_4arch9wavefront6targetE0EEEvT1_.num_agpr, 0
	.set _ZN7rocprim17ROCPRIM_400000_NS6detail17trampoline_kernelINS0_14default_configENS1_25partition_config_selectorILNS1_17partition_subalgoE8EjNS0_10empty_typeEbEEZZNS1_14partition_implILS5_8ELb0ES3_jPKjPS6_PKS6_NS0_5tupleIJPjS6_EEENSE_IJSB_SB_EEENS0_18inequality_wrapperIN6hipcub16HIPCUB_304000_NS8EqualityEEEPlJS6_EEE10hipError_tPvRmT3_T4_T5_T6_T7_T9_mT8_P12ihipStream_tbDpT10_ENKUlT_T0_E_clISt17integral_constantIbLb1EES17_EEDaS12_S13_EUlS12_E_NS1_11comp_targetILNS1_3genE8ELNS1_11target_archE1030ELNS1_3gpuE2ELNS1_3repE0EEENS1_30default_config_static_selectorELNS0_4arch9wavefront6targetE0EEEvT1_.numbered_sgpr, 0
	.set _ZN7rocprim17ROCPRIM_400000_NS6detail17trampoline_kernelINS0_14default_configENS1_25partition_config_selectorILNS1_17partition_subalgoE8EjNS0_10empty_typeEbEEZZNS1_14partition_implILS5_8ELb0ES3_jPKjPS6_PKS6_NS0_5tupleIJPjS6_EEENSE_IJSB_SB_EEENS0_18inequality_wrapperIN6hipcub16HIPCUB_304000_NS8EqualityEEEPlJS6_EEE10hipError_tPvRmT3_T4_T5_T6_T7_T9_mT8_P12ihipStream_tbDpT10_ENKUlT_T0_E_clISt17integral_constantIbLb1EES17_EEDaS12_S13_EUlS12_E_NS1_11comp_targetILNS1_3genE8ELNS1_11target_archE1030ELNS1_3gpuE2ELNS1_3repE0EEENS1_30default_config_static_selectorELNS0_4arch9wavefront6targetE0EEEvT1_.num_named_barrier, 0
	.set _ZN7rocprim17ROCPRIM_400000_NS6detail17trampoline_kernelINS0_14default_configENS1_25partition_config_selectorILNS1_17partition_subalgoE8EjNS0_10empty_typeEbEEZZNS1_14partition_implILS5_8ELb0ES3_jPKjPS6_PKS6_NS0_5tupleIJPjS6_EEENSE_IJSB_SB_EEENS0_18inequality_wrapperIN6hipcub16HIPCUB_304000_NS8EqualityEEEPlJS6_EEE10hipError_tPvRmT3_T4_T5_T6_T7_T9_mT8_P12ihipStream_tbDpT10_ENKUlT_T0_E_clISt17integral_constantIbLb1EES17_EEDaS12_S13_EUlS12_E_NS1_11comp_targetILNS1_3genE8ELNS1_11target_archE1030ELNS1_3gpuE2ELNS1_3repE0EEENS1_30default_config_static_selectorELNS0_4arch9wavefront6targetE0EEEvT1_.private_seg_size, 0
	.set _ZN7rocprim17ROCPRIM_400000_NS6detail17trampoline_kernelINS0_14default_configENS1_25partition_config_selectorILNS1_17partition_subalgoE8EjNS0_10empty_typeEbEEZZNS1_14partition_implILS5_8ELb0ES3_jPKjPS6_PKS6_NS0_5tupleIJPjS6_EEENSE_IJSB_SB_EEENS0_18inequality_wrapperIN6hipcub16HIPCUB_304000_NS8EqualityEEEPlJS6_EEE10hipError_tPvRmT3_T4_T5_T6_T7_T9_mT8_P12ihipStream_tbDpT10_ENKUlT_T0_E_clISt17integral_constantIbLb1EES17_EEDaS12_S13_EUlS12_E_NS1_11comp_targetILNS1_3genE8ELNS1_11target_archE1030ELNS1_3gpuE2ELNS1_3repE0EEENS1_30default_config_static_selectorELNS0_4arch9wavefront6targetE0EEEvT1_.uses_vcc, 0
	.set _ZN7rocprim17ROCPRIM_400000_NS6detail17trampoline_kernelINS0_14default_configENS1_25partition_config_selectorILNS1_17partition_subalgoE8EjNS0_10empty_typeEbEEZZNS1_14partition_implILS5_8ELb0ES3_jPKjPS6_PKS6_NS0_5tupleIJPjS6_EEENSE_IJSB_SB_EEENS0_18inequality_wrapperIN6hipcub16HIPCUB_304000_NS8EqualityEEEPlJS6_EEE10hipError_tPvRmT3_T4_T5_T6_T7_T9_mT8_P12ihipStream_tbDpT10_ENKUlT_T0_E_clISt17integral_constantIbLb1EES17_EEDaS12_S13_EUlS12_E_NS1_11comp_targetILNS1_3genE8ELNS1_11target_archE1030ELNS1_3gpuE2ELNS1_3repE0EEENS1_30default_config_static_selectorELNS0_4arch9wavefront6targetE0EEEvT1_.uses_flat_scratch, 0
	.set _ZN7rocprim17ROCPRIM_400000_NS6detail17trampoline_kernelINS0_14default_configENS1_25partition_config_selectorILNS1_17partition_subalgoE8EjNS0_10empty_typeEbEEZZNS1_14partition_implILS5_8ELb0ES3_jPKjPS6_PKS6_NS0_5tupleIJPjS6_EEENSE_IJSB_SB_EEENS0_18inequality_wrapperIN6hipcub16HIPCUB_304000_NS8EqualityEEEPlJS6_EEE10hipError_tPvRmT3_T4_T5_T6_T7_T9_mT8_P12ihipStream_tbDpT10_ENKUlT_T0_E_clISt17integral_constantIbLb1EES17_EEDaS12_S13_EUlS12_E_NS1_11comp_targetILNS1_3genE8ELNS1_11target_archE1030ELNS1_3gpuE2ELNS1_3repE0EEENS1_30default_config_static_selectorELNS0_4arch9wavefront6targetE0EEEvT1_.has_dyn_sized_stack, 0
	.set _ZN7rocprim17ROCPRIM_400000_NS6detail17trampoline_kernelINS0_14default_configENS1_25partition_config_selectorILNS1_17partition_subalgoE8EjNS0_10empty_typeEbEEZZNS1_14partition_implILS5_8ELb0ES3_jPKjPS6_PKS6_NS0_5tupleIJPjS6_EEENSE_IJSB_SB_EEENS0_18inequality_wrapperIN6hipcub16HIPCUB_304000_NS8EqualityEEEPlJS6_EEE10hipError_tPvRmT3_T4_T5_T6_T7_T9_mT8_P12ihipStream_tbDpT10_ENKUlT_T0_E_clISt17integral_constantIbLb1EES17_EEDaS12_S13_EUlS12_E_NS1_11comp_targetILNS1_3genE8ELNS1_11target_archE1030ELNS1_3gpuE2ELNS1_3repE0EEENS1_30default_config_static_selectorELNS0_4arch9wavefront6targetE0EEEvT1_.has_recursion, 0
	.set _ZN7rocprim17ROCPRIM_400000_NS6detail17trampoline_kernelINS0_14default_configENS1_25partition_config_selectorILNS1_17partition_subalgoE8EjNS0_10empty_typeEbEEZZNS1_14partition_implILS5_8ELb0ES3_jPKjPS6_PKS6_NS0_5tupleIJPjS6_EEENSE_IJSB_SB_EEENS0_18inequality_wrapperIN6hipcub16HIPCUB_304000_NS8EqualityEEEPlJS6_EEE10hipError_tPvRmT3_T4_T5_T6_T7_T9_mT8_P12ihipStream_tbDpT10_ENKUlT_T0_E_clISt17integral_constantIbLb1EES17_EEDaS12_S13_EUlS12_E_NS1_11comp_targetILNS1_3genE8ELNS1_11target_archE1030ELNS1_3gpuE2ELNS1_3repE0EEENS1_30default_config_static_selectorELNS0_4arch9wavefront6targetE0EEEvT1_.has_indirect_call, 0
	.section	.AMDGPU.csdata,"",@progbits
; Kernel info:
; codeLenInByte = 0
; TotalNumSgprs: 0
; NumVgprs: 0
; ScratchSize: 0
; MemoryBound: 0
; FloatMode: 240
; IeeeMode: 1
; LDSByteSize: 0 bytes/workgroup (compile time only)
; SGPRBlocks: 0
; VGPRBlocks: 0
; NumSGPRsForWavesPerEU: 1
; NumVGPRsForWavesPerEU: 1
; NamedBarCnt: 0
; Occupancy: 16
; WaveLimiterHint : 0
; COMPUTE_PGM_RSRC2:SCRATCH_EN: 0
; COMPUTE_PGM_RSRC2:USER_SGPR: 2
; COMPUTE_PGM_RSRC2:TRAP_HANDLER: 0
; COMPUTE_PGM_RSRC2:TGID_X_EN: 1
; COMPUTE_PGM_RSRC2:TGID_Y_EN: 0
; COMPUTE_PGM_RSRC2:TGID_Z_EN: 0
; COMPUTE_PGM_RSRC2:TIDIG_COMP_CNT: 0
	.section	.text._ZN7rocprim17ROCPRIM_400000_NS6detail17trampoline_kernelINS0_14default_configENS1_25partition_config_selectorILNS1_17partition_subalgoE8EjNS0_10empty_typeEbEEZZNS1_14partition_implILS5_8ELb0ES3_jPKjPS6_PKS6_NS0_5tupleIJPjS6_EEENSE_IJSB_SB_EEENS0_18inequality_wrapperIN6hipcub16HIPCUB_304000_NS8EqualityEEEPlJS6_EEE10hipError_tPvRmT3_T4_T5_T6_T7_T9_mT8_P12ihipStream_tbDpT10_ENKUlT_T0_E_clISt17integral_constantIbLb1EES16_IbLb0EEEEDaS12_S13_EUlS12_E_NS1_11comp_targetILNS1_3genE0ELNS1_11target_archE4294967295ELNS1_3gpuE0ELNS1_3repE0EEENS1_30default_config_static_selectorELNS0_4arch9wavefront6targetE0EEEvT1_,"axG",@progbits,_ZN7rocprim17ROCPRIM_400000_NS6detail17trampoline_kernelINS0_14default_configENS1_25partition_config_selectorILNS1_17partition_subalgoE8EjNS0_10empty_typeEbEEZZNS1_14partition_implILS5_8ELb0ES3_jPKjPS6_PKS6_NS0_5tupleIJPjS6_EEENSE_IJSB_SB_EEENS0_18inequality_wrapperIN6hipcub16HIPCUB_304000_NS8EqualityEEEPlJS6_EEE10hipError_tPvRmT3_T4_T5_T6_T7_T9_mT8_P12ihipStream_tbDpT10_ENKUlT_T0_E_clISt17integral_constantIbLb1EES16_IbLb0EEEEDaS12_S13_EUlS12_E_NS1_11comp_targetILNS1_3genE0ELNS1_11target_archE4294967295ELNS1_3gpuE0ELNS1_3repE0EEENS1_30default_config_static_selectorELNS0_4arch9wavefront6targetE0EEEvT1_,comdat
	.protected	_ZN7rocprim17ROCPRIM_400000_NS6detail17trampoline_kernelINS0_14default_configENS1_25partition_config_selectorILNS1_17partition_subalgoE8EjNS0_10empty_typeEbEEZZNS1_14partition_implILS5_8ELb0ES3_jPKjPS6_PKS6_NS0_5tupleIJPjS6_EEENSE_IJSB_SB_EEENS0_18inequality_wrapperIN6hipcub16HIPCUB_304000_NS8EqualityEEEPlJS6_EEE10hipError_tPvRmT3_T4_T5_T6_T7_T9_mT8_P12ihipStream_tbDpT10_ENKUlT_T0_E_clISt17integral_constantIbLb1EES16_IbLb0EEEEDaS12_S13_EUlS12_E_NS1_11comp_targetILNS1_3genE0ELNS1_11target_archE4294967295ELNS1_3gpuE0ELNS1_3repE0EEENS1_30default_config_static_selectorELNS0_4arch9wavefront6targetE0EEEvT1_ ; -- Begin function _ZN7rocprim17ROCPRIM_400000_NS6detail17trampoline_kernelINS0_14default_configENS1_25partition_config_selectorILNS1_17partition_subalgoE8EjNS0_10empty_typeEbEEZZNS1_14partition_implILS5_8ELb0ES3_jPKjPS6_PKS6_NS0_5tupleIJPjS6_EEENSE_IJSB_SB_EEENS0_18inequality_wrapperIN6hipcub16HIPCUB_304000_NS8EqualityEEEPlJS6_EEE10hipError_tPvRmT3_T4_T5_T6_T7_T9_mT8_P12ihipStream_tbDpT10_ENKUlT_T0_E_clISt17integral_constantIbLb1EES16_IbLb0EEEEDaS12_S13_EUlS12_E_NS1_11comp_targetILNS1_3genE0ELNS1_11target_archE4294967295ELNS1_3gpuE0ELNS1_3repE0EEENS1_30default_config_static_selectorELNS0_4arch9wavefront6targetE0EEEvT1_
	.globl	_ZN7rocprim17ROCPRIM_400000_NS6detail17trampoline_kernelINS0_14default_configENS1_25partition_config_selectorILNS1_17partition_subalgoE8EjNS0_10empty_typeEbEEZZNS1_14partition_implILS5_8ELb0ES3_jPKjPS6_PKS6_NS0_5tupleIJPjS6_EEENSE_IJSB_SB_EEENS0_18inequality_wrapperIN6hipcub16HIPCUB_304000_NS8EqualityEEEPlJS6_EEE10hipError_tPvRmT3_T4_T5_T6_T7_T9_mT8_P12ihipStream_tbDpT10_ENKUlT_T0_E_clISt17integral_constantIbLb1EES16_IbLb0EEEEDaS12_S13_EUlS12_E_NS1_11comp_targetILNS1_3genE0ELNS1_11target_archE4294967295ELNS1_3gpuE0ELNS1_3repE0EEENS1_30default_config_static_selectorELNS0_4arch9wavefront6targetE0EEEvT1_
	.p2align	8
	.type	_ZN7rocprim17ROCPRIM_400000_NS6detail17trampoline_kernelINS0_14default_configENS1_25partition_config_selectorILNS1_17partition_subalgoE8EjNS0_10empty_typeEbEEZZNS1_14partition_implILS5_8ELb0ES3_jPKjPS6_PKS6_NS0_5tupleIJPjS6_EEENSE_IJSB_SB_EEENS0_18inequality_wrapperIN6hipcub16HIPCUB_304000_NS8EqualityEEEPlJS6_EEE10hipError_tPvRmT3_T4_T5_T6_T7_T9_mT8_P12ihipStream_tbDpT10_ENKUlT_T0_E_clISt17integral_constantIbLb1EES16_IbLb0EEEEDaS12_S13_EUlS12_E_NS1_11comp_targetILNS1_3genE0ELNS1_11target_archE4294967295ELNS1_3gpuE0ELNS1_3repE0EEENS1_30default_config_static_selectorELNS0_4arch9wavefront6targetE0EEEvT1_,@function
_ZN7rocprim17ROCPRIM_400000_NS6detail17trampoline_kernelINS0_14default_configENS1_25partition_config_selectorILNS1_17partition_subalgoE8EjNS0_10empty_typeEbEEZZNS1_14partition_implILS5_8ELb0ES3_jPKjPS6_PKS6_NS0_5tupleIJPjS6_EEENSE_IJSB_SB_EEENS0_18inequality_wrapperIN6hipcub16HIPCUB_304000_NS8EqualityEEEPlJS6_EEE10hipError_tPvRmT3_T4_T5_T6_T7_T9_mT8_P12ihipStream_tbDpT10_ENKUlT_T0_E_clISt17integral_constantIbLb1EES16_IbLb0EEEEDaS12_S13_EUlS12_E_NS1_11comp_targetILNS1_3genE0ELNS1_11target_archE4294967295ELNS1_3gpuE0ELNS1_3repE0EEENS1_30default_config_static_selectorELNS0_4arch9wavefront6targetE0EEEvT1_: ; @_ZN7rocprim17ROCPRIM_400000_NS6detail17trampoline_kernelINS0_14default_configENS1_25partition_config_selectorILNS1_17partition_subalgoE8EjNS0_10empty_typeEbEEZZNS1_14partition_implILS5_8ELb0ES3_jPKjPS6_PKS6_NS0_5tupleIJPjS6_EEENSE_IJSB_SB_EEENS0_18inequality_wrapperIN6hipcub16HIPCUB_304000_NS8EqualityEEEPlJS6_EEE10hipError_tPvRmT3_T4_T5_T6_T7_T9_mT8_P12ihipStream_tbDpT10_ENKUlT_T0_E_clISt17integral_constantIbLb1EES16_IbLb0EEEEDaS12_S13_EUlS12_E_NS1_11comp_targetILNS1_3genE0ELNS1_11target_archE4294967295ELNS1_3gpuE0ELNS1_3repE0EEENS1_30default_config_static_selectorELNS0_4arch9wavefront6targetE0EEEvT1_
; %bb.0:
	s_endpgm
	.section	.rodata,"a",@progbits
	.p2align	6, 0x0
	.amdhsa_kernel _ZN7rocprim17ROCPRIM_400000_NS6detail17trampoline_kernelINS0_14default_configENS1_25partition_config_selectorILNS1_17partition_subalgoE8EjNS0_10empty_typeEbEEZZNS1_14partition_implILS5_8ELb0ES3_jPKjPS6_PKS6_NS0_5tupleIJPjS6_EEENSE_IJSB_SB_EEENS0_18inequality_wrapperIN6hipcub16HIPCUB_304000_NS8EqualityEEEPlJS6_EEE10hipError_tPvRmT3_T4_T5_T6_T7_T9_mT8_P12ihipStream_tbDpT10_ENKUlT_T0_E_clISt17integral_constantIbLb1EES16_IbLb0EEEEDaS12_S13_EUlS12_E_NS1_11comp_targetILNS1_3genE0ELNS1_11target_archE4294967295ELNS1_3gpuE0ELNS1_3repE0EEENS1_30default_config_static_selectorELNS0_4arch9wavefront6targetE0EEEvT1_
		.amdhsa_group_segment_fixed_size 0
		.amdhsa_private_segment_fixed_size 0
		.amdhsa_kernarg_size 112
		.amdhsa_user_sgpr_count 2
		.amdhsa_user_sgpr_dispatch_ptr 0
		.amdhsa_user_sgpr_queue_ptr 0
		.amdhsa_user_sgpr_kernarg_segment_ptr 1
		.amdhsa_user_sgpr_dispatch_id 0
		.amdhsa_user_sgpr_kernarg_preload_length 0
		.amdhsa_user_sgpr_kernarg_preload_offset 0
		.amdhsa_user_sgpr_private_segment_size 0
		.amdhsa_wavefront_size32 1
		.amdhsa_uses_dynamic_stack 0
		.amdhsa_enable_private_segment 0
		.amdhsa_system_sgpr_workgroup_id_x 1
		.amdhsa_system_sgpr_workgroup_id_y 0
		.amdhsa_system_sgpr_workgroup_id_z 0
		.amdhsa_system_sgpr_workgroup_info 0
		.amdhsa_system_vgpr_workitem_id 0
		.amdhsa_next_free_vgpr 1
		.amdhsa_next_free_sgpr 1
		.amdhsa_named_barrier_count 0
		.amdhsa_reserve_vcc 0
		.amdhsa_float_round_mode_32 0
		.amdhsa_float_round_mode_16_64 0
		.amdhsa_float_denorm_mode_32 3
		.amdhsa_float_denorm_mode_16_64 3
		.amdhsa_fp16_overflow 0
		.amdhsa_memory_ordered 1
		.amdhsa_forward_progress 1
		.amdhsa_inst_pref_size 1
		.amdhsa_round_robin_scheduling 0
		.amdhsa_exception_fp_ieee_invalid_op 0
		.amdhsa_exception_fp_denorm_src 0
		.amdhsa_exception_fp_ieee_div_zero 0
		.amdhsa_exception_fp_ieee_overflow 0
		.amdhsa_exception_fp_ieee_underflow 0
		.amdhsa_exception_fp_ieee_inexact 0
		.amdhsa_exception_int_div_zero 0
	.end_amdhsa_kernel
	.section	.text._ZN7rocprim17ROCPRIM_400000_NS6detail17trampoline_kernelINS0_14default_configENS1_25partition_config_selectorILNS1_17partition_subalgoE8EjNS0_10empty_typeEbEEZZNS1_14partition_implILS5_8ELb0ES3_jPKjPS6_PKS6_NS0_5tupleIJPjS6_EEENSE_IJSB_SB_EEENS0_18inequality_wrapperIN6hipcub16HIPCUB_304000_NS8EqualityEEEPlJS6_EEE10hipError_tPvRmT3_T4_T5_T6_T7_T9_mT8_P12ihipStream_tbDpT10_ENKUlT_T0_E_clISt17integral_constantIbLb1EES16_IbLb0EEEEDaS12_S13_EUlS12_E_NS1_11comp_targetILNS1_3genE0ELNS1_11target_archE4294967295ELNS1_3gpuE0ELNS1_3repE0EEENS1_30default_config_static_selectorELNS0_4arch9wavefront6targetE0EEEvT1_,"axG",@progbits,_ZN7rocprim17ROCPRIM_400000_NS6detail17trampoline_kernelINS0_14default_configENS1_25partition_config_selectorILNS1_17partition_subalgoE8EjNS0_10empty_typeEbEEZZNS1_14partition_implILS5_8ELb0ES3_jPKjPS6_PKS6_NS0_5tupleIJPjS6_EEENSE_IJSB_SB_EEENS0_18inequality_wrapperIN6hipcub16HIPCUB_304000_NS8EqualityEEEPlJS6_EEE10hipError_tPvRmT3_T4_T5_T6_T7_T9_mT8_P12ihipStream_tbDpT10_ENKUlT_T0_E_clISt17integral_constantIbLb1EES16_IbLb0EEEEDaS12_S13_EUlS12_E_NS1_11comp_targetILNS1_3genE0ELNS1_11target_archE4294967295ELNS1_3gpuE0ELNS1_3repE0EEENS1_30default_config_static_selectorELNS0_4arch9wavefront6targetE0EEEvT1_,comdat
.Lfunc_end633:
	.size	_ZN7rocprim17ROCPRIM_400000_NS6detail17trampoline_kernelINS0_14default_configENS1_25partition_config_selectorILNS1_17partition_subalgoE8EjNS0_10empty_typeEbEEZZNS1_14partition_implILS5_8ELb0ES3_jPKjPS6_PKS6_NS0_5tupleIJPjS6_EEENSE_IJSB_SB_EEENS0_18inequality_wrapperIN6hipcub16HIPCUB_304000_NS8EqualityEEEPlJS6_EEE10hipError_tPvRmT3_T4_T5_T6_T7_T9_mT8_P12ihipStream_tbDpT10_ENKUlT_T0_E_clISt17integral_constantIbLb1EES16_IbLb0EEEEDaS12_S13_EUlS12_E_NS1_11comp_targetILNS1_3genE0ELNS1_11target_archE4294967295ELNS1_3gpuE0ELNS1_3repE0EEENS1_30default_config_static_selectorELNS0_4arch9wavefront6targetE0EEEvT1_, .Lfunc_end633-_ZN7rocprim17ROCPRIM_400000_NS6detail17trampoline_kernelINS0_14default_configENS1_25partition_config_selectorILNS1_17partition_subalgoE8EjNS0_10empty_typeEbEEZZNS1_14partition_implILS5_8ELb0ES3_jPKjPS6_PKS6_NS0_5tupleIJPjS6_EEENSE_IJSB_SB_EEENS0_18inequality_wrapperIN6hipcub16HIPCUB_304000_NS8EqualityEEEPlJS6_EEE10hipError_tPvRmT3_T4_T5_T6_T7_T9_mT8_P12ihipStream_tbDpT10_ENKUlT_T0_E_clISt17integral_constantIbLb1EES16_IbLb0EEEEDaS12_S13_EUlS12_E_NS1_11comp_targetILNS1_3genE0ELNS1_11target_archE4294967295ELNS1_3gpuE0ELNS1_3repE0EEENS1_30default_config_static_selectorELNS0_4arch9wavefront6targetE0EEEvT1_
                                        ; -- End function
	.set _ZN7rocprim17ROCPRIM_400000_NS6detail17trampoline_kernelINS0_14default_configENS1_25partition_config_selectorILNS1_17partition_subalgoE8EjNS0_10empty_typeEbEEZZNS1_14partition_implILS5_8ELb0ES3_jPKjPS6_PKS6_NS0_5tupleIJPjS6_EEENSE_IJSB_SB_EEENS0_18inequality_wrapperIN6hipcub16HIPCUB_304000_NS8EqualityEEEPlJS6_EEE10hipError_tPvRmT3_T4_T5_T6_T7_T9_mT8_P12ihipStream_tbDpT10_ENKUlT_T0_E_clISt17integral_constantIbLb1EES16_IbLb0EEEEDaS12_S13_EUlS12_E_NS1_11comp_targetILNS1_3genE0ELNS1_11target_archE4294967295ELNS1_3gpuE0ELNS1_3repE0EEENS1_30default_config_static_selectorELNS0_4arch9wavefront6targetE0EEEvT1_.num_vgpr, 0
	.set _ZN7rocprim17ROCPRIM_400000_NS6detail17trampoline_kernelINS0_14default_configENS1_25partition_config_selectorILNS1_17partition_subalgoE8EjNS0_10empty_typeEbEEZZNS1_14partition_implILS5_8ELb0ES3_jPKjPS6_PKS6_NS0_5tupleIJPjS6_EEENSE_IJSB_SB_EEENS0_18inequality_wrapperIN6hipcub16HIPCUB_304000_NS8EqualityEEEPlJS6_EEE10hipError_tPvRmT3_T4_T5_T6_T7_T9_mT8_P12ihipStream_tbDpT10_ENKUlT_T0_E_clISt17integral_constantIbLb1EES16_IbLb0EEEEDaS12_S13_EUlS12_E_NS1_11comp_targetILNS1_3genE0ELNS1_11target_archE4294967295ELNS1_3gpuE0ELNS1_3repE0EEENS1_30default_config_static_selectorELNS0_4arch9wavefront6targetE0EEEvT1_.num_agpr, 0
	.set _ZN7rocprim17ROCPRIM_400000_NS6detail17trampoline_kernelINS0_14default_configENS1_25partition_config_selectorILNS1_17partition_subalgoE8EjNS0_10empty_typeEbEEZZNS1_14partition_implILS5_8ELb0ES3_jPKjPS6_PKS6_NS0_5tupleIJPjS6_EEENSE_IJSB_SB_EEENS0_18inequality_wrapperIN6hipcub16HIPCUB_304000_NS8EqualityEEEPlJS6_EEE10hipError_tPvRmT3_T4_T5_T6_T7_T9_mT8_P12ihipStream_tbDpT10_ENKUlT_T0_E_clISt17integral_constantIbLb1EES16_IbLb0EEEEDaS12_S13_EUlS12_E_NS1_11comp_targetILNS1_3genE0ELNS1_11target_archE4294967295ELNS1_3gpuE0ELNS1_3repE0EEENS1_30default_config_static_selectorELNS0_4arch9wavefront6targetE0EEEvT1_.numbered_sgpr, 0
	.set _ZN7rocprim17ROCPRIM_400000_NS6detail17trampoline_kernelINS0_14default_configENS1_25partition_config_selectorILNS1_17partition_subalgoE8EjNS0_10empty_typeEbEEZZNS1_14partition_implILS5_8ELb0ES3_jPKjPS6_PKS6_NS0_5tupleIJPjS6_EEENSE_IJSB_SB_EEENS0_18inequality_wrapperIN6hipcub16HIPCUB_304000_NS8EqualityEEEPlJS6_EEE10hipError_tPvRmT3_T4_T5_T6_T7_T9_mT8_P12ihipStream_tbDpT10_ENKUlT_T0_E_clISt17integral_constantIbLb1EES16_IbLb0EEEEDaS12_S13_EUlS12_E_NS1_11comp_targetILNS1_3genE0ELNS1_11target_archE4294967295ELNS1_3gpuE0ELNS1_3repE0EEENS1_30default_config_static_selectorELNS0_4arch9wavefront6targetE0EEEvT1_.num_named_barrier, 0
	.set _ZN7rocprim17ROCPRIM_400000_NS6detail17trampoline_kernelINS0_14default_configENS1_25partition_config_selectorILNS1_17partition_subalgoE8EjNS0_10empty_typeEbEEZZNS1_14partition_implILS5_8ELb0ES3_jPKjPS6_PKS6_NS0_5tupleIJPjS6_EEENSE_IJSB_SB_EEENS0_18inequality_wrapperIN6hipcub16HIPCUB_304000_NS8EqualityEEEPlJS6_EEE10hipError_tPvRmT3_T4_T5_T6_T7_T9_mT8_P12ihipStream_tbDpT10_ENKUlT_T0_E_clISt17integral_constantIbLb1EES16_IbLb0EEEEDaS12_S13_EUlS12_E_NS1_11comp_targetILNS1_3genE0ELNS1_11target_archE4294967295ELNS1_3gpuE0ELNS1_3repE0EEENS1_30default_config_static_selectorELNS0_4arch9wavefront6targetE0EEEvT1_.private_seg_size, 0
	.set _ZN7rocprim17ROCPRIM_400000_NS6detail17trampoline_kernelINS0_14default_configENS1_25partition_config_selectorILNS1_17partition_subalgoE8EjNS0_10empty_typeEbEEZZNS1_14partition_implILS5_8ELb0ES3_jPKjPS6_PKS6_NS0_5tupleIJPjS6_EEENSE_IJSB_SB_EEENS0_18inequality_wrapperIN6hipcub16HIPCUB_304000_NS8EqualityEEEPlJS6_EEE10hipError_tPvRmT3_T4_T5_T6_T7_T9_mT8_P12ihipStream_tbDpT10_ENKUlT_T0_E_clISt17integral_constantIbLb1EES16_IbLb0EEEEDaS12_S13_EUlS12_E_NS1_11comp_targetILNS1_3genE0ELNS1_11target_archE4294967295ELNS1_3gpuE0ELNS1_3repE0EEENS1_30default_config_static_selectorELNS0_4arch9wavefront6targetE0EEEvT1_.uses_vcc, 0
	.set _ZN7rocprim17ROCPRIM_400000_NS6detail17trampoline_kernelINS0_14default_configENS1_25partition_config_selectorILNS1_17partition_subalgoE8EjNS0_10empty_typeEbEEZZNS1_14partition_implILS5_8ELb0ES3_jPKjPS6_PKS6_NS0_5tupleIJPjS6_EEENSE_IJSB_SB_EEENS0_18inequality_wrapperIN6hipcub16HIPCUB_304000_NS8EqualityEEEPlJS6_EEE10hipError_tPvRmT3_T4_T5_T6_T7_T9_mT8_P12ihipStream_tbDpT10_ENKUlT_T0_E_clISt17integral_constantIbLb1EES16_IbLb0EEEEDaS12_S13_EUlS12_E_NS1_11comp_targetILNS1_3genE0ELNS1_11target_archE4294967295ELNS1_3gpuE0ELNS1_3repE0EEENS1_30default_config_static_selectorELNS0_4arch9wavefront6targetE0EEEvT1_.uses_flat_scratch, 0
	.set _ZN7rocprim17ROCPRIM_400000_NS6detail17trampoline_kernelINS0_14default_configENS1_25partition_config_selectorILNS1_17partition_subalgoE8EjNS0_10empty_typeEbEEZZNS1_14partition_implILS5_8ELb0ES3_jPKjPS6_PKS6_NS0_5tupleIJPjS6_EEENSE_IJSB_SB_EEENS0_18inequality_wrapperIN6hipcub16HIPCUB_304000_NS8EqualityEEEPlJS6_EEE10hipError_tPvRmT3_T4_T5_T6_T7_T9_mT8_P12ihipStream_tbDpT10_ENKUlT_T0_E_clISt17integral_constantIbLb1EES16_IbLb0EEEEDaS12_S13_EUlS12_E_NS1_11comp_targetILNS1_3genE0ELNS1_11target_archE4294967295ELNS1_3gpuE0ELNS1_3repE0EEENS1_30default_config_static_selectorELNS0_4arch9wavefront6targetE0EEEvT1_.has_dyn_sized_stack, 0
	.set _ZN7rocprim17ROCPRIM_400000_NS6detail17trampoline_kernelINS0_14default_configENS1_25partition_config_selectorILNS1_17partition_subalgoE8EjNS0_10empty_typeEbEEZZNS1_14partition_implILS5_8ELb0ES3_jPKjPS6_PKS6_NS0_5tupleIJPjS6_EEENSE_IJSB_SB_EEENS0_18inequality_wrapperIN6hipcub16HIPCUB_304000_NS8EqualityEEEPlJS6_EEE10hipError_tPvRmT3_T4_T5_T6_T7_T9_mT8_P12ihipStream_tbDpT10_ENKUlT_T0_E_clISt17integral_constantIbLb1EES16_IbLb0EEEEDaS12_S13_EUlS12_E_NS1_11comp_targetILNS1_3genE0ELNS1_11target_archE4294967295ELNS1_3gpuE0ELNS1_3repE0EEENS1_30default_config_static_selectorELNS0_4arch9wavefront6targetE0EEEvT1_.has_recursion, 0
	.set _ZN7rocprim17ROCPRIM_400000_NS6detail17trampoline_kernelINS0_14default_configENS1_25partition_config_selectorILNS1_17partition_subalgoE8EjNS0_10empty_typeEbEEZZNS1_14partition_implILS5_8ELb0ES3_jPKjPS6_PKS6_NS0_5tupleIJPjS6_EEENSE_IJSB_SB_EEENS0_18inequality_wrapperIN6hipcub16HIPCUB_304000_NS8EqualityEEEPlJS6_EEE10hipError_tPvRmT3_T4_T5_T6_T7_T9_mT8_P12ihipStream_tbDpT10_ENKUlT_T0_E_clISt17integral_constantIbLb1EES16_IbLb0EEEEDaS12_S13_EUlS12_E_NS1_11comp_targetILNS1_3genE0ELNS1_11target_archE4294967295ELNS1_3gpuE0ELNS1_3repE0EEENS1_30default_config_static_selectorELNS0_4arch9wavefront6targetE0EEEvT1_.has_indirect_call, 0
	.section	.AMDGPU.csdata,"",@progbits
; Kernel info:
; codeLenInByte = 4
; TotalNumSgprs: 0
; NumVgprs: 0
; ScratchSize: 0
; MemoryBound: 0
; FloatMode: 240
; IeeeMode: 1
; LDSByteSize: 0 bytes/workgroup (compile time only)
; SGPRBlocks: 0
; VGPRBlocks: 0
; NumSGPRsForWavesPerEU: 1
; NumVGPRsForWavesPerEU: 1
; NamedBarCnt: 0
; Occupancy: 16
; WaveLimiterHint : 0
; COMPUTE_PGM_RSRC2:SCRATCH_EN: 0
; COMPUTE_PGM_RSRC2:USER_SGPR: 2
; COMPUTE_PGM_RSRC2:TRAP_HANDLER: 0
; COMPUTE_PGM_RSRC2:TGID_X_EN: 1
; COMPUTE_PGM_RSRC2:TGID_Y_EN: 0
; COMPUTE_PGM_RSRC2:TGID_Z_EN: 0
; COMPUTE_PGM_RSRC2:TIDIG_COMP_CNT: 0
	.section	.text._ZN7rocprim17ROCPRIM_400000_NS6detail17trampoline_kernelINS0_14default_configENS1_25partition_config_selectorILNS1_17partition_subalgoE8EjNS0_10empty_typeEbEEZZNS1_14partition_implILS5_8ELb0ES3_jPKjPS6_PKS6_NS0_5tupleIJPjS6_EEENSE_IJSB_SB_EEENS0_18inequality_wrapperIN6hipcub16HIPCUB_304000_NS8EqualityEEEPlJS6_EEE10hipError_tPvRmT3_T4_T5_T6_T7_T9_mT8_P12ihipStream_tbDpT10_ENKUlT_T0_E_clISt17integral_constantIbLb1EES16_IbLb0EEEEDaS12_S13_EUlS12_E_NS1_11comp_targetILNS1_3genE5ELNS1_11target_archE942ELNS1_3gpuE9ELNS1_3repE0EEENS1_30default_config_static_selectorELNS0_4arch9wavefront6targetE0EEEvT1_,"axG",@progbits,_ZN7rocprim17ROCPRIM_400000_NS6detail17trampoline_kernelINS0_14default_configENS1_25partition_config_selectorILNS1_17partition_subalgoE8EjNS0_10empty_typeEbEEZZNS1_14partition_implILS5_8ELb0ES3_jPKjPS6_PKS6_NS0_5tupleIJPjS6_EEENSE_IJSB_SB_EEENS0_18inequality_wrapperIN6hipcub16HIPCUB_304000_NS8EqualityEEEPlJS6_EEE10hipError_tPvRmT3_T4_T5_T6_T7_T9_mT8_P12ihipStream_tbDpT10_ENKUlT_T0_E_clISt17integral_constantIbLb1EES16_IbLb0EEEEDaS12_S13_EUlS12_E_NS1_11comp_targetILNS1_3genE5ELNS1_11target_archE942ELNS1_3gpuE9ELNS1_3repE0EEENS1_30default_config_static_selectorELNS0_4arch9wavefront6targetE0EEEvT1_,comdat
	.protected	_ZN7rocprim17ROCPRIM_400000_NS6detail17trampoline_kernelINS0_14default_configENS1_25partition_config_selectorILNS1_17partition_subalgoE8EjNS0_10empty_typeEbEEZZNS1_14partition_implILS5_8ELb0ES3_jPKjPS6_PKS6_NS0_5tupleIJPjS6_EEENSE_IJSB_SB_EEENS0_18inequality_wrapperIN6hipcub16HIPCUB_304000_NS8EqualityEEEPlJS6_EEE10hipError_tPvRmT3_T4_T5_T6_T7_T9_mT8_P12ihipStream_tbDpT10_ENKUlT_T0_E_clISt17integral_constantIbLb1EES16_IbLb0EEEEDaS12_S13_EUlS12_E_NS1_11comp_targetILNS1_3genE5ELNS1_11target_archE942ELNS1_3gpuE9ELNS1_3repE0EEENS1_30default_config_static_selectorELNS0_4arch9wavefront6targetE0EEEvT1_ ; -- Begin function _ZN7rocprim17ROCPRIM_400000_NS6detail17trampoline_kernelINS0_14default_configENS1_25partition_config_selectorILNS1_17partition_subalgoE8EjNS0_10empty_typeEbEEZZNS1_14partition_implILS5_8ELb0ES3_jPKjPS6_PKS6_NS0_5tupleIJPjS6_EEENSE_IJSB_SB_EEENS0_18inequality_wrapperIN6hipcub16HIPCUB_304000_NS8EqualityEEEPlJS6_EEE10hipError_tPvRmT3_T4_T5_T6_T7_T9_mT8_P12ihipStream_tbDpT10_ENKUlT_T0_E_clISt17integral_constantIbLb1EES16_IbLb0EEEEDaS12_S13_EUlS12_E_NS1_11comp_targetILNS1_3genE5ELNS1_11target_archE942ELNS1_3gpuE9ELNS1_3repE0EEENS1_30default_config_static_selectorELNS0_4arch9wavefront6targetE0EEEvT1_
	.globl	_ZN7rocprim17ROCPRIM_400000_NS6detail17trampoline_kernelINS0_14default_configENS1_25partition_config_selectorILNS1_17partition_subalgoE8EjNS0_10empty_typeEbEEZZNS1_14partition_implILS5_8ELb0ES3_jPKjPS6_PKS6_NS0_5tupleIJPjS6_EEENSE_IJSB_SB_EEENS0_18inequality_wrapperIN6hipcub16HIPCUB_304000_NS8EqualityEEEPlJS6_EEE10hipError_tPvRmT3_T4_T5_T6_T7_T9_mT8_P12ihipStream_tbDpT10_ENKUlT_T0_E_clISt17integral_constantIbLb1EES16_IbLb0EEEEDaS12_S13_EUlS12_E_NS1_11comp_targetILNS1_3genE5ELNS1_11target_archE942ELNS1_3gpuE9ELNS1_3repE0EEENS1_30default_config_static_selectorELNS0_4arch9wavefront6targetE0EEEvT1_
	.p2align	8
	.type	_ZN7rocprim17ROCPRIM_400000_NS6detail17trampoline_kernelINS0_14default_configENS1_25partition_config_selectorILNS1_17partition_subalgoE8EjNS0_10empty_typeEbEEZZNS1_14partition_implILS5_8ELb0ES3_jPKjPS6_PKS6_NS0_5tupleIJPjS6_EEENSE_IJSB_SB_EEENS0_18inequality_wrapperIN6hipcub16HIPCUB_304000_NS8EqualityEEEPlJS6_EEE10hipError_tPvRmT3_T4_T5_T6_T7_T9_mT8_P12ihipStream_tbDpT10_ENKUlT_T0_E_clISt17integral_constantIbLb1EES16_IbLb0EEEEDaS12_S13_EUlS12_E_NS1_11comp_targetILNS1_3genE5ELNS1_11target_archE942ELNS1_3gpuE9ELNS1_3repE0EEENS1_30default_config_static_selectorELNS0_4arch9wavefront6targetE0EEEvT1_,@function
_ZN7rocprim17ROCPRIM_400000_NS6detail17trampoline_kernelINS0_14default_configENS1_25partition_config_selectorILNS1_17partition_subalgoE8EjNS0_10empty_typeEbEEZZNS1_14partition_implILS5_8ELb0ES3_jPKjPS6_PKS6_NS0_5tupleIJPjS6_EEENSE_IJSB_SB_EEENS0_18inequality_wrapperIN6hipcub16HIPCUB_304000_NS8EqualityEEEPlJS6_EEE10hipError_tPvRmT3_T4_T5_T6_T7_T9_mT8_P12ihipStream_tbDpT10_ENKUlT_T0_E_clISt17integral_constantIbLb1EES16_IbLb0EEEEDaS12_S13_EUlS12_E_NS1_11comp_targetILNS1_3genE5ELNS1_11target_archE942ELNS1_3gpuE9ELNS1_3repE0EEENS1_30default_config_static_selectorELNS0_4arch9wavefront6targetE0EEEvT1_: ; @_ZN7rocprim17ROCPRIM_400000_NS6detail17trampoline_kernelINS0_14default_configENS1_25partition_config_selectorILNS1_17partition_subalgoE8EjNS0_10empty_typeEbEEZZNS1_14partition_implILS5_8ELb0ES3_jPKjPS6_PKS6_NS0_5tupleIJPjS6_EEENSE_IJSB_SB_EEENS0_18inequality_wrapperIN6hipcub16HIPCUB_304000_NS8EqualityEEEPlJS6_EEE10hipError_tPvRmT3_T4_T5_T6_T7_T9_mT8_P12ihipStream_tbDpT10_ENKUlT_T0_E_clISt17integral_constantIbLb1EES16_IbLb0EEEEDaS12_S13_EUlS12_E_NS1_11comp_targetILNS1_3genE5ELNS1_11target_archE942ELNS1_3gpuE9ELNS1_3repE0EEENS1_30default_config_static_selectorELNS0_4arch9wavefront6targetE0EEEvT1_
; %bb.0:
	.section	.rodata,"a",@progbits
	.p2align	6, 0x0
	.amdhsa_kernel _ZN7rocprim17ROCPRIM_400000_NS6detail17trampoline_kernelINS0_14default_configENS1_25partition_config_selectorILNS1_17partition_subalgoE8EjNS0_10empty_typeEbEEZZNS1_14partition_implILS5_8ELb0ES3_jPKjPS6_PKS6_NS0_5tupleIJPjS6_EEENSE_IJSB_SB_EEENS0_18inequality_wrapperIN6hipcub16HIPCUB_304000_NS8EqualityEEEPlJS6_EEE10hipError_tPvRmT3_T4_T5_T6_T7_T9_mT8_P12ihipStream_tbDpT10_ENKUlT_T0_E_clISt17integral_constantIbLb1EES16_IbLb0EEEEDaS12_S13_EUlS12_E_NS1_11comp_targetILNS1_3genE5ELNS1_11target_archE942ELNS1_3gpuE9ELNS1_3repE0EEENS1_30default_config_static_selectorELNS0_4arch9wavefront6targetE0EEEvT1_
		.amdhsa_group_segment_fixed_size 0
		.amdhsa_private_segment_fixed_size 0
		.amdhsa_kernarg_size 112
		.amdhsa_user_sgpr_count 2
		.amdhsa_user_sgpr_dispatch_ptr 0
		.amdhsa_user_sgpr_queue_ptr 0
		.amdhsa_user_sgpr_kernarg_segment_ptr 1
		.amdhsa_user_sgpr_dispatch_id 0
		.amdhsa_user_sgpr_kernarg_preload_length 0
		.amdhsa_user_sgpr_kernarg_preload_offset 0
		.amdhsa_user_sgpr_private_segment_size 0
		.amdhsa_wavefront_size32 1
		.amdhsa_uses_dynamic_stack 0
		.amdhsa_enable_private_segment 0
		.amdhsa_system_sgpr_workgroup_id_x 1
		.amdhsa_system_sgpr_workgroup_id_y 0
		.amdhsa_system_sgpr_workgroup_id_z 0
		.amdhsa_system_sgpr_workgroup_info 0
		.amdhsa_system_vgpr_workitem_id 0
		.amdhsa_next_free_vgpr 1
		.amdhsa_next_free_sgpr 1
		.amdhsa_named_barrier_count 0
		.amdhsa_reserve_vcc 0
		.amdhsa_float_round_mode_32 0
		.amdhsa_float_round_mode_16_64 0
		.amdhsa_float_denorm_mode_32 3
		.amdhsa_float_denorm_mode_16_64 3
		.amdhsa_fp16_overflow 0
		.amdhsa_memory_ordered 1
		.amdhsa_forward_progress 1
		.amdhsa_inst_pref_size 0
		.amdhsa_round_robin_scheduling 0
		.amdhsa_exception_fp_ieee_invalid_op 0
		.amdhsa_exception_fp_denorm_src 0
		.amdhsa_exception_fp_ieee_div_zero 0
		.amdhsa_exception_fp_ieee_overflow 0
		.amdhsa_exception_fp_ieee_underflow 0
		.amdhsa_exception_fp_ieee_inexact 0
		.amdhsa_exception_int_div_zero 0
	.end_amdhsa_kernel
	.section	.text._ZN7rocprim17ROCPRIM_400000_NS6detail17trampoline_kernelINS0_14default_configENS1_25partition_config_selectorILNS1_17partition_subalgoE8EjNS0_10empty_typeEbEEZZNS1_14partition_implILS5_8ELb0ES3_jPKjPS6_PKS6_NS0_5tupleIJPjS6_EEENSE_IJSB_SB_EEENS0_18inequality_wrapperIN6hipcub16HIPCUB_304000_NS8EqualityEEEPlJS6_EEE10hipError_tPvRmT3_T4_T5_T6_T7_T9_mT8_P12ihipStream_tbDpT10_ENKUlT_T0_E_clISt17integral_constantIbLb1EES16_IbLb0EEEEDaS12_S13_EUlS12_E_NS1_11comp_targetILNS1_3genE5ELNS1_11target_archE942ELNS1_3gpuE9ELNS1_3repE0EEENS1_30default_config_static_selectorELNS0_4arch9wavefront6targetE0EEEvT1_,"axG",@progbits,_ZN7rocprim17ROCPRIM_400000_NS6detail17trampoline_kernelINS0_14default_configENS1_25partition_config_selectorILNS1_17partition_subalgoE8EjNS0_10empty_typeEbEEZZNS1_14partition_implILS5_8ELb0ES3_jPKjPS6_PKS6_NS0_5tupleIJPjS6_EEENSE_IJSB_SB_EEENS0_18inequality_wrapperIN6hipcub16HIPCUB_304000_NS8EqualityEEEPlJS6_EEE10hipError_tPvRmT3_T4_T5_T6_T7_T9_mT8_P12ihipStream_tbDpT10_ENKUlT_T0_E_clISt17integral_constantIbLb1EES16_IbLb0EEEEDaS12_S13_EUlS12_E_NS1_11comp_targetILNS1_3genE5ELNS1_11target_archE942ELNS1_3gpuE9ELNS1_3repE0EEENS1_30default_config_static_selectorELNS0_4arch9wavefront6targetE0EEEvT1_,comdat
.Lfunc_end634:
	.size	_ZN7rocprim17ROCPRIM_400000_NS6detail17trampoline_kernelINS0_14default_configENS1_25partition_config_selectorILNS1_17partition_subalgoE8EjNS0_10empty_typeEbEEZZNS1_14partition_implILS5_8ELb0ES3_jPKjPS6_PKS6_NS0_5tupleIJPjS6_EEENSE_IJSB_SB_EEENS0_18inequality_wrapperIN6hipcub16HIPCUB_304000_NS8EqualityEEEPlJS6_EEE10hipError_tPvRmT3_T4_T5_T6_T7_T9_mT8_P12ihipStream_tbDpT10_ENKUlT_T0_E_clISt17integral_constantIbLb1EES16_IbLb0EEEEDaS12_S13_EUlS12_E_NS1_11comp_targetILNS1_3genE5ELNS1_11target_archE942ELNS1_3gpuE9ELNS1_3repE0EEENS1_30default_config_static_selectorELNS0_4arch9wavefront6targetE0EEEvT1_, .Lfunc_end634-_ZN7rocprim17ROCPRIM_400000_NS6detail17trampoline_kernelINS0_14default_configENS1_25partition_config_selectorILNS1_17partition_subalgoE8EjNS0_10empty_typeEbEEZZNS1_14partition_implILS5_8ELb0ES3_jPKjPS6_PKS6_NS0_5tupleIJPjS6_EEENSE_IJSB_SB_EEENS0_18inequality_wrapperIN6hipcub16HIPCUB_304000_NS8EqualityEEEPlJS6_EEE10hipError_tPvRmT3_T4_T5_T6_T7_T9_mT8_P12ihipStream_tbDpT10_ENKUlT_T0_E_clISt17integral_constantIbLb1EES16_IbLb0EEEEDaS12_S13_EUlS12_E_NS1_11comp_targetILNS1_3genE5ELNS1_11target_archE942ELNS1_3gpuE9ELNS1_3repE0EEENS1_30default_config_static_selectorELNS0_4arch9wavefront6targetE0EEEvT1_
                                        ; -- End function
	.set _ZN7rocprim17ROCPRIM_400000_NS6detail17trampoline_kernelINS0_14default_configENS1_25partition_config_selectorILNS1_17partition_subalgoE8EjNS0_10empty_typeEbEEZZNS1_14partition_implILS5_8ELb0ES3_jPKjPS6_PKS6_NS0_5tupleIJPjS6_EEENSE_IJSB_SB_EEENS0_18inequality_wrapperIN6hipcub16HIPCUB_304000_NS8EqualityEEEPlJS6_EEE10hipError_tPvRmT3_T4_T5_T6_T7_T9_mT8_P12ihipStream_tbDpT10_ENKUlT_T0_E_clISt17integral_constantIbLb1EES16_IbLb0EEEEDaS12_S13_EUlS12_E_NS1_11comp_targetILNS1_3genE5ELNS1_11target_archE942ELNS1_3gpuE9ELNS1_3repE0EEENS1_30default_config_static_selectorELNS0_4arch9wavefront6targetE0EEEvT1_.num_vgpr, 0
	.set _ZN7rocprim17ROCPRIM_400000_NS6detail17trampoline_kernelINS0_14default_configENS1_25partition_config_selectorILNS1_17partition_subalgoE8EjNS0_10empty_typeEbEEZZNS1_14partition_implILS5_8ELb0ES3_jPKjPS6_PKS6_NS0_5tupleIJPjS6_EEENSE_IJSB_SB_EEENS0_18inequality_wrapperIN6hipcub16HIPCUB_304000_NS8EqualityEEEPlJS6_EEE10hipError_tPvRmT3_T4_T5_T6_T7_T9_mT8_P12ihipStream_tbDpT10_ENKUlT_T0_E_clISt17integral_constantIbLb1EES16_IbLb0EEEEDaS12_S13_EUlS12_E_NS1_11comp_targetILNS1_3genE5ELNS1_11target_archE942ELNS1_3gpuE9ELNS1_3repE0EEENS1_30default_config_static_selectorELNS0_4arch9wavefront6targetE0EEEvT1_.num_agpr, 0
	.set _ZN7rocprim17ROCPRIM_400000_NS6detail17trampoline_kernelINS0_14default_configENS1_25partition_config_selectorILNS1_17partition_subalgoE8EjNS0_10empty_typeEbEEZZNS1_14partition_implILS5_8ELb0ES3_jPKjPS6_PKS6_NS0_5tupleIJPjS6_EEENSE_IJSB_SB_EEENS0_18inequality_wrapperIN6hipcub16HIPCUB_304000_NS8EqualityEEEPlJS6_EEE10hipError_tPvRmT3_T4_T5_T6_T7_T9_mT8_P12ihipStream_tbDpT10_ENKUlT_T0_E_clISt17integral_constantIbLb1EES16_IbLb0EEEEDaS12_S13_EUlS12_E_NS1_11comp_targetILNS1_3genE5ELNS1_11target_archE942ELNS1_3gpuE9ELNS1_3repE0EEENS1_30default_config_static_selectorELNS0_4arch9wavefront6targetE0EEEvT1_.numbered_sgpr, 0
	.set _ZN7rocprim17ROCPRIM_400000_NS6detail17trampoline_kernelINS0_14default_configENS1_25partition_config_selectorILNS1_17partition_subalgoE8EjNS0_10empty_typeEbEEZZNS1_14partition_implILS5_8ELb0ES3_jPKjPS6_PKS6_NS0_5tupleIJPjS6_EEENSE_IJSB_SB_EEENS0_18inequality_wrapperIN6hipcub16HIPCUB_304000_NS8EqualityEEEPlJS6_EEE10hipError_tPvRmT3_T4_T5_T6_T7_T9_mT8_P12ihipStream_tbDpT10_ENKUlT_T0_E_clISt17integral_constantIbLb1EES16_IbLb0EEEEDaS12_S13_EUlS12_E_NS1_11comp_targetILNS1_3genE5ELNS1_11target_archE942ELNS1_3gpuE9ELNS1_3repE0EEENS1_30default_config_static_selectorELNS0_4arch9wavefront6targetE0EEEvT1_.num_named_barrier, 0
	.set _ZN7rocprim17ROCPRIM_400000_NS6detail17trampoline_kernelINS0_14default_configENS1_25partition_config_selectorILNS1_17partition_subalgoE8EjNS0_10empty_typeEbEEZZNS1_14partition_implILS5_8ELb0ES3_jPKjPS6_PKS6_NS0_5tupleIJPjS6_EEENSE_IJSB_SB_EEENS0_18inequality_wrapperIN6hipcub16HIPCUB_304000_NS8EqualityEEEPlJS6_EEE10hipError_tPvRmT3_T4_T5_T6_T7_T9_mT8_P12ihipStream_tbDpT10_ENKUlT_T0_E_clISt17integral_constantIbLb1EES16_IbLb0EEEEDaS12_S13_EUlS12_E_NS1_11comp_targetILNS1_3genE5ELNS1_11target_archE942ELNS1_3gpuE9ELNS1_3repE0EEENS1_30default_config_static_selectorELNS0_4arch9wavefront6targetE0EEEvT1_.private_seg_size, 0
	.set _ZN7rocprim17ROCPRIM_400000_NS6detail17trampoline_kernelINS0_14default_configENS1_25partition_config_selectorILNS1_17partition_subalgoE8EjNS0_10empty_typeEbEEZZNS1_14partition_implILS5_8ELb0ES3_jPKjPS6_PKS6_NS0_5tupleIJPjS6_EEENSE_IJSB_SB_EEENS0_18inequality_wrapperIN6hipcub16HIPCUB_304000_NS8EqualityEEEPlJS6_EEE10hipError_tPvRmT3_T4_T5_T6_T7_T9_mT8_P12ihipStream_tbDpT10_ENKUlT_T0_E_clISt17integral_constantIbLb1EES16_IbLb0EEEEDaS12_S13_EUlS12_E_NS1_11comp_targetILNS1_3genE5ELNS1_11target_archE942ELNS1_3gpuE9ELNS1_3repE0EEENS1_30default_config_static_selectorELNS0_4arch9wavefront6targetE0EEEvT1_.uses_vcc, 0
	.set _ZN7rocprim17ROCPRIM_400000_NS6detail17trampoline_kernelINS0_14default_configENS1_25partition_config_selectorILNS1_17partition_subalgoE8EjNS0_10empty_typeEbEEZZNS1_14partition_implILS5_8ELb0ES3_jPKjPS6_PKS6_NS0_5tupleIJPjS6_EEENSE_IJSB_SB_EEENS0_18inequality_wrapperIN6hipcub16HIPCUB_304000_NS8EqualityEEEPlJS6_EEE10hipError_tPvRmT3_T4_T5_T6_T7_T9_mT8_P12ihipStream_tbDpT10_ENKUlT_T0_E_clISt17integral_constantIbLb1EES16_IbLb0EEEEDaS12_S13_EUlS12_E_NS1_11comp_targetILNS1_3genE5ELNS1_11target_archE942ELNS1_3gpuE9ELNS1_3repE0EEENS1_30default_config_static_selectorELNS0_4arch9wavefront6targetE0EEEvT1_.uses_flat_scratch, 0
	.set _ZN7rocprim17ROCPRIM_400000_NS6detail17trampoline_kernelINS0_14default_configENS1_25partition_config_selectorILNS1_17partition_subalgoE8EjNS0_10empty_typeEbEEZZNS1_14partition_implILS5_8ELb0ES3_jPKjPS6_PKS6_NS0_5tupleIJPjS6_EEENSE_IJSB_SB_EEENS0_18inequality_wrapperIN6hipcub16HIPCUB_304000_NS8EqualityEEEPlJS6_EEE10hipError_tPvRmT3_T4_T5_T6_T7_T9_mT8_P12ihipStream_tbDpT10_ENKUlT_T0_E_clISt17integral_constantIbLb1EES16_IbLb0EEEEDaS12_S13_EUlS12_E_NS1_11comp_targetILNS1_3genE5ELNS1_11target_archE942ELNS1_3gpuE9ELNS1_3repE0EEENS1_30default_config_static_selectorELNS0_4arch9wavefront6targetE0EEEvT1_.has_dyn_sized_stack, 0
	.set _ZN7rocprim17ROCPRIM_400000_NS6detail17trampoline_kernelINS0_14default_configENS1_25partition_config_selectorILNS1_17partition_subalgoE8EjNS0_10empty_typeEbEEZZNS1_14partition_implILS5_8ELb0ES3_jPKjPS6_PKS6_NS0_5tupleIJPjS6_EEENSE_IJSB_SB_EEENS0_18inequality_wrapperIN6hipcub16HIPCUB_304000_NS8EqualityEEEPlJS6_EEE10hipError_tPvRmT3_T4_T5_T6_T7_T9_mT8_P12ihipStream_tbDpT10_ENKUlT_T0_E_clISt17integral_constantIbLb1EES16_IbLb0EEEEDaS12_S13_EUlS12_E_NS1_11comp_targetILNS1_3genE5ELNS1_11target_archE942ELNS1_3gpuE9ELNS1_3repE0EEENS1_30default_config_static_selectorELNS0_4arch9wavefront6targetE0EEEvT1_.has_recursion, 0
	.set _ZN7rocprim17ROCPRIM_400000_NS6detail17trampoline_kernelINS0_14default_configENS1_25partition_config_selectorILNS1_17partition_subalgoE8EjNS0_10empty_typeEbEEZZNS1_14partition_implILS5_8ELb0ES3_jPKjPS6_PKS6_NS0_5tupleIJPjS6_EEENSE_IJSB_SB_EEENS0_18inequality_wrapperIN6hipcub16HIPCUB_304000_NS8EqualityEEEPlJS6_EEE10hipError_tPvRmT3_T4_T5_T6_T7_T9_mT8_P12ihipStream_tbDpT10_ENKUlT_T0_E_clISt17integral_constantIbLb1EES16_IbLb0EEEEDaS12_S13_EUlS12_E_NS1_11comp_targetILNS1_3genE5ELNS1_11target_archE942ELNS1_3gpuE9ELNS1_3repE0EEENS1_30default_config_static_selectorELNS0_4arch9wavefront6targetE0EEEvT1_.has_indirect_call, 0
	.section	.AMDGPU.csdata,"",@progbits
; Kernel info:
; codeLenInByte = 0
; TotalNumSgprs: 0
; NumVgprs: 0
; ScratchSize: 0
; MemoryBound: 0
; FloatMode: 240
; IeeeMode: 1
; LDSByteSize: 0 bytes/workgroup (compile time only)
; SGPRBlocks: 0
; VGPRBlocks: 0
; NumSGPRsForWavesPerEU: 1
; NumVGPRsForWavesPerEU: 1
; NamedBarCnt: 0
; Occupancy: 16
; WaveLimiterHint : 0
; COMPUTE_PGM_RSRC2:SCRATCH_EN: 0
; COMPUTE_PGM_RSRC2:USER_SGPR: 2
; COMPUTE_PGM_RSRC2:TRAP_HANDLER: 0
; COMPUTE_PGM_RSRC2:TGID_X_EN: 1
; COMPUTE_PGM_RSRC2:TGID_Y_EN: 0
; COMPUTE_PGM_RSRC2:TGID_Z_EN: 0
; COMPUTE_PGM_RSRC2:TIDIG_COMP_CNT: 0
	.section	.text._ZN7rocprim17ROCPRIM_400000_NS6detail17trampoline_kernelINS0_14default_configENS1_25partition_config_selectorILNS1_17partition_subalgoE8EjNS0_10empty_typeEbEEZZNS1_14partition_implILS5_8ELb0ES3_jPKjPS6_PKS6_NS0_5tupleIJPjS6_EEENSE_IJSB_SB_EEENS0_18inequality_wrapperIN6hipcub16HIPCUB_304000_NS8EqualityEEEPlJS6_EEE10hipError_tPvRmT3_T4_T5_T6_T7_T9_mT8_P12ihipStream_tbDpT10_ENKUlT_T0_E_clISt17integral_constantIbLb1EES16_IbLb0EEEEDaS12_S13_EUlS12_E_NS1_11comp_targetILNS1_3genE4ELNS1_11target_archE910ELNS1_3gpuE8ELNS1_3repE0EEENS1_30default_config_static_selectorELNS0_4arch9wavefront6targetE0EEEvT1_,"axG",@progbits,_ZN7rocprim17ROCPRIM_400000_NS6detail17trampoline_kernelINS0_14default_configENS1_25partition_config_selectorILNS1_17partition_subalgoE8EjNS0_10empty_typeEbEEZZNS1_14partition_implILS5_8ELb0ES3_jPKjPS6_PKS6_NS0_5tupleIJPjS6_EEENSE_IJSB_SB_EEENS0_18inequality_wrapperIN6hipcub16HIPCUB_304000_NS8EqualityEEEPlJS6_EEE10hipError_tPvRmT3_T4_T5_T6_T7_T9_mT8_P12ihipStream_tbDpT10_ENKUlT_T0_E_clISt17integral_constantIbLb1EES16_IbLb0EEEEDaS12_S13_EUlS12_E_NS1_11comp_targetILNS1_3genE4ELNS1_11target_archE910ELNS1_3gpuE8ELNS1_3repE0EEENS1_30default_config_static_selectorELNS0_4arch9wavefront6targetE0EEEvT1_,comdat
	.protected	_ZN7rocprim17ROCPRIM_400000_NS6detail17trampoline_kernelINS0_14default_configENS1_25partition_config_selectorILNS1_17partition_subalgoE8EjNS0_10empty_typeEbEEZZNS1_14partition_implILS5_8ELb0ES3_jPKjPS6_PKS6_NS0_5tupleIJPjS6_EEENSE_IJSB_SB_EEENS0_18inequality_wrapperIN6hipcub16HIPCUB_304000_NS8EqualityEEEPlJS6_EEE10hipError_tPvRmT3_T4_T5_T6_T7_T9_mT8_P12ihipStream_tbDpT10_ENKUlT_T0_E_clISt17integral_constantIbLb1EES16_IbLb0EEEEDaS12_S13_EUlS12_E_NS1_11comp_targetILNS1_3genE4ELNS1_11target_archE910ELNS1_3gpuE8ELNS1_3repE0EEENS1_30default_config_static_selectorELNS0_4arch9wavefront6targetE0EEEvT1_ ; -- Begin function _ZN7rocprim17ROCPRIM_400000_NS6detail17trampoline_kernelINS0_14default_configENS1_25partition_config_selectorILNS1_17partition_subalgoE8EjNS0_10empty_typeEbEEZZNS1_14partition_implILS5_8ELb0ES3_jPKjPS6_PKS6_NS0_5tupleIJPjS6_EEENSE_IJSB_SB_EEENS0_18inequality_wrapperIN6hipcub16HIPCUB_304000_NS8EqualityEEEPlJS6_EEE10hipError_tPvRmT3_T4_T5_T6_T7_T9_mT8_P12ihipStream_tbDpT10_ENKUlT_T0_E_clISt17integral_constantIbLb1EES16_IbLb0EEEEDaS12_S13_EUlS12_E_NS1_11comp_targetILNS1_3genE4ELNS1_11target_archE910ELNS1_3gpuE8ELNS1_3repE0EEENS1_30default_config_static_selectorELNS0_4arch9wavefront6targetE0EEEvT1_
	.globl	_ZN7rocprim17ROCPRIM_400000_NS6detail17trampoline_kernelINS0_14default_configENS1_25partition_config_selectorILNS1_17partition_subalgoE8EjNS0_10empty_typeEbEEZZNS1_14partition_implILS5_8ELb0ES3_jPKjPS6_PKS6_NS0_5tupleIJPjS6_EEENSE_IJSB_SB_EEENS0_18inequality_wrapperIN6hipcub16HIPCUB_304000_NS8EqualityEEEPlJS6_EEE10hipError_tPvRmT3_T4_T5_T6_T7_T9_mT8_P12ihipStream_tbDpT10_ENKUlT_T0_E_clISt17integral_constantIbLb1EES16_IbLb0EEEEDaS12_S13_EUlS12_E_NS1_11comp_targetILNS1_3genE4ELNS1_11target_archE910ELNS1_3gpuE8ELNS1_3repE0EEENS1_30default_config_static_selectorELNS0_4arch9wavefront6targetE0EEEvT1_
	.p2align	8
	.type	_ZN7rocprim17ROCPRIM_400000_NS6detail17trampoline_kernelINS0_14default_configENS1_25partition_config_selectorILNS1_17partition_subalgoE8EjNS0_10empty_typeEbEEZZNS1_14partition_implILS5_8ELb0ES3_jPKjPS6_PKS6_NS0_5tupleIJPjS6_EEENSE_IJSB_SB_EEENS0_18inequality_wrapperIN6hipcub16HIPCUB_304000_NS8EqualityEEEPlJS6_EEE10hipError_tPvRmT3_T4_T5_T6_T7_T9_mT8_P12ihipStream_tbDpT10_ENKUlT_T0_E_clISt17integral_constantIbLb1EES16_IbLb0EEEEDaS12_S13_EUlS12_E_NS1_11comp_targetILNS1_3genE4ELNS1_11target_archE910ELNS1_3gpuE8ELNS1_3repE0EEENS1_30default_config_static_selectorELNS0_4arch9wavefront6targetE0EEEvT1_,@function
_ZN7rocprim17ROCPRIM_400000_NS6detail17trampoline_kernelINS0_14default_configENS1_25partition_config_selectorILNS1_17partition_subalgoE8EjNS0_10empty_typeEbEEZZNS1_14partition_implILS5_8ELb0ES3_jPKjPS6_PKS6_NS0_5tupleIJPjS6_EEENSE_IJSB_SB_EEENS0_18inequality_wrapperIN6hipcub16HIPCUB_304000_NS8EqualityEEEPlJS6_EEE10hipError_tPvRmT3_T4_T5_T6_T7_T9_mT8_P12ihipStream_tbDpT10_ENKUlT_T0_E_clISt17integral_constantIbLb1EES16_IbLb0EEEEDaS12_S13_EUlS12_E_NS1_11comp_targetILNS1_3genE4ELNS1_11target_archE910ELNS1_3gpuE8ELNS1_3repE0EEENS1_30default_config_static_selectorELNS0_4arch9wavefront6targetE0EEEvT1_: ; @_ZN7rocprim17ROCPRIM_400000_NS6detail17trampoline_kernelINS0_14default_configENS1_25partition_config_selectorILNS1_17partition_subalgoE8EjNS0_10empty_typeEbEEZZNS1_14partition_implILS5_8ELb0ES3_jPKjPS6_PKS6_NS0_5tupleIJPjS6_EEENSE_IJSB_SB_EEENS0_18inequality_wrapperIN6hipcub16HIPCUB_304000_NS8EqualityEEEPlJS6_EEE10hipError_tPvRmT3_T4_T5_T6_T7_T9_mT8_P12ihipStream_tbDpT10_ENKUlT_T0_E_clISt17integral_constantIbLb1EES16_IbLb0EEEEDaS12_S13_EUlS12_E_NS1_11comp_targetILNS1_3genE4ELNS1_11target_archE910ELNS1_3gpuE8ELNS1_3repE0EEENS1_30default_config_static_selectorELNS0_4arch9wavefront6targetE0EEEvT1_
; %bb.0:
	.section	.rodata,"a",@progbits
	.p2align	6, 0x0
	.amdhsa_kernel _ZN7rocprim17ROCPRIM_400000_NS6detail17trampoline_kernelINS0_14default_configENS1_25partition_config_selectorILNS1_17partition_subalgoE8EjNS0_10empty_typeEbEEZZNS1_14partition_implILS5_8ELb0ES3_jPKjPS6_PKS6_NS0_5tupleIJPjS6_EEENSE_IJSB_SB_EEENS0_18inequality_wrapperIN6hipcub16HIPCUB_304000_NS8EqualityEEEPlJS6_EEE10hipError_tPvRmT3_T4_T5_T6_T7_T9_mT8_P12ihipStream_tbDpT10_ENKUlT_T0_E_clISt17integral_constantIbLb1EES16_IbLb0EEEEDaS12_S13_EUlS12_E_NS1_11comp_targetILNS1_3genE4ELNS1_11target_archE910ELNS1_3gpuE8ELNS1_3repE0EEENS1_30default_config_static_selectorELNS0_4arch9wavefront6targetE0EEEvT1_
		.amdhsa_group_segment_fixed_size 0
		.amdhsa_private_segment_fixed_size 0
		.amdhsa_kernarg_size 112
		.amdhsa_user_sgpr_count 2
		.amdhsa_user_sgpr_dispatch_ptr 0
		.amdhsa_user_sgpr_queue_ptr 0
		.amdhsa_user_sgpr_kernarg_segment_ptr 1
		.amdhsa_user_sgpr_dispatch_id 0
		.amdhsa_user_sgpr_kernarg_preload_length 0
		.amdhsa_user_sgpr_kernarg_preload_offset 0
		.amdhsa_user_sgpr_private_segment_size 0
		.amdhsa_wavefront_size32 1
		.amdhsa_uses_dynamic_stack 0
		.amdhsa_enable_private_segment 0
		.amdhsa_system_sgpr_workgroup_id_x 1
		.amdhsa_system_sgpr_workgroup_id_y 0
		.amdhsa_system_sgpr_workgroup_id_z 0
		.amdhsa_system_sgpr_workgroup_info 0
		.amdhsa_system_vgpr_workitem_id 0
		.amdhsa_next_free_vgpr 1
		.amdhsa_next_free_sgpr 1
		.amdhsa_named_barrier_count 0
		.amdhsa_reserve_vcc 0
		.amdhsa_float_round_mode_32 0
		.amdhsa_float_round_mode_16_64 0
		.amdhsa_float_denorm_mode_32 3
		.amdhsa_float_denorm_mode_16_64 3
		.amdhsa_fp16_overflow 0
		.amdhsa_memory_ordered 1
		.amdhsa_forward_progress 1
		.amdhsa_inst_pref_size 0
		.amdhsa_round_robin_scheduling 0
		.amdhsa_exception_fp_ieee_invalid_op 0
		.amdhsa_exception_fp_denorm_src 0
		.amdhsa_exception_fp_ieee_div_zero 0
		.amdhsa_exception_fp_ieee_overflow 0
		.amdhsa_exception_fp_ieee_underflow 0
		.amdhsa_exception_fp_ieee_inexact 0
		.amdhsa_exception_int_div_zero 0
	.end_amdhsa_kernel
	.section	.text._ZN7rocprim17ROCPRIM_400000_NS6detail17trampoline_kernelINS0_14default_configENS1_25partition_config_selectorILNS1_17partition_subalgoE8EjNS0_10empty_typeEbEEZZNS1_14partition_implILS5_8ELb0ES3_jPKjPS6_PKS6_NS0_5tupleIJPjS6_EEENSE_IJSB_SB_EEENS0_18inequality_wrapperIN6hipcub16HIPCUB_304000_NS8EqualityEEEPlJS6_EEE10hipError_tPvRmT3_T4_T5_T6_T7_T9_mT8_P12ihipStream_tbDpT10_ENKUlT_T0_E_clISt17integral_constantIbLb1EES16_IbLb0EEEEDaS12_S13_EUlS12_E_NS1_11comp_targetILNS1_3genE4ELNS1_11target_archE910ELNS1_3gpuE8ELNS1_3repE0EEENS1_30default_config_static_selectorELNS0_4arch9wavefront6targetE0EEEvT1_,"axG",@progbits,_ZN7rocprim17ROCPRIM_400000_NS6detail17trampoline_kernelINS0_14default_configENS1_25partition_config_selectorILNS1_17partition_subalgoE8EjNS0_10empty_typeEbEEZZNS1_14partition_implILS5_8ELb0ES3_jPKjPS6_PKS6_NS0_5tupleIJPjS6_EEENSE_IJSB_SB_EEENS0_18inequality_wrapperIN6hipcub16HIPCUB_304000_NS8EqualityEEEPlJS6_EEE10hipError_tPvRmT3_T4_T5_T6_T7_T9_mT8_P12ihipStream_tbDpT10_ENKUlT_T0_E_clISt17integral_constantIbLb1EES16_IbLb0EEEEDaS12_S13_EUlS12_E_NS1_11comp_targetILNS1_3genE4ELNS1_11target_archE910ELNS1_3gpuE8ELNS1_3repE0EEENS1_30default_config_static_selectorELNS0_4arch9wavefront6targetE0EEEvT1_,comdat
.Lfunc_end635:
	.size	_ZN7rocprim17ROCPRIM_400000_NS6detail17trampoline_kernelINS0_14default_configENS1_25partition_config_selectorILNS1_17partition_subalgoE8EjNS0_10empty_typeEbEEZZNS1_14partition_implILS5_8ELb0ES3_jPKjPS6_PKS6_NS0_5tupleIJPjS6_EEENSE_IJSB_SB_EEENS0_18inequality_wrapperIN6hipcub16HIPCUB_304000_NS8EqualityEEEPlJS6_EEE10hipError_tPvRmT3_T4_T5_T6_T7_T9_mT8_P12ihipStream_tbDpT10_ENKUlT_T0_E_clISt17integral_constantIbLb1EES16_IbLb0EEEEDaS12_S13_EUlS12_E_NS1_11comp_targetILNS1_3genE4ELNS1_11target_archE910ELNS1_3gpuE8ELNS1_3repE0EEENS1_30default_config_static_selectorELNS0_4arch9wavefront6targetE0EEEvT1_, .Lfunc_end635-_ZN7rocprim17ROCPRIM_400000_NS6detail17trampoline_kernelINS0_14default_configENS1_25partition_config_selectorILNS1_17partition_subalgoE8EjNS0_10empty_typeEbEEZZNS1_14partition_implILS5_8ELb0ES3_jPKjPS6_PKS6_NS0_5tupleIJPjS6_EEENSE_IJSB_SB_EEENS0_18inequality_wrapperIN6hipcub16HIPCUB_304000_NS8EqualityEEEPlJS6_EEE10hipError_tPvRmT3_T4_T5_T6_T7_T9_mT8_P12ihipStream_tbDpT10_ENKUlT_T0_E_clISt17integral_constantIbLb1EES16_IbLb0EEEEDaS12_S13_EUlS12_E_NS1_11comp_targetILNS1_3genE4ELNS1_11target_archE910ELNS1_3gpuE8ELNS1_3repE0EEENS1_30default_config_static_selectorELNS0_4arch9wavefront6targetE0EEEvT1_
                                        ; -- End function
	.set _ZN7rocprim17ROCPRIM_400000_NS6detail17trampoline_kernelINS0_14default_configENS1_25partition_config_selectorILNS1_17partition_subalgoE8EjNS0_10empty_typeEbEEZZNS1_14partition_implILS5_8ELb0ES3_jPKjPS6_PKS6_NS0_5tupleIJPjS6_EEENSE_IJSB_SB_EEENS0_18inequality_wrapperIN6hipcub16HIPCUB_304000_NS8EqualityEEEPlJS6_EEE10hipError_tPvRmT3_T4_T5_T6_T7_T9_mT8_P12ihipStream_tbDpT10_ENKUlT_T0_E_clISt17integral_constantIbLb1EES16_IbLb0EEEEDaS12_S13_EUlS12_E_NS1_11comp_targetILNS1_3genE4ELNS1_11target_archE910ELNS1_3gpuE8ELNS1_3repE0EEENS1_30default_config_static_selectorELNS0_4arch9wavefront6targetE0EEEvT1_.num_vgpr, 0
	.set _ZN7rocprim17ROCPRIM_400000_NS6detail17trampoline_kernelINS0_14default_configENS1_25partition_config_selectorILNS1_17partition_subalgoE8EjNS0_10empty_typeEbEEZZNS1_14partition_implILS5_8ELb0ES3_jPKjPS6_PKS6_NS0_5tupleIJPjS6_EEENSE_IJSB_SB_EEENS0_18inequality_wrapperIN6hipcub16HIPCUB_304000_NS8EqualityEEEPlJS6_EEE10hipError_tPvRmT3_T4_T5_T6_T7_T9_mT8_P12ihipStream_tbDpT10_ENKUlT_T0_E_clISt17integral_constantIbLb1EES16_IbLb0EEEEDaS12_S13_EUlS12_E_NS1_11comp_targetILNS1_3genE4ELNS1_11target_archE910ELNS1_3gpuE8ELNS1_3repE0EEENS1_30default_config_static_selectorELNS0_4arch9wavefront6targetE0EEEvT1_.num_agpr, 0
	.set _ZN7rocprim17ROCPRIM_400000_NS6detail17trampoline_kernelINS0_14default_configENS1_25partition_config_selectorILNS1_17partition_subalgoE8EjNS0_10empty_typeEbEEZZNS1_14partition_implILS5_8ELb0ES3_jPKjPS6_PKS6_NS0_5tupleIJPjS6_EEENSE_IJSB_SB_EEENS0_18inequality_wrapperIN6hipcub16HIPCUB_304000_NS8EqualityEEEPlJS6_EEE10hipError_tPvRmT3_T4_T5_T6_T7_T9_mT8_P12ihipStream_tbDpT10_ENKUlT_T0_E_clISt17integral_constantIbLb1EES16_IbLb0EEEEDaS12_S13_EUlS12_E_NS1_11comp_targetILNS1_3genE4ELNS1_11target_archE910ELNS1_3gpuE8ELNS1_3repE0EEENS1_30default_config_static_selectorELNS0_4arch9wavefront6targetE0EEEvT1_.numbered_sgpr, 0
	.set _ZN7rocprim17ROCPRIM_400000_NS6detail17trampoline_kernelINS0_14default_configENS1_25partition_config_selectorILNS1_17partition_subalgoE8EjNS0_10empty_typeEbEEZZNS1_14partition_implILS5_8ELb0ES3_jPKjPS6_PKS6_NS0_5tupleIJPjS6_EEENSE_IJSB_SB_EEENS0_18inequality_wrapperIN6hipcub16HIPCUB_304000_NS8EqualityEEEPlJS6_EEE10hipError_tPvRmT3_T4_T5_T6_T7_T9_mT8_P12ihipStream_tbDpT10_ENKUlT_T0_E_clISt17integral_constantIbLb1EES16_IbLb0EEEEDaS12_S13_EUlS12_E_NS1_11comp_targetILNS1_3genE4ELNS1_11target_archE910ELNS1_3gpuE8ELNS1_3repE0EEENS1_30default_config_static_selectorELNS0_4arch9wavefront6targetE0EEEvT1_.num_named_barrier, 0
	.set _ZN7rocprim17ROCPRIM_400000_NS6detail17trampoline_kernelINS0_14default_configENS1_25partition_config_selectorILNS1_17partition_subalgoE8EjNS0_10empty_typeEbEEZZNS1_14partition_implILS5_8ELb0ES3_jPKjPS6_PKS6_NS0_5tupleIJPjS6_EEENSE_IJSB_SB_EEENS0_18inequality_wrapperIN6hipcub16HIPCUB_304000_NS8EqualityEEEPlJS6_EEE10hipError_tPvRmT3_T4_T5_T6_T7_T9_mT8_P12ihipStream_tbDpT10_ENKUlT_T0_E_clISt17integral_constantIbLb1EES16_IbLb0EEEEDaS12_S13_EUlS12_E_NS1_11comp_targetILNS1_3genE4ELNS1_11target_archE910ELNS1_3gpuE8ELNS1_3repE0EEENS1_30default_config_static_selectorELNS0_4arch9wavefront6targetE0EEEvT1_.private_seg_size, 0
	.set _ZN7rocprim17ROCPRIM_400000_NS6detail17trampoline_kernelINS0_14default_configENS1_25partition_config_selectorILNS1_17partition_subalgoE8EjNS0_10empty_typeEbEEZZNS1_14partition_implILS5_8ELb0ES3_jPKjPS6_PKS6_NS0_5tupleIJPjS6_EEENSE_IJSB_SB_EEENS0_18inequality_wrapperIN6hipcub16HIPCUB_304000_NS8EqualityEEEPlJS6_EEE10hipError_tPvRmT3_T4_T5_T6_T7_T9_mT8_P12ihipStream_tbDpT10_ENKUlT_T0_E_clISt17integral_constantIbLb1EES16_IbLb0EEEEDaS12_S13_EUlS12_E_NS1_11comp_targetILNS1_3genE4ELNS1_11target_archE910ELNS1_3gpuE8ELNS1_3repE0EEENS1_30default_config_static_selectorELNS0_4arch9wavefront6targetE0EEEvT1_.uses_vcc, 0
	.set _ZN7rocprim17ROCPRIM_400000_NS6detail17trampoline_kernelINS0_14default_configENS1_25partition_config_selectorILNS1_17partition_subalgoE8EjNS0_10empty_typeEbEEZZNS1_14partition_implILS5_8ELb0ES3_jPKjPS6_PKS6_NS0_5tupleIJPjS6_EEENSE_IJSB_SB_EEENS0_18inequality_wrapperIN6hipcub16HIPCUB_304000_NS8EqualityEEEPlJS6_EEE10hipError_tPvRmT3_T4_T5_T6_T7_T9_mT8_P12ihipStream_tbDpT10_ENKUlT_T0_E_clISt17integral_constantIbLb1EES16_IbLb0EEEEDaS12_S13_EUlS12_E_NS1_11comp_targetILNS1_3genE4ELNS1_11target_archE910ELNS1_3gpuE8ELNS1_3repE0EEENS1_30default_config_static_selectorELNS0_4arch9wavefront6targetE0EEEvT1_.uses_flat_scratch, 0
	.set _ZN7rocprim17ROCPRIM_400000_NS6detail17trampoline_kernelINS0_14default_configENS1_25partition_config_selectorILNS1_17partition_subalgoE8EjNS0_10empty_typeEbEEZZNS1_14partition_implILS5_8ELb0ES3_jPKjPS6_PKS6_NS0_5tupleIJPjS6_EEENSE_IJSB_SB_EEENS0_18inequality_wrapperIN6hipcub16HIPCUB_304000_NS8EqualityEEEPlJS6_EEE10hipError_tPvRmT3_T4_T5_T6_T7_T9_mT8_P12ihipStream_tbDpT10_ENKUlT_T0_E_clISt17integral_constantIbLb1EES16_IbLb0EEEEDaS12_S13_EUlS12_E_NS1_11comp_targetILNS1_3genE4ELNS1_11target_archE910ELNS1_3gpuE8ELNS1_3repE0EEENS1_30default_config_static_selectorELNS0_4arch9wavefront6targetE0EEEvT1_.has_dyn_sized_stack, 0
	.set _ZN7rocprim17ROCPRIM_400000_NS6detail17trampoline_kernelINS0_14default_configENS1_25partition_config_selectorILNS1_17partition_subalgoE8EjNS0_10empty_typeEbEEZZNS1_14partition_implILS5_8ELb0ES3_jPKjPS6_PKS6_NS0_5tupleIJPjS6_EEENSE_IJSB_SB_EEENS0_18inequality_wrapperIN6hipcub16HIPCUB_304000_NS8EqualityEEEPlJS6_EEE10hipError_tPvRmT3_T4_T5_T6_T7_T9_mT8_P12ihipStream_tbDpT10_ENKUlT_T0_E_clISt17integral_constantIbLb1EES16_IbLb0EEEEDaS12_S13_EUlS12_E_NS1_11comp_targetILNS1_3genE4ELNS1_11target_archE910ELNS1_3gpuE8ELNS1_3repE0EEENS1_30default_config_static_selectorELNS0_4arch9wavefront6targetE0EEEvT1_.has_recursion, 0
	.set _ZN7rocprim17ROCPRIM_400000_NS6detail17trampoline_kernelINS0_14default_configENS1_25partition_config_selectorILNS1_17partition_subalgoE8EjNS0_10empty_typeEbEEZZNS1_14partition_implILS5_8ELb0ES3_jPKjPS6_PKS6_NS0_5tupleIJPjS6_EEENSE_IJSB_SB_EEENS0_18inequality_wrapperIN6hipcub16HIPCUB_304000_NS8EqualityEEEPlJS6_EEE10hipError_tPvRmT3_T4_T5_T6_T7_T9_mT8_P12ihipStream_tbDpT10_ENKUlT_T0_E_clISt17integral_constantIbLb1EES16_IbLb0EEEEDaS12_S13_EUlS12_E_NS1_11comp_targetILNS1_3genE4ELNS1_11target_archE910ELNS1_3gpuE8ELNS1_3repE0EEENS1_30default_config_static_selectorELNS0_4arch9wavefront6targetE0EEEvT1_.has_indirect_call, 0
	.section	.AMDGPU.csdata,"",@progbits
; Kernel info:
; codeLenInByte = 0
; TotalNumSgprs: 0
; NumVgprs: 0
; ScratchSize: 0
; MemoryBound: 0
; FloatMode: 240
; IeeeMode: 1
; LDSByteSize: 0 bytes/workgroup (compile time only)
; SGPRBlocks: 0
; VGPRBlocks: 0
; NumSGPRsForWavesPerEU: 1
; NumVGPRsForWavesPerEU: 1
; NamedBarCnt: 0
; Occupancy: 16
; WaveLimiterHint : 0
; COMPUTE_PGM_RSRC2:SCRATCH_EN: 0
; COMPUTE_PGM_RSRC2:USER_SGPR: 2
; COMPUTE_PGM_RSRC2:TRAP_HANDLER: 0
; COMPUTE_PGM_RSRC2:TGID_X_EN: 1
; COMPUTE_PGM_RSRC2:TGID_Y_EN: 0
; COMPUTE_PGM_RSRC2:TGID_Z_EN: 0
; COMPUTE_PGM_RSRC2:TIDIG_COMP_CNT: 0
	.section	.text._ZN7rocprim17ROCPRIM_400000_NS6detail17trampoline_kernelINS0_14default_configENS1_25partition_config_selectorILNS1_17partition_subalgoE8EjNS0_10empty_typeEbEEZZNS1_14partition_implILS5_8ELb0ES3_jPKjPS6_PKS6_NS0_5tupleIJPjS6_EEENSE_IJSB_SB_EEENS0_18inequality_wrapperIN6hipcub16HIPCUB_304000_NS8EqualityEEEPlJS6_EEE10hipError_tPvRmT3_T4_T5_T6_T7_T9_mT8_P12ihipStream_tbDpT10_ENKUlT_T0_E_clISt17integral_constantIbLb1EES16_IbLb0EEEEDaS12_S13_EUlS12_E_NS1_11comp_targetILNS1_3genE3ELNS1_11target_archE908ELNS1_3gpuE7ELNS1_3repE0EEENS1_30default_config_static_selectorELNS0_4arch9wavefront6targetE0EEEvT1_,"axG",@progbits,_ZN7rocprim17ROCPRIM_400000_NS6detail17trampoline_kernelINS0_14default_configENS1_25partition_config_selectorILNS1_17partition_subalgoE8EjNS0_10empty_typeEbEEZZNS1_14partition_implILS5_8ELb0ES3_jPKjPS6_PKS6_NS0_5tupleIJPjS6_EEENSE_IJSB_SB_EEENS0_18inequality_wrapperIN6hipcub16HIPCUB_304000_NS8EqualityEEEPlJS6_EEE10hipError_tPvRmT3_T4_T5_T6_T7_T9_mT8_P12ihipStream_tbDpT10_ENKUlT_T0_E_clISt17integral_constantIbLb1EES16_IbLb0EEEEDaS12_S13_EUlS12_E_NS1_11comp_targetILNS1_3genE3ELNS1_11target_archE908ELNS1_3gpuE7ELNS1_3repE0EEENS1_30default_config_static_selectorELNS0_4arch9wavefront6targetE0EEEvT1_,comdat
	.protected	_ZN7rocprim17ROCPRIM_400000_NS6detail17trampoline_kernelINS0_14default_configENS1_25partition_config_selectorILNS1_17partition_subalgoE8EjNS0_10empty_typeEbEEZZNS1_14partition_implILS5_8ELb0ES3_jPKjPS6_PKS6_NS0_5tupleIJPjS6_EEENSE_IJSB_SB_EEENS0_18inequality_wrapperIN6hipcub16HIPCUB_304000_NS8EqualityEEEPlJS6_EEE10hipError_tPvRmT3_T4_T5_T6_T7_T9_mT8_P12ihipStream_tbDpT10_ENKUlT_T0_E_clISt17integral_constantIbLb1EES16_IbLb0EEEEDaS12_S13_EUlS12_E_NS1_11comp_targetILNS1_3genE3ELNS1_11target_archE908ELNS1_3gpuE7ELNS1_3repE0EEENS1_30default_config_static_selectorELNS0_4arch9wavefront6targetE0EEEvT1_ ; -- Begin function _ZN7rocprim17ROCPRIM_400000_NS6detail17trampoline_kernelINS0_14default_configENS1_25partition_config_selectorILNS1_17partition_subalgoE8EjNS0_10empty_typeEbEEZZNS1_14partition_implILS5_8ELb0ES3_jPKjPS6_PKS6_NS0_5tupleIJPjS6_EEENSE_IJSB_SB_EEENS0_18inequality_wrapperIN6hipcub16HIPCUB_304000_NS8EqualityEEEPlJS6_EEE10hipError_tPvRmT3_T4_T5_T6_T7_T9_mT8_P12ihipStream_tbDpT10_ENKUlT_T0_E_clISt17integral_constantIbLb1EES16_IbLb0EEEEDaS12_S13_EUlS12_E_NS1_11comp_targetILNS1_3genE3ELNS1_11target_archE908ELNS1_3gpuE7ELNS1_3repE0EEENS1_30default_config_static_selectorELNS0_4arch9wavefront6targetE0EEEvT1_
	.globl	_ZN7rocprim17ROCPRIM_400000_NS6detail17trampoline_kernelINS0_14default_configENS1_25partition_config_selectorILNS1_17partition_subalgoE8EjNS0_10empty_typeEbEEZZNS1_14partition_implILS5_8ELb0ES3_jPKjPS6_PKS6_NS0_5tupleIJPjS6_EEENSE_IJSB_SB_EEENS0_18inequality_wrapperIN6hipcub16HIPCUB_304000_NS8EqualityEEEPlJS6_EEE10hipError_tPvRmT3_T4_T5_T6_T7_T9_mT8_P12ihipStream_tbDpT10_ENKUlT_T0_E_clISt17integral_constantIbLb1EES16_IbLb0EEEEDaS12_S13_EUlS12_E_NS1_11comp_targetILNS1_3genE3ELNS1_11target_archE908ELNS1_3gpuE7ELNS1_3repE0EEENS1_30default_config_static_selectorELNS0_4arch9wavefront6targetE0EEEvT1_
	.p2align	8
	.type	_ZN7rocprim17ROCPRIM_400000_NS6detail17trampoline_kernelINS0_14default_configENS1_25partition_config_selectorILNS1_17partition_subalgoE8EjNS0_10empty_typeEbEEZZNS1_14partition_implILS5_8ELb0ES3_jPKjPS6_PKS6_NS0_5tupleIJPjS6_EEENSE_IJSB_SB_EEENS0_18inequality_wrapperIN6hipcub16HIPCUB_304000_NS8EqualityEEEPlJS6_EEE10hipError_tPvRmT3_T4_T5_T6_T7_T9_mT8_P12ihipStream_tbDpT10_ENKUlT_T0_E_clISt17integral_constantIbLb1EES16_IbLb0EEEEDaS12_S13_EUlS12_E_NS1_11comp_targetILNS1_3genE3ELNS1_11target_archE908ELNS1_3gpuE7ELNS1_3repE0EEENS1_30default_config_static_selectorELNS0_4arch9wavefront6targetE0EEEvT1_,@function
_ZN7rocprim17ROCPRIM_400000_NS6detail17trampoline_kernelINS0_14default_configENS1_25partition_config_selectorILNS1_17partition_subalgoE8EjNS0_10empty_typeEbEEZZNS1_14partition_implILS5_8ELb0ES3_jPKjPS6_PKS6_NS0_5tupleIJPjS6_EEENSE_IJSB_SB_EEENS0_18inequality_wrapperIN6hipcub16HIPCUB_304000_NS8EqualityEEEPlJS6_EEE10hipError_tPvRmT3_T4_T5_T6_T7_T9_mT8_P12ihipStream_tbDpT10_ENKUlT_T0_E_clISt17integral_constantIbLb1EES16_IbLb0EEEEDaS12_S13_EUlS12_E_NS1_11comp_targetILNS1_3genE3ELNS1_11target_archE908ELNS1_3gpuE7ELNS1_3repE0EEENS1_30default_config_static_selectorELNS0_4arch9wavefront6targetE0EEEvT1_: ; @_ZN7rocprim17ROCPRIM_400000_NS6detail17trampoline_kernelINS0_14default_configENS1_25partition_config_selectorILNS1_17partition_subalgoE8EjNS0_10empty_typeEbEEZZNS1_14partition_implILS5_8ELb0ES3_jPKjPS6_PKS6_NS0_5tupleIJPjS6_EEENSE_IJSB_SB_EEENS0_18inequality_wrapperIN6hipcub16HIPCUB_304000_NS8EqualityEEEPlJS6_EEE10hipError_tPvRmT3_T4_T5_T6_T7_T9_mT8_P12ihipStream_tbDpT10_ENKUlT_T0_E_clISt17integral_constantIbLb1EES16_IbLb0EEEEDaS12_S13_EUlS12_E_NS1_11comp_targetILNS1_3genE3ELNS1_11target_archE908ELNS1_3gpuE7ELNS1_3repE0EEENS1_30default_config_static_selectorELNS0_4arch9wavefront6targetE0EEEvT1_
; %bb.0:
	.section	.rodata,"a",@progbits
	.p2align	6, 0x0
	.amdhsa_kernel _ZN7rocprim17ROCPRIM_400000_NS6detail17trampoline_kernelINS0_14default_configENS1_25partition_config_selectorILNS1_17partition_subalgoE8EjNS0_10empty_typeEbEEZZNS1_14partition_implILS5_8ELb0ES3_jPKjPS6_PKS6_NS0_5tupleIJPjS6_EEENSE_IJSB_SB_EEENS0_18inequality_wrapperIN6hipcub16HIPCUB_304000_NS8EqualityEEEPlJS6_EEE10hipError_tPvRmT3_T4_T5_T6_T7_T9_mT8_P12ihipStream_tbDpT10_ENKUlT_T0_E_clISt17integral_constantIbLb1EES16_IbLb0EEEEDaS12_S13_EUlS12_E_NS1_11comp_targetILNS1_3genE3ELNS1_11target_archE908ELNS1_3gpuE7ELNS1_3repE0EEENS1_30default_config_static_selectorELNS0_4arch9wavefront6targetE0EEEvT1_
		.amdhsa_group_segment_fixed_size 0
		.amdhsa_private_segment_fixed_size 0
		.amdhsa_kernarg_size 112
		.amdhsa_user_sgpr_count 2
		.amdhsa_user_sgpr_dispatch_ptr 0
		.amdhsa_user_sgpr_queue_ptr 0
		.amdhsa_user_sgpr_kernarg_segment_ptr 1
		.amdhsa_user_sgpr_dispatch_id 0
		.amdhsa_user_sgpr_kernarg_preload_length 0
		.amdhsa_user_sgpr_kernarg_preload_offset 0
		.amdhsa_user_sgpr_private_segment_size 0
		.amdhsa_wavefront_size32 1
		.amdhsa_uses_dynamic_stack 0
		.amdhsa_enable_private_segment 0
		.amdhsa_system_sgpr_workgroup_id_x 1
		.amdhsa_system_sgpr_workgroup_id_y 0
		.amdhsa_system_sgpr_workgroup_id_z 0
		.amdhsa_system_sgpr_workgroup_info 0
		.amdhsa_system_vgpr_workitem_id 0
		.amdhsa_next_free_vgpr 1
		.amdhsa_next_free_sgpr 1
		.amdhsa_named_barrier_count 0
		.amdhsa_reserve_vcc 0
		.amdhsa_float_round_mode_32 0
		.amdhsa_float_round_mode_16_64 0
		.amdhsa_float_denorm_mode_32 3
		.amdhsa_float_denorm_mode_16_64 3
		.amdhsa_fp16_overflow 0
		.amdhsa_memory_ordered 1
		.amdhsa_forward_progress 1
		.amdhsa_inst_pref_size 0
		.amdhsa_round_robin_scheduling 0
		.amdhsa_exception_fp_ieee_invalid_op 0
		.amdhsa_exception_fp_denorm_src 0
		.amdhsa_exception_fp_ieee_div_zero 0
		.amdhsa_exception_fp_ieee_overflow 0
		.amdhsa_exception_fp_ieee_underflow 0
		.amdhsa_exception_fp_ieee_inexact 0
		.amdhsa_exception_int_div_zero 0
	.end_amdhsa_kernel
	.section	.text._ZN7rocprim17ROCPRIM_400000_NS6detail17trampoline_kernelINS0_14default_configENS1_25partition_config_selectorILNS1_17partition_subalgoE8EjNS0_10empty_typeEbEEZZNS1_14partition_implILS5_8ELb0ES3_jPKjPS6_PKS6_NS0_5tupleIJPjS6_EEENSE_IJSB_SB_EEENS0_18inequality_wrapperIN6hipcub16HIPCUB_304000_NS8EqualityEEEPlJS6_EEE10hipError_tPvRmT3_T4_T5_T6_T7_T9_mT8_P12ihipStream_tbDpT10_ENKUlT_T0_E_clISt17integral_constantIbLb1EES16_IbLb0EEEEDaS12_S13_EUlS12_E_NS1_11comp_targetILNS1_3genE3ELNS1_11target_archE908ELNS1_3gpuE7ELNS1_3repE0EEENS1_30default_config_static_selectorELNS0_4arch9wavefront6targetE0EEEvT1_,"axG",@progbits,_ZN7rocprim17ROCPRIM_400000_NS6detail17trampoline_kernelINS0_14default_configENS1_25partition_config_selectorILNS1_17partition_subalgoE8EjNS0_10empty_typeEbEEZZNS1_14partition_implILS5_8ELb0ES3_jPKjPS6_PKS6_NS0_5tupleIJPjS6_EEENSE_IJSB_SB_EEENS0_18inequality_wrapperIN6hipcub16HIPCUB_304000_NS8EqualityEEEPlJS6_EEE10hipError_tPvRmT3_T4_T5_T6_T7_T9_mT8_P12ihipStream_tbDpT10_ENKUlT_T0_E_clISt17integral_constantIbLb1EES16_IbLb0EEEEDaS12_S13_EUlS12_E_NS1_11comp_targetILNS1_3genE3ELNS1_11target_archE908ELNS1_3gpuE7ELNS1_3repE0EEENS1_30default_config_static_selectorELNS0_4arch9wavefront6targetE0EEEvT1_,comdat
.Lfunc_end636:
	.size	_ZN7rocprim17ROCPRIM_400000_NS6detail17trampoline_kernelINS0_14default_configENS1_25partition_config_selectorILNS1_17partition_subalgoE8EjNS0_10empty_typeEbEEZZNS1_14partition_implILS5_8ELb0ES3_jPKjPS6_PKS6_NS0_5tupleIJPjS6_EEENSE_IJSB_SB_EEENS0_18inequality_wrapperIN6hipcub16HIPCUB_304000_NS8EqualityEEEPlJS6_EEE10hipError_tPvRmT3_T4_T5_T6_T7_T9_mT8_P12ihipStream_tbDpT10_ENKUlT_T0_E_clISt17integral_constantIbLb1EES16_IbLb0EEEEDaS12_S13_EUlS12_E_NS1_11comp_targetILNS1_3genE3ELNS1_11target_archE908ELNS1_3gpuE7ELNS1_3repE0EEENS1_30default_config_static_selectorELNS0_4arch9wavefront6targetE0EEEvT1_, .Lfunc_end636-_ZN7rocprim17ROCPRIM_400000_NS6detail17trampoline_kernelINS0_14default_configENS1_25partition_config_selectorILNS1_17partition_subalgoE8EjNS0_10empty_typeEbEEZZNS1_14partition_implILS5_8ELb0ES3_jPKjPS6_PKS6_NS0_5tupleIJPjS6_EEENSE_IJSB_SB_EEENS0_18inequality_wrapperIN6hipcub16HIPCUB_304000_NS8EqualityEEEPlJS6_EEE10hipError_tPvRmT3_T4_T5_T6_T7_T9_mT8_P12ihipStream_tbDpT10_ENKUlT_T0_E_clISt17integral_constantIbLb1EES16_IbLb0EEEEDaS12_S13_EUlS12_E_NS1_11comp_targetILNS1_3genE3ELNS1_11target_archE908ELNS1_3gpuE7ELNS1_3repE0EEENS1_30default_config_static_selectorELNS0_4arch9wavefront6targetE0EEEvT1_
                                        ; -- End function
	.set _ZN7rocprim17ROCPRIM_400000_NS6detail17trampoline_kernelINS0_14default_configENS1_25partition_config_selectorILNS1_17partition_subalgoE8EjNS0_10empty_typeEbEEZZNS1_14partition_implILS5_8ELb0ES3_jPKjPS6_PKS6_NS0_5tupleIJPjS6_EEENSE_IJSB_SB_EEENS0_18inequality_wrapperIN6hipcub16HIPCUB_304000_NS8EqualityEEEPlJS6_EEE10hipError_tPvRmT3_T4_T5_T6_T7_T9_mT8_P12ihipStream_tbDpT10_ENKUlT_T0_E_clISt17integral_constantIbLb1EES16_IbLb0EEEEDaS12_S13_EUlS12_E_NS1_11comp_targetILNS1_3genE3ELNS1_11target_archE908ELNS1_3gpuE7ELNS1_3repE0EEENS1_30default_config_static_selectorELNS0_4arch9wavefront6targetE0EEEvT1_.num_vgpr, 0
	.set _ZN7rocprim17ROCPRIM_400000_NS6detail17trampoline_kernelINS0_14default_configENS1_25partition_config_selectorILNS1_17partition_subalgoE8EjNS0_10empty_typeEbEEZZNS1_14partition_implILS5_8ELb0ES3_jPKjPS6_PKS6_NS0_5tupleIJPjS6_EEENSE_IJSB_SB_EEENS0_18inequality_wrapperIN6hipcub16HIPCUB_304000_NS8EqualityEEEPlJS6_EEE10hipError_tPvRmT3_T4_T5_T6_T7_T9_mT8_P12ihipStream_tbDpT10_ENKUlT_T0_E_clISt17integral_constantIbLb1EES16_IbLb0EEEEDaS12_S13_EUlS12_E_NS1_11comp_targetILNS1_3genE3ELNS1_11target_archE908ELNS1_3gpuE7ELNS1_3repE0EEENS1_30default_config_static_selectorELNS0_4arch9wavefront6targetE0EEEvT1_.num_agpr, 0
	.set _ZN7rocprim17ROCPRIM_400000_NS6detail17trampoline_kernelINS0_14default_configENS1_25partition_config_selectorILNS1_17partition_subalgoE8EjNS0_10empty_typeEbEEZZNS1_14partition_implILS5_8ELb0ES3_jPKjPS6_PKS6_NS0_5tupleIJPjS6_EEENSE_IJSB_SB_EEENS0_18inequality_wrapperIN6hipcub16HIPCUB_304000_NS8EqualityEEEPlJS6_EEE10hipError_tPvRmT3_T4_T5_T6_T7_T9_mT8_P12ihipStream_tbDpT10_ENKUlT_T0_E_clISt17integral_constantIbLb1EES16_IbLb0EEEEDaS12_S13_EUlS12_E_NS1_11comp_targetILNS1_3genE3ELNS1_11target_archE908ELNS1_3gpuE7ELNS1_3repE0EEENS1_30default_config_static_selectorELNS0_4arch9wavefront6targetE0EEEvT1_.numbered_sgpr, 0
	.set _ZN7rocprim17ROCPRIM_400000_NS6detail17trampoline_kernelINS0_14default_configENS1_25partition_config_selectorILNS1_17partition_subalgoE8EjNS0_10empty_typeEbEEZZNS1_14partition_implILS5_8ELb0ES3_jPKjPS6_PKS6_NS0_5tupleIJPjS6_EEENSE_IJSB_SB_EEENS0_18inequality_wrapperIN6hipcub16HIPCUB_304000_NS8EqualityEEEPlJS6_EEE10hipError_tPvRmT3_T4_T5_T6_T7_T9_mT8_P12ihipStream_tbDpT10_ENKUlT_T0_E_clISt17integral_constantIbLb1EES16_IbLb0EEEEDaS12_S13_EUlS12_E_NS1_11comp_targetILNS1_3genE3ELNS1_11target_archE908ELNS1_3gpuE7ELNS1_3repE0EEENS1_30default_config_static_selectorELNS0_4arch9wavefront6targetE0EEEvT1_.num_named_barrier, 0
	.set _ZN7rocprim17ROCPRIM_400000_NS6detail17trampoline_kernelINS0_14default_configENS1_25partition_config_selectorILNS1_17partition_subalgoE8EjNS0_10empty_typeEbEEZZNS1_14partition_implILS5_8ELb0ES3_jPKjPS6_PKS6_NS0_5tupleIJPjS6_EEENSE_IJSB_SB_EEENS0_18inequality_wrapperIN6hipcub16HIPCUB_304000_NS8EqualityEEEPlJS6_EEE10hipError_tPvRmT3_T4_T5_T6_T7_T9_mT8_P12ihipStream_tbDpT10_ENKUlT_T0_E_clISt17integral_constantIbLb1EES16_IbLb0EEEEDaS12_S13_EUlS12_E_NS1_11comp_targetILNS1_3genE3ELNS1_11target_archE908ELNS1_3gpuE7ELNS1_3repE0EEENS1_30default_config_static_selectorELNS0_4arch9wavefront6targetE0EEEvT1_.private_seg_size, 0
	.set _ZN7rocprim17ROCPRIM_400000_NS6detail17trampoline_kernelINS0_14default_configENS1_25partition_config_selectorILNS1_17partition_subalgoE8EjNS0_10empty_typeEbEEZZNS1_14partition_implILS5_8ELb0ES3_jPKjPS6_PKS6_NS0_5tupleIJPjS6_EEENSE_IJSB_SB_EEENS0_18inequality_wrapperIN6hipcub16HIPCUB_304000_NS8EqualityEEEPlJS6_EEE10hipError_tPvRmT3_T4_T5_T6_T7_T9_mT8_P12ihipStream_tbDpT10_ENKUlT_T0_E_clISt17integral_constantIbLb1EES16_IbLb0EEEEDaS12_S13_EUlS12_E_NS1_11comp_targetILNS1_3genE3ELNS1_11target_archE908ELNS1_3gpuE7ELNS1_3repE0EEENS1_30default_config_static_selectorELNS0_4arch9wavefront6targetE0EEEvT1_.uses_vcc, 0
	.set _ZN7rocprim17ROCPRIM_400000_NS6detail17trampoline_kernelINS0_14default_configENS1_25partition_config_selectorILNS1_17partition_subalgoE8EjNS0_10empty_typeEbEEZZNS1_14partition_implILS5_8ELb0ES3_jPKjPS6_PKS6_NS0_5tupleIJPjS6_EEENSE_IJSB_SB_EEENS0_18inequality_wrapperIN6hipcub16HIPCUB_304000_NS8EqualityEEEPlJS6_EEE10hipError_tPvRmT3_T4_T5_T6_T7_T9_mT8_P12ihipStream_tbDpT10_ENKUlT_T0_E_clISt17integral_constantIbLb1EES16_IbLb0EEEEDaS12_S13_EUlS12_E_NS1_11comp_targetILNS1_3genE3ELNS1_11target_archE908ELNS1_3gpuE7ELNS1_3repE0EEENS1_30default_config_static_selectorELNS0_4arch9wavefront6targetE0EEEvT1_.uses_flat_scratch, 0
	.set _ZN7rocprim17ROCPRIM_400000_NS6detail17trampoline_kernelINS0_14default_configENS1_25partition_config_selectorILNS1_17partition_subalgoE8EjNS0_10empty_typeEbEEZZNS1_14partition_implILS5_8ELb0ES3_jPKjPS6_PKS6_NS0_5tupleIJPjS6_EEENSE_IJSB_SB_EEENS0_18inequality_wrapperIN6hipcub16HIPCUB_304000_NS8EqualityEEEPlJS6_EEE10hipError_tPvRmT3_T4_T5_T6_T7_T9_mT8_P12ihipStream_tbDpT10_ENKUlT_T0_E_clISt17integral_constantIbLb1EES16_IbLb0EEEEDaS12_S13_EUlS12_E_NS1_11comp_targetILNS1_3genE3ELNS1_11target_archE908ELNS1_3gpuE7ELNS1_3repE0EEENS1_30default_config_static_selectorELNS0_4arch9wavefront6targetE0EEEvT1_.has_dyn_sized_stack, 0
	.set _ZN7rocprim17ROCPRIM_400000_NS6detail17trampoline_kernelINS0_14default_configENS1_25partition_config_selectorILNS1_17partition_subalgoE8EjNS0_10empty_typeEbEEZZNS1_14partition_implILS5_8ELb0ES3_jPKjPS6_PKS6_NS0_5tupleIJPjS6_EEENSE_IJSB_SB_EEENS0_18inequality_wrapperIN6hipcub16HIPCUB_304000_NS8EqualityEEEPlJS6_EEE10hipError_tPvRmT3_T4_T5_T6_T7_T9_mT8_P12ihipStream_tbDpT10_ENKUlT_T0_E_clISt17integral_constantIbLb1EES16_IbLb0EEEEDaS12_S13_EUlS12_E_NS1_11comp_targetILNS1_3genE3ELNS1_11target_archE908ELNS1_3gpuE7ELNS1_3repE0EEENS1_30default_config_static_selectorELNS0_4arch9wavefront6targetE0EEEvT1_.has_recursion, 0
	.set _ZN7rocprim17ROCPRIM_400000_NS6detail17trampoline_kernelINS0_14default_configENS1_25partition_config_selectorILNS1_17partition_subalgoE8EjNS0_10empty_typeEbEEZZNS1_14partition_implILS5_8ELb0ES3_jPKjPS6_PKS6_NS0_5tupleIJPjS6_EEENSE_IJSB_SB_EEENS0_18inequality_wrapperIN6hipcub16HIPCUB_304000_NS8EqualityEEEPlJS6_EEE10hipError_tPvRmT3_T4_T5_T6_T7_T9_mT8_P12ihipStream_tbDpT10_ENKUlT_T0_E_clISt17integral_constantIbLb1EES16_IbLb0EEEEDaS12_S13_EUlS12_E_NS1_11comp_targetILNS1_3genE3ELNS1_11target_archE908ELNS1_3gpuE7ELNS1_3repE0EEENS1_30default_config_static_selectorELNS0_4arch9wavefront6targetE0EEEvT1_.has_indirect_call, 0
	.section	.AMDGPU.csdata,"",@progbits
; Kernel info:
; codeLenInByte = 0
; TotalNumSgprs: 0
; NumVgprs: 0
; ScratchSize: 0
; MemoryBound: 0
; FloatMode: 240
; IeeeMode: 1
; LDSByteSize: 0 bytes/workgroup (compile time only)
; SGPRBlocks: 0
; VGPRBlocks: 0
; NumSGPRsForWavesPerEU: 1
; NumVGPRsForWavesPerEU: 1
; NamedBarCnt: 0
; Occupancy: 16
; WaveLimiterHint : 0
; COMPUTE_PGM_RSRC2:SCRATCH_EN: 0
; COMPUTE_PGM_RSRC2:USER_SGPR: 2
; COMPUTE_PGM_RSRC2:TRAP_HANDLER: 0
; COMPUTE_PGM_RSRC2:TGID_X_EN: 1
; COMPUTE_PGM_RSRC2:TGID_Y_EN: 0
; COMPUTE_PGM_RSRC2:TGID_Z_EN: 0
; COMPUTE_PGM_RSRC2:TIDIG_COMP_CNT: 0
	.section	.text._ZN7rocprim17ROCPRIM_400000_NS6detail17trampoline_kernelINS0_14default_configENS1_25partition_config_selectorILNS1_17partition_subalgoE8EjNS0_10empty_typeEbEEZZNS1_14partition_implILS5_8ELb0ES3_jPKjPS6_PKS6_NS0_5tupleIJPjS6_EEENSE_IJSB_SB_EEENS0_18inequality_wrapperIN6hipcub16HIPCUB_304000_NS8EqualityEEEPlJS6_EEE10hipError_tPvRmT3_T4_T5_T6_T7_T9_mT8_P12ihipStream_tbDpT10_ENKUlT_T0_E_clISt17integral_constantIbLb1EES16_IbLb0EEEEDaS12_S13_EUlS12_E_NS1_11comp_targetILNS1_3genE2ELNS1_11target_archE906ELNS1_3gpuE6ELNS1_3repE0EEENS1_30default_config_static_selectorELNS0_4arch9wavefront6targetE0EEEvT1_,"axG",@progbits,_ZN7rocprim17ROCPRIM_400000_NS6detail17trampoline_kernelINS0_14default_configENS1_25partition_config_selectorILNS1_17partition_subalgoE8EjNS0_10empty_typeEbEEZZNS1_14partition_implILS5_8ELb0ES3_jPKjPS6_PKS6_NS0_5tupleIJPjS6_EEENSE_IJSB_SB_EEENS0_18inequality_wrapperIN6hipcub16HIPCUB_304000_NS8EqualityEEEPlJS6_EEE10hipError_tPvRmT3_T4_T5_T6_T7_T9_mT8_P12ihipStream_tbDpT10_ENKUlT_T0_E_clISt17integral_constantIbLb1EES16_IbLb0EEEEDaS12_S13_EUlS12_E_NS1_11comp_targetILNS1_3genE2ELNS1_11target_archE906ELNS1_3gpuE6ELNS1_3repE0EEENS1_30default_config_static_selectorELNS0_4arch9wavefront6targetE0EEEvT1_,comdat
	.protected	_ZN7rocprim17ROCPRIM_400000_NS6detail17trampoline_kernelINS0_14default_configENS1_25partition_config_selectorILNS1_17partition_subalgoE8EjNS0_10empty_typeEbEEZZNS1_14partition_implILS5_8ELb0ES3_jPKjPS6_PKS6_NS0_5tupleIJPjS6_EEENSE_IJSB_SB_EEENS0_18inequality_wrapperIN6hipcub16HIPCUB_304000_NS8EqualityEEEPlJS6_EEE10hipError_tPvRmT3_T4_T5_T6_T7_T9_mT8_P12ihipStream_tbDpT10_ENKUlT_T0_E_clISt17integral_constantIbLb1EES16_IbLb0EEEEDaS12_S13_EUlS12_E_NS1_11comp_targetILNS1_3genE2ELNS1_11target_archE906ELNS1_3gpuE6ELNS1_3repE0EEENS1_30default_config_static_selectorELNS0_4arch9wavefront6targetE0EEEvT1_ ; -- Begin function _ZN7rocprim17ROCPRIM_400000_NS6detail17trampoline_kernelINS0_14default_configENS1_25partition_config_selectorILNS1_17partition_subalgoE8EjNS0_10empty_typeEbEEZZNS1_14partition_implILS5_8ELb0ES3_jPKjPS6_PKS6_NS0_5tupleIJPjS6_EEENSE_IJSB_SB_EEENS0_18inequality_wrapperIN6hipcub16HIPCUB_304000_NS8EqualityEEEPlJS6_EEE10hipError_tPvRmT3_T4_T5_T6_T7_T9_mT8_P12ihipStream_tbDpT10_ENKUlT_T0_E_clISt17integral_constantIbLb1EES16_IbLb0EEEEDaS12_S13_EUlS12_E_NS1_11comp_targetILNS1_3genE2ELNS1_11target_archE906ELNS1_3gpuE6ELNS1_3repE0EEENS1_30default_config_static_selectorELNS0_4arch9wavefront6targetE0EEEvT1_
	.globl	_ZN7rocprim17ROCPRIM_400000_NS6detail17trampoline_kernelINS0_14default_configENS1_25partition_config_selectorILNS1_17partition_subalgoE8EjNS0_10empty_typeEbEEZZNS1_14partition_implILS5_8ELb0ES3_jPKjPS6_PKS6_NS0_5tupleIJPjS6_EEENSE_IJSB_SB_EEENS0_18inequality_wrapperIN6hipcub16HIPCUB_304000_NS8EqualityEEEPlJS6_EEE10hipError_tPvRmT3_T4_T5_T6_T7_T9_mT8_P12ihipStream_tbDpT10_ENKUlT_T0_E_clISt17integral_constantIbLb1EES16_IbLb0EEEEDaS12_S13_EUlS12_E_NS1_11comp_targetILNS1_3genE2ELNS1_11target_archE906ELNS1_3gpuE6ELNS1_3repE0EEENS1_30default_config_static_selectorELNS0_4arch9wavefront6targetE0EEEvT1_
	.p2align	8
	.type	_ZN7rocprim17ROCPRIM_400000_NS6detail17trampoline_kernelINS0_14default_configENS1_25partition_config_selectorILNS1_17partition_subalgoE8EjNS0_10empty_typeEbEEZZNS1_14partition_implILS5_8ELb0ES3_jPKjPS6_PKS6_NS0_5tupleIJPjS6_EEENSE_IJSB_SB_EEENS0_18inequality_wrapperIN6hipcub16HIPCUB_304000_NS8EqualityEEEPlJS6_EEE10hipError_tPvRmT3_T4_T5_T6_T7_T9_mT8_P12ihipStream_tbDpT10_ENKUlT_T0_E_clISt17integral_constantIbLb1EES16_IbLb0EEEEDaS12_S13_EUlS12_E_NS1_11comp_targetILNS1_3genE2ELNS1_11target_archE906ELNS1_3gpuE6ELNS1_3repE0EEENS1_30default_config_static_selectorELNS0_4arch9wavefront6targetE0EEEvT1_,@function
_ZN7rocprim17ROCPRIM_400000_NS6detail17trampoline_kernelINS0_14default_configENS1_25partition_config_selectorILNS1_17partition_subalgoE8EjNS0_10empty_typeEbEEZZNS1_14partition_implILS5_8ELb0ES3_jPKjPS6_PKS6_NS0_5tupleIJPjS6_EEENSE_IJSB_SB_EEENS0_18inequality_wrapperIN6hipcub16HIPCUB_304000_NS8EqualityEEEPlJS6_EEE10hipError_tPvRmT3_T4_T5_T6_T7_T9_mT8_P12ihipStream_tbDpT10_ENKUlT_T0_E_clISt17integral_constantIbLb1EES16_IbLb0EEEEDaS12_S13_EUlS12_E_NS1_11comp_targetILNS1_3genE2ELNS1_11target_archE906ELNS1_3gpuE6ELNS1_3repE0EEENS1_30default_config_static_selectorELNS0_4arch9wavefront6targetE0EEEvT1_: ; @_ZN7rocprim17ROCPRIM_400000_NS6detail17trampoline_kernelINS0_14default_configENS1_25partition_config_selectorILNS1_17partition_subalgoE8EjNS0_10empty_typeEbEEZZNS1_14partition_implILS5_8ELb0ES3_jPKjPS6_PKS6_NS0_5tupleIJPjS6_EEENSE_IJSB_SB_EEENS0_18inequality_wrapperIN6hipcub16HIPCUB_304000_NS8EqualityEEEPlJS6_EEE10hipError_tPvRmT3_T4_T5_T6_T7_T9_mT8_P12ihipStream_tbDpT10_ENKUlT_T0_E_clISt17integral_constantIbLb1EES16_IbLb0EEEEDaS12_S13_EUlS12_E_NS1_11comp_targetILNS1_3genE2ELNS1_11target_archE906ELNS1_3gpuE6ELNS1_3repE0EEENS1_30default_config_static_selectorELNS0_4arch9wavefront6targetE0EEEvT1_
; %bb.0:
	.section	.rodata,"a",@progbits
	.p2align	6, 0x0
	.amdhsa_kernel _ZN7rocprim17ROCPRIM_400000_NS6detail17trampoline_kernelINS0_14default_configENS1_25partition_config_selectorILNS1_17partition_subalgoE8EjNS0_10empty_typeEbEEZZNS1_14partition_implILS5_8ELb0ES3_jPKjPS6_PKS6_NS0_5tupleIJPjS6_EEENSE_IJSB_SB_EEENS0_18inequality_wrapperIN6hipcub16HIPCUB_304000_NS8EqualityEEEPlJS6_EEE10hipError_tPvRmT3_T4_T5_T6_T7_T9_mT8_P12ihipStream_tbDpT10_ENKUlT_T0_E_clISt17integral_constantIbLb1EES16_IbLb0EEEEDaS12_S13_EUlS12_E_NS1_11comp_targetILNS1_3genE2ELNS1_11target_archE906ELNS1_3gpuE6ELNS1_3repE0EEENS1_30default_config_static_selectorELNS0_4arch9wavefront6targetE0EEEvT1_
		.amdhsa_group_segment_fixed_size 0
		.amdhsa_private_segment_fixed_size 0
		.amdhsa_kernarg_size 112
		.amdhsa_user_sgpr_count 2
		.amdhsa_user_sgpr_dispatch_ptr 0
		.amdhsa_user_sgpr_queue_ptr 0
		.amdhsa_user_sgpr_kernarg_segment_ptr 1
		.amdhsa_user_sgpr_dispatch_id 0
		.amdhsa_user_sgpr_kernarg_preload_length 0
		.amdhsa_user_sgpr_kernarg_preload_offset 0
		.amdhsa_user_sgpr_private_segment_size 0
		.amdhsa_wavefront_size32 1
		.amdhsa_uses_dynamic_stack 0
		.amdhsa_enable_private_segment 0
		.amdhsa_system_sgpr_workgroup_id_x 1
		.amdhsa_system_sgpr_workgroup_id_y 0
		.amdhsa_system_sgpr_workgroup_id_z 0
		.amdhsa_system_sgpr_workgroup_info 0
		.amdhsa_system_vgpr_workitem_id 0
		.amdhsa_next_free_vgpr 1
		.amdhsa_next_free_sgpr 1
		.amdhsa_named_barrier_count 0
		.amdhsa_reserve_vcc 0
		.amdhsa_float_round_mode_32 0
		.amdhsa_float_round_mode_16_64 0
		.amdhsa_float_denorm_mode_32 3
		.amdhsa_float_denorm_mode_16_64 3
		.amdhsa_fp16_overflow 0
		.amdhsa_memory_ordered 1
		.amdhsa_forward_progress 1
		.amdhsa_inst_pref_size 0
		.amdhsa_round_robin_scheduling 0
		.amdhsa_exception_fp_ieee_invalid_op 0
		.amdhsa_exception_fp_denorm_src 0
		.amdhsa_exception_fp_ieee_div_zero 0
		.amdhsa_exception_fp_ieee_overflow 0
		.amdhsa_exception_fp_ieee_underflow 0
		.amdhsa_exception_fp_ieee_inexact 0
		.amdhsa_exception_int_div_zero 0
	.end_amdhsa_kernel
	.section	.text._ZN7rocprim17ROCPRIM_400000_NS6detail17trampoline_kernelINS0_14default_configENS1_25partition_config_selectorILNS1_17partition_subalgoE8EjNS0_10empty_typeEbEEZZNS1_14partition_implILS5_8ELb0ES3_jPKjPS6_PKS6_NS0_5tupleIJPjS6_EEENSE_IJSB_SB_EEENS0_18inequality_wrapperIN6hipcub16HIPCUB_304000_NS8EqualityEEEPlJS6_EEE10hipError_tPvRmT3_T4_T5_T6_T7_T9_mT8_P12ihipStream_tbDpT10_ENKUlT_T0_E_clISt17integral_constantIbLb1EES16_IbLb0EEEEDaS12_S13_EUlS12_E_NS1_11comp_targetILNS1_3genE2ELNS1_11target_archE906ELNS1_3gpuE6ELNS1_3repE0EEENS1_30default_config_static_selectorELNS0_4arch9wavefront6targetE0EEEvT1_,"axG",@progbits,_ZN7rocprim17ROCPRIM_400000_NS6detail17trampoline_kernelINS0_14default_configENS1_25partition_config_selectorILNS1_17partition_subalgoE8EjNS0_10empty_typeEbEEZZNS1_14partition_implILS5_8ELb0ES3_jPKjPS6_PKS6_NS0_5tupleIJPjS6_EEENSE_IJSB_SB_EEENS0_18inequality_wrapperIN6hipcub16HIPCUB_304000_NS8EqualityEEEPlJS6_EEE10hipError_tPvRmT3_T4_T5_T6_T7_T9_mT8_P12ihipStream_tbDpT10_ENKUlT_T0_E_clISt17integral_constantIbLb1EES16_IbLb0EEEEDaS12_S13_EUlS12_E_NS1_11comp_targetILNS1_3genE2ELNS1_11target_archE906ELNS1_3gpuE6ELNS1_3repE0EEENS1_30default_config_static_selectorELNS0_4arch9wavefront6targetE0EEEvT1_,comdat
.Lfunc_end637:
	.size	_ZN7rocprim17ROCPRIM_400000_NS6detail17trampoline_kernelINS0_14default_configENS1_25partition_config_selectorILNS1_17partition_subalgoE8EjNS0_10empty_typeEbEEZZNS1_14partition_implILS5_8ELb0ES3_jPKjPS6_PKS6_NS0_5tupleIJPjS6_EEENSE_IJSB_SB_EEENS0_18inequality_wrapperIN6hipcub16HIPCUB_304000_NS8EqualityEEEPlJS6_EEE10hipError_tPvRmT3_T4_T5_T6_T7_T9_mT8_P12ihipStream_tbDpT10_ENKUlT_T0_E_clISt17integral_constantIbLb1EES16_IbLb0EEEEDaS12_S13_EUlS12_E_NS1_11comp_targetILNS1_3genE2ELNS1_11target_archE906ELNS1_3gpuE6ELNS1_3repE0EEENS1_30default_config_static_selectorELNS0_4arch9wavefront6targetE0EEEvT1_, .Lfunc_end637-_ZN7rocprim17ROCPRIM_400000_NS6detail17trampoline_kernelINS0_14default_configENS1_25partition_config_selectorILNS1_17partition_subalgoE8EjNS0_10empty_typeEbEEZZNS1_14partition_implILS5_8ELb0ES3_jPKjPS6_PKS6_NS0_5tupleIJPjS6_EEENSE_IJSB_SB_EEENS0_18inequality_wrapperIN6hipcub16HIPCUB_304000_NS8EqualityEEEPlJS6_EEE10hipError_tPvRmT3_T4_T5_T6_T7_T9_mT8_P12ihipStream_tbDpT10_ENKUlT_T0_E_clISt17integral_constantIbLb1EES16_IbLb0EEEEDaS12_S13_EUlS12_E_NS1_11comp_targetILNS1_3genE2ELNS1_11target_archE906ELNS1_3gpuE6ELNS1_3repE0EEENS1_30default_config_static_selectorELNS0_4arch9wavefront6targetE0EEEvT1_
                                        ; -- End function
	.set _ZN7rocprim17ROCPRIM_400000_NS6detail17trampoline_kernelINS0_14default_configENS1_25partition_config_selectorILNS1_17partition_subalgoE8EjNS0_10empty_typeEbEEZZNS1_14partition_implILS5_8ELb0ES3_jPKjPS6_PKS6_NS0_5tupleIJPjS6_EEENSE_IJSB_SB_EEENS0_18inequality_wrapperIN6hipcub16HIPCUB_304000_NS8EqualityEEEPlJS6_EEE10hipError_tPvRmT3_T4_T5_T6_T7_T9_mT8_P12ihipStream_tbDpT10_ENKUlT_T0_E_clISt17integral_constantIbLb1EES16_IbLb0EEEEDaS12_S13_EUlS12_E_NS1_11comp_targetILNS1_3genE2ELNS1_11target_archE906ELNS1_3gpuE6ELNS1_3repE0EEENS1_30default_config_static_selectorELNS0_4arch9wavefront6targetE0EEEvT1_.num_vgpr, 0
	.set _ZN7rocprim17ROCPRIM_400000_NS6detail17trampoline_kernelINS0_14default_configENS1_25partition_config_selectorILNS1_17partition_subalgoE8EjNS0_10empty_typeEbEEZZNS1_14partition_implILS5_8ELb0ES3_jPKjPS6_PKS6_NS0_5tupleIJPjS6_EEENSE_IJSB_SB_EEENS0_18inequality_wrapperIN6hipcub16HIPCUB_304000_NS8EqualityEEEPlJS6_EEE10hipError_tPvRmT3_T4_T5_T6_T7_T9_mT8_P12ihipStream_tbDpT10_ENKUlT_T0_E_clISt17integral_constantIbLb1EES16_IbLb0EEEEDaS12_S13_EUlS12_E_NS1_11comp_targetILNS1_3genE2ELNS1_11target_archE906ELNS1_3gpuE6ELNS1_3repE0EEENS1_30default_config_static_selectorELNS0_4arch9wavefront6targetE0EEEvT1_.num_agpr, 0
	.set _ZN7rocprim17ROCPRIM_400000_NS6detail17trampoline_kernelINS0_14default_configENS1_25partition_config_selectorILNS1_17partition_subalgoE8EjNS0_10empty_typeEbEEZZNS1_14partition_implILS5_8ELb0ES3_jPKjPS6_PKS6_NS0_5tupleIJPjS6_EEENSE_IJSB_SB_EEENS0_18inequality_wrapperIN6hipcub16HIPCUB_304000_NS8EqualityEEEPlJS6_EEE10hipError_tPvRmT3_T4_T5_T6_T7_T9_mT8_P12ihipStream_tbDpT10_ENKUlT_T0_E_clISt17integral_constantIbLb1EES16_IbLb0EEEEDaS12_S13_EUlS12_E_NS1_11comp_targetILNS1_3genE2ELNS1_11target_archE906ELNS1_3gpuE6ELNS1_3repE0EEENS1_30default_config_static_selectorELNS0_4arch9wavefront6targetE0EEEvT1_.numbered_sgpr, 0
	.set _ZN7rocprim17ROCPRIM_400000_NS6detail17trampoline_kernelINS0_14default_configENS1_25partition_config_selectorILNS1_17partition_subalgoE8EjNS0_10empty_typeEbEEZZNS1_14partition_implILS5_8ELb0ES3_jPKjPS6_PKS6_NS0_5tupleIJPjS6_EEENSE_IJSB_SB_EEENS0_18inequality_wrapperIN6hipcub16HIPCUB_304000_NS8EqualityEEEPlJS6_EEE10hipError_tPvRmT3_T4_T5_T6_T7_T9_mT8_P12ihipStream_tbDpT10_ENKUlT_T0_E_clISt17integral_constantIbLb1EES16_IbLb0EEEEDaS12_S13_EUlS12_E_NS1_11comp_targetILNS1_3genE2ELNS1_11target_archE906ELNS1_3gpuE6ELNS1_3repE0EEENS1_30default_config_static_selectorELNS0_4arch9wavefront6targetE0EEEvT1_.num_named_barrier, 0
	.set _ZN7rocprim17ROCPRIM_400000_NS6detail17trampoline_kernelINS0_14default_configENS1_25partition_config_selectorILNS1_17partition_subalgoE8EjNS0_10empty_typeEbEEZZNS1_14partition_implILS5_8ELb0ES3_jPKjPS6_PKS6_NS0_5tupleIJPjS6_EEENSE_IJSB_SB_EEENS0_18inequality_wrapperIN6hipcub16HIPCUB_304000_NS8EqualityEEEPlJS6_EEE10hipError_tPvRmT3_T4_T5_T6_T7_T9_mT8_P12ihipStream_tbDpT10_ENKUlT_T0_E_clISt17integral_constantIbLb1EES16_IbLb0EEEEDaS12_S13_EUlS12_E_NS1_11comp_targetILNS1_3genE2ELNS1_11target_archE906ELNS1_3gpuE6ELNS1_3repE0EEENS1_30default_config_static_selectorELNS0_4arch9wavefront6targetE0EEEvT1_.private_seg_size, 0
	.set _ZN7rocprim17ROCPRIM_400000_NS6detail17trampoline_kernelINS0_14default_configENS1_25partition_config_selectorILNS1_17partition_subalgoE8EjNS0_10empty_typeEbEEZZNS1_14partition_implILS5_8ELb0ES3_jPKjPS6_PKS6_NS0_5tupleIJPjS6_EEENSE_IJSB_SB_EEENS0_18inequality_wrapperIN6hipcub16HIPCUB_304000_NS8EqualityEEEPlJS6_EEE10hipError_tPvRmT3_T4_T5_T6_T7_T9_mT8_P12ihipStream_tbDpT10_ENKUlT_T0_E_clISt17integral_constantIbLb1EES16_IbLb0EEEEDaS12_S13_EUlS12_E_NS1_11comp_targetILNS1_3genE2ELNS1_11target_archE906ELNS1_3gpuE6ELNS1_3repE0EEENS1_30default_config_static_selectorELNS0_4arch9wavefront6targetE0EEEvT1_.uses_vcc, 0
	.set _ZN7rocprim17ROCPRIM_400000_NS6detail17trampoline_kernelINS0_14default_configENS1_25partition_config_selectorILNS1_17partition_subalgoE8EjNS0_10empty_typeEbEEZZNS1_14partition_implILS5_8ELb0ES3_jPKjPS6_PKS6_NS0_5tupleIJPjS6_EEENSE_IJSB_SB_EEENS0_18inequality_wrapperIN6hipcub16HIPCUB_304000_NS8EqualityEEEPlJS6_EEE10hipError_tPvRmT3_T4_T5_T6_T7_T9_mT8_P12ihipStream_tbDpT10_ENKUlT_T0_E_clISt17integral_constantIbLb1EES16_IbLb0EEEEDaS12_S13_EUlS12_E_NS1_11comp_targetILNS1_3genE2ELNS1_11target_archE906ELNS1_3gpuE6ELNS1_3repE0EEENS1_30default_config_static_selectorELNS0_4arch9wavefront6targetE0EEEvT1_.uses_flat_scratch, 0
	.set _ZN7rocprim17ROCPRIM_400000_NS6detail17trampoline_kernelINS0_14default_configENS1_25partition_config_selectorILNS1_17partition_subalgoE8EjNS0_10empty_typeEbEEZZNS1_14partition_implILS5_8ELb0ES3_jPKjPS6_PKS6_NS0_5tupleIJPjS6_EEENSE_IJSB_SB_EEENS0_18inequality_wrapperIN6hipcub16HIPCUB_304000_NS8EqualityEEEPlJS6_EEE10hipError_tPvRmT3_T4_T5_T6_T7_T9_mT8_P12ihipStream_tbDpT10_ENKUlT_T0_E_clISt17integral_constantIbLb1EES16_IbLb0EEEEDaS12_S13_EUlS12_E_NS1_11comp_targetILNS1_3genE2ELNS1_11target_archE906ELNS1_3gpuE6ELNS1_3repE0EEENS1_30default_config_static_selectorELNS0_4arch9wavefront6targetE0EEEvT1_.has_dyn_sized_stack, 0
	.set _ZN7rocprim17ROCPRIM_400000_NS6detail17trampoline_kernelINS0_14default_configENS1_25partition_config_selectorILNS1_17partition_subalgoE8EjNS0_10empty_typeEbEEZZNS1_14partition_implILS5_8ELb0ES3_jPKjPS6_PKS6_NS0_5tupleIJPjS6_EEENSE_IJSB_SB_EEENS0_18inequality_wrapperIN6hipcub16HIPCUB_304000_NS8EqualityEEEPlJS6_EEE10hipError_tPvRmT3_T4_T5_T6_T7_T9_mT8_P12ihipStream_tbDpT10_ENKUlT_T0_E_clISt17integral_constantIbLb1EES16_IbLb0EEEEDaS12_S13_EUlS12_E_NS1_11comp_targetILNS1_3genE2ELNS1_11target_archE906ELNS1_3gpuE6ELNS1_3repE0EEENS1_30default_config_static_selectorELNS0_4arch9wavefront6targetE0EEEvT1_.has_recursion, 0
	.set _ZN7rocprim17ROCPRIM_400000_NS6detail17trampoline_kernelINS0_14default_configENS1_25partition_config_selectorILNS1_17partition_subalgoE8EjNS0_10empty_typeEbEEZZNS1_14partition_implILS5_8ELb0ES3_jPKjPS6_PKS6_NS0_5tupleIJPjS6_EEENSE_IJSB_SB_EEENS0_18inequality_wrapperIN6hipcub16HIPCUB_304000_NS8EqualityEEEPlJS6_EEE10hipError_tPvRmT3_T4_T5_T6_T7_T9_mT8_P12ihipStream_tbDpT10_ENKUlT_T0_E_clISt17integral_constantIbLb1EES16_IbLb0EEEEDaS12_S13_EUlS12_E_NS1_11comp_targetILNS1_3genE2ELNS1_11target_archE906ELNS1_3gpuE6ELNS1_3repE0EEENS1_30default_config_static_selectorELNS0_4arch9wavefront6targetE0EEEvT1_.has_indirect_call, 0
	.section	.AMDGPU.csdata,"",@progbits
; Kernel info:
; codeLenInByte = 0
; TotalNumSgprs: 0
; NumVgprs: 0
; ScratchSize: 0
; MemoryBound: 0
; FloatMode: 240
; IeeeMode: 1
; LDSByteSize: 0 bytes/workgroup (compile time only)
; SGPRBlocks: 0
; VGPRBlocks: 0
; NumSGPRsForWavesPerEU: 1
; NumVGPRsForWavesPerEU: 1
; NamedBarCnt: 0
; Occupancy: 16
; WaveLimiterHint : 0
; COMPUTE_PGM_RSRC2:SCRATCH_EN: 0
; COMPUTE_PGM_RSRC2:USER_SGPR: 2
; COMPUTE_PGM_RSRC2:TRAP_HANDLER: 0
; COMPUTE_PGM_RSRC2:TGID_X_EN: 1
; COMPUTE_PGM_RSRC2:TGID_Y_EN: 0
; COMPUTE_PGM_RSRC2:TGID_Z_EN: 0
; COMPUTE_PGM_RSRC2:TIDIG_COMP_CNT: 0
	.section	.text._ZN7rocprim17ROCPRIM_400000_NS6detail17trampoline_kernelINS0_14default_configENS1_25partition_config_selectorILNS1_17partition_subalgoE8EjNS0_10empty_typeEbEEZZNS1_14partition_implILS5_8ELb0ES3_jPKjPS6_PKS6_NS0_5tupleIJPjS6_EEENSE_IJSB_SB_EEENS0_18inequality_wrapperIN6hipcub16HIPCUB_304000_NS8EqualityEEEPlJS6_EEE10hipError_tPvRmT3_T4_T5_T6_T7_T9_mT8_P12ihipStream_tbDpT10_ENKUlT_T0_E_clISt17integral_constantIbLb1EES16_IbLb0EEEEDaS12_S13_EUlS12_E_NS1_11comp_targetILNS1_3genE10ELNS1_11target_archE1200ELNS1_3gpuE4ELNS1_3repE0EEENS1_30default_config_static_selectorELNS0_4arch9wavefront6targetE0EEEvT1_,"axG",@progbits,_ZN7rocprim17ROCPRIM_400000_NS6detail17trampoline_kernelINS0_14default_configENS1_25partition_config_selectorILNS1_17partition_subalgoE8EjNS0_10empty_typeEbEEZZNS1_14partition_implILS5_8ELb0ES3_jPKjPS6_PKS6_NS0_5tupleIJPjS6_EEENSE_IJSB_SB_EEENS0_18inequality_wrapperIN6hipcub16HIPCUB_304000_NS8EqualityEEEPlJS6_EEE10hipError_tPvRmT3_T4_T5_T6_T7_T9_mT8_P12ihipStream_tbDpT10_ENKUlT_T0_E_clISt17integral_constantIbLb1EES16_IbLb0EEEEDaS12_S13_EUlS12_E_NS1_11comp_targetILNS1_3genE10ELNS1_11target_archE1200ELNS1_3gpuE4ELNS1_3repE0EEENS1_30default_config_static_selectorELNS0_4arch9wavefront6targetE0EEEvT1_,comdat
	.protected	_ZN7rocprim17ROCPRIM_400000_NS6detail17trampoline_kernelINS0_14default_configENS1_25partition_config_selectorILNS1_17partition_subalgoE8EjNS0_10empty_typeEbEEZZNS1_14partition_implILS5_8ELb0ES3_jPKjPS6_PKS6_NS0_5tupleIJPjS6_EEENSE_IJSB_SB_EEENS0_18inequality_wrapperIN6hipcub16HIPCUB_304000_NS8EqualityEEEPlJS6_EEE10hipError_tPvRmT3_T4_T5_T6_T7_T9_mT8_P12ihipStream_tbDpT10_ENKUlT_T0_E_clISt17integral_constantIbLb1EES16_IbLb0EEEEDaS12_S13_EUlS12_E_NS1_11comp_targetILNS1_3genE10ELNS1_11target_archE1200ELNS1_3gpuE4ELNS1_3repE0EEENS1_30default_config_static_selectorELNS0_4arch9wavefront6targetE0EEEvT1_ ; -- Begin function _ZN7rocprim17ROCPRIM_400000_NS6detail17trampoline_kernelINS0_14default_configENS1_25partition_config_selectorILNS1_17partition_subalgoE8EjNS0_10empty_typeEbEEZZNS1_14partition_implILS5_8ELb0ES3_jPKjPS6_PKS6_NS0_5tupleIJPjS6_EEENSE_IJSB_SB_EEENS0_18inequality_wrapperIN6hipcub16HIPCUB_304000_NS8EqualityEEEPlJS6_EEE10hipError_tPvRmT3_T4_T5_T6_T7_T9_mT8_P12ihipStream_tbDpT10_ENKUlT_T0_E_clISt17integral_constantIbLb1EES16_IbLb0EEEEDaS12_S13_EUlS12_E_NS1_11comp_targetILNS1_3genE10ELNS1_11target_archE1200ELNS1_3gpuE4ELNS1_3repE0EEENS1_30default_config_static_selectorELNS0_4arch9wavefront6targetE0EEEvT1_
	.globl	_ZN7rocprim17ROCPRIM_400000_NS6detail17trampoline_kernelINS0_14default_configENS1_25partition_config_selectorILNS1_17partition_subalgoE8EjNS0_10empty_typeEbEEZZNS1_14partition_implILS5_8ELb0ES3_jPKjPS6_PKS6_NS0_5tupleIJPjS6_EEENSE_IJSB_SB_EEENS0_18inequality_wrapperIN6hipcub16HIPCUB_304000_NS8EqualityEEEPlJS6_EEE10hipError_tPvRmT3_T4_T5_T6_T7_T9_mT8_P12ihipStream_tbDpT10_ENKUlT_T0_E_clISt17integral_constantIbLb1EES16_IbLb0EEEEDaS12_S13_EUlS12_E_NS1_11comp_targetILNS1_3genE10ELNS1_11target_archE1200ELNS1_3gpuE4ELNS1_3repE0EEENS1_30default_config_static_selectorELNS0_4arch9wavefront6targetE0EEEvT1_
	.p2align	8
	.type	_ZN7rocprim17ROCPRIM_400000_NS6detail17trampoline_kernelINS0_14default_configENS1_25partition_config_selectorILNS1_17partition_subalgoE8EjNS0_10empty_typeEbEEZZNS1_14partition_implILS5_8ELb0ES3_jPKjPS6_PKS6_NS0_5tupleIJPjS6_EEENSE_IJSB_SB_EEENS0_18inequality_wrapperIN6hipcub16HIPCUB_304000_NS8EqualityEEEPlJS6_EEE10hipError_tPvRmT3_T4_T5_T6_T7_T9_mT8_P12ihipStream_tbDpT10_ENKUlT_T0_E_clISt17integral_constantIbLb1EES16_IbLb0EEEEDaS12_S13_EUlS12_E_NS1_11comp_targetILNS1_3genE10ELNS1_11target_archE1200ELNS1_3gpuE4ELNS1_3repE0EEENS1_30default_config_static_selectorELNS0_4arch9wavefront6targetE0EEEvT1_,@function
_ZN7rocprim17ROCPRIM_400000_NS6detail17trampoline_kernelINS0_14default_configENS1_25partition_config_selectorILNS1_17partition_subalgoE8EjNS0_10empty_typeEbEEZZNS1_14partition_implILS5_8ELb0ES3_jPKjPS6_PKS6_NS0_5tupleIJPjS6_EEENSE_IJSB_SB_EEENS0_18inequality_wrapperIN6hipcub16HIPCUB_304000_NS8EqualityEEEPlJS6_EEE10hipError_tPvRmT3_T4_T5_T6_T7_T9_mT8_P12ihipStream_tbDpT10_ENKUlT_T0_E_clISt17integral_constantIbLb1EES16_IbLb0EEEEDaS12_S13_EUlS12_E_NS1_11comp_targetILNS1_3genE10ELNS1_11target_archE1200ELNS1_3gpuE4ELNS1_3repE0EEENS1_30default_config_static_selectorELNS0_4arch9wavefront6targetE0EEEvT1_: ; @_ZN7rocprim17ROCPRIM_400000_NS6detail17trampoline_kernelINS0_14default_configENS1_25partition_config_selectorILNS1_17partition_subalgoE8EjNS0_10empty_typeEbEEZZNS1_14partition_implILS5_8ELb0ES3_jPKjPS6_PKS6_NS0_5tupleIJPjS6_EEENSE_IJSB_SB_EEENS0_18inequality_wrapperIN6hipcub16HIPCUB_304000_NS8EqualityEEEPlJS6_EEE10hipError_tPvRmT3_T4_T5_T6_T7_T9_mT8_P12ihipStream_tbDpT10_ENKUlT_T0_E_clISt17integral_constantIbLb1EES16_IbLb0EEEEDaS12_S13_EUlS12_E_NS1_11comp_targetILNS1_3genE10ELNS1_11target_archE1200ELNS1_3gpuE4ELNS1_3repE0EEENS1_30default_config_static_selectorELNS0_4arch9wavefront6targetE0EEEvT1_
; %bb.0:
	.section	.rodata,"a",@progbits
	.p2align	6, 0x0
	.amdhsa_kernel _ZN7rocprim17ROCPRIM_400000_NS6detail17trampoline_kernelINS0_14default_configENS1_25partition_config_selectorILNS1_17partition_subalgoE8EjNS0_10empty_typeEbEEZZNS1_14partition_implILS5_8ELb0ES3_jPKjPS6_PKS6_NS0_5tupleIJPjS6_EEENSE_IJSB_SB_EEENS0_18inequality_wrapperIN6hipcub16HIPCUB_304000_NS8EqualityEEEPlJS6_EEE10hipError_tPvRmT3_T4_T5_T6_T7_T9_mT8_P12ihipStream_tbDpT10_ENKUlT_T0_E_clISt17integral_constantIbLb1EES16_IbLb0EEEEDaS12_S13_EUlS12_E_NS1_11comp_targetILNS1_3genE10ELNS1_11target_archE1200ELNS1_3gpuE4ELNS1_3repE0EEENS1_30default_config_static_selectorELNS0_4arch9wavefront6targetE0EEEvT1_
		.amdhsa_group_segment_fixed_size 0
		.amdhsa_private_segment_fixed_size 0
		.amdhsa_kernarg_size 112
		.amdhsa_user_sgpr_count 2
		.amdhsa_user_sgpr_dispatch_ptr 0
		.amdhsa_user_sgpr_queue_ptr 0
		.amdhsa_user_sgpr_kernarg_segment_ptr 1
		.amdhsa_user_sgpr_dispatch_id 0
		.amdhsa_user_sgpr_kernarg_preload_length 0
		.amdhsa_user_sgpr_kernarg_preload_offset 0
		.amdhsa_user_sgpr_private_segment_size 0
		.amdhsa_wavefront_size32 1
		.amdhsa_uses_dynamic_stack 0
		.amdhsa_enable_private_segment 0
		.amdhsa_system_sgpr_workgroup_id_x 1
		.amdhsa_system_sgpr_workgroup_id_y 0
		.amdhsa_system_sgpr_workgroup_id_z 0
		.amdhsa_system_sgpr_workgroup_info 0
		.amdhsa_system_vgpr_workitem_id 0
		.amdhsa_next_free_vgpr 1
		.amdhsa_next_free_sgpr 1
		.amdhsa_named_barrier_count 0
		.amdhsa_reserve_vcc 0
		.amdhsa_float_round_mode_32 0
		.amdhsa_float_round_mode_16_64 0
		.amdhsa_float_denorm_mode_32 3
		.amdhsa_float_denorm_mode_16_64 3
		.amdhsa_fp16_overflow 0
		.amdhsa_memory_ordered 1
		.amdhsa_forward_progress 1
		.amdhsa_inst_pref_size 0
		.amdhsa_round_robin_scheduling 0
		.amdhsa_exception_fp_ieee_invalid_op 0
		.amdhsa_exception_fp_denorm_src 0
		.amdhsa_exception_fp_ieee_div_zero 0
		.amdhsa_exception_fp_ieee_overflow 0
		.amdhsa_exception_fp_ieee_underflow 0
		.amdhsa_exception_fp_ieee_inexact 0
		.amdhsa_exception_int_div_zero 0
	.end_amdhsa_kernel
	.section	.text._ZN7rocprim17ROCPRIM_400000_NS6detail17trampoline_kernelINS0_14default_configENS1_25partition_config_selectorILNS1_17partition_subalgoE8EjNS0_10empty_typeEbEEZZNS1_14partition_implILS5_8ELb0ES3_jPKjPS6_PKS6_NS0_5tupleIJPjS6_EEENSE_IJSB_SB_EEENS0_18inequality_wrapperIN6hipcub16HIPCUB_304000_NS8EqualityEEEPlJS6_EEE10hipError_tPvRmT3_T4_T5_T6_T7_T9_mT8_P12ihipStream_tbDpT10_ENKUlT_T0_E_clISt17integral_constantIbLb1EES16_IbLb0EEEEDaS12_S13_EUlS12_E_NS1_11comp_targetILNS1_3genE10ELNS1_11target_archE1200ELNS1_3gpuE4ELNS1_3repE0EEENS1_30default_config_static_selectorELNS0_4arch9wavefront6targetE0EEEvT1_,"axG",@progbits,_ZN7rocprim17ROCPRIM_400000_NS6detail17trampoline_kernelINS0_14default_configENS1_25partition_config_selectorILNS1_17partition_subalgoE8EjNS0_10empty_typeEbEEZZNS1_14partition_implILS5_8ELb0ES3_jPKjPS6_PKS6_NS0_5tupleIJPjS6_EEENSE_IJSB_SB_EEENS0_18inequality_wrapperIN6hipcub16HIPCUB_304000_NS8EqualityEEEPlJS6_EEE10hipError_tPvRmT3_T4_T5_T6_T7_T9_mT8_P12ihipStream_tbDpT10_ENKUlT_T0_E_clISt17integral_constantIbLb1EES16_IbLb0EEEEDaS12_S13_EUlS12_E_NS1_11comp_targetILNS1_3genE10ELNS1_11target_archE1200ELNS1_3gpuE4ELNS1_3repE0EEENS1_30default_config_static_selectorELNS0_4arch9wavefront6targetE0EEEvT1_,comdat
.Lfunc_end638:
	.size	_ZN7rocprim17ROCPRIM_400000_NS6detail17trampoline_kernelINS0_14default_configENS1_25partition_config_selectorILNS1_17partition_subalgoE8EjNS0_10empty_typeEbEEZZNS1_14partition_implILS5_8ELb0ES3_jPKjPS6_PKS6_NS0_5tupleIJPjS6_EEENSE_IJSB_SB_EEENS0_18inequality_wrapperIN6hipcub16HIPCUB_304000_NS8EqualityEEEPlJS6_EEE10hipError_tPvRmT3_T4_T5_T6_T7_T9_mT8_P12ihipStream_tbDpT10_ENKUlT_T0_E_clISt17integral_constantIbLb1EES16_IbLb0EEEEDaS12_S13_EUlS12_E_NS1_11comp_targetILNS1_3genE10ELNS1_11target_archE1200ELNS1_3gpuE4ELNS1_3repE0EEENS1_30default_config_static_selectorELNS0_4arch9wavefront6targetE0EEEvT1_, .Lfunc_end638-_ZN7rocprim17ROCPRIM_400000_NS6detail17trampoline_kernelINS0_14default_configENS1_25partition_config_selectorILNS1_17partition_subalgoE8EjNS0_10empty_typeEbEEZZNS1_14partition_implILS5_8ELb0ES3_jPKjPS6_PKS6_NS0_5tupleIJPjS6_EEENSE_IJSB_SB_EEENS0_18inequality_wrapperIN6hipcub16HIPCUB_304000_NS8EqualityEEEPlJS6_EEE10hipError_tPvRmT3_T4_T5_T6_T7_T9_mT8_P12ihipStream_tbDpT10_ENKUlT_T0_E_clISt17integral_constantIbLb1EES16_IbLb0EEEEDaS12_S13_EUlS12_E_NS1_11comp_targetILNS1_3genE10ELNS1_11target_archE1200ELNS1_3gpuE4ELNS1_3repE0EEENS1_30default_config_static_selectorELNS0_4arch9wavefront6targetE0EEEvT1_
                                        ; -- End function
	.set _ZN7rocprim17ROCPRIM_400000_NS6detail17trampoline_kernelINS0_14default_configENS1_25partition_config_selectorILNS1_17partition_subalgoE8EjNS0_10empty_typeEbEEZZNS1_14partition_implILS5_8ELb0ES3_jPKjPS6_PKS6_NS0_5tupleIJPjS6_EEENSE_IJSB_SB_EEENS0_18inequality_wrapperIN6hipcub16HIPCUB_304000_NS8EqualityEEEPlJS6_EEE10hipError_tPvRmT3_T4_T5_T6_T7_T9_mT8_P12ihipStream_tbDpT10_ENKUlT_T0_E_clISt17integral_constantIbLb1EES16_IbLb0EEEEDaS12_S13_EUlS12_E_NS1_11comp_targetILNS1_3genE10ELNS1_11target_archE1200ELNS1_3gpuE4ELNS1_3repE0EEENS1_30default_config_static_selectorELNS0_4arch9wavefront6targetE0EEEvT1_.num_vgpr, 0
	.set _ZN7rocprim17ROCPRIM_400000_NS6detail17trampoline_kernelINS0_14default_configENS1_25partition_config_selectorILNS1_17partition_subalgoE8EjNS0_10empty_typeEbEEZZNS1_14partition_implILS5_8ELb0ES3_jPKjPS6_PKS6_NS0_5tupleIJPjS6_EEENSE_IJSB_SB_EEENS0_18inequality_wrapperIN6hipcub16HIPCUB_304000_NS8EqualityEEEPlJS6_EEE10hipError_tPvRmT3_T4_T5_T6_T7_T9_mT8_P12ihipStream_tbDpT10_ENKUlT_T0_E_clISt17integral_constantIbLb1EES16_IbLb0EEEEDaS12_S13_EUlS12_E_NS1_11comp_targetILNS1_3genE10ELNS1_11target_archE1200ELNS1_3gpuE4ELNS1_3repE0EEENS1_30default_config_static_selectorELNS0_4arch9wavefront6targetE0EEEvT1_.num_agpr, 0
	.set _ZN7rocprim17ROCPRIM_400000_NS6detail17trampoline_kernelINS0_14default_configENS1_25partition_config_selectorILNS1_17partition_subalgoE8EjNS0_10empty_typeEbEEZZNS1_14partition_implILS5_8ELb0ES3_jPKjPS6_PKS6_NS0_5tupleIJPjS6_EEENSE_IJSB_SB_EEENS0_18inequality_wrapperIN6hipcub16HIPCUB_304000_NS8EqualityEEEPlJS6_EEE10hipError_tPvRmT3_T4_T5_T6_T7_T9_mT8_P12ihipStream_tbDpT10_ENKUlT_T0_E_clISt17integral_constantIbLb1EES16_IbLb0EEEEDaS12_S13_EUlS12_E_NS1_11comp_targetILNS1_3genE10ELNS1_11target_archE1200ELNS1_3gpuE4ELNS1_3repE0EEENS1_30default_config_static_selectorELNS0_4arch9wavefront6targetE0EEEvT1_.numbered_sgpr, 0
	.set _ZN7rocprim17ROCPRIM_400000_NS6detail17trampoline_kernelINS0_14default_configENS1_25partition_config_selectorILNS1_17partition_subalgoE8EjNS0_10empty_typeEbEEZZNS1_14partition_implILS5_8ELb0ES3_jPKjPS6_PKS6_NS0_5tupleIJPjS6_EEENSE_IJSB_SB_EEENS0_18inequality_wrapperIN6hipcub16HIPCUB_304000_NS8EqualityEEEPlJS6_EEE10hipError_tPvRmT3_T4_T5_T6_T7_T9_mT8_P12ihipStream_tbDpT10_ENKUlT_T0_E_clISt17integral_constantIbLb1EES16_IbLb0EEEEDaS12_S13_EUlS12_E_NS1_11comp_targetILNS1_3genE10ELNS1_11target_archE1200ELNS1_3gpuE4ELNS1_3repE0EEENS1_30default_config_static_selectorELNS0_4arch9wavefront6targetE0EEEvT1_.num_named_barrier, 0
	.set _ZN7rocprim17ROCPRIM_400000_NS6detail17trampoline_kernelINS0_14default_configENS1_25partition_config_selectorILNS1_17partition_subalgoE8EjNS0_10empty_typeEbEEZZNS1_14partition_implILS5_8ELb0ES3_jPKjPS6_PKS6_NS0_5tupleIJPjS6_EEENSE_IJSB_SB_EEENS0_18inequality_wrapperIN6hipcub16HIPCUB_304000_NS8EqualityEEEPlJS6_EEE10hipError_tPvRmT3_T4_T5_T6_T7_T9_mT8_P12ihipStream_tbDpT10_ENKUlT_T0_E_clISt17integral_constantIbLb1EES16_IbLb0EEEEDaS12_S13_EUlS12_E_NS1_11comp_targetILNS1_3genE10ELNS1_11target_archE1200ELNS1_3gpuE4ELNS1_3repE0EEENS1_30default_config_static_selectorELNS0_4arch9wavefront6targetE0EEEvT1_.private_seg_size, 0
	.set _ZN7rocprim17ROCPRIM_400000_NS6detail17trampoline_kernelINS0_14default_configENS1_25partition_config_selectorILNS1_17partition_subalgoE8EjNS0_10empty_typeEbEEZZNS1_14partition_implILS5_8ELb0ES3_jPKjPS6_PKS6_NS0_5tupleIJPjS6_EEENSE_IJSB_SB_EEENS0_18inequality_wrapperIN6hipcub16HIPCUB_304000_NS8EqualityEEEPlJS6_EEE10hipError_tPvRmT3_T4_T5_T6_T7_T9_mT8_P12ihipStream_tbDpT10_ENKUlT_T0_E_clISt17integral_constantIbLb1EES16_IbLb0EEEEDaS12_S13_EUlS12_E_NS1_11comp_targetILNS1_3genE10ELNS1_11target_archE1200ELNS1_3gpuE4ELNS1_3repE0EEENS1_30default_config_static_selectorELNS0_4arch9wavefront6targetE0EEEvT1_.uses_vcc, 0
	.set _ZN7rocprim17ROCPRIM_400000_NS6detail17trampoline_kernelINS0_14default_configENS1_25partition_config_selectorILNS1_17partition_subalgoE8EjNS0_10empty_typeEbEEZZNS1_14partition_implILS5_8ELb0ES3_jPKjPS6_PKS6_NS0_5tupleIJPjS6_EEENSE_IJSB_SB_EEENS0_18inequality_wrapperIN6hipcub16HIPCUB_304000_NS8EqualityEEEPlJS6_EEE10hipError_tPvRmT3_T4_T5_T6_T7_T9_mT8_P12ihipStream_tbDpT10_ENKUlT_T0_E_clISt17integral_constantIbLb1EES16_IbLb0EEEEDaS12_S13_EUlS12_E_NS1_11comp_targetILNS1_3genE10ELNS1_11target_archE1200ELNS1_3gpuE4ELNS1_3repE0EEENS1_30default_config_static_selectorELNS0_4arch9wavefront6targetE0EEEvT1_.uses_flat_scratch, 0
	.set _ZN7rocprim17ROCPRIM_400000_NS6detail17trampoline_kernelINS0_14default_configENS1_25partition_config_selectorILNS1_17partition_subalgoE8EjNS0_10empty_typeEbEEZZNS1_14partition_implILS5_8ELb0ES3_jPKjPS6_PKS6_NS0_5tupleIJPjS6_EEENSE_IJSB_SB_EEENS0_18inequality_wrapperIN6hipcub16HIPCUB_304000_NS8EqualityEEEPlJS6_EEE10hipError_tPvRmT3_T4_T5_T6_T7_T9_mT8_P12ihipStream_tbDpT10_ENKUlT_T0_E_clISt17integral_constantIbLb1EES16_IbLb0EEEEDaS12_S13_EUlS12_E_NS1_11comp_targetILNS1_3genE10ELNS1_11target_archE1200ELNS1_3gpuE4ELNS1_3repE0EEENS1_30default_config_static_selectorELNS0_4arch9wavefront6targetE0EEEvT1_.has_dyn_sized_stack, 0
	.set _ZN7rocprim17ROCPRIM_400000_NS6detail17trampoline_kernelINS0_14default_configENS1_25partition_config_selectorILNS1_17partition_subalgoE8EjNS0_10empty_typeEbEEZZNS1_14partition_implILS5_8ELb0ES3_jPKjPS6_PKS6_NS0_5tupleIJPjS6_EEENSE_IJSB_SB_EEENS0_18inequality_wrapperIN6hipcub16HIPCUB_304000_NS8EqualityEEEPlJS6_EEE10hipError_tPvRmT3_T4_T5_T6_T7_T9_mT8_P12ihipStream_tbDpT10_ENKUlT_T0_E_clISt17integral_constantIbLb1EES16_IbLb0EEEEDaS12_S13_EUlS12_E_NS1_11comp_targetILNS1_3genE10ELNS1_11target_archE1200ELNS1_3gpuE4ELNS1_3repE0EEENS1_30default_config_static_selectorELNS0_4arch9wavefront6targetE0EEEvT1_.has_recursion, 0
	.set _ZN7rocprim17ROCPRIM_400000_NS6detail17trampoline_kernelINS0_14default_configENS1_25partition_config_selectorILNS1_17partition_subalgoE8EjNS0_10empty_typeEbEEZZNS1_14partition_implILS5_8ELb0ES3_jPKjPS6_PKS6_NS0_5tupleIJPjS6_EEENSE_IJSB_SB_EEENS0_18inequality_wrapperIN6hipcub16HIPCUB_304000_NS8EqualityEEEPlJS6_EEE10hipError_tPvRmT3_T4_T5_T6_T7_T9_mT8_P12ihipStream_tbDpT10_ENKUlT_T0_E_clISt17integral_constantIbLb1EES16_IbLb0EEEEDaS12_S13_EUlS12_E_NS1_11comp_targetILNS1_3genE10ELNS1_11target_archE1200ELNS1_3gpuE4ELNS1_3repE0EEENS1_30default_config_static_selectorELNS0_4arch9wavefront6targetE0EEEvT1_.has_indirect_call, 0
	.section	.AMDGPU.csdata,"",@progbits
; Kernel info:
; codeLenInByte = 0
; TotalNumSgprs: 0
; NumVgprs: 0
; ScratchSize: 0
; MemoryBound: 0
; FloatMode: 240
; IeeeMode: 1
; LDSByteSize: 0 bytes/workgroup (compile time only)
; SGPRBlocks: 0
; VGPRBlocks: 0
; NumSGPRsForWavesPerEU: 1
; NumVGPRsForWavesPerEU: 1
; NamedBarCnt: 0
; Occupancy: 16
; WaveLimiterHint : 0
; COMPUTE_PGM_RSRC2:SCRATCH_EN: 0
; COMPUTE_PGM_RSRC2:USER_SGPR: 2
; COMPUTE_PGM_RSRC2:TRAP_HANDLER: 0
; COMPUTE_PGM_RSRC2:TGID_X_EN: 1
; COMPUTE_PGM_RSRC2:TGID_Y_EN: 0
; COMPUTE_PGM_RSRC2:TGID_Z_EN: 0
; COMPUTE_PGM_RSRC2:TIDIG_COMP_CNT: 0
	.section	.text._ZN7rocprim17ROCPRIM_400000_NS6detail17trampoline_kernelINS0_14default_configENS1_25partition_config_selectorILNS1_17partition_subalgoE8EjNS0_10empty_typeEbEEZZNS1_14partition_implILS5_8ELb0ES3_jPKjPS6_PKS6_NS0_5tupleIJPjS6_EEENSE_IJSB_SB_EEENS0_18inequality_wrapperIN6hipcub16HIPCUB_304000_NS8EqualityEEEPlJS6_EEE10hipError_tPvRmT3_T4_T5_T6_T7_T9_mT8_P12ihipStream_tbDpT10_ENKUlT_T0_E_clISt17integral_constantIbLb1EES16_IbLb0EEEEDaS12_S13_EUlS12_E_NS1_11comp_targetILNS1_3genE9ELNS1_11target_archE1100ELNS1_3gpuE3ELNS1_3repE0EEENS1_30default_config_static_selectorELNS0_4arch9wavefront6targetE0EEEvT1_,"axG",@progbits,_ZN7rocprim17ROCPRIM_400000_NS6detail17trampoline_kernelINS0_14default_configENS1_25partition_config_selectorILNS1_17partition_subalgoE8EjNS0_10empty_typeEbEEZZNS1_14partition_implILS5_8ELb0ES3_jPKjPS6_PKS6_NS0_5tupleIJPjS6_EEENSE_IJSB_SB_EEENS0_18inequality_wrapperIN6hipcub16HIPCUB_304000_NS8EqualityEEEPlJS6_EEE10hipError_tPvRmT3_T4_T5_T6_T7_T9_mT8_P12ihipStream_tbDpT10_ENKUlT_T0_E_clISt17integral_constantIbLb1EES16_IbLb0EEEEDaS12_S13_EUlS12_E_NS1_11comp_targetILNS1_3genE9ELNS1_11target_archE1100ELNS1_3gpuE3ELNS1_3repE0EEENS1_30default_config_static_selectorELNS0_4arch9wavefront6targetE0EEEvT1_,comdat
	.protected	_ZN7rocprim17ROCPRIM_400000_NS6detail17trampoline_kernelINS0_14default_configENS1_25partition_config_selectorILNS1_17partition_subalgoE8EjNS0_10empty_typeEbEEZZNS1_14partition_implILS5_8ELb0ES3_jPKjPS6_PKS6_NS0_5tupleIJPjS6_EEENSE_IJSB_SB_EEENS0_18inequality_wrapperIN6hipcub16HIPCUB_304000_NS8EqualityEEEPlJS6_EEE10hipError_tPvRmT3_T4_T5_T6_T7_T9_mT8_P12ihipStream_tbDpT10_ENKUlT_T0_E_clISt17integral_constantIbLb1EES16_IbLb0EEEEDaS12_S13_EUlS12_E_NS1_11comp_targetILNS1_3genE9ELNS1_11target_archE1100ELNS1_3gpuE3ELNS1_3repE0EEENS1_30default_config_static_selectorELNS0_4arch9wavefront6targetE0EEEvT1_ ; -- Begin function _ZN7rocprim17ROCPRIM_400000_NS6detail17trampoline_kernelINS0_14default_configENS1_25partition_config_selectorILNS1_17partition_subalgoE8EjNS0_10empty_typeEbEEZZNS1_14partition_implILS5_8ELb0ES3_jPKjPS6_PKS6_NS0_5tupleIJPjS6_EEENSE_IJSB_SB_EEENS0_18inequality_wrapperIN6hipcub16HIPCUB_304000_NS8EqualityEEEPlJS6_EEE10hipError_tPvRmT3_T4_T5_T6_T7_T9_mT8_P12ihipStream_tbDpT10_ENKUlT_T0_E_clISt17integral_constantIbLb1EES16_IbLb0EEEEDaS12_S13_EUlS12_E_NS1_11comp_targetILNS1_3genE9ELNS1_11target_archE1100ELNS1_3gpuE3ELNS1_3repE0EEENS1_30default_config_static_selectorELNS0_4arch9wavefront6targetE0EEEvT1_
	.globl	_ZN7rocprim17ROCPRIM_400000_NS6detail17trampoline_kernelINS0_14default_configENS1_25partition_config_selectorILNS1_17partition_subalgoE8EjNS0_10empty_typeEbEEZZNS1_14partition_implILS5_8ELb0ES3_jPKjPS6_PKS6_NS0_5tupleIJPjS6_EEENSE_IJSB_SB_EEENS0_18inequality_wrapperIN6hipcub16HIPCUB_304000_NS8EqualityEEEPlJS6_EEE10hipError_tPvRmT3_T4_T5_T6_T7_T9_mT8_P12ihipStream_tbDpT10_ENKUlT_T0_E_clISt17integral_constantIbLb1EES16_IbLb0EEEEDaS12_S13_EUlS12_E_NS1_11comp_targetILNS1_3genE9ELNS1_11target_archE1100ELNS1_3gpuE3ELNS1_3repE0EEENS1_30default_config_static_selectorELNS0_4arch9wavefront6targetE0EEEvT1_
	.p2align	8
	.type	_ZN7rocprim17ROCPRIM_400000_NS6detail17trampoline_kernelINS0_14default_configENS1_25partition_config_selectorILNS1_17partition_subalgoE8EjNS0_10empty_typeEbEEZZNS1_14partition_implILS5_8ELb0ES3_jPKjPS6_PKS6_NS0_5tupleIJPjS6_EEENSE_IJSB_SB_EEENS0_18inequality_wrapperIN6hipcub16HIPCUB_304000_NS8EqualityEEEPlJS6_EEE10hipError_tPvRmT3_T4_T5_T6_T7_T9_mT8_P12ihipStream_tbDpT10_ENKUlT_T0_E_clISt17integral_constantIbLb1EES16_IbLb0EEEEDaS12_S13_EUlS12_E_NS1_11comp_targetILNS1_3genE9ELNS1_11target_archE1100ELNS1_3gpuE3ELNS1_3repE0EEENS1_30default_config_static_selectorELNS0_4arch9wavefront6targetE0EEEvT1_,@function
_ZN7rocprim17ROCPRIM_400000_NS6detail17trampoline_kernelINS0_14default_configENS1_25partition_config_selectorILNS1_17partition_subalgoE8EjNS0_10empty_typeEbEEZZNS1_14partition_implILS5_8ELb0ES3_jPKjPS6_PKS6_NS0_5tupleIJPjS6_EEENSE_IJSB_SB_EEENS0_18inequality_wrapperIN6hipcub16HIPCUB_304000_NS8EqualityEEEPlJS6_EEE10hipError_tPvRmT3_T4_T5_T6_T7_T9_mT8_P12ihipStream_tbDpT10_ENKUlT_T0_E_clISt17integral_constantIbLb1EES16_IbLb0EEEEDaS12_S13_EUlS12_E_NS1_11comp_targetILNS1_3genE9ELNS1_11target_archE1100ELNS1_3gpuE3ELNS1_3repE0EEENS1_30default_config_static_selectorELNS0_4arch9wavefront6targetE0EEEvT1_: ; @_ZN7rocprim17ROCPRIM_400000_NS6detail17trampoline_kernelINS0_14default_configENS1_25partition_config_selectorILNS1_17partition_subalgoE8EjNS0_10empty_typeEbEEZZNS1_14partition_implILS5_8ELb0ES3_jPKjPS6_PKS6_NS0_5tupleIJPjS6_EEENSE_IJSB_SB_EEENS0_18inequality_wrapperIN6hipcub16HIPCUB_304000_NS8EqualityEEEPlJS6_EEE10hipError_tPvRmT3_T4_T5_T6_T7_T9_mT8_P12ihipStream_tbDpT10_ENKUlT_T0_E_clISt17integral_constantIbLb1EES16_IbLb0EEEEDaS12_S13_EUlS12_E_NS1_11comp_targetILNS1_3genE9ELNS1_11target_archE1100ELNS1_3gpuE3ELNS1_3repE0EEENS1_30default_config_static_selectorELNS0_4arch9wavefront6targetE0EEEvT1_
; %bb.0:
	.section	.rodata,"a",@progbits
	.p2align	6, 0x0
	.amdhsa_kernel _ZN7rocprim17ROCPRIM_400000_NS6detail17trampoline_kernelINS0_14default_configENS1_25partition_config_selectorILNS1_17partition_subalgoE8EjNS0_10empty_typeEbEEZZNS1_14partition_implILS5_8ELb0ES3_jPKjPS6_PKS6_NS0_5tupleIJPjS6_EEENSE_IJSB_SB_EEENS0_18inequality_wrapperIN6hipcub16HIPCUB_304000_NS8EqualityEEEPlJS6_EEE10hipError_tPvRmT3_T4_T5_T6_T7_T9_mT8_P12ihipStream_tbDpT10_ENKUlT_T0_E_clISt17integral_constantIbLb1EES16_IbLb0EEEEDaS12_S13_EUlS12_E_NS1_11comp_targetILNS1_3genE9ELNS1_11target_archE1100ELNS1_3gpuE3ELNS1_3repE0EEENS1_30default_config_static_selectorELNS0_4arch9wavefront6targetE0EEEvT1_
		.amdhsa_group_segment_fixed_size 0
		.amdhsa_private_segment_fixed_size 0
		.amdhsa_kernarg_size 112
		.amdhsa_user_sgpr_count 2
		.amdhsa_user_sgpr_dispatch_ptr 0
		.amdhsa_user_sgpr_queue_ptr 0
		.amdhsa_user_sgpr_kernarg_segment_ptr 1
		.amdhsa_user_sgpr_dispatch_id 0
		.amdhsa_user_sgpr_kernarg_preload_length 0
		.amdhsa_user_sgpr_kernarg_preload_offset 0
		.amdhsa_user_sgpr_private_segment_size 0
		.amdhsa_wavefront_size32 1
		.amdhsa_uses_dynamic_stack 0
		.amdhsa_enable_private_segment 0
		.amdhsa_system_sgpr_workgroup_id_x 1
		.amdhsa_system_sgpr_workgroup_id_y 0
		.amdhsa_system_sgpr_workgroup_id_z 0
		.amdhsa_system_sgpr_workgroup_info 0
		.amdhsa_system_vgpr_workitem_id 0
		.amdhsa_next_free_vgpr 1
		.amdhsa_next_free_sgpr 1
		.amdhsa_named_barrier_count 0
		.amdhsa_reserve_vcc 0
		.amdhsa_float_round_mode_32 0
		.amdhsa_float_round_mode_16_64 0
		.amdhsa_float_denorm_mode_32 3
		.amdhsa_float_denorm_mode_16_64 3
		.amdhsa_fp16_overflow 0
		.amdhsa_memory_ordered 1
		.amdhsa_forward_progress 1
		.amdhsa_inst_pref_size 0
		.amdhsa_round_robin_scheduling 0
		.amdhsa_exception_fp_ieee_invalid_op 0
		.amdhsa_exception_fp_denorm_src 0
		.amdhsa_exception_fp_ieee_div_zero 0
		.amdhsa_exception_fp_ieee_overflow 0
		.amdhsa_exception_fp_ieee_underflow 0
		.amdhsa_exception_fp_ieee_inexact 0
		.amdhsa_exception_int_div_zero 0
	.end_amdhsa_kernel
	.section	.text._ZN7rocprim17ROCPRIM_400000_NS6detail17trampoline_kernelINS0_14default_configENS1_25partition_config_selectorILNS1_17partition_subalgoE8EjNS0_10empty_typeEbEEZZNS1_14partition_implILS5_8ELb0ES3_jPKjPS6_PKS6_NS0_5tupleIJPjS6_EEENSE_IJSB_SB_EEENS0_18inequality_wrapperIN6hipcub16HIPCUB_304000_NS8EqualityEEEPlJS6_EEE10hipError_tPvRmT3_T4_T5_T6_T7_T9_mT8_P12ihipStream_tbDpT10_ENKUlT_T0_E_clISt17integral_constantIbLb1EES16_IbLb0EEEEDaS12_S13_EUlS12_E_NS1_11comp_targetILNS1_3genE9ELNS1_11target_archE1100ELNS1_3gpuE3ELNS1_3repE0EEENS1_30default_config_static_selectorELNS0_4arch9wavefront6targetE0EEEvT1_,"axG",@progbits,_ZN7rocprim17ROCPRIM_400000_NS6detail17trampoline_kernelINS0_14default_configENS1_25partition_config_selectorILNS1_17partition_subalgoE8EjNS0_10empty_typeEbEEZZNS1_14partition_implILS5_8ELb0ES3_jPKjPS6_PKS6_NS0_5tupleIJPjS6_EEENSE_IJSB_SB_EEENS0_18inequality_wrapperIN6hipcub16HIPCUB_304000_NS8EqualityEEEPlJS6_EEE10hipError_tPvRmT3_T4_T5_T6_T7_T9_mT8_P12ihipStream_tbDpT10_ENKUlT_T0_E_clISt17integral_constantIbLb1EES16_IbLb0EEEEDaS12_S13_EUlS12_E_NS1_11comp_targetILNS1_3genE9ELNS1_11target_archE1100ELNS1_3gpuE3ELNS1_3repE0EEENS1_30default_config_static_selectorELNS0_4arch9wavefront6targetE0EEEvT1_,comdat
.Lfunc_end639:
	.size	_ZN7rocprim17ROCPRIM_400000_NS6detail17trampoline_kernelINS0_14default_configENS1_25partition_config_selectorILNS1_17partition_subalgoE8EjNS0_10empty_typeEbEEZZNS1_14partition_implILS5_8ELb0ES3_jPKjPS6_PKS6_NS0_5tupleIJPjS6_EEENSE_IJSB_SB_EEENS0_18inequality_wrapperIN6hipcub16HIPCUB_304000_NS8EqualityEEEPlJS6_EEE10hipError_tPvRmT3_T4_T5_T6_T7_T9_mT8_P12ihipStream_tbDpT10_ENKUlT_T0_E_clISt17integral_constantIbLb1EES16_IbLb0EEEEDaS12_S13_EUlS12_E_NS1_11comp_targetILNS1_3genE9ELNS1_11target_archE1100ELNS1_3gpuE3ELNS1_3repE0EEENS1_30default_config_static_selectorELNS0_4arch9wavefront6targetE0EEEvT1_, .Lfunc_end639-_ZN7rocprim17ROCPRIM_400000_NS6detail17trampoline_kernelINS0_14default_configENS1_25partition_config_selectorILNS1_17partition_subalgoE8EjNS0_10empty_typeEbEEZZNS1_14partition_implILS5_8ELb0ES3_jPKjPS6_PKS6_NS0_5tupleIJPjS6_EEENSE_IJSB_SB_EEENS0_18inequality_wrapperIN6hipcub16HIPCUB_304000_NS8EqualityEEEPlJS6_EEE10hipError_tPvRmT3_T4_T5_T6_T7_T9_mT8_P12ihipStream_tbDpT10_ENKUlT_T0_E_clISt17integral_constantIbLb1EES16_IbLb0EEEEDaS12_S13_EUlS12_E_NS1_11comp_targetILNS1_3genE9ELNS1_11target_archE1100ELNS1_3gpuE3ELNS1_3repE0EEENS1_30default_config_static_selectorELNS0_4arch9wavefront6targetE0EEEvT1_
                                        ; -- End function
	.set _ZN7rocprim17ROCPRIM_400000_NS6detail17trampoline_kernelINS0_14default_configENS1_25partition_config_selectorILNS1_17partition_subalgoE8EjNS0_10empty_typeEbEEZZNS1_14partition_implILS5_8ELb0ES3_jPKjPS6_PKS6_NS0_5tupleIJPjS6_EEENSE_IJSB_SB_EEENS0_18inequality_wrapperIN6hipcub16HIPCUB_304000_NS8EqualityEEEPlJS6_EEE10hipError_tPvRmT3_T4_T5_T6_T7_T9_mT8_P12ihipStream_tbDpT10_ENKUlT_T0_E_clISt17integral_constantIbLb1EES16_IbLb0EEEEDaS12_S13_EUlS12_E_NS1_11comp_targetILNS1_3genE9ELNS1_11target_archE1100ELNS1_3gpuE3ELNS1_3repE0EEENS1_30default_config_static_selectorELNS0_4arch9wavefront6targetE0EEEvT1_.num_vgpr, 0
	.set _ZN7rocprim17ROCPRIM_400000_NS6detail17trampoline_kernelINS0_14default_configENS1_25partition_config_selectorILNS1_17partition_subalgoE8EjNS0_10empty_typeEbEEZZNS1_14partition_implILS5_8ELb0ES3_jPKjPS6_PKS6_NS0_5tupleIJPjS6_EEENSE_IJSB_SB_EEENS0_18inequality_wrapperIN6hipcub16HIPCUB_304000_NS8EqualityEEEPlJS6_EEE10hipError_tPvRmT3_T4_T5_T6_T7_T9_mT8_P12ihipStream_tbDpT10_ENKUlT_T0_E_clISt17integral_constantIbLb1EES16_IbLb0EEEEDaS12_S13_EUlS12_E_NS1_11comp_targetILNS1_3genE9ELNS1_11target_archE1100ELNS1_3gpuE3ELNS1_3repE0EEENS1_30default_config_static_selectorELNS0_4arch9wavefront6targetE0EEEvT1_.num_agpr, 0
	.set _ZN7rocprim17ROCPRIM_400000_NS6detail17trampoline_kernelINS0_14default_configENS1_25partition_config_selectorILNS1_17partition_subalgoE8EjNS0_10empty_typeEbEEZZNS1_14partition_implILS5_8ELb0ES3_jPKjPS6_PKS6_NS0_5tupleIJPjS6_EEENSE_IJSB_SB_EEENS0_18inequality_wrapperIN6hipcub16HIPCUB_304000_NS8EqualityEEEPlJS6_EEE10hipError_tPvRmT3_T4_T5_T6_T7_T9_mT8_P12ihipStream_tbDpT10_ENKUlT_T0_E_clISt17integral_constantIbLb1EES16_IbLb0EEEEDaS12_S13_EUlS12_E_NS1_11comp_targetILNS1_3genE9ELNS1_11target_archE1100ELNS1_3gpuE3ELNS1_3repE0EEENS1_30default_config_static_selectorELNS0_4arch9wavefront6targetE0EEEvT1_.numbered_sgpr, 0
	.set _ZN7rocprim17ROCPRIM_400000_NS6detail17trampoline_kernelINS0_14default_configENS1_25partition_config_selectorILNS1_17partition_subalgoE8EjNS0_10empty_typeEbEEZZNS1_14partition_implILS5_8ELb0ES3_jPKjPS6_PKS6_NS0_5tupleIJPjS6_EEENSE_IJSB_SB_EEENS0_18inequality_wrapperIN6hipcub16HIPCUB_304000_NS8EqualityEEEPlJS6_EEE10hipError_tPvRmT3_T4_T5_T6_T7_T9_mT8_P12ihipStream_tbDpT10_ENKUlT_T0_E_clISt17integral_constantIbLb1EES16_IbLb0EEEEDaS12_S13_EUlS12_E_NS1_11comp_targetILNS1_3genE9ELNS1_11target_archE1100ELNS1_3gpuE3ELNS1_3repE0EEENS1_30default_config_static_selectorELNS0_4arch9wavefront6targetE0EEEvT1_.num_named_barrier, 0
	.set _ZN7rocprim17ROCPRIM_400000_NS6detail17trampoline_kernelINS0_14default_configENS1_25partition_config_selectorILNS1_17partition_subalgoE8EjNS0_10empty_typeEbEEZZNS1_14partition_implILS5_8ELb0ES3_jPKjPS6_PKS6_NS0_5tupleIJPjS6_EEENSE_IJSB_SB_EEENS0_18inequality_wrapperIN6hipcub16HIPCUB_304000_NS8EqualityEEEPlJS6_EEE10hipError_tPvRmT3_T4_T5_T6_T7_T9_mT8_P12ihipStream_tbDpT10_ENKUlT_T0_E_clISt17integral_constantIbLb1EES16_IbLb0EEEEDaS12_S13_EUlS12_E_NS1_11comp_targetILNS1_3genE9ELNS1_11target_archE1100ELNS1_3gpuE3ELNS1_3repE0EEENS1_30default_config_static_selectorELNS0_4arch9wavefront6targetE0EEEvT1_.private_seg_size, 0
	.set _ZN7rocprim17ROCPRIM_400000_NS6detail17trampoline_kernelINS0_14default_configENS1_25partition_config_selectorILNS1_17partition_subalgoE8EjNS0_10empty_typeEbEEZZNS1_14partition_implILS5_8ELb0ES3_jPKjPS6_PKS6_NS0_5tupleIJPjS6_EEENSE_IJSB_SB_EEENS0_18inequality_wrapperIN6hipcub16HIPCUB_304000_NS8EqualityEEEPlJS6_EEE10hipError_tPvRmT3_T4_T5_T6_T7_T9_mT8_P12ihipStream_tbDpT10_ENKUlT_T0_E_clISt17integral_constantIbLb1EES16_IbLb0EEEEDaS12_S13_EUlS12_E_NS1_11comp_targetILNS1_3genE9ELNS1_11target_archE1100ELNS1_3gpuE3ELNS1_3repE0EEENS1_30default_config_static_selectorELNS0_4arch9wavefront6targetE0EEEvT1_.uses_vcc, 0
	.set _ZN7rocprim17ROCPRIM_400000_NS6detail17trampoline_kernelINS0_14default_configENS1_25partition_config_selectorILNS1_17partition_subalgoE8EjNS0_10empty_typeEbEEZZNS1_14partition_implILS5_8ELb0ES3_jPKjPS6_PKS6_NS0_5tupleIJPjS6_EEENSE_IJSB_SB_EEENS0_18inequality_wrapperIN6hipcub16HIPCUB_304000_NS8EqualityEEEPlJS6_EEE10hipError_tPvRmT3_T4_T5_T6_T7_T9_mT8_P12ihipStream_tbDpT10_ENKUlT_T0_E_clISt17integral_constantIbLb1EES16_IbLb0EEEEDaS12_S13_EUlS12_E_NS1_11comp_targetILNS1_3genE9ELNS1_11target_archE1100ELNS1_3gpuE3ELNS1_3repE0EEENS1_30default_config_static_selectorELNS0_4arch9wavefront6targetE0EEEvT1_.uses_flat_scratch, 0
	.set _ZN7rocprim17ROCPRIM_400000_NS6detail17trampoline_kernelINS0_14default_configENS1_25partition_config_selectorILNS1_17partition_subalgoE8EjNS0_10empty_typeEbEEZZNS1_14partition_implILS5_8ELb0ES3_jPKjPS6_PKS6_NS0_5tupleIJPjS6_EEENSE_IJSB_SB_EEENS0_18inequality_wrapperIN6hipcub16HIPCUB_304000_NS8EqualityEEEPlJS6_EEE10hipError_tPvRmT3_T4_T5_T6_T7_T9_mT8_P12ihipStream_tbDpT10_ENKUlT_T0_E_clISt17integral_constantIbLb1EES16_IbLb0EEEEDaS12_S13_EUlS12_E_NS1_11comp_targetILNS1_3genE9ELNS1_11target_archE1100ELNS1_3gpuE3ELNS1_3repE0EEENS1_30default_config_static_selectorELNS0_4arch9wavefront6targetE0EEEvT1_.has_dyn_sized_stack, 0
	.set _ZN7rocprim17ROCPRIM_400000_NS6detail17trampoline_kernelINS0_14default_configENS1_25partition_config_selectorILNS1_17partition_subalgoE8EjNS0_10empty_typeEbEEZZNS1_14partition_implILS5_8ELb0ES3_jPKjPS6_PKS6_NS0_5tupleIJPjS6_EEENSE_IJSB_SB_EEENS0_18inequality_wrapperIN6hipcub16HIPCUB_304000_NS8EqualityEEEPlJS6_EEE10hipError_tPvRmT3_T4_T5_T6_T7_T9_mT8_P12ihipStream_tbDpT10_ENKUlT_T0_E_clISt17integral_constantIbLb1EES16_IbLb0EEEEDaS12_S13_EUlS12_E_NS1_11comp_targetILNS1_3genE9ELNS1_11target_archE1100ELNS1_3gpuE3ELNS1_3repE0EEENS1_30default_config_static_selectorELNS0_4arch9wavefront6targetE0EEEvT1_.has_recursion, 0
	.set _ZN7rocprim17ROCPRIM_400000_NS6detail17trampoline_kernelINS0_14default_configENS1_25partition_config_selectorILNS1_17partition_subalgoE8EjNS0_10empty_typeEbEEZZNS1_14partition_implILS5_8ELb0ES3_jPKjPS6_PKS6_NS0_5tupleIJPjS6_EEENSE_IJSB_SB_EEENS0_18inequality_wrapperIN6hipcub16HIPCUB_304000_NS8EqualityEEEPlJS6_EEE10hipError_tPvRmT3_T4_T5_T6_T7_T9_mT8_P12ihipStream_tbDpT10_ENKUlT_T0_E_clISt17integral_constantIbLb1EES16_IbLb0EEEEDaS12_S13_EUlS12_E_NS1_11comp_targetILNS1_3genE9ELNS1_11target_archE1100ELNS1_3gpuE3ELNS1_3repE0EEENS1_30default_config_static_selectorELNS0_4arch9wavefront6targetE0EEEvT1_.has_indirect_call, 0
	.section	.AMDGPU.csdata,"",@progbits
; Kernel info:
; codeLenInByte = 0
; TotalNumSgprs: 0
; NumVgprs: 0
; ScratchSize: 0
; MemoryBound: 0
; FloatMode: 240
; IeeeMode: 1
; LDSByteSize: 0 bytes/workgroup (compile time only)
; SGPRBlocks: 0
; VGPRBlocks: 0
; NumSGPRsForWavesPerEU: 1
; NumVGPRsForWavesPerEU: 1
; NamedBarCnt: 0
; Occupancy: 16
; WaveLimiterHint : 0
; COMPUTE_PGM_RSRC2:SCRATCH_EN: 0
; COMPUTE_PGM_RSRC2:USER_SGPR: 2
; COMPUTE_PGM_RSRC2:TRAP_HANDLER: 0
; COMPUTE_PGM_RSRC2:TGID_X_EN: 1
; COMPUTE_PGM_RSRC2:TGID_Y_EN: 0
; COMPUTE_PGM_RSRC2:TGID_Z_EN: 0
; COMPUTE_PGM_RSRC2:TIDIG_COMP_CNT: 0
	.section	.text._ZN7rocprim17ROCPRIM_400000_NS6detail17trampoline_kernelINS0_14default_configENS1_25partition_config_selectorILNS1_17partition_subalgoE8EjNS0_10empty_typeEbEEZZNS1_14partition_implILS5_8ELb0ES3_jPKjPS6_PKS6_NS0_5tupleIJPjS6_EEENSE_IJSB_SB_EEENS0_18inequality_wrapperIN6hipcub16HIPCUB_304000_NS8EqualityEEEPlJS6_EEE10hipError_tPvRmT3_T4_T5_T6_T7_T9_mT8_P12ihipStream_tbDpT10_ENKUlT_T0_E_clISt17integral_constantIbLb1EES16_IbLb0EEEEDaS12_S13_EUlS12_E_NS1_11comp_targetILNS1_3genE8ELNS1_11target_archE1030ELNS1_3gpuE2ELNS1_3repE0EEENS1_30default_config_static_selectorELNS0_4arch9wavefront6targetE0EEEvT1_,"axG",@progbits,_ZN7rocprim17ROCPRIM_400000_NS6detail17trampoline_kernelINS0_14default_configENS1_25partition_config_selectorILNS1_17partition_subalgoE8EjNS0_10empty_typeEbEEZZNS1_14partition_implILS5_8ELb0ES3_jPKjPS6_PKS6_NS0_5tupleIJPjS6_EEENSE_IJSB_SB_EEENS0_18inequality_wrapperIN6hipcub16HIPCUB_304000_NS8EqualityEEEPlJS6_EEE10hipError_tPvRmT3_T4_T5_T6_T7_T9_mT8_P12ihipStream_tbDpT10_ENKUlT_T0_E_clISt17integral_constantIbLb1EES16_IbLb0EEEEDaS12_S13_EUlS12_E_NS1_11comp_targetILNS1_3genE8ELNS1_11target_archE1030ELNS1_3gpuE2ELNS1_3repE0EEENS1_30default_config_static_selectorELNS0_4arch9wavefront6targetE0EEEvT1_,comdat
	.protected	_ZN7rocprim17ROCPRIM_400000_NS6detail17trampoline_kernelINS0_14default_configENS1_25partition_config_selectorILNS1_17partition_subalgoE8EjNS0_10empty_typeEbEEZZNS1_14partition_implILS5_8ELb0ES3_jPKjPS6_PKS6_NS0_5tupleIJPjS6_EEENSE_IJSB_SB_EEENS0_18inequality_wrapperIN6hipcub16HIPCUB_304000_NS8EqualityEEEPlJS6_EEE10hipError_tPvRmT3_T4_T5_T6_T7_T9_mT8_P12ihipStream_tbDpT10_ENKUlT_T0_E_clISt17integral_constantIbLb1EES16_IbLb0EEEEDaS12_S13_EUlS12_E_NS1_11comp_targetILNS1_3genE8ELNS1_11target_archE1030ELNS1_3gpuE2ELNS1_3repE0EEENS1_30default_config_static_selectorELNS0_4arch9wavefront6targetE0EEEvT1_ ; -- Begin function _ZN7rocprim17ROCPRIM_400000_NS6detail17trampoline_kernelINS0_14default_configENS1_25partition_config_selectorILNS1_17partition_subalgoE8EjNS0_10empty_typeEbEEZZNS1_14partition_implILS5_8ELb0ES3_jPKjPS6_PKS6_NS0_5tupleIJPjS6_EEENSE_IJSB_SB_EEENS0_18inequality_wrapperIN6hipcub16HIPCUB_304000_NS8EqualityEEEPlJS6_EEE10hipError_tPvRmT3_T4_T5_T6_T7_T9_mT8_P12ihipStream_tbDpT10_ENKUlT_T0_E_clISt17integral_constantIbLb1EES16_IbLb0EEEEDaS12_S13_EUlS12_E_NS1_11comp_targetILNS1_3genE8ELNS1_11target_archE1030ELNS1_3gpuE2ELNS1_3repE0EEENS1_30default_config_static_selectorELNS0_4arch9wavefront6targetE0EEEvT1_
	.globl	_ZN7rocprim17ROCPRIM_400000_NS6detail17trampoline_kernelINS0_14default_configENS1_25partition_config_selectorILNS1_17partition_subalgoE8EjNS0_10empty_typeEbEEZZNS1_14partition_implILS5_8ELb0ES3_jPKjPS6_PKS6_NS0_5tupleIJPjS6_EEENSE_IJSB_SB_EEENS0_18inequality_wrapperIN6hipcub16HIPCUB_304000_NS8EqualityEEEPlJS6_EEE10hipError_tPvRmT3_T4_T5_T6_T7_T9_mT8_P12ihipStream_tbDpT10_ENKUlT_T0_E_clISt17integral_constantIbLb1EES16_IbLb0EEEEDaS12_S13_EUlS12_E_NS1_11comp_targetILNS1_3genE8ELNS1_11target_archE1030ELNS1_3gpuE2ELNS1_3repE0EEENS1_30default_config_static_selectorELNS0_4arch9wavefront6targetE0EEEvT1_
	.p2align	8
	.type	_ZN7rocprim17ROCPRIM_400000_NS6detail17trampoline_kernelINS0_14default_configENS1_25partition_config_selectorILNS1_17partition_subalgoE8EjNS0_10empty_typeEbEEZZNS1_14partition_implILS5_8ELb0ES3_jPKjPS6_PKS6_NS0_5tupleIJPjS6_EEENSE_IJSB_SB_EEENS0_18inequality_wrapperIN6hipcub16HIPCUB_304000_NS8EqualityEEEPlJS6_EEE10hipError_tPvRmT3_T4_T5_T6_T7_T9_mT8_P12ihipStream_tbDpT10_ENKUlT_T0_E_clISt17integral_constantIbLb1EES16_IbLb0EEEEDaS12_S13_EUlS12_E_NS1_11comp_targetILNS1_3genE8ELNS1_11target_archE1030ELNS1_3gpuE2ELNS1_3repE0EEENS1_30default_config_static_selectorELNS0_4arch9wavefront6targetE0EEEvT1_,@function
_ZN7rocprim17ROCPRIM_400000_NS6detail17trampoline_kernelINS0_14default_configENS1_25partition_config_selectorILNS1_17partition_subalgoE8EjNS0_10empty_typeEbEEZZNS1_14partition_implILS5_8ELb0ES3_jPKjPS6_PKS6_NS0_5tupleIJPjS6_EEENSE_IJSB_SB_EEENS0_18inequality_wrapperIN6hipcub16HIPCUB_304000_NS8EqualityEEEPlJS6_EEE10hipError_tPvRmT3_T4_T5_T6_T7_T9_mT8_P12ihipStream_tbDpT10_ENKUlT_T0_E_clISt17integral_constantIbLb1EES16_IbLb0EEEEDaS12_S13_EUlS12_E_NS1_11comp_targetILNS1_3genE8ELNS1_11target_archE1030ELNS1_3gpuE2ELNS1_3repE0EEENS1_30default_config_static_selectorELNS0_4arch9wavefront6targetE0EEEvT1_: ; @_ZN7rocprim17ROCPRIM_400000_NS6detail17trampoline_kernelINS0_14default_configENS1_25partition_config_selectorILNS1_17partition_subalgoE8EjNS0_10empty_typeEbEEZZNS1_14partition_implILS5_8ELb0ES3_jPKjPS6_PKS6_NS0_5tupleIJPjS6_EEENSE_IJSB_SB_EEENS0_18inequality_wrapperIN6hipcub16HIPCUB_304000_NS8EqualityEEEPlJS6_EEE10hipError_tPvRmT3_T4_T5_T6_T7_T9_mT8_P12ihipStream_tbDpT10_ENKUlT_T0_E_clISt17integral_constantIbLb1EES16_IbLb0EEEEDaS12_S13_EUlS12_E_NS1_11comp_targetILNS1_3genE8ELNS1_11target_archE1030ELNS1_3gpuE2ELNS1_3repE0EEENS1_30default_config_static_selectorELNS0_4arch9wavefront6targetE0EEEvT1_
; %bb.0:
	.section	.rodata,"a",@progbits
	.p2align	6, 0x0
	.amdhsa_kernel _ZN7rocprim17ROCPRIM_400000_NS6detail17trampoline_kernelINS0_14default_configENS1_25partition_config_selectorILNS1_17partition_subalgoE8EjNS0_10empty_typeEbEEZZNS1_14partition_implILS5_8ELb0ES3_jPKjPS6_PKS6_NS0_5tupleIJPjS6_EEENSE_IJSB_SB_EEENS0_18inequality_wrapperIN6hipcub16HIPCUB_304000_NS8EqualityEEEPlJS6_EEE10hipError_tPvRmT3_T4_T5_T6_T7_T9_mT8_P12ihipStream_tbDpT10_ENKUlT_T0_E_clISt17integral_constantIbLb1EES16_IbLb0EEEEDaS12_S13_EUlS12_E_NS1_11comp_targetILNS1_3genE8ELNS1_11target_archE1030ELNS1_3gpuE2ELNS1_3repE0EEENS1_30default_config_static_selectorELNS0_4arch9wavefront6targetE0EEEvT1_
		.amdhsa_group_segment_fixed_size 0
		.amdhsa_private_segment_fixed_size 0
		.amdhsa_kernarg_size 112
		.amdhsa_user_sgpr_count 2
		.amdhsa_user_sgpr_dispatch_ptr 0
		.amdhsa_user_sgpr_queue_ptr 0
		.amdhsa_user_sgpr_kernarg_segment_ptr 1
		.amdhsa_user_sgpr_dispatch_id 0
		.amdhsa_user_sgpr_kernarg_preload_length 0
		.amdhsa_user_sgpr_kernarg_preload_offset 0
		.amdhsa_user_sgpr_private_segment_size 0
		.amdhsa_wavefront_size32 1
		.amdhsa_uses_dynamic_stack 0
		.amdhsa_enable_private_segment 0
		.amdhsa_system_sgpr_workgroup_id_x 1
		.amdhsa_system_sgpr_workgroup_id_y 0
		.amdhsa_system_sgpr_workgroup_id_z 0
		.amdhsa_system_sgpr_workgroup_info 0
		.amdhsa_system_vgpr_workitem_id 0
		.amdhsa_next_free_vgpr 1
		.amdhsa_next_free_sgpr 1
		.amdhsa_named_barrier_count 0
		.amdhsa_reserve_vcc 0
		.amdhsa_float_round_mode_32 0
		.amdhsa_float_round_mode_16_64 0
		.amdhsa_float_denorm_mode_32 3
		.amdhsa_float_denorm_mode_16_64 3
		.amdhsa_fp16_overflow 0
		.amdhsa_memory_ordered 1
		.amdhsa_forward_progress 1
		.amdhsa_inst_pref_size 0
		.amdhsa_round_robin_scheduling 0
		.amdhsa_exception_fp_ieee_invalid_op 0
		.amdhsa_exception_fp_denorm_src 0
		.amdhsa_exception_fp_ieee_div_zero 0
		.amdhsa_exception_fp_ieee_overflow 0
		.amdhsa_exception_fp_ieee_underflow 0
		.amdhsa_exception_fp_ieee_inexact 0
		.amdhsa_exception_int_div_zero 0
	.end_amdhsa_kernel
	.section	.text._ZN7rocprim17ROCPRIM_400000_NS6detail17trampoline_kernelINS0_14default_configENS1_25partition_config_selectorILNS1_17partition_subalgoE8EjNS0_10empty_typeEbEEZZNS1_14partition_implILS5_8ELb0ES3_jPKjPS6_PKS6_NS0_5tupleIJPjS6_EEENSE_IJSB_SB_EEENS0_18inequality_wrapperIN6hipcub16HIPCUB_304000_NS8EqualityEEEPlJS6_EEE10hipError_tPvRmT3_T4_T5_T6_T7_T9_mT8_P12ihipStream_tbDpT10_ENKUlT_T0_E_clISt17integral_constantIbLb1EES16_IbLb0EEEEDaS12_S13_EUlS12_E_NS1_11comp_targetILNS1_3genE8ELNS1_11target_archE1030ELNS1_3gpuE2ELNS1_3repE0EEENS1_30default_config_static_selectorELNS0_4arch9wavefront6targetE0EEEvT1_,"axG",@progbits,_ZN7rocprim17ROCPRIM_400000_NS6detail17trampoline_kernelINS0_14default_configENS1_25partition_config_selectorILNS1_17partition_subalgoE8EjNS0_10empty_typeEbEEZZNS1_14partition_implILS5_8ELb0ES3_jPKjPS6_PKS6_NS0_5tupleIJPjS6_EEENSE_IJSB_SB_EEENS0_18inequality_wrapperIN6hipcub16HIPCUB_304000_NS8EqualityEEEPlJS6_EEE10hipError_tPvRmT3_T4_T5_T6_T7_T9_mT8_P12ihipStream_tbDpT10_ENKUlT_T0_E_clISt17integral_constantIbLb1EES16_IbLb0EEEEDaS12_S13_EUlS12_E_NS1_11comp_targetILNS1_3genE8ELNS1_11target_archE1030ELNS1_3gpuE2ELNS1_3repE0EEENS1_30default_config_static_selectorELNS0_4arch9wavefront6targetE0EEEvT1_,comdat
.Lfunc_end640:
	.size	_ZN7rocprim17ROCPRIM_400000_NS6detail17trampoline_kernelINS0_14default_configENS1_25partition_config_selectorILNS1_17partition_subalgoE8EjNS0_10empty_typeEbEEZZNS1_14partition_implILS5_8ELb0ES3_jPKjPS6_PKS6_NS0_5tupleIJPjS6_EEENSE_IJSB_SB_EEENS0_18inequality_wrapperIN6hipcub16HIPCUB_304000_NS8EqualityEEEPlJS6_EEE10hipError_tPvRmT3_T4_T5_T6_T7_T9_mT8_P12ihipStream_tbDpT10_ENKUlT_T0_E_clISt17integral_constantIbLb1EES16_IbLb0EEEEDaS12_S13_EUlS12_E_NS1_11comp_targetILNS1_3genE8ELNS1_11target_archE1030ELNS1_3gpuE2ELNS1_3repE0EEENS1_30default_config_static_selectorELNS0_4arch9wavefront6targetE0EEEvT1_, .Lfunc_end640-_ZN7rocprim17ROCPRIM_400000_NS6detail17trampoline_kernelINS0_14default_configENS1_25partition_config_selectorILNS1_17partition_subalgoE8EjNS0_10empty_typeEbEEZZNS1_14partition_implILS5_8ELb0ES3_jPKjPS6_PKS6_NS0_5tupleIJPjS6_EEENSE_IJSB_SB_EEENS0_18inequality_wrapperIN6hipcub16HIPCUB_304000_NS8EqualityEEEPlJS6_EEE10hipError_tPvRmT3_T4_T5_T6_T7_T9_mT8_P12ihipStream_tbDpT10_ENKUlT_T0_E_clISt17integral_constantIbLb1EES16_IbLb0EEEEDaS12_S13_EUlS12_E_NS1_11comp_targetILNS1_3genE8ELNS1_11target_archE1030ELNS1_3gpuE2ELNS1_3repE0EEENS1_30default_config_static_selectorELNS0_4arch9wavefront6targetE0EEEvT1_
                                        ; -- End function
	.set _ZN7rocprim17ROCPRIM_400000_NS6detail17trampoline_kernelINS0_14default_configENS1_25partition_config_selectorILNS1_17partition_subalgoE8EjNS0_10empty_typeEbEEZZNS1_14partition_implILS5_8ELb0ES3_jPKjPS6_PKS6_NS0_5tupleIJPjS6_EEENSE_IJSB_SB_EEENS0_18inequality_wrapperIN6hipcub16HIPCUB_304000_NS8EqualityEEEPlJS6_EEE10hipError_tPvRmT3_T4_T5_T6_T7_T9_mT8_P12ihipStream_tbDpT10_ENKUlT_T0_E_clISt17integral_constantIbLb1EES16_IbLb0EEEEDaS12_S13_EUlS12_E_NS1_11comp_targetILNS1_3genE8ELNS1_11target_archE1030ELNS1_3gpuE2ELNS1_3repE0EEENS1_30default_config_static_selectorELNS0_4arch9wavefront6targetE0EEEvT1_.num_vgpr, 0
	.set _ZN7rocprim17ROCPRIM_400000_NS6detail17trampoline_kernelINS0_14default_configENS1_25partition_config_selectorILNS1_17partition_subalgoE8EjNS0_10empty_typeEbEEZZNS1_14partition_implILS5_8ELb0ES3_jPKjPS6_PKS6_NS0_5tupleIJPjS6_EEENSE_IJSB_SB_EEENS0_18inequality_wrapperIN6hipcub16HIPCUB_304000_NS8EqualityEEEPlJS6_EEE10hipError_tPvRmT3_T4_T5_T6_T7_T9_mT8_P12ihipStream_tbDpT10_ENKUlT_T0_E_clISt17integral_constantIbLb1EES16_IbLb0EEEEDaS12_S13_EUlS12_E_NS1_11comp_targetILNS1_3genE8ELNS1_11target_archE1030ELNS1_3gpuE2ELNS1_3repE0EEENS1_30default_config_static_selectorELNS0_4arch9wavefront6targetE0EEEvT1_.num_agpr, 0
	.set _ZN7rocprim17ROCPRIM_400000_NS6detail17trampoline_kernelINS0_14default_configENS1_25partition_config_selectorILNS1_17partition_subalgoE8EjNS0_10empty_typeEbEEZZNS1_14partition_implILS5_8ELb0ES3_jPKjPS6_PKS6_NS0_5tupleIJPjS6_EEENSE_IJSB_SB_EEENS0_18inequality_wrapperIN6hipcub16HIPCUB_304000_NS8EqualityEEEPlJS6_EEE10hipError_tPvRmT3_T4_T5_T6_T7_T9_mT8_P12ihipStream_tbDpT10_ENKUlT_T0_E_clISt17integral_constantIbLb1EES16_IbLb0EEEEDaS12_S13_EUlS12_E_NS1_11comp_targetILNS1_3genE8ELNS1_11target_archE1030ELNS1_3gpuE2ELNS1_3repE0EEENS1_30default_config_static_selectorELNS0_4arch9wavefront6targetE0EEEvT1_.numbered_sgpr, 0
	.set _ZN7rocprim17ROCPRIM_400000_NS6detail17trampoline_kernelINS0_14default_configENS1_25partition_config_selectorILNS1_17partition_subalgoE8EjNS0_10empty_typeEbEEZZNS1_14partition_implILS5_8ELb0ES3_jPKjPS6_PKS6_NS0_5tupleIJPjS6_EEENSE_IJSB_SB_EEENS0_18inequality_wrapperIN6hipcub16HIPCUB_304000_NS8EqualityEEEPlJS6_EEE10hipError_tPvRmT3_T4_T5_T6_T7_T9_mT8_P12ihipStream_tbDpT10_ENKUlT_T0_E_clISt17integral_constantIbLb1EES16_IbLb0EEEEDaS12_S13_EUlS12_E_NS1_11comp_targetILNS1_3genE8ELNS1_11target_archE1030ELNS1_3gpuE2ELNS1_3repE0EEENS1_30default_config_static_selectorELNS0_4arch9wavefront6targetE0EEEvT1_.num_named_barrier, 0
	.set _ZN7rocprim17ROCPRIM_400000_NS6detail17trampoline_kernelINS0_14default_configENS1_25partition_config_selectorILNS1_17partition_subalgoE8EjNS0_10empty_typeEbEEZZNS1_14partition_implILS5_8ELb0ES3_jPKjPS6_PKS6_NS0_5tupleIJPjS6_EEENSE_IJSB_SB_EEENS0_18inequality_wrapperIN6hipcub16HIPCUB_304000_NS8EqualityEEEPlJS6_EEE10hipError_tPvRmT3_T4_T5_T6_T7_T9_mT8_P12ihipStream_tbDpT10_ENKUlT_T0_E_clISt17integral_constantIbLb1EES16_IbLb0EEEEDaS12_S13_EUlS12_E_NS1_11comp_targetILNS1_3genE8ELNS1_11target_archE1030ELNS1_3gpuE2ELNS1_3repE0EEENS1_30default_config_static_selectorELNS0_4arch9wavefront6targetE0EEEvT1_.private_seg_size, 0
	.set _ZN7rocprim17ROCPRIM_400000_NS6detail17trampoline_kernelINS0_14default_configENS1_25partition_config_selectorILNS1_17partition_subalgoE8EjNS0_10empty_typeEbEEZZNS1_14partition_implILS5_8ELb0ES3_jPKjPS6_PKS6_NS0_5tupleIJPjS6_EEENSE_IJSB_SB_EEENS0_18inequality_wrapperIN6hipcub16HIPCUB_304000_NS8EqualityEEEPlJS6_EEE10hipError_tPvRmT3_T4_T5_T6_T7_T9_mT8_P12ihipStream_tbDpT10_ENKUlT_T0_E_clISt17integral_constantIbLb1EES16_IbLb0EEEEDaS12_S13_EUlS12_E_NS1_11comp_targetILNS1_3genE8ELNS1_11target_archE1030ELNS1_3gpuE2ELNS1_3repE0EEENS1_30default_config_static_selectorELNS0_4arch9wavefront6targetE0EEEvT1_.uses_vcc, 0
	.set _ZN7rocprim17ROCPRIM_400000_NS6detail17trampoline_kernelINS0_14default_configENS1_25partition_config_selectorILNS1_17partition_subalgoE8EjNS0_10empty_typeEbEEZZNS1_14partition_implILS5_8ELb0ES3_jPKjPS6_PKS6_NS0_5tupleIJPjS6_EEENSE_IJSB_SB_EEENS0_18inequality_wrapperIN6hipcub16HIPCUB_304000_NS8EqualityEEEPlJS6_EEE10hipError_tPvRmT3_T4_T5_T6_T7_T9_mT8_P12ihipStream_tbDpT10_ENKUlT_T0_E_clISt17integral_constantIbLb1EES16_IbLb0EEEEDaS12_S13_EUlS12_E_NS1_11comp_targetILNS1_3genE8ELNS1_11target_archE1030ELNS1_3gpuE2ELNS1_3repE0EEENS1_30default_config_static_selectorELNS0_4arch9wavefront6targetE0EEEvT1_.uses_flat_scratch, 0
	.set _ZN7rocprim17ROCPRIM_400000_NS6detail17trampoline_kernelINS0_14default_configENS1_25partition_config_selectorILNS1_17partition_subalgoE8EjNS0_10empty_typeEbEEZZNS1_14partition_implILS5_8ELb0ES3_jPKjPS6_PKS6_NS0_5tupleIJPjS6_EEENSE_IJSB_SB_EEENS0_18inequality_wrapperIN6hipcub16HIPCUB_304000_NS8EqualityEEEPlJS6_EEE10hipError_tPvRmT3_T4_T5_T6_T7_T9_mT8_P12ihipStream_tbDpT10_ENKUlT_T0_E_clISt17integral_constantIbLb1EES16_IbLb0EEEEDaS12_S13_EUlS12_E_NS1_11comp_targetILNS1_3genE8ELNS1_11target_archE1030ELNS1_3gpuE2ELNS1_3repE0EEENS1_30default_config_static_selectorELNS0_4arch9wavefront6targetE0EEEvT1_.has_dyn_sized_stack, 0
	.set _ZN7rocprim17ROCPRIM_400000_NS6detail17trampoline_kernelINS0_14default_configENS1_25partition_config_selectorILNS1_17partition_subalgoE8EjNS0_10empty_typeEbEEZZNS1_14partition_implILS5_8ELb0ES3_jPKjPS6_PKS6_NS0_5tupleIJPjS6_EEENSE_IJSB_SB_EEENS0_18inequality_wrapperIN6hipcub16HIPCUB_304000_NS8EqualityEEEPlJS6_EEE10hipError_tPvRmT3_T4_T5_T6_T7_T9_mT8_P12ihipStream_tbDpT10_ENKUlT_T0_E_clISt17integral_constantIbLb1EES16_IbLb0EEEEDaS12_S13_EUlS12_E_NS1_11comp_targetILNS1_3genE8ELNS1_11target_archE1030ELNS1_3gpuE2ELNS1_3repE0EEENS1_30default_config_static_selectorELNS0_4arch9wavefront6targetE0EEEvT1_.has_recursion, 0
	.set _ZN7rocprim17ROCPRIM_400000_NS6detail17trampoline_kernelINS0_14default_configENS1_25partition_config_selectorILNS1_17partition_subalgoE8EjNS0_10empty_typeEbEEZZNS1_14partition_implILS5_8ELb0ES3_jPKjPS6_PKS6_NS0_5tupleIJPjS6_EEENSE_IJSB_SB_EEENS0_18inequality_wrapperIN6hipcub16HIPCUB_304000_NS8EqualityEEEPlJS6_EEE10hipError_tPvRmT3_T4_T5_T6_T7_T9_mT8_P12ihipStream_tbDpT10_ENKUlT_T0_E_clISt17integral_constantIbLb1EES16_IbLb0EEEEDaS12_S13_EUlS12_E_NS1_11comp_targetILNS1_3genE8ELNS1_11target_archE1030ELNS1_3gpuE2ELNS1_3repE0EEENS1_30default_config_static_selectorELNS0_4arch9wavefront6targetE0EEEvT1_.has_indirect_call, 0
	.section	.AMDGPU.csdata,"",@progbits
; Kernel info:
; codeLenInByte = 0
; TotalNumSgprs: 0
; NumVgprs: 0
; ScratchSize: 0
; MemoryBound: 0
; FloatMode: 240
; IeeeMode: 1
; LDSByteSize: 0 bytes/workgroup (compile time only)
; SGPRBlocks: 0
; VGPRBlocks: 0
; NumSGPRsForWavesPerEU: 1
; NumVGPRsForWavesPerEU: 1
; NamedBarCnt: 0
; Occupancy: 16
; WaveLimiterHint : 0
; COMPUTE_PGM_RSRC2:SCRATCH_EN: 0
; COMPUTE_PGM_RSRC2:USER_SGPR: 2
; COMPUTE_PGM_RSRC2:TRAP_HANDLER: 0
; COMPUTE_PGM_RSRC2:TGID_X_EN: 1
; COMPUTE_PGM_RSRC2:TGID_Y_EN: 0
; COMPUTE_PGM_RSRC2:TGID_Z_EN: 0
; COMPUTE_PGM_RSRC2:TIDIG_COMP_CNT: 0
	.section	.text._ZN7rocprim17ROCPRIM_400000_NS6detail17trampoline_kernelINS0_14default_configENS1_25partition_config_selectorILNS1_17partition_subalgoE8EjNS0_10empty_typeEbEEZZNS1_14partition_implILS5_8ELb0ES3_jPKjPS6_PKS6_NS0_5tupleIJPjS6_EEENSE_IJSB_SB_EEENS0_18inequality_wrapperIN6hipcub16HIPCUB_304000_NS8EqualityEEEPlJS6_EEE10hipError_tPvRmT3_T4_T5_T6_T7_T9_mT8_P12ihipStream_tbDpT10_ENKUlT_T0_E_clISt17integral_constantIbLb0EES16_IbLb1EEEEDaS12_S13_EUlS12_E_NS1_11comp_targetILNS1_3genE0ELNS1_11target_archE4294967295ELNS1_3gpuE0ELNS1_3repE0EEENS1_30default_config_static_selectorELNS0_4arch9wavefront6targetE0EEEvT1_,"axG",@progbits,_ZN7rocprim17ROCPRIM_400000_NS6detail17trampoline_kernelINS0_14default_configENS1_25partition_config_selectorILNS1_17partition_subalgoE8EjNS0_10empty_typeEbEEZZNS1_14partition_implILS5_8ELb0ES3_jPKjPS6_PKS6_NS0_5tupleIJPjS6_EEENSE_IJSB_SB_EEENS0_18inequality_wrapperIN6hipcub16HIPCUB_304000_NS8EqualityEEEPlJS6_EEE10hipError_tPvRmT3_T4_T5_T6_T7_T9_mT8_P12ihipStream_tbDpT10_ENKUlT_T0_E_clISt17integral_constantIbLb0EES16_IbLb1EEEEDaS12_S13_EUlS12_E_NS1_11comp_targetILNS1_3genE0ELNS1_11target_archE4294967295ELNS1_3gpuE0ELNS1_3repE0EEENS1_30default_config_static_selectorELNS0_4arch9wavefront6targetE0EEEvT1_,comdat
	.protected	_ZN7rocprim17ROCPRIM_400000_NS6detail17trampoline_kernelINS0_14default_configENS1_25partition_config_selectorILNS1_17partition_subalgoE8EjNS0_10empty_typeEbEEZZNS1_14partition_implILS5_8ELb0ES3_jPKjPS6_PKS6_NS0_5tupleIJPjS6_EEENSE_IJSB_SB_EEENS0_18inequality_wrapperIN6hipcub16HIPCUB_304000_NS8EqualityEEEPlJS6_EEE10hipError_tPvRmT3_T4_T5_T6_T7_T9_mT8_P12ihipStream_tbDpT10_ENKUlT_T0_E_clISt17integral_constantIbLb0EES16_IbLb1EEEEDaS12_S13_EUlS12_E_NS1_11comp_targetILNS1_3genE0ELNS1_11target_archE4294967295ELNS1_3gpuE0ELNS1_3repE0EEENS1_30default_config_static_selectorELNS0_4arch9wavefront6targetE0EEEvT1_ ; -- Begin function _ZN7rocprim17ROCPRIM_400000_NS6detail17trampoline_kernelINS0_14default_configENS1_25partition_config_selectorILNS1_17partition_subalgoE8EjNS0_10empty_typeEbEEZZNS1_14partition_implILS5_8ELb0ES3_jPKjPS6_PKS6_NS0_5tupleIJPjS6_EEENSE_IJSB_SB_EEENS0_18inequality_wrapperIN6hipcub16HIPCUB_304000_NS8EqualityEEEPlJS6_EEE10hipError_tPvRmT3_T4_T5_T6_T7_T9_mT8_P12ihipStream_tbDpT10_ENKUlT_T0_E_clISt17integral_constantIbLb0EES16_IbLb1EEEEDaS12_S13_EUlS12_E_NS1_11comp_targetILNS1_3genE0ELNS1_11target_archE4294967295ELNS1_3gpuE0ELNS1_3repE0EEENS1_30default_config_static_selectorELNS0_4arch9wavefront6targetE0EEEvT1_
	.globl	_ZN7rocprim17ROCPRIM_400000_NS6detail17trampoline_kernelINS0_14default_configENS1_25partition_config_selectorILNS1_17partition_subalgoE8EjNS0_10empty_typeEbEEZZNS1_14partition_implILS5_8ELb0ES3_jPKjPS6_PKS6_NS0_5tupleIJPjS6_EEENSE_IJSB_SB_EEENS0_18inequality_wrapperIN6hipcub16HIPCUB_304000_NS8EqualityEEEPlJS6_EEE10hipError_tPvRmT3_T4_T5_T6_T7_T9_mT8_P12ihipStream_tbDpT10_ENKUlT_T0_E_clISt17integral_constantIbLb0EES16_IbLb1EEEEDaS12_S13_EUlS12_E_NS1_11comp_targetILNS1_3genE0ELNS1_11target_archE4294967295ELNS1_3gpuE0ELNS1_3repE0EEENS1_30default_config_static_selectorELNS0_4arch9wavefront6targetE0EEEvT1_
	.p2align	8
	.type	_ZN7rocprim17ROCPRIM_400000_NS6detail17trampoline_kernelINS0_14default_configENS1_25partition_config_selectorILNS1_17partition_subalgoE8EjNS0_10empty_typeEbEEZZNS1_14partition_implILS5_8ELb0ES3_jPKjPS6_PKS6_NS0_5tupleIJPjS6_EEENSE_IJSB_SB_EEENS0_18inequality_wrapperIN6hipcub16HIPCUB_304000_NS8EqualityEEEPlJS6_EEE10hipError_tPvRmT3_T4_T5_T6_T7_T9_mT8_P12ihipStream_tbDpT10_ENKUlT_T0_E_clISt17integral_constantIbLb0EES16_IbLb1EEEEDaS12_S13_EUlS12_E_NS1_11comp_targetILNS1_3genE0ELNS1_11target_archE4294967295ELNS1_3gpuE0ELNS1_3repE0EEENS1_30default_config_static_selectorELNS0_4arch9wavefront6targetE0EEEvT1_,@function
_ZN7rocprim17ROCPRIM_400000_NS6detail17trampoline_kernelINS0_14default_configENS1_25partition_config_selectorILNS1_17partition_subalgoE8EjNS0_10empty_typeEbEEZZNS1_14partition_implILS5_8ELb0ES3_jPKjPS6_PKS6_NS0_5tupleIJPjS6_EEENSE_IJSB_SB_EEENS0_18inequality_wrapperIN6hipcub16HIPCUB_304000_NS8EqualityEEEPlJS6_EEE10hipError_tPvRmT3_T4_T5_T6_T7_T9_mT8_P12ihipStream_tbDpT10_ENKUlT_T0_E_clISt17integral_constantIbLb0EES16_IbLb1EEEEDaS12_S13_EUlS12_E_NS1_11comp_targetILNS1_3genE0ELNS1_11target_archE4294967295ELNS1_3gpuE0ELNS1_3repE0EEENS1_30default_config_static_selectorELNS0_4arch9wavefront6targetE0EEEvT1_: ; @_ZN7rocprim17ROCPRIM_400000_NS6detail17trampoline_kernelINS0_14default_configENS1_25partition_config_selectorILNS1_17partition_subalgoE8EjNS0_10empty_typeEbEEZZNS1_14partition_implILS5_8ELb0ES3_jPKjPS6_PKS6_NS0_5tupleIJPjS6_EEENSE_IJSB_SB_EEENS0_18inequality_wrapperIN6hipcub16HIPCUB_304000_NS8EqualityEEEPlJS6_EEE10hipError_tPvRmT3_T4_T5_T6_T7_T9_mT8_P12ihipStream_tbDpT10_ENKUlT_T0_E_clISt17integral_constantIbLb0EES16_IbLb1EEEEDaS12_S13_EUlS12_E_NS1_11comp_targetILNS1_3genE0ELNS1_11target_archE4294967295ELNS1_3gpuE0ELNS1_3repE0EEENS1_30default_config_static_selectorELNS0_4arch9wavefront6targetE0EEEvT1_
; %bb.0:
	s_clause 0x2
	s_load_b128 s[20:23], s[0:1], 0x40
	s_load_b64 s[8:9], s[0:1], 0x50
	s_load_b64 s[26:27], s[0:1], 0x60
	v_cmp_ne_u32_e64 s3, 0, v0
	v_cmp_eq_u32_e64 s2, 0, v0
	s_and_saveexec_b32 s4, s2
	s_cbranch_execz .LBB641_4
; %bb.1:
	s_mov_b32 s6, exec_lo
	s_mov_b32 s5, exec_lo
	v_mbcnt_lo_u32_b32 v1, s6, 0
                                        ; implicit-def: $vgpr2
	s_delay_alu instid0(VALU_DEP_1)
	v_cmpx_eq_u32_e32 0, v1
	s_cbranch_execz .LBB641_3
; %bb.2:
	s_load_b64 s[10:11], s[0:1], 0x70
	s_bcnt1_i32_b32 s6, s6
	s_delay_alu instid0(SALU_CYCLE_1)
	v_dual_mov_b32 v2, 0 :: v_dual_mov_b32 v3, s6
	s_wait_xcnt 0x0
	s_wait_kmcnt 0x0
	global_atomic_add_u32 v2, v2, v3, s[10:11] th:TH_ATOMIC_RETURN scope:SCOPE_DEV
.LBB641_3:
	s_wait_xcnt 0x0
	s_or_b32 exec_lo, exec_lo, s5
	s_wait_loadcnt 0x0
	v_readfirstlane_b32 s5, v2
	s_delay_alu instid0(VALU_DEP_1)
	v_dual_mov_b32 v2, 0 :: v_dual_add_nc_u32 v1, s5, v1
	ds_store_b32 v2, v1
.LBB641_4:
	s_or_b32 exec_lo, exec_lo, s4
	v_mov_b32_e32 v3, 0
	s_clause 0x2
	s_load_b128 s[4:7], s[0:1], 0x8
	s_load_b64 s[24:25], s[0:1], 0x28
	s_load_b32 s10, s[0:1], 0x68
	s_wait_dscnt 0x0
	s_barrier_signal -1
	s_barrier_wait -1
	ds_load_b32 v1, v3
	s_wait_dscnt 0x0
	s_barrier_signal -1
	s_barrier_wait -1
	s_wait_kmcnt 0x0
	global_load_b64 v[14:15], v3, s[22:23]
	s_mov_b32 s13, 0
	s_lshl_b64 s[0:1], s[6:7], 2
	s_mul_i32 s12, s10, 0x1600
	s_add_co_i32 s14, s10, -1
	s_add_nc_u64 s[10:11], s[6:7], s[12:13]
	s_add_co_i32 s12, s12, s6
	v_cmp_le_u64_e64 s9, s[8:9], s[10:11]
	v_mul_lo_u32 v2, 0x1600, v1
	v_readfirstlane_b32 s28, v1
	s_sub_co_i32 s29, s8, s12
	s_add_nc_u64 s[0:1], s[4:5], s[0:1]
	s_cmp_eq_u32 s28, s14
	s_wait_xcnt 0x0
	s_cselect_b32 s22, -1, 0
	s_delay_alu instid0(SALU_CYCLE_1) | instskip(SKIP_2) | instid1(SALU_CYCLE_1)
	s_and_b32 s30, s9, s22
	v_lshlrev_b64_e32 v[2:3], 2, v[2:3]
	s_xor_b32 s23, s30, -1
	s_and_b32 vcc_lo, exec_lo, s23
	s_delay_alu instid0(VALU_DEP_1)
	v_add_nc_u64_e32 v[26:27], s[0:1], v[2:3]
	s_mov_b32 s0, -1
	s_cbranch_vccz .LBB641_6
; %bb.5:
	s_delay_alu instid0(VALU_DEP_1) | instskip(NEXT) | instid1(VALU_DEP_2)
	v_readfirstlane_b32 s0, v26
	v_readfirstlane_b32 s1, v27
	v_lshlrev_b32_e32 v12, 2, v0
	s_clause 0xa
	global_load_b32 v1, v0, s[0:1] scale_offset
	global_load_b32 v2, v0, s[0:1] offset:2048 scale_offset
	global_load_b32 v3, v0, s[0:1] offset:4096 scale_offset
	;; [unrolled: 1-line block ×10, first 2 shown]
	s_wait_xcnt 0x0
	s_mov_b32 s0, 0
	s_wait_loadcnt 0x9
	ds_store_2addr_stride64_b32 v12, v1, v2 offset1:8
	s_wait_loadcnt 0x7
	ds_store_2addr_stride64_b32 v12, v3, v4 offset0:16 offset1:24
	s_wait_loadcnt 0x5
	ds_store_2addr_stride64_b32 v12, v5, v6 offset0:32 offset1:40
	;; [unrolled: 2-line block ×4, first 2 shown]
	s_wait_loadcnt 0x0
	ds_store_b32 v12, v11 offset:20480
	s_wait_dscnt 0x0
	s_barrier_signal -1
	s_barrier_wait -1
.LBB641_6:
	s_and_not1_b32 vcc_lo, exec_lo, s0
	s_addk_co_i32 s29, 0x1600
	s_cbranch_vccnz .LBB641_30
; %bb.7:
	v_mov_b32_e32 v2, 0
	s_mov_b32 s0, exec_lo
	s_delay_alu instid0(VALU_DEP_1)
	v_dual_mov_b32 v3, v2 :: v_dual_mov_b32 v4, v2
	v_dual_mov_b32 v5, v2 :: v_dual_mov_b32 v6, v2
	;; [unrolled: 1-line block ×5, first 2 shown]
	v_cmpx_gt_u32_e64 s29, v0
	s_cbranch_execz .LBB641_9
; %bb.8:
	v_readfirstlane_b32 s4, v26
	v_readfirstlane_b32 s5, v27
	v_dual_mov_b32 v29, v2 :: v_dual_mov_b32 v30, v2
	v_dual_mov_b32 v31, v2 :: v_dual_mov_b32 v32, v2
	global_load_b32 v28, v0, s[4:5] scale_offset
	v_dual_mov_b32 v33, v2 :: v_dual_mov_b32 v34, v2
	v_dual_mov_b32 v35, v2 :: v_dual_mov_b32 v36, v2
	;; [unrolled: 1-line block ×3, first 2 shown]
	s_wait_loadcnt 0x0
	v_dual_mov_b32 v2, v28 :: v_dual_mov_b32 v3, v29
	v_dual_mov_b32 v4, v30 :: v_dual_mov_b32 v5, v31
	;; [unrolled: 1-line block ×5, first 2 shown]
	v_mov_b32_e32 v12, v38
.LBB641_9:
	s_or_b32 exec_lo, exec_lo, s0
	v_or_b32_e32 v1, 0x200, v0
	s_mov_b32 s0, exec_lo
	s_delay_alu instid0(VALU_DEP_1)
	v_cmpx_gt_u32_e64 s29, v1
	s_cbranch_execz .LBB641_11
; %bb.10:
	v_readfirstlane_b32 s4, v26
	v_readfirstlane_b32 s5, v27
	global_load_b32 v3, v0, s[4:5] offset:2048 scale_offset
.LBB641_11:
	s_wait_xcnt 0x0
	s_or_b32 exec_lo, exec_lo, s0
	v_or_b32_e32 v1, 0x400, v0
	s_mov_b32 s0, exec_lo
	s_delay_alu instid0(VALU_DEP_1)
	v_cmpx_gt_u32_e64 s29, v1
	s_cbranch_execz .LBB641_13
; %bb.12:
	v_readfirstlane_b32 s4, v26
	v_readfirstlane_b32 s5, v27
	global_load_b32 v4, v0, s[4:5] offset:4096 scale_offset
.LBB641_13:
	s_wait_xcnt 0x0
	;; [unrolled: 12-line block ×10, first 2 shown]
	s_or_b32 exec_lo, exec_lo, s0
	v_lshlrev_b32_e32 v1, 2, v0
	s_wait_loadcnt 0x0
	ds_store_2addr_stride64_b32 v1, v2, v3 offset1:8
	ds_store_2addr_stride64_b32 v1, v4, v5 offset0:16 offset1:24
	ds_store_2addr_stride64_b32 v1, v6, v7 offset0:32 offset1:40
	;; [unrolled: 1-line block ×4, first 2 shown]
	ds_store_b32 v1, v12 offset:20480
	s_wait_dscnt 0x0
	s_barrier_signal -1
	s_barrier_wait -1
.LBB641_30:
	v_mul_u32_u24_e32 v6, 11, v0
	s_wait_loadcnt 0x0
	s_cmp_lg_u32 s28, 0
	s_mov_b32 s18, 0
	s_cselect_b32 s31, -1, 0
	v_lshlrev_b32_e32 v1, 2, v6
	s_cmp_lg_u64 s[6:7], 0
	ds_load_2addr_b32 v[22:23], v1 offset0:2 offset1:3
	ds_load_2addr_b32 v[24:25], v1 offset1:1
	ds_load_2addr_b32 v[12:13], v1 offset0:3 offset1:4
	ds_load_2addr_b32 v[2:3], v1 offset0:1 offset1:2
	;; [unrolled: 1-line block ×5, first 2 shown]
	s_cselect_b32 s0, -1, 0
	s_wait_dscnt 0x0
	s_or_b32 s0, s0, s31
	s_barrier_signal -1
	s_and_b32 vcc_lo, exec_lo, s0
	s_barrier_wait -1
	s_cbranch_vccz .LBB641_35
; %bb.31:
	global_load_b32 v10, v[26:27], off offset:-4
	v_lshlrev_b32_e32 v11, 2, v0
	s_and_b32 vcc_lo, exec_lo, s23
	ds_store_b32 v11, v17
	s_cbranch_vccz .LBB641_37
; %bb.32:
	s_wait_loadcnt 0x0
	v_mov_b32_e32 v4, v10
	s_wait_dscnt 0x0
	s_barrier_signal -1
	s_barrier_wait -1
	s_and_saveexec_b32 s0, s3
; %bb.33:
	v_add_nc_u32_e32 v4, -4, v11
	ds_load_b32 v4, v4
; %bb.34:
	s_or_b32 exec_lo, exec_lo, s0
	v_cmp_ne_u32_e32 vcc_lo, v23, v22
	s_wait_dscnt 0x0
	v_cmp_ne_u32_e64 s0, v4, v24
	v_cndmask_b32_e64 v5, 0, 1, vcc_lo
	v_cmp_ne_u32_e32 vcc_lo, v20, v13
	s_delay_alu instid0(VALU_DEP_2) | instskip(SKIP_2) | instid1(VALU_DEP_2)
	v_lshlrev_b16 v5, 8, v5
	v_cndmask_b32_e64 v7, 0, 1, vcc_lo
	v_cmp_ne_u32_e32 vcc_lo, v25, v24
	v_lshlrev_b16 v7, 8, v7
	v_cndmask_b32_e64 v8, 0, 1, vcc_lo
	v_cmp_ne_u32_e32 vcc_lo, v18, v21
	s_delay_alu instid0(VALU_DEP_3) | instskip(NEXT) | instid1(VALU_DEP_3)
	v_dual_lshrrev_b32 v5, 8, v5 :: v_dual_lshrrev_b32 v26, 8, v7
	v_lshlrev_b16 v8, 8, v8
	v_cndmask_b32_e64 v9, 0, 1, vcc_lo
	v_cmp_ne_u32_e32 vcc_lo, v16, v17
	s_delay_alu instid0(VALU_DEP_4) | instskip(SKIP_1) | instid1(VALU_DEP_4)
	v_lshlrev_b16 v5, 8, v5
	v_lshlrev_b16 v26, 8, v26
	;; [unrolled: 1-line block ×3, first 2 shown]
	v_cndmask_b32_e64 v7, 0, 1, vcc_lo
	v_cmp_ne_u32_e32 vcc_lo, v25, v22
	s_delay_alu instid0(VALU_DEP_2) | instskip(SKIP_2) | instid1(VALU_DEP_2)
	v_lshlrev_b16 v30, 8, v7
	v_cndmask_b32_e64 v27, 0, 1, vcc_lo
	v_cmp_ne_u32_e32 vcc_lo, v23, v13
	v_dual_lshrrev_b32 v8, 8, v8 :: v_dual_bitop2_b32 v5, v27, v5 bitop3:0x54
	v_cndmask_b32_e64 v28, 0, 1, vcc_lo
	v_cmp_ne_u32_e32 vcc_lo, v20, v21
	s_delay_alu instid0(VALU_DEP_3) | instskip(NEXT) | instid1(VALU_DEP_3)
	v_lshlrev_b16 v8, 8, v8
	v_dual_lshlrev_b32 v5, 16, v5 :: v_dual_bitop2_b32 v26, v28, v26 bitop3:0x54
	v_cndmask_b32_e64 v29, 0, 1, vcc_lo
	v_cmp_ne_u32_e32 vcc_lo, v16, v19
	s_delay_alu instid0(VALU_DEP_4) | instskip(NEXT) | instid1(VALU_DEP_4)
	v_and_b32_e32 v28, 0xffff, v8
	v_and_b32_e32 v26, 0xffff, v26
	s_delay_alu instid0(VALU_DEP_4) | instskip(SKIP_3) | instid1(VALU_DEP_3)
	v_or_b32_e32 v9, v29, v9
	v_cndmask_b32_e64 v27, 0, 1, vcc_lo
	v_cmp_ne_u32_e32 vcc_lo, v18, v19
	v_or_b32_e32 v4, v28, v5
	v_dual_lshlrev_b32 v29, 16, v9 :: v_dual_bitop2_b32 v9, v27, v30 bitop3:0x54
	v_cndmask_b32_e64 v8, 0, 1, vcc_lo
	s_delay_alu instid0(VALU_DEP_2)
	v_or_b32_e32 v5, v26, v29
	s_branch .LBB641_41
.LBB641_35:
                                        ; implicit-def: $sgpr0
                                        ; implicit-def: $vgpr7
                                        ; implicit-def: $vgpr9
                                        ; implicit-def: $vgpr8
                                        ; implicit-def: $vgpr5
	s_branch .LBB641_42
.LBB641_36:
                                        ; implicit-def: $vgpr26
                                        ; implicit-def: $vgpr42
                                        ; implicit-def: $vgpr40
                                        ; implicit-def: $vgpr28
                                        ; implicit-def: $vgpr41
                                        ; implicit-def: $vgpr39
                                        ; implicit-def: $vgpr38
                                        ; implicit-def: $vgpr33
                                        ; implicit-def: $vgpr29
                                        ; implicit-def: $vgpr1
	s_branch .LBB641_50
.LBB641_37:
                                        ; implicit-def: $sgpr0
                                        ; implicit-def: $vgpr7
                                        ; implicit-def: $vgpr9
                                        ; implicit-def: $vgpr8
                                        ; implicit-def: $vgpr5
	s_cbranch_execz .LBB641_41
; %bb.38:
	s_wait_loadcnt_dscnt 0x0
	s_barrier_signal -1
	s_barrier_wait -1
	s_and_saveexec_b32 s0, s3
; %bb.39:
	v_add_nc_u32_e32 v4, -4, v11
	ds_load_b32 v10, v4
; %bb.40:
	s_or_b32 exec_lo, exec_lo, s0
	v_dual_add_nc_u32 v4, 10, v6 :: v_dual_add_nc_u32 v5, 9, v6
	v_add_nc_u32_e32 v7, 8, v6
	v_cmp_ne_u32_e64 s11, v20, v13
	v_cmp_ne_u32_e64 s17, v23, v22
	s_delay_alu instid0(VALU_DEP_4)
	v_cmp_gt_u32_e64 s0, s29, v4
	v_add_nc_u32_e32 v4, 7, v6
	v_cmp_gt_u32_e64 s1, s29, v5
	v_add_nc_u32_e32 v5, 5, v6
	;; [unrolled: 2-line block ×6, first 2 shown]
	v_cmp_gt_u32_e64 s13, s29, v4
	s_and_b32 s9, s9, s11
	v_cmp_gt_u32_e64 s14, s29, v5
	v_cmp_ne_u32_e64 s15, v25, v24
	v_add_nc_u32_e32 v4, 2, v6
	s_and_b32 s13, s13, s17
	v_cmp_gt_u32_e64 s16, s29, v7
	v_cndmask_b32_e64 v5, 0, 1, s13
	v_cndmask_b32_e64 v7, 0, 1, s9
	v_cmp_ne_u32_e32 vcc_lo, v16, v17
	v_cmp_ne_u32_e64 s8, v18, v21
	s_and_b32 s14, s14, s15
	v_cmp_gt_u32_e64 s19, s29, v4
	v_cmp_ne_u32_e64 s13, v25, v22
	v_lshlrev_b16 v5, 8, v5
	v_lshlrev_b16 v7, 8, v7
	v_cndmask_b32_e64 v4, 0, 1, s14
	v_cmp_ne_u32_e64 s18, v23, v13
	s_and_b32 s0, s0, vcc_lo
	v_cmp_ne_u32_e64 s12, v20, v21
	s_and_b32 s6, s6, s8
	v_dual_lshrrev_b32 v5, 8, v5 :: v_dual_lshrrev_b32 v11, 8, v7
	v_cndmask_b32_e64 v7, 0, 1, s0
	s_and_b32 s0, s19, s13
	v_lshlrev_b16 v4, 8, v4
	v_cndmask_b32_e64 v9, 0, 1, s6
	v_cndmask_b32_e64 v26, 0, 1, s0
	s_and_b32 s0, s16, s18
	v_lshlrev_b16 v5, 8, v5
	v_cndmask_b32_e64 v27, 0, 1, s0
	s_and_b32 s0, s10, s12
	v_lshlrev_b16 v9, 8, v9
	s_delay_alu instid0(VALU_DEP_3) | instskip(SKIP_3) | instid1(VALU_DEP_4)
	v_dual_lshrrev_b32 v4, 8, v4 :: v_dual_bitop2_b32 v5, v26, v5 bitop3:0x54
	v_lshlrev_b16 v11, 8, v11
	v_cndmask_b32_e64 v28, 0, 1, s0
	v_cmp_ne_u32_e64 s4, v16, v19
	v_lshlrev_b16 v4, 8, v4
	v_cmp_ne_u32_e64 s7, v18, v19
	v_dual_lshlrev_b32 v5, 16, v5 :: v_dual_bitop2_b32 v11, v27, v11 bitop3:0x54
	v_or_b32_e32 v9, v28, v9
	s_and_b32 s0, s1, s4
	v_lshlrev_b16 v29, 8, v7
	v_cndmask_b32_e64 v26, 0, 1, s0
	v_and_b32_e32 v4, 0xffff, v4
	v_and_b32_e32 v11, 0xffff, v11
	v_lshlrev_b32_e32 v27, 16, v9
	s_and_b32 s5, s5, s7
	v_cmp_gt_u32_e32 vcc_lo, s29, v6
	s_wait_dscnt 0x0
	v_cmp_ne_u32_e64 s0, v10, v24
	v_cndmask_b32_e64 v8, 0, 1, s5
	v_or_b32_e32 v9, v26, v29
	v_or_b32_e32 v4, v4, v5
	;; [unrolled: 1-line block ×3, first 2 shown]
	s_and_b32 s0, vcc_lo, s0
.LBB641_41:
	s_mov_b32 s18, -1
	s_cbranch_execnz .LBB641_36
.LBB641_42:
	s_wait_loadcnt 0x0
	v_mad_i32_i24 v10, 0xffffffd8, v0, v1
	v_cmp_ne_u32_e64 s0, v16, v17
	v_cmp_ne_u32_e64 s1, v18, v19
	;; [unrolled: 1-line block ×4, first 2 shown]
	s_and_b32 vcc_lo, exec_lo, s23
	ds_store_b32 v10, v17
	s_cbranch_vccz .LBB641_46
; %bb.43:
	v_cmp_ne_u32_e32 vcc_lo, v25, v22
	v_cndmask_b32_e64 v27, 0, 1, s5
	v_cndmask_b32_e64 v39, 0, 1, s4
	v_cndmask_b32_e64 v33, 0, 1, s1
	v_cndmask_b32_e64 v1, 0, 1, s0
	v_cndmask_b32_e64 v40, 0, 1, vcc_lo
	v_cmp_ne_u32_e32 vcc_lo, v25, v24
	v_lshlrev_b16 v29, 8, v27
	v_lshlrev_b16 v31, 8, v39
	;; [unrolled: 1-line block ×4, first 2 shown]
	v_cndmask_b32_e64 v11, 0, 1, vcc_lo
	v_cmp_ne_u32_e32 vcc_lo, v23, v22
	v_lshlrev_b16 v36, 8, v1
	v_mov_b32_e32 v26, 1
	s_wait_dscnt 0x0
	s_barrier_signal -1
	v_cndmask_b32_e64 v30, 0, 1, vcc_lo
	v_cmp_ne_u32_e32 vcc_lo, v20, v13
	s_barrier_wait -1
                                        ; implicit-def: $sgpr0
                                        ; implicit-def: $vgpr7
                                        ; implicit-def: $vgpr9
                                        ; implicit-def: $vgpr8
                                        ; implicit-def: $vgpr5
	v_cndmask_b32_e64 v32, 0, 1, vcc_lo
	v_cmp_ne_u32_e32 vcc_lo, v18, v21
	v_cndmask_b32_e64 v35, 0, 1, vcc_lo
	v_cmp_ne_u32_e32 vcc_lo, v16, v19
	v_cndmask_b32_e64 v37, 0, 1, vcc_lo
	s_and_saveexec_b32 s1, s3
	s_delay_alu instid0(SALU_CYCLE_1)
	s_xor_b32 s1, exec_lo, s1
	s_cbranch_execz .LBB641_45
; %bb.44:
	s_delay_alu instid0(VALU_DEP_1) | instskip(SKIP_3) | instid1(VALU_DEP_4)
	v_lshlrev_b16 v5, 8, v37
	v_lshlrev_b16 v4, 8, v32
	;; [unrolled: 1-line block ×4, first 2 shown]
	v_dual_add_nc_u32 v9, -4, v10 :: v_dual_lshrrev_b32 v5, 8, v5
	s_delay_alu instid0(VALU_DEP_3)
	v_dual_lshrrev_b32 v4, 8, v4 :: v_dual_lshrrev_b32 v7, 8, v7
	v_lshlrev_b16 v38, 8, v35
	ds_load_b32 v9, v9
	v_lshlrev_b16 v5, 8, v5
	v_lshrrev_b32_e32 v8, 8, v8
	v_lshlrev_b16 v7, 8, v7
	v_lshlrev_b16 v4, 8, v4
	s_or_b32 s18, s18, exec_lo
	v_or_b32_e32 v5, v33, v5
	v_lshlrev_b16 v8, 8, v8
	s_delay_alu instid0(VALU_DEP_2) | instskip(NEXT) | instid1(VALU_DEP_2)
	v_and_b32_e32 v5, 0xffff, v5
	v_or_b32_e32 v8, 1, v8
	s_delay_alu instid0(VALU_DEP_1) | instskip(NEXT) | instid1(VALU_DEP_3)
	v_and_b32_e32 v41, 0xffff, v8
	v_lshl_or_b32 v8, v1, 16, v5
	v_or_b32_e32 v7, v40, v7
	s_wait_dscnt 0x0
	v_cmp_ne_u32_e64 s0, v9, v24
	s_delay_alu instid0(VALU_DEP_3) | instskip(NEXT) | instid1(VALU_DEP_3)
	v_dual_lshrrev_b32 v9, 8, v8 :: v_dual_bitop2_b32 v38, v39, v38 bitop3:0x54
	v_dual_lshlrev_b32 v7, 16, v7 :: v_dual_bitop2_b32 v4, v27, v4 bitop3:0x54
	s_delay_alu instid0(VALU_DEP_2) | instskip(NEXT) | instid1(VALU_DEP_2)
	v_lshlrev_b32_e32 v38, 16, v38
	v_and_b32_e32 v4, 0xffff, v4
	s_delay_alu instid0(VALU_DEP_1) | instskip(NEXT) | instid1(VALU_DEP_4)
	v_or_b32_e32 v5, v4, v38
	v_dual_lshrrev_b32 v7, 16, v8 :: v_dual_bitop2_b32 v4, v41, v7 bitop3:0x54
.LBB641_45:
	s_or_b32 exec_lo, exec_lo, s1
	v_or_b32_e32 v42, v11, v28
	v_or_b32_e32 v28, v30, v29
	;; [unrolled: 1-line block ×5, first 2 shown]
	s_branch .LBB641_50
.LBB641_46:
                                        ; implicit-def: $sgpr0
                                        ; implicit-def: $vgpr7
                                        ; implicit-def: $vgpr9
                                        ; implicit-def: $vgpr8
                                        ; implicit-def: $vgpr5
                                        ; implicit-def: $vgpr26
                                        ; implicit-def: $vgpr42
                                        ; implicit-def: $vgpr40
                                        ; implicit-def: $vgpr28
                                        ; implicit-def: $vgpr41
                                        ; implicit-def: $vgpr39
                                        ; implicit-def: $vgpr38
                                        ; implicit-def: $vgpr33
                                        ; implicit-def: $vgpr29
                                        ; implicit-def: $vgpr1
	s_cbranch_execz .LBB641_50
; %bb.47:
	v_dual_add_nc_u32 v1, 10, v6 :: v_dual_add_nc_u32 v4, 9, v6
	v_add_nc_u32_e32 v5, 6, v6
	v_cmp_ne_u32_e64 s13, v23, v13
	v_cmp_ne_u32_e64 s11, v18, v19
	s_delay_alu instid0(VALU_DEP_4) | instskip(SKIP_4) | instid1(VALU_DEP_4)
	v_cmp_gt_u32_e64 s0, s29, v1
	v_add_nc_u32_e32 v1, 5, v6
	v_cmp_gt_u32_e64 s1, s29, v4
	v_dual_add_nc_u32 v4, 8, v6 :: v_dual_add_nc_u32 v7, 7, v6
	v_cmp_gt_u32_e64 s5, s29, v5
	v_cmp_gt_u32_e64 s6, s29, v1
	v_dual_add_nc_u32 v1, 4, v6 :: v_dual_add_nc_u32 v5, 3, v6
	s_delay_alu instid0(VALU_DEP_4) | instskip(SKIP_2) | instid1(VALU_DEP_4)
	v_cmp_gt_u32_e64 s7, s29, v4
	v_add_nc_u32_e32 v4, 2, v6
	v_cmp_ne_u32_e64 s9, v20, v21
	v_cmp_gt_u32_e64 s14, s29, v1
	v_cmp_gt_u32_e64 s8, s29, v7
	v_cmp_ne_u32_e64 s12, v21, v18
	v_add_nc_u32_e32 v1, 1, v6
	v_cmp_ne_u32_e64 s15, v25, v3
	s_and_b32 s13, s14, s13
	v_cmp_gt_u32_e64 s17, s29, v4
	v_cndmask_b32_e64 v4, 0, 1, s13
	v_cmp_ne_u32_e64 s13, v22, v12
	v_cmp_gt_u32_e64 s14, s29, v5
	s_and_b32 s7, s7, s11
	s_and_b32 s5, s5, s9
	v_cndmask_b32_e64 v35, 0, 1, s7
	s_and_b32 s15, s17, s15
	s_and_b32 s7, s14, s13
	v_cndmask_b32_e64 v36, 0, 1, s5
	s_and_b32 s5, s8, s12
	v_cndmask_b32_e64 v33, 0, 1, s15
	v_lshlrev_b16 v3, 8, v4
	v_cndmask_b32_e64 v39, 0, 1, s7
	v_lshlrev_b16 v5, 8, v35
	v_cndmask_b32_e64 v37, 0, 1, s5
	v_cmp_ne_u32_e32 vcc_lo, v16, v17
	v_cmp_ne_u32_e64 s16, v24, v2
	v_lshlrev_b16 v2, 8, v33
	v_cmp_ne_u32_e64 s10, v13, v20
	v_or_b32_e32 v38, v37, v5
	v_or_b32_e32 v28, v39, v3
	v_lshlrev_b16 v3, 8, v36
	v_cmp_ne_u32_e64 s4, v19, v16
	v_cmp_gt_u32_e64 s5, s29, v1
	s_and_b32 s0, s0, vcc_lo
	v_and_b32_e32 v5, 0xffff, v2
	v_dual_lshlrev_b32 v27, 16, v38 :: v_dual_lshlrev_b32 v11, 16, v28
	v_and_b32_e32 v7, 0xffff, v3
	v_cndmask_b32_e64 v1, 0, 1, s0
	s_and_b32 s0, s6, s10
	s_and_b32 s5, s5, s16
	v_cndmask_b32_e64 v29, 0, 1, s0
	s_and_b32 s0, s1, s4
	v_cndmask_b32_e64 v12, 0, 1, s5
	v_dual_mov_b32 v26, 1 :: v_dual_bitop2_b32 v30, v5, v11 bitop3:0x54
	v_or_b32_e32 v31, v7, v27
	v_lshlrev_b16 v32, 8, v1
	v_cndmask_b32_e64 v34, 0, 1, s0
	s_wait_dscnt 0x0
	s_barrier_signal -1
	s_barrier_wait -1
                                        ; implicit-def: $sgpr0
                                        ; implicit-def: $vgpr7
                                        ; implicit-def: $vgpr9
                                        ; implicit-def: $vgpr8
                                        ; implicit-def: $vgpr5
	s_and_saveexec_b32 s1, s3
	s_cbranch_execz .LBB641_49
; %bb.48:
	v_lshlrev_b16 v5, 8, v34
	v_lshlrev_b16 v7, 8, v29
	v_lshlrev_b16 v8, 8, v39
	v_add_nc_u32_e32 v9, -4, v10
	v_lshlrev_b16 v10, 8, v12
	s_delay_alu instid0(VALU_DEP_4) | instskip(NEXT) | instid1(VALU_DEP_4)
	v_dual_lshrrev_b32 v5, 8, v5 :: v_dual_lshrrev_b32 v7, 8, v7
	v_lshrrev_b32_e32 v8, 8, v8
	ds_load_b32 v9, v9
	v_lshlrev_b16 v37, 8, v37
	v_lshlrev_b16 v5, 8, v5
	v_lshrrev_b32_e32 v10, 8, v10
	v_lshlrev_b16 v7, 8, v7
	v_lshlrev_b16 v8, 8, v8
	v_cmp_gt_u32_e32 vcc_lo, s29, v6
	v_or_b32_e32 v5, v35, v5
	v_lshlrev_b16 v10, 8, v10
	v_or_b32_e32 v4, v4, v7
	v_or_b32_e32 v7, v33, v8
	;; [unrolled: 1-line block ×3, first 2 shown]
	v_and_b32_e32 v5, 0xffff, v5
	v_or_b32_e32 v8, 1, v10
	s_or_b32 s18, s18, exec_lo
	v_lshlrev_b32_e32 v7, 16, v7
	v_lshlrev_b32_e32 v10, 16, v35
	s_delay_alu instid0(VALU_DEP_3) | instskip(SKIP_3) | instid1(VALU_DEP_2)
	v_and_b32_e32 v33, 0xffff, v8
	v_lshl_or_b32 v8, v1, 16, v5
	s_wait_dscnt 0x0
	v_cmp_ne_u32_e64 s0, v9, v24
	v_lshrrev_b32_e32 v9, 8, v8
	v_and_b32_e32 v4, 0xffff, v4
	s_and_b32 s0, vcc_lo, s0
	s_delay_alu instid0(VALU_DEP_1)
	v_or_b32_e32 v5, v4, v10
	v_dual_lshrrev_b32 v7, 16, v8 :: v_dual_bitop2_b32 v4, v33, v7 bitop3:0x54
.LBB641_49:
	s_or_b32 exec_lo, exec_lo, s1
	v_dual_lshrrev_b32 v33, 24, v27 :: v_dual_bitop2_b32 v42, v12, v2 bitop3:0x54
	v_dual_lshrrev_b32 v40, 8, v30 :: v_dual_bitop2_b32 v41, v29, v3 bitop3:0x54
	;; [unrolled: 1-line block ×3, first 2 shown]
	v_lshrrev_b32_e32 v39, 8, v31
.LBB641_50:
	s_wait_xcnt 0x0
	s_and_saveexec_b32 s1, s18
	s_cbranch_execz .LBB641_52
; %bb.51:
	v_lshrrev_b64 v[28:29], 24, v[4:5]
	v_dual_lshrrev_b32 v41, 8, v5 :: v_dual_lshrrev_b32 v39, 16, v5
	v_dual_lshrrev_b32 v38, 24, v5 :: v_dual_lshrrev_b32 v40, 16, v4
	v_dual_mov_b32 v27, v5 :: v_dual_lshrrev_b32 v42, 8, v4
	v_cndmask_b32_e64 v26, 0, 1, s0
	v_dual_mov_b32 v33, v8 :: v_dual_mov_b32 v29, v9
	v_mov_b32_e32 v1, v7
.LBB641_52:
	s_or_b32 exec_lo, exec_lo, s1
	s_delay_alu instid0(SALU_CYCLE_1)
	s_and_not1_b32 vcc_lo, exec_lo, s30
	s_cbranch_vccnz .LBB641_56
; %bb.53:
	v_perm_b32 v2, v26, v42, 0xc0c0004
	v_perm_b32 v3, v40, v28, 0xc0c0004
	v_cmp_gt_u32_e32 vcc_lo, s29, v6
	v_dual_add_nc_u32 v4, 1, v6 :: v_dual_add_nc_u32 v5, 2, v6
	v_perm_b32 v7, v27, v41, 0xc0c0004
	s_delay_alu instid0(VALU_DEP_4) | instskip(SKIP_2) | instid1(VALU_DEP_3)
	v_lshl_or_b32 v2, v3, 16, v2
	v_and_b32_e32 v1, 0xff, v1
	v_perm_b32 v9, v33, v29, 0xc0c0004
	v_cndmask_b32_e32 v3, 0, v2, vcc_lo
	v_cmp_gt_u32_e32 vcc_lo, s29, v4
	v_perm_b32 v4, v39, v38, 0xc0c0004
	s_delay_alu instid0(VALU_DEP_1) | instskip(NEXT) | instid1(VALU_DEP_4)
	v_dual_lshlrev_b32 v1, 16, v1 :: v_dual_lshlrev_b32 v4, 16, v4
	v_and_b32_e32 v3, 0xff, v3
	s_delay_alu instid0(VALU_DEP_2) | instskip(NEXT) | instid1(VALU_DEP_3)
	v_or_b32_e32 v9, v9, v1
	v_or_b32_e32 v8, v7, v4
	v_bitop3_b32 v4, v7, 0xffffff00, v4 bitop3:0xc8
	s_delay_alu instid0(VALU_DEP_4) | instskip(SKIP_2) | instid1(VALU_DEP_3)
	v_cndmask_b32_e32 v3, v3, v2, vcc_lo
	v_cmp_gt_u32_e32 vcc_lo, s29, v5
	v_dual_add_nc_u32 v5, 4, v6 :: v_dual_add_nc_u32 v7, 3, v6
	v_and_b32_e32 v3, 0xffff, v3
	s_delay_alu instid0(VALU_DEP_2) | instskip(SKIP_1) | instid1(VALU_DEP_3)
	v_cmp_gt_u32_e64 s0, s29, v7
	v_lshlrev_b16 v7, 8, v29
	v_cndmask_b32_e32 v3, v3, v2, vcc_lo
	v_cmp_gt_u32_e32 vcc_lo, s29, v5
	v_add_nc_u32_e32 v5, 5, v6
	s_delay_alu instid0(VALU_DEP_3) | instskip(SKIP_1) | instid1(VALU_DEP_1)
	v_and_b32_e32 v3, 0xffffff, v3
	v_cndmask_b32_e32 v4, v4, v8, vcc_lo
	v_and_b32_e32 v4, 0xffff00ff, v4
	s_delay_alu instid0(VALU_DEP_3) | instskip(NEXT) | instid1(VALU_DEP_1)
	v_cndmask_b32_e64 v3, v3, v2, s0
	v_cndmask_b32_e32 v3, v3, v2, vcc_lo
	v_cmp_gt_u32_e32 vcc_lo, s29, v5
	v_and_b32_e32 v5, 0xffff, v7
	v_dual_cndmask_b32 v4, v4, v8 :: v_dual_add_nc_u32 v7, 8, v6
	s_delay_alu instid0(VALU_DEP_2) | instskip(SKIP_1) | instid1(VALU_DEP_3)
	v_dual_add_nc_u32 v5, 6, v6 :: v_dual_bitop2_b32 v1, v5, v1 bitop3:0x54
	v_cndmask_b32_e32 v3, v3, v2, vcc_lo
	v_cmp_gt_u32_e32 vcc_lo, s29, v7
	s_delay_alu instid0(VALU_DEP_4) | instskip(SKIP_4) | instid1(VALU_DEP_3)
	v_and_b32_e32 v4, 0xff00ffff, v4
	v_add_nc_u32_e32 v7, 9, v6
	v_cmp_gt_u32_e64 s0, s29, v5
	s_wait_loadcnt 0x0
	v_dual_cndmask_b32 v1, v1, v9 :: v_dual_add_nc_u32 v10, 7, v6
	v_cmp_gt_u32_e64 s1, s29, v7
	s_delay_alu instid0(VALU_DEP_3) | instskip(NEXT) | instid1(VALU_DEP_3)
	v_cndmask_b32_e64 v4, v4, v8, s0
	v_cmp_gt_u32_e64 s3, s29, v10
	s_delay_alu instid0(VALU_DEP_4) | instskip(NEXT) | instid1(VALU_DEP_3)
	v_and_b32_e32 v1, 0xffff00ff, v1
	v_and_b32_e32 v4, 0xffffff, v4
	s_delay_alu instid0(VALU_DEP_2) | instskip(SKIP_1) | instid1(SALU_CYCLE_1)
	v_cndmask_b32_e64 v33, v1, v9, s1
	s_or_b32 s1, s1, vcc_lo
	s_or_b32 vcc_lo, s1, s3
	s_delay_alu instid0(VALU_DEP_2) | instskip(SKIP_2) | instid1(VALU_DEP_2)
	v_cndmask_b32_e32 v27, v4, v8, vcc_lo
	s_or_b32 vcc_lo, vcc_lo, s0
	v_dual_cndmask_b32 v26, v3, v2 :: v_dual_lshrrev_b32 v1, 16, v33
	v_dual_add_nc_u32 v2, 10, v6 :: v_dual_lshrrev_b32 v39, 16, v27
	v_dual_lshrrev_b32 v38, 24, v27 :: v_dual_lshrrev_b32 v41, 8, v27
	s_delay_alu instid0(VALU_DEP_3)
	v_lshrrev_b64 v[28:29], 24, v[26:27]
	v_dual_lshrrev_b32 v40, 16, v26 :: v_dual_lshrrev_b32 v42, 8, v26
	v_lshrrev_b32_e32 v29, 8, v33
	s_mov_b32 s0, exec_lo
	v_cmpx_le_u32_e64 s29, v2
; %bb.54:
	v_mov_b32_e32 v1, 0
; %bb.55:
	s_or_b32 exec_lo, exec_lo, s0
.LBB641_56:
	v_and_b32_e32 v34, 0xff, v26
	v_and_b32_e32 v35, 0xff, v42
	v_and_b32_e32 v36, 0xff, v40
	v_and_b32_e32 v37, 0xff, v28
	v_and_b32_e32 v43, 0xff, v27
	v_and_b32_e32 v44, 0xff, v41
	v_and_b32_e32 v45, 0xff, v39
	v_add3_u32 v2, v35, v34, v36
	v_and_b32_e32 v46, 0xff, v38
	v_mbcnt_lo_u32_b32 v49, -1, 0
	v_and_b32_e32 v47, 0xff, v33
	v_and_b32_e32 v48, 0xff, v29
	v_add3_u32 v2, v2, v37, v43
	v_and_b32_e32 v4, 0xff, v1
	v_dual_lshrrev_b32 v50, 5, v0 :: v_dual_bitop2_b32 v3, 15, v49 bitop3:0x40
	v_or_b32_e32 v5, 31, v0
	s_delay_alu instid0(VALU_DEP_4) | instskip(SKIP_1) | instid1(VALU_DEP_4)
	v_add3_u32 v2, v2, v44, v45
	v_and_b32_e32 v6, 16, v49
	v_cmp_eq_u32_e64 s4, 0, v3
	v_cmp_lt_u32_e64 s3, 1, v3
	v_cmp_lt_u32_e64 s1, 3, v3
	v_add3_u32 v2, v2, v46, v47
	v_cmp_lt_u32_e64 s0, 7, v3
	v_cmp_eq_u32_e64 s6, 0, v6
	v_cmp_eq_u32_e64 s5, v0, v5
	s_and_b32 vcc_lo, exec_lo, s31
	v_add3_u32 v51, v2, v48, v4
	s_mov_b32 s7, -1
	s_wait_loadcnt_dscnt 0x0
	s_barrier_signal -1
	s_barrier_wait -1
	s_cbranch_vccz .LBB641_78
; %bb.57:
	v_mov_b32_dpp v2, v51 row_shr:1 row_mask:0xf bank_mask:0xf
	s_delay_alu instid0(VALU_DEP_1) | instskip(NEXT) | instid1(VALU_DEP_1)
	v_cndmask_b32_e64 v2, v2, 0, s4
	v_add_nc_u32_e32 v2, v2, v51
	s_delay_alu instid0(VALU_DEP_1) | instskip(NEXT) | instid1(VALU_DEP_1)
	v_mov_b32_dpp v3, v2 row_shr:2 row_mask:0xf bank_mask:0xf
	v_cndmask_b32_e64 v3, 0, v3, s3
	s_delay_alu instid0(VALU_DEP_1) | instskip(NEXT) | instid1(VALU_DEP_1)
	v_add_nc_u32_e32 v2, v2, v3
	v_mov_b32_dpp v3, v2 row_shr:4 row_mask:0xf bank_mask:0xf
	s_delay_alu instid0(VALU_DEP_1) | instskip(NEXT) | instid1(VALU_DEP_1)
	v_cndmask_b32_e64 v3, 0, v3, s1
	v_add_nc_u32_e32 v2, v2, v3
	s_delay_alu instid0(VALU_DEP_1) | instskip(NEXT) | instid1(VALU_DEP_1)
	v_mov_b32_dpp v3, v2 row_shr:8 row_mask:0xf bank_mask:0xf
	v_cndmask_b32_e64 v3, 0, v3, s0
	s_delay_alu instid0(VALU_DEP_1) | instskip(SKIP_3) | instid1(VALU_DEP_1)
	v_add_nc_u32_e32 v2, v2, v3
	ds_swizzle_b32 v3, v2 offset:swizzle(BROADCAST,32,15)
	s_wait_dscnt 0x0
	v_cndmask_b32_e64 v3, v3, 0, s6
	v_add_nc_u32_e32 v2, v2, v3
	s_and_saveexec_b32 s7, s5
; %bb.58:
	v_lshlrev_b32_e32 v3, 2, v50
	ds_store_b32 v3, v2
; %bb.59:
	s_or_b32 exec_lo, exec_lo, s7
	s_delay_alu instid0(SALU_CYCLE_1)
	s_mov_b32 s7, exec_lo
	s_wait_dscnt 0x0
	s_barrier_signal -1
	s_barrier_wait -1
	v_cmpx_gt_u32_e32 16, v0
	s_cbranch_execz .LBB641_61
; %bb.60:
	v_lshlrev_b32_e32 v3, 2, v0
	ds_load_b32 v4, v3
	s_wait_dscnt 0x0
	v_mov_b32_dpp v5, v4 row_shr:1 row_mask:0xf bank_mask:0xf
	s_delay_alu instid0(VALU_DEP_1) | instskip(NEXT) | instid1(VALU_DEP_1)
	v_cndmask_b32_e64 v5, v5, 0, s4
	v_add_nc_u32_e32 v4, v5, v4
	s_delay_alu instid0(VALU_DEP_1) | instskip(NEXT) | instid1(VALU_DEP_1)
	v_mov_b32_dpp v5, v4 row_shr:2 row_mask:0xf bank_mask:0xf
	v_cndmask_b32_e64 v5, 0, v5, s3
	s_delay_alu instid0(VALU_DEP_1) | instskip(NEXT) | instid1(VALU_DEP_1)
	v_add_nc_u32_e32 v4, v4, v5
	v_mov_b32_dpp v5, v4 row_shr:4 row_mask:0xf bank_mask:0xf
	s_delay_alu instid0(VALU_DEP_1) | instskip(NEXT) | instid1(VALU_DEP_1)
	v_cndmask_b32_e64 v5, 0, v5, s1
	v_add_nc_u32_e32 v4, v4, v5
	s_delay_alu instid0(VALU_DEP_1) | instskip(NEXT) | instid1(VALU_DEP_1)
	v_mov_b32_dpp v5, v4 row_shr:8 row_mask:0xf bank_mask:0xf
	v_cndmask_b32_e64 v5, 0, v5, s0
	s_delay_alu instid0(VALU_DEP_1)
	v_add_nc_u32_e32 v4, v4, v5
	ds_store_b32 v3, v4
.LBB641_61:
	s_or_b32 exec_lo, exec_lo, s7
	s_delay_alu instid0(SALU_CYCLE_1)
	s_mov_b32 s8, exec_lo
	v_cmp_gt_u32_e32 vcc_lo, 32, v0
	s_wait_dscnt 0x0
	s_barrier_signal -1
	s_barrier_wait -1
                                        ; implicit-def: $vgpr10
	v_cmpx_lt_u32_e32 31, v0
	s_cbranch_execz .LBB641_63
; %bb.62:
	v_lshl_add_u32 v3, v50, 2, -4
	ds_load_b32 v10, v3
	s_wait_dscnt 0x0
	v_add_nc_u32_e32 v2, v10, v2
.LBB641_63:
	s_or_b32 exec_lo, exec_lo, s8
	v_sub_co_u32 v3, s7, v49, 1
	s_delay_alu instid0(VALU_DEP_1) | instskip(NEXT) | instid1(VALU_DEP_1)
	v_cmp_gt_i32_e64 s8, 0, v3
	v_cndmask_b32_e64 v3, v3, v49, s8
	s_delay_alu instid0(VALU_DEP_1)
	v_lshlrev_b32_e32 v3, 2, v3
	ds_bpermute_b32 v11, v3, v2
	s_and_saveexec_b32 s8, vcc_lo
	s_cbranch_execz .LBB641_83
; %bb.64:
	v_mov_b32_e32 v9, 0
	ds_load_b32 v2, v9 offset:60
	s_and_saveexec_b32 s9, s7
	s_cbranch_execz .LBB641_66
; %bb.65:
	s_add_co_i32 s10, s28, 32
	s_delay_alu instid0(SALU_CYCLE_1)
	v_dual_mov_b32 v3, 1 :: v_dual_mov_b32 v4, s10
	s_wait_dscnt 0x0
	global_store_b64 v4, v[2:3], s[26:27] scale_offset scope:SCOPE_DEV
.LBB641_66:
	s_wait_xcnt 0x0
	s_or_b32 exec_lo, exec_lo, s9
	v_xad_u32 v4, v49, -1, s28
	s_mov_b32 s10, 0
	s_mov_b32 s9, exec_lo
	s_delay_alu instid0(VALU_DEP_1) | instskip(SKIP_4) | instid1(VALU_DEP_1)
	v_add_nc_u32_e32 v8, 32, v4
	global_load_b64 v[6:7], v8, s[26:27] scale_offset scope:SCOPE_DEV
	s_wait_loadcnt 0x0
	v_and_b32_e32 v3, 0xff, v7
	s_wait_xcnt 0x0
	v_cmpx_eq_u16_e32 0, v3
	s_cbranch_execz .LBB641_70
; %bb.67:
	v_lshl_add_u64 v[8:9], v[8:9], 3, s[26:27]
.LBB641_68:                             ; =>This Inner Loop Header: Depth=1
	global_load_b64 v[6:7], v[8:9], off scope:SCOPE_DEV
	s_wait_loadcnt 0x0
	v_and_b32_e32 v3, 0xff, v7
	s_delay_alu instid0(VALU_DEP_1)
	v_cmp_ne_u16_e32 vcc_lo, 0, v3
	s_or_b32 s10, vcc_lo, s10
	s_wait_xcnt 0x0
	s_and_not1_b32 exec_lo, exec_lo, s10
	s_cbranch_execnz .LBB641_68
; %bb.69:
	s_or_b32 exec_lo, exec_lo, s10
.LBB641_70:
	s_delay_alu instid0(SALU_CYCLE_1)
	s_or_b32 exec_lo, exec_lo, s9
	v_cmp_ne_u32_e32 vcc_lo, 31, v49
	v_lshlrev_b32_e64 v30, v49, -1
	v_lshl_or_b32 v56, v49, 2, 64
	v_dual_add_nc_u32 v32, 2, v49 :: v_dual_add_nc_u32 v53, 4, v49
	v_add_co_ci_u32_e64 v3, null, 0, v49, vcc_lo
	v_dual_add_nc_u32 v55, 8, v49 :: v_dual_add_nc_u32 v57, 16, v49
	s_delay_alu instid0(VALU_DEP_2)
	v_lshlrev_b32_e32 v12, 2, v3
	v_and_b32_e32 v3, 0xff, v7
	ds_bpermute_b32 v5, v12, v6
	v_cmp_eq_u16_e32 vcc_lo, 2, v3
	v_and_or_b32 v3, vcc_lo, v30, 0x80000000
	v_cmp_gt_u32_e32 vcc_lo, 30, v49
	s_delay_alu instid0(VALU_DEP_2) | instskip(SKIP_1) | instid1(VALU_DEP_2)
	v_ctz_i32_b32_e32 v3, v3
	v_cndmask_b32_e64 v8, 0, 2, vcc_lo
	v_cmp_lt_u32_e32 vcc_lo, v49, v3
	s_delay_alu instid0(VALU_DEP_2) | instskip(SKIP_3) | instid1(VALU_DEP_2)
	v_add_lshl_u32 v31, v8, v49, 2
	s_wait_dscnt 0x0
	v_cndmask_b32_e32 v5, 0, v5, vcc_lo
	v_cmp_gt_u32_e32 vcc_lo, 28, v49
	v_add_nc_u32_e32 v5, v5, v6
	v_cndmask_b32_e64 v8, 0, 4, vcc_lo
	v_cmp_le_u32_e32 vcc_lo, v32, v3
	ds_bpermute_b32 v6, v31, v5
	v_add_lshl_u32 v52, v8, v49, 2
	s_wait_dscnt 0x0
	v_cndmask_b32_e32 v6, 0, v6, vcc_lo
	v_cmp_gt_u32_e32 vcc_lo, 24, v49
	v_cndmask_b32_e64 v8, 0, 8, vcc_lo
	v_cmp_le_u32_e32 vcc_lo, v53, v3
	s_delay_alu instid0(VALU_DEP_4) | instskip(NEXT) | instid1(VALU_DEP_3)
	v_add_nc_u32_e32 v5, v5, v6
	v_add_lshl_u32 v54, v8, v49, 2
	ds_bpermute_b32 v6, v52, v5
	s_wait_dscnt 0x0
	v_cndmask_b32_e32 v6, 0, v6, vcc_lo
	v_cmp_le_u32_e32 vcc_lo, v55, v3
	s_delay_alu instid0(VALU_DEP_2) | instskip(SKIP_4) | instid1(VALU_DEP_2)
	v_add_nc_u32_e32 v5, v5, v6
	ds_bpermute_b32 v6, v54, v5
	s_wait_dscnt 0x0
	v_cndmask_b32_e32 v6, 0, v6, vcc_lo
	v_cmp_le_u32_e32 vcc_lo, v57, v3
	v_add_nc_u32_e32 v5, v5, v6
	ds_bpermute_b32 v6, v56, v5
	s_wait_dscnt 0x0
	v_cndmask_b32_e32 v3, 0, v6, vcc_lo
	s_delay_alu instid0(VALU_DEP_1)
	v_dual_mov_b32 v5, 0 :: v_dual_add_nc_u32 v6, v5, v3
	s_branch .LBB641_73
.LBB641_71:                             ;   in Loop: Header=BB641_73 Depth=1
	s_or_b32 exec_lo, exec_lo, s9
	v_and_b32_e32 v8, 0xff, v7
	ds_bpermute_b32 v9, v12, v6
	v_subrev_nc_u32_e32 v4, 32, v4
	s_mov_b32 s9, 0
	v_cmp_eq_u16_e32 vcc_lo, 2, v8
	v_and_or_b32 v8, vcc_lo, v30, 0x80000000
	s_delay_alu instid0(VALU_DEP_1) | instskip(NEXT) | instid1(VALU_DEP_1)
	v_ctz_i32_b32_e32 v8, v8
	v_cmp_lt_u32_e32 vcc_lo, v49, v8
	s_wait_dscnt 0x0
	v_cndmask_b32_e32 v9, 0, v9, vcc_lo
	v_cmp_le_u32_e32 vcc_lo, v32, v8
	s_delay_alu instid0(VALU_DEP_2) | instskip(SKIP_4) | instid1(VALU_DEP_2)
	v_add_nc_u32_e32 v6, v9, v6
	ds_bpermute_b32 v9, v31, v6
	s_wait_dscnt 0x0
	v_cndmask_b32_e32 v9, 0, v9, vcc_lo
	v_cmp_le_u32_e32 vcc_lo, v53, v8
	v_add_nc_u32_e32 v6, v6, v9
	ds_bpermute_b32 v9, v52, v6
	s_wait_dscnt 0x0
	v_cndmask_b32_e32 v9, 0, v9, vcc_lo
	v_cmp_le_u32_e32 vcc_lo, v55, v8
	s_delay_alu instid0(VALU_DEP_2) | instskip(SKIP_4) | instid1(VALU_DEP_2)
	v_add_nc_u32_e32 v6, v6, v9
	ds_bpermute_b32 v9, v54, v6
	s_wait_dscnt 0x0
	v_cndmask_b32_e32 v9, 0, v9, vcc_lo
	v_cmp_le_u32_e32 vcc_lo, v57, v8
	v_add_nc_u32_e32 v6, v6, v9
	ds_bpermute_b32 v9, v56, v6
	s_wait_dscnt 0x0
	v_cndmask_b32_e32 v8, 0, v9, vcc_lo
	s_delay_alu instid0(VALU_DEP_1)
	v_add3_u32 v6, v8, v3, v6
.LBB641_72:                             ;   in Loop: Header=BB641_73 Depth=1
	s_and_b32 vcc_lo, exec_lo, s9
	s_cbranch_vccnz .LBB641_79
.LBB641_73:                             ; =>This Loop Header: Depth=1
                                        ;     Child Loop BB641_76 Depth 2
	v_and_b32_e32 v3, 0xff, v7
	s_mov_b32 s9, -1
                                        ; implicit-def: $vgpr7
	s_delay_alu instid0(VALU_DEP_1)
	v_cmp_ne_u16_e32 vcc_lo, 2, v3
	v_mov_b32_e32 v3, v6
                                        ; implicit-def: $vgpr6
	s_cmp_lg_u32 vcc_lo, exec_lo
	s_cbranch_scc1 .LBB641_72
; %bb.74:                               ;   in Loop: Header=BB641_73 Depth=1
	global_load_b64 v[6:7], v4, s[26:27] scale_offset scope:SCOPE_DEV
	s_mov_b32 s9, exec_lo
	s_wait_loadcnt 0x0
	v_and_b32_e32 v8, 0xff, v7
	s_wait_xcnt 0x0
	s_delay_alu instid0(VALU_DEP_1)
	v_cmpx_eq_u16_e32 0, v8
	s_cbranch_execz .LBB641_71
; %bb.75:                               ;   in Loop: Header=BB641_73 Depth=1
	v_lshl_add_u64 v[8:9], v[4:5], 3, s[26:27]
	s_mov_b32 s10, 0
.LBB641_76:                             ;   Parent Loop BB641_73 Depth=1
                                        ; =>  This Inner Loop Header: Depth=2
	global_load_b64 v[6:7], v[8:9], off scope:SCOPE_DEV
	s_wait_loadcnt 0x0
	v_and_b32_e32 v58, 0xff, v7
	s_delay_alu instid0(VALU_DEP_1)
	v_cmp_ne_u16_e32 vcc_lo, 0, v58
	s_or_b32 s10, vcc_lo, s10
	s_wait_xcnt 0x0
	s_and_not1_b32 exec_lo, exec_lo, s10
	s_cbranch_execnz .LBB641_76
; %bb.77:                               ;   in Loop: Header=BB641_73 Depth=1
	s_or_b32 exec_lo, exec_lo, s10
	s_branch .LBB641_71
.LBB641_78:
                                        ; implicit-def: $vgpr32
                                        ; implicit-def: $vgpr30
                                        ; implicit-def: $vgpr2_vgpr3_vgpr4_vgpr5_vgpr6_vgpr7_vgpr8_vgpr9_vgpr10_vgpr11_vgpr12
	s_and_b32 vcc_lo, exec_lo, s7
	s_cbranch_vccnz .LBB641_84
	s_branch .LBB641_93
.LBB641_79:
	s_and_saveexec_b32 s9, s7
	s_cbranch_execz .LBB641_81
; %bb.80:
	s_add_co_i32 s10, s28, 32
	v_dual_mov_b32 v5, 2 :: v_dual_add_nc_u32 v4, v3, v2
	v_dual_mov_b32 v6, s10 :: v_dual_mov_b32 v7, 0
	global_store_b64 v6, v[4:5], s[26:27] scale_offset scope:SCOPE_DEV
	ds_store_b64 v7, v[2:3] offset:22528
.LBB641_81:
	s_wait_xcnt 0x0
	s_or_b32 exec_lo, exec_lo, s9
	s_delay_alu instid0(SALU_CYCLE_1)
	s_and_b32 exec_lo, exec_lo, s2
; %bb.82:
	v_mov_b32_e32 v2, 0
	ds_store_b32 v2, v3 offset:60
.LBB641_83:
	s_or_b32 exec_lo, exec_lo, s8
	s_wait_dscnt 0x0
	v_dual_mov_b32 v9, 0 :: v_dual_cndmask_b32 v3, v11, v10, s7
	s_wait_storecnt 0x0
	s_barrier_signal -1
	s_barrier_wait -1
	ds_load_b32 v2, v9 offset:60
	v_cndmask_b32_e64 v3, v3, 0, s2
	s_wait_dscnt 0x0
	s_barrier_signal -1
	s_barrier_wait -1
	ds_load_b64 v[30:31], v9 offset:22528
	v_add_nc_u32_e32 v2, v2, v3
	s_wait_dscnt 0x0
	s_delay_alu instid0(VALU_DEP_1) | instskip(NEXT) | instid1(VALU_DEP_1)
	v_dual_mov_b32 v32, v31 :: v_dual_add_nc_u32 v3, v2, v34
	v_add_nc_u32_e32 v4, v3, v35
	s_delay_alu instid0(VALU_DEP_1) | instskip(NEXT) | instid1(VALU_DEP_1)
	v_add_nc_u32_e32 v5, v4, v36
	v_add_nc_u32_e32 v6, v5, v37
	s_delay_alu instid0(VALU_DEP_1) | instskip(NEXT) | instid1(VALU_DEP_1)
	v_add_nc_u32_e32 v7, v6, v43
	;; [unrolled: 3-line block ×4, first 2 shown]
	v_add_nc_u32_e32 v12, v11, v48
	s_branch .LBB641_93
.LBB641_84:
	v_mov_b32_dpp v2, v51 row_shr:1 row_mask:0xf bank_mask:0xf
	s_delay_alu instid0(VALU_DEP_1) | instskip(NEXT) | instid1(VALU_DEP_1)
	v_cndmask_b32_e64 v2, v2, 0, s4
	v_add_nc_u32_e32 v2, v2, v51
	s_delay_alu instid0(VALU_DEP_1) | instskip(NEXT) | instid1(VALU_DEP_1)
	v_mov_b32_dpp v3, v2 row_shr:2 row_mask:0xf bank_mask:0xf
	v_cndmask_b32_e64 v3, 0, v3, s3
	s_delay_alu instid0(VALU_DEP_1) | instskip(NEXT) | instid1(VALU_DEP_1)
	v_add_nc_u32_e32 v2, v2, v3
	v_mov_b32_dpp v3, v2 row_shr:4 row_mask:0xf bank_mask:0xf
	s_delay_alu instid0(VALU_DEP_1) | instskip(NEXT) | instid1(VALU_DEP_1)
	v_cndmask_b32_e64 v3, 0, v3, s1
	v_add_nc_u32_e32 v2, v2, v3
	s_delay_alu instid0(VALU_DEP_1) | instskip(NEXT) | instid1(VALU_DEP_1)
	v_mov_b32_dpp v3, v2 row_shr:8 row_mask:0xf bank_mask:0xf
	v_cndmask_b32_e64 v3, 0, v3, s0
	s_delay_alu instid0(VALU_DEP_1) | instskip(SKIP_3) | instid1(VALU_DEP_1)
	v_add_nc_u32_e32 v2, v2, v3
	ds_swizzle_b32 v3, v2 offset:swizzle(BROADCAST,32,15)
	s_wait_dscnt 0x0
	v_cndmask_b32_e64 v3, v3, 0, s6
	v_add_nc_u32_e32 v2, v2, v3
	s_and_saveexec_b32 s6, s5
; %bb.85:
	v_lshlrev_b32_e32 v3, 2, v50
	ds_store_b32 v3, v2
; %bb.86:
	s_or_b32 exec_lo, exec_lo, s6
	s_delay_alu instid0(SALU_CYCLE_1)
	s_mov_b32 s5, exec_lo
	s_wait_dscnt 0x0
	s_barrier_signal -1
	s_barrier_wait -1
	v_cmpx_gt_u32_e32 16, v0
	s_cbranch_execz .LBB641_88
; %bb.87:
	v_lshlrev_b32_e32 v3, 2, v0
	ds_load_b32 v4, v3
	s_wait_dscnt 0x0
	v_mov_b32_dpp v5, v4 row_shr:1 row_mask:0xf bank_mask:0xf
	s_delay_alu instid0(VALU_DEP_1) | instskip(NEXT) | instid1(VALU_DEP_1)
	v_cndmask_b32_e64 v5, v5, 0, s4
	v_add_nc_u32_e32 v4, v5, v4
	s_delay_alu instid0(VALU_DEP_1) | instskip(NEXT) | instid1(VALU_DEP_1)
	v_mov_b32_dpp v5, v4 row_shr:2 row_mask:0xf bank_mask:0xf
	v_cndmask_b32_e64 v5, 0, v5, s3
	s_delay_alu instid0(VALU_DEP_1) | instskip(NEXT) | instid1(VALU_DEP_1)
	v_add_nc_u32_e32 v4, v4, v5
	v_mov_b32_dpp v5, v4 row_shr:4 row_mask:0xf bank_mask:0xf
	s_delay_alu instid0(VALU_DEP_1) | instskip(NEXT) | instid1(VALU_DEP_1)
	v_cndmask_b32_e64 v5, 0, v5, s1
	v_add_nc_u32_e32 v4, v4, v5
	s_delay_alu instid0(VALU_DEP_1) | instskip(NEXT) | instid1(VALU_DEP_1)
	v_mov_b32_dpp v5, v4 row_shr:8 row_mask:0xf bank_mask:0xf
	v_cndmask_b32_e64 v5, 0, v5, s0
	s_delay_alu instid0(VALU_DEP_1)
	v_add_nc_u32_e32 v4, v4, v5
	ds_store_b32 v3, v4
.LBB641_88:
	s_or_b32 exec_lo, exec_lo, s5
	v_dual_mov_b32 v4, 0 :: v_dual_mov_b32 v3, 0
	s_mov_b32 s0, exec_lo
	s_wait_dscnt 0x0
	s_barrier_signal -1
	s_barrier_wait -1
	v_cmpx_lt_u32_e32 31, v0
; %bb.89:
	v_lshl_add_u32 v3, v50, 2, -4
	ds_load_b32 v3, v3
; %bb.90:
	s_or_b32 exec_lo, exec_lo, s0
	v_sub_co_u32 v5, vcc_lo, v49, 1
	ds_load_b32 v30, v4 offset:60
	s_wait_dscnt 0x1
	v_add_nc_u32_e32 v2, v3, v2
	v_cmp_gt_i32_e64 s0, 0, v5
	s_delay_alu instid0(VALU_DEP_1) | instskip(NEXT) | instid1(VALU_DEP_1)
	v_cndmask_b32_e64 v5, v5, v49, s0
	v_lshlrev_b32_e32 v5, 2, v5
	ds_bpermute_b32 v2, v5, v2
	s_and_saveexec_b32 s0, s2
	s_cbranch_execz .LBB641_92
; %bb.91:
	v_dual_mov_b32 v4, 0 :: v_dual_mov_b32 v31, 2
	s_wait_dscnt 0x1
	global_store_b64 v4, v[30:31], s[26:27] offset:256 scope:SCOPE_DEV
.LBB641_92:
	s_wait_xcnt 0x0
	s_or_b32 exec_lo, exec_lo, s0
	s_wait_dscnt 0x0
	v_cndmask_b32_e32 v2, v2, v3, vcc_lo
	s_wait_storecnt 0x0
	s_barrier_signal -1
	s_barrier_wait -1
	s_delay_alu instid0(VALU_DEP_1) | instskip(NEXT) | instid1(VALU_DEP_1)
	v_cndmask_b32_e64 v2, v2, 0, s2
	v_dual_mov_b32 v32, 0 :: v_dual_add_nc_u32 v3, v2, v34
	s_delay_alu instid0(VALU_DEP_1) | instskip(NEXT) | instid1(VALU_DEP_1)
	v_add_nc_u32_e32 v4, v3, v35
	v_add_nc_u32_e32 v5, v4, v36
	s_delay_alu instid0(VALU_DEP_1) | instskip(NEXT) | instid1(VALU_DEP_1)
	v_add_nc_u32_e32 v6, v5, v37
	v_add_nc_u32_e32 v7, v6, v43
	;; [unrolled: 3-line block ×4, first 2 shown]
	s_delay_alu instid0(VALU_DEP_1)
	v_add_nc_u32_e32 v12, v11, v48
.LBB641_93:
	v_and_b32_e32 v26, 1, v26
	v_cmp_gt_u32_e32 vcc_lo, 0x201, v30
	v_lshlrev_b64_e32 v[34:35], 2, v[14:15]
	s_mov_b32 s1, -1
	s_delay_alu instid0(VALU_DEP_3)
	v_cmp_eq_u32_e64 s0, 1, v26
	s_cbranch_vccnz .LBB641_97
; %bb.94:
	s_and_b32 vcc_lo, exec_lo, s1
	s_cbranch_vccnz .LBB641_120
.LBB641_95:
	s_and_b32 s0, s2, s22
	s_delay_alu instid0(SALU_CYCLE_1)
	s_and_saveexec_b32 s1, s0
	s_cbranch_execnz .LBB641_155
.LBB641_96:
	s_endpgm
.LBB641_97:
	v_add_nc_u32_e32 v31, v32, v30
	v_add_nc_u64_e32 v[36:37], s[24:25], v[34:35]
	s_delay_alu instid0(VALU_DEP_2) | instskip(SKIP_1) | instid1(SALU_CYCLE_1)
	v_cmp_lt_u32_e32 vcc_lo, v2, v31
	s_or_b32 s1, s23, vcc_lo
	s_and_b32 s1, s1, s0
	s_delay_alu instid0(SALU_CYCLE_1)
	s_and_saveexec_b32 s0, s1
	s_cbranch_execz .LBB641_99
; %bb.98:
	s_delay_alu instid0(VALU_DEP_2)
	v_readfirstlane_b32 s4, v36
	v_readfirstlane_b32 s5, v37
	global_store_b32 v2, v24, s[4:5] scale_offset
.LBB641_99:
	s_wait_xcnt 0x0
	s_or_b32 exec_lo, exec_lo, s0
	v_and_b32_e32 v43, 1, v42
	v_cmp_lt_u32_e32 vcc_lo, v3, v31
	s_delay_alu instid0(VALU_DEP_2) | instskip(SKIP_1) | instid1(SALU_CYCLE_1)
	v_cmp_eq_u32_e64 s0, 1, v43
	s_or_b32 s1, s23, vcc_lo
	s_and_b32 s1, s1, s0
	s_delay_alu instid0(SALU_CYCLE_1)
	s_and_saveexec_b32 s0, s1
	s_cbranch_execz .LBB641_101
; %bb.100:
	v_readfirstlane_b32 s4, v36
	v_readfirstlane_b32 s5, v37
	global_store_b32 v3, v25, s[4:5] scale_offset
.LBB641_101:
	s_wait_xcnt 0x0
	s_or_b32 exec_lo, exec_lo, s0
	v_and_b32_e32 v43, 1, v40
	v_cmp_lt_u32_e32 vcc_lo, v4, v31
	s_delay_alu instid0(VALU_DEP_2) | instskip(SKIP_1) | instid1(SALU_CYCLE_1)
	v_cmp_eq_u32_e64 s0, 1, v43
	s_or_b32 s1, s23, vcc_lo
	s_and_b32 s1, s1, s0
	s_delay_alu instid0(SALU_CYCLE_1)
	s_and_saveexec_b32 s0, s1
	s_cbranch_execz .LBB641_103
; %bb.102:
	v_readfirstlane_b32 s4, v36
	v_readfirstlane_b32 s5, v37
	global_store_b32 v4, v22, s[4:5] scale_offset
.LBB641_103:
	;; [unrolled: 16-line block ×10, first 2 shown]
	s_wait_xcnt 0x0
	s_or_b32 exec_lo, exec_lo, s0
	s_branch .LBB641_95
.LBB641_120:
	s_mov_b32 s0, exec_lo
	v_cmpx_eq_u32_e32 1, v26
; %bb.121:
	v_sub_nc_u32_e32 v2, v2, v32
	s_delay_alu instid0(VALU_DEP_1)
	v_lshlrev_b32_e32 v2, 2, v2
	ds_store_b32 v2, v24
; %bb.122:
	s_or_b32 exec_lo, exec_lo, s0
	v_and_b32_e32 v2, 1, v42
	s_mov_b32 s0, exec_lo
	s_delay_alu instid0(VALU_DEP_1)
	v_cmpx_eq_u32_e32 1, v2
; %bb.123:
	v_sub_nc_u32_e32 v2, v3, v32
	s_delay_alu instid0(VALU_DEP_1)
	v_lshlrev_b32_e32 v2, 2, v2
	ds_store_b32 v2, v25
; %bb.124:
	s_or_b32 exec_lo, exec_lo, s0
	v_and_b32_e32 v2, 1, v40
	s_mov_b32 s0, exec_lo
	s_delay_alu instid0(VALU_DEP_1)
	;; [unrolled: 11-line block ×10, first 2 shown]
	v_cmpx_eq_u32_e32 1, v1
; %bb.141:
	v_sub_nc_u32_e32 v1, v12, v32
	s_delay_alu instid0(VALU_DEP_1)
	v_lshlrev_b32_e32 v1, 2, v1
	ds_store_b32 v1, v17
; %bb.142:
	s_or_b32 exec_lo, exec_lo, s0
	v_or_b32_e32 v1, 0x200, v0
	v_mov_b32_e32 v33, 0
	s_mov_b32 s1, -1
	s_mov_b32 s0, exec_lo
	s_wait_storecnt_dscnt 0x0
	v_max_u32_e32 v2, v30, v1
	s_barrier_signal -1
	s_barrier_wait -1
	s_delay_alu instid0(VALU_DEP_1) | instskip(SKIP_1) | instid1(VALU_DEP_2)
	v_xad_u32 v4, v0, -1, v2
	v_lshlrev_b64_e32 v[2:3], 2, v[32:33]
	v_cmpx_lt_u32_e32 0x1ff, v4
	s_cbranch_execz .LBB641_151
; %bb.143:
	v_lshrrev_b32_e32 v10, 9, v4
	v_add_nc_u64_e32 v[4:5], s[24:25], v[34:35]
	s_delay_alu instid0(VALU_DEP_2) | instskip(NEXT) | instid1(VALU_DEP_2)
	v_dual_lshlrev_b32 v11, 2, v0 :: v_dual_add_nc_u32 v6, -1, v10
	v_add_nc_u64_e32 v[4:5], v[4:5], v[2:3]
	s_delay_alu instid0(VALU_DEP_2) | instskip(SKIP_1) | instid1(VALU_DEP_2)
	v_lshrrev_b32_e32 v7, 1, v6
	v_cmp_lt_u32_e32 vcc_lo, 13, v6
	v_add_nc_u32_e32 v12, 1, v7
	v_mov_b64_e32 v[6:7], v[0:1]
	s_and_saveexec_b32 s1, vcc_lo
	s_cbranch_execz .LBB641_147
; %bb.144:
	v_mov_b64_e32 v[6:7], v[0:1]
	v_dual_mov_b32 v9, 0 :: v_dual_bitop2_b32 v13, -8, v12 bitop3:0x40
	v_mov_b32_e32 v16, v11
	s_mov_b32 s3, 0
	s_mov_b32 s4, 0
.LBB641_145:                            ; =>This Inner Loop Header: Depth=1
	s_delay_alu instid0(VALU_DEP_2)
	v_dual_mov_b32 v8, v6 :: v_dual_mov_b32 v21, v9
	ds_load_2addr_stride64_b32 v[18:19], v16 offset1:8
	v_add_nc_u32_e32 v13, -8, v13
	ds_load_2addr_stride64_b32 v[22:23], v16 offset0:16 offset1:24
	v_lshl_add_u64 v[54:55], v[8:9], 2, v[4:5]
	v_mov_b32_e32 v8, v7
	ds_load_2addr_stride64_b32 v[26:27], v16 offset0:32 offset1:40
	ds_load_2addr_stride64_b32 v[36:37], v16 offset0:48 offset1:56
	v_dual_mov_b32 v25, v9 :: v_dual_add_nc_u32 v20, 0x400, v7
	v_lshl_add_u64 v[56:57], v[8:9], 2, v[4:5]
	v_add_nc_u32_e32 v8, 0x400, v6
	ds_load_2addr_stride64_b32 v[40:41], v16 offset0:64 offset1:72
	v_lshl_add_u64 v[20:21], v[20:21], 2, v[4:5]
	ds_load_2addr_stride64_b32 v[44:45], v16 offset0:80 offset1:88
	ds_load_2addr_stride64_b32 v[48:49], v16 offset0:96 offset1:104
	v_lshl_add_u64 v[58:59], v[8:9], 2, v[4:5]
	v_add_nc_u32_e32 v8, 0x800, v6
	ds_load_2addr_stride64_b32 v[52:53], v16 offset0:112 offset1:120
	s_wait_dscnt 0x7
	s_clause 0x1
	global_store_b32 v[54:55], v18, off
	global_store_b32 v[56:57], v19, off
	s_wait_dscnt 0x6
	s_clause 0x1
	global_store_b32 v[58:59], v22, off
	global_store_b32 v[20:21], v23, off
	v_lshl_add_u64 v[60:61], v[8:9], 2, v[4:5]
	v_add_nc_u32_e32 v8, 0xc00, v6
	v_dual_mov_b32 v29, v9 :: v_dual_add_nc_u32 v24, 0x800, v7
	v_dual_mov_b32 v39, v9 :: v_dual_add_nc_u32 v28, 0xc00, v7
	s_wait_xcnt 0x2
	s_delay_alu instid0(VALU_DEP_3)
	v_lshl_add_u64 v[18:19], v[8:9], 2, v[4:5]
	v_add_nc_u32_e32 v8, 0x1000, v6
	v_lshl_add_u64 v[24:25], v[24:25], 2, v[4:5]
	v_dual_mov_b32 v43, v9 :: v_dual_add_nc_u32 v38, 0x1000, v7
	v_lshl_add_u64 v[28:29], v[28:29], 2, v[4:5]
	s_wait_xcnt 0x0
	v_lshl_add_u64 v[20:21], v[8:9], 2, v[4:5]
	v_add_nc_u32_e32 v8, 0x1400, v6
	s_wait_dscnt 0x5
	s_clause 0x1
	global_store_b32 v[60:61], v26, off
	global_store_b32 v[24:25], v27, off
	s_wait_dscnt 0x4
	global_store_b32 v[18:19], v36, off
	v_dual_mov_b32 v47, v9 :: v_dual_add_nc_u32 v42, 0x1400, v7
	s_wait_xcnt 0x0
	v_lshl_add_u64 v[18:19], v[8:9], 2, v[4:5]
	v_add_nc_u32_e32 v8, 0x1800, v6
	v_dual_mov_b32 v51, v9 :: v_dual_add_nc_u32 v46, 0x1800, v7
	v_lshl_add_u64 v[38:39], v[38:39], 2, v[4:5]
	global_store_b32 v[28:29], v37, off
	s_wait_dscnt 0x3
	global_store_b32 v[20:21], v40, off
	s_wait_xcnt 0x0
	v_lshl_add_u64 v[20:21], v[8:9], 2, v[4:5]
	v_add_nc_u32_e32 v8, 0x1c00, v6
	s_add_co_i32 s4, s4, 16
	s_delay_alu instid0(SALU_CYCLE_1)
	v_dual_mov_b32 v33, s4 :: v_dual_add_nc_u32 v50, 0x1c00, v7
	v_cmp_eq_u32_e32 vcc_lo, 0, v13
	v_lshl_add_u64 v[42:43], v[42:43], 2, v[4:5]
	v_add_nc_u32_e32 v16, 0x8000, v16
	v_add_nc_u32_e32 v7, 0x2000, v7
	;; [unrolled: 1-line block ×3, first 2 shown]
	v_lshl_add_u64 v[46:47], v[46:47], 2, v[4:5]
	global_store_b32 v[38:39], v41, off
	s_wait_dscnt 0x2
	s_clause 0x1
	global_store_b32 v[18:19], v44, off
	global_store_b32 v[42:43], v45, off
	s_wait_xcnt 0x1
	v_lshl_add_u64 v[18:19], v[8:9], 2, v[4:5]
	v_lshl_add_u64 v[50:51], v[50:51], 2, v[4:5]
	s_or_b32 s3, vcc_lo, s3
	s_wait_dscnt 0x1
	s_clause 0x1
	global_store_b32 v[20:21], v48, off
	global_store_b32 v[46:47], v49, off
	s_wait_dscnt 0x0
	s_clause 0x1
	global_store_b32 v[18:19], v52, off
	global_store_b32 v[50:51], v53, off
	s_wait_xcnt 0x0
	s_and_not1_b32 exec_lo, exec_lo, s3
	s_cbranch_execnz .LBB641_145
; %bb.146:
	s_or_b32 exec_lo, exec_lo, s3
.LBB641_147:
	s_delay_alu instid0(SALU_CYCLE_1) | instskip(SKIP_3) | instid1(VALU_DEP_1)
	s_or_b32 exec_lo, exec_lo, s1
	v_and_b32_e32 v1, 7, v12
	s_mov_b32 s3, 0
	s_mov_b32 s1, exec_lo
	v_cmpx_ne_u32_e32 0, v1
	s_cbranch_execz .LBB641_150
; %bb.148:
	v_lshl_or_b32 v11, v33, 11, v11
	v_mov_b32_e32 v9, 0
.LBB641_149:                            ; =>This Inner Loop Header: Depth=1
	ds_load_2addr_stride64_b32 v[12:13], v11 offset1:8
	v_dual_mov_b32 v8, v6 :: v_dual_add_nc_u32 v1, -1, v1
	v_add_nc_u32_e32 v6, 0x400, v6
	v_add_nc_u32_e32 v11, 0x1000, v11
	s_delay_alu instid0(VALU_DEP_3) | instskip(SKIP_3) | instid1(VALU_DEP_3)
	v_lshl_add_u64 v[16:17], v[8:9], 2, v[4:5]
	v_mov_b32_e32 v8, v7
	v_cmp_eq_u32_e32 vcc_lo, 0, v1
	v_add_nc_u32_e32 v7, 0x400, v7
	v_lshl_add_u64 v[18:19], v[8:9], 2, v[4:5]
	s_or_b32 s3, vcc_lo, s3
	s_wait_dscnt 0x0
	s_clause 0x1
	global_store_b32 v[16:17], v12, off
	global_store_b32 v[18:19], v13, off
	s_wait_xcnt 0x0
	s_and_not1_b32 exec_lo, exec_lo, s3
	s_cbranch_execnz .LBB641_149
.LBB641_150:
	s_or_b32 exec_lo, exec_lo, s1
	v_add_nc_u32_e32 v1, 1, v10
	s_delay_alu instid0(VALU_DEP_1) | instskip(NEXT) | instid1(VALU_DEP_1)
	v_and_b32_e32 v4, 0xfffffe, v1
	v_cmp_ne_u32_e32 vcc_lo, v1, v4
	v_lshl_or_b32 v0, v4, 9, v0
	s_or_not1_b32 s1, vcc_lo, exec_lo
.LBB641_151:
	s_or_b32 exec_lo, exec_lo, s0
	s_and_saveexec_b32 s0, s1
	s_cbranch_execz .LBB641_154
; %bb.152:
	s_delay_alu instid0(VALU_DEP_2) | instskip(SKIP_2) | instid1(VALU_DEP_2)
	v_add_nc_u64_e32 v[2:3], v[34:35], v[2:3]
	v_dual_mov_b32 v1, 0 :: v_dual_lshlrev_b32 v4, 2, v0
	s_mov_b32 s1, 0
	v_add_nc_u64_e32 v[2:3], s[24:25], v[2:3]
	s_delay_alu instid0(VALU_DEP_1)
	v_lshl_add_u64 v[2:3], v[0:1], 2, v[2:3]
.LBB641_153:                            ; =>This Inner Loop Header: Depth=1
	ds_load_b32 v1, v4
	v_add_nc_u32_e32 v0, 0x200, v0
	v_add_nc_u32_e32 v4, 0x800, v4
	s_delay_alu instid0(VALU_DEP_2)
	v_cmp_ge_u32_e32 vcc_lo, v0, v30
	s_or_b32 s1, vcc_lo, s1
	s_wait_dscnt 0x0
	global_store_b32 v[2:3], v1, off
	s_wait_xcnt 0x0
	v_add_nc_u64_e32 v[2:3], 0x800, v[2:3]
	s_and_not1_b32 exec_lo, exec_lo, s1
	s_cbranch_execnz .LBB641_153
.LBB641_154:
	s_or_b32 exec_lo, exec_lo, s0
	s_and_b32 s0, s2, s22
	s_delay_alu instid0(SALU_CYCLE_1)
	s_and_saveexec_b32 s1, s0
	s_cbranch_execz .LBB641_96
.LBB641_155:
	v_mov_b32_e32 v31, 0
	s_delay_alu instid0(VALU_DEP_1) | instskip(SKIP_1) | instid1(VALU_DEP_1)
	v_add_nc_u64_e32 v[0:1], v[14:15], v[30:31]
	v_mov_b32_e32 v33, v31
	v_add_nc_u64_e32 v[0:1], v[0:1], v[32:33]
	global_store_b64 v31, v[0:1], s[20:21]
	s_endpgm
	.section	.rodata,"a",@progbits
	.p2align	6, 0x0
	.amdhsa_kernel _ZN7rocprim17ROCPRIM_400000_NS6detail17trampoline_kernelINS0_14default_configENS1_25partition_config_selectorILNS1_17partition_subalgoE8EjNS0_10empty_typeEbEEZZNS1_14partition_implILS5_8ELb0ES3_jPKjPS6_PKS6_NS0_5tupleIJPjS6_EEENSE_IJSB_SB_EEENS0_18inequality_wrapperIN6hipcub16HIPCUB_304000_NS8EqualityEEEPlJS6_EEE10hipError_tPvRmT3_T4_T5_T6_T7_T9_mT8_P12ihipStream_tbDpT10_ENKUlT_T0_E_clISt17integral_constantIbLb0EES16_IbLb1EEEEDaS12_S13_EUlS12_E_NS1_11comp_targetILNS1_3genE0ELNS1_11target_archE4294967295ELNS1_3gpuE0ELNS1_3repE0EEENS1_30default_config_static_selectorELNS0_4arch9wavefront6targetE0EEEvT1_
		.amdhsa_group_segment_fixed_size 22536
		.amdhsa_private_segment_fixed_size 0
		.amdhsa_kernarg_size 128
		.amdhsa_user_sgpr_count 2
		.amdhsa_user_sgpr_dispatch_ptr 0
		.amdhsa_user_sgpr_queue_ptr 0
		.amdhsa_user_sgpr_kernarg_segment_ptr 1
		.amdhsa_user_sgpr_dispatch_id 0
		.amdhsa_user_sgpr_kernarg_preload_length 0
		.amdhsa_user_sgpr_kernarg_preload_offset 0
		.amdhsa_user_sgpr_private_segment_size 0
		.amdhsa_wavefront_size32 1
		.amdhsa_uses_dynamic_stack 0
		.amdhsa_enable_private_segment 0
		.amdhsa_system_sgpr_workgroup_id_x 1
		.amdhsa_system_sgpr_workgroup_id_y 0
		.amdhsa_system_sgpr_workgroup_id_z 0
		.amdhsa_system_sgpr_workgroup_info 0
		.amdhsa_system_vgpr_workitem_id 0
		.amdhsa_next_free_vgpr 62
		.amdhsa_next_free_sgpr 32
		.amdhsa_named_barrier_count 0
		.amdhsa_reserve_vcc 1
		.amdhsa_float_round_mode_32 0
		.amdhsa_float_round_mode_16_64 0
		.amdhsa_float_denorm_mode_32 3
		.amdhsa_float_denorm_mode_16_64 3
		.amdhsa_fp16_overflow 0
		.amdhsa_memory_ordered 1
		.amdhsa_forward_progress 1
		.amdhsa_inst_pref_size 70
		.amdhsa_round_robin_scheduling 0
		.amdhsa_exception_fp_ieee_invalid_op 0
		.amdhsa_exception_fp_denorm_src 0
		.amdhsa_exception_fp_ieee_div_zero 0
		.amdhsa_exception_fp_ieee_overflow 0
		.amdhsa_exception_fp_ieee_underflow 0
		.amdhsa_exception_fp_ieee_inexact 0
		.amdhsa_exception_int_div_zero 0
	.end_amdhsa_kernel
	.section	.text._ZN7rocprim17ROCPRIM_400000_NS6detail17trampoline_kernelINS0_14default_configENS1_25partition_config_selectorILNS1_17partition_subalgoE8EjNS0_10empty_typeEbEEZZNS1_14partition_implILS5_8ELb0ES3_jPKjPS6_PKS6_NS0_5tupleIJPjS6_EEENSE_IJSB_SB_EEENS0_18inequality_wrapperIN6hipcub16HIPCUB_304000_NS8EqualityEEEPlJS6_EEE10hipError_tPvRmT3_T4_T5_T6_T7_T9_mT8_P12ihipStream_tbDpT10_ENKUlT_T0_E_clISt17integral_constantIbLb0EES16_IbLb1EEEEDaS12_S13_EUlS12_E_NS1_11comp_targetILNS1_3genE0ELNS1_11target_archE4294967295ELNS1_3gpuE0ELNS1_3repE0EEENS1_30default_config_static_selectorELNS0_4arch9wavefront6targetE0EEEvT1_,"axG",@progbits,_ZN7rocprim17ROCPRIM_400000_NS6detail17trampoline_kernelINS0_14default_configENS1_25partition_config_selectorILNS1_17partition_subalgoE8EjNS0_10empty_typeEbEEZZNS1_14partition_implILS5_8ELb0ES3_jPKjPS6_PKS6_NS0_5tupleIJPjS6_EEENSE_IJSB_SB_EEENS0_18inequality_wrapperIN6hipcub16HIPCUB_304000_NS8EqualityEEEPlJS6_EEE10hipError_tPvRmT3_T4_T5_T6_T7_T9_mT8_P12ihipStream_tbDpT10_ENKUlT_T0_E_clISt17integral_constantIbLb0EES16_IbLb1EEEEDaS12_S13_EUlS12_E_NS1_11comp_targetILNS1_3genE0ELNS1_11target_archE4294967295ELNS1_3gpuE0ELNS1_3repE0EEENS1_30default_config_static_selectorELNS0_4arch9wavefront6targetE0EEEvT1_,comdat
.Lfunc_end641:
	.size	_ZN7rocprim17ROCPRIM_400000_NS6detail17trampoline_kernelINS0_14default_configENS1_25partition_config_selectorILNS1_17partition_subalgoE8EjNS0_10empty_typeEbEEZZNS1_14partition_implILS5_8ELb0ES3_jPKjPS6_PKS6_NS0_5tupleIJPjS6_EEENSE_IJSB_SB_EEENS0_18inequality_wrapperIN6hipcub16HIPCUB_304000_NS8EqualityEEEPlJS6_EEE10hipError_tPvRmT3_T4_T5_T6_T7_T9_mT8_P12ihipStream_tbDpT10_ENKUlT_T0_E_clISt17integral_constantIbLb0EES16_IbLb1EEEEDaS12_S13_EUlS12_E_NS1_11comp_targetILNS1_3genE0ELNS1_11target_archE4294967295ELNS1_3gpuE0ELNS1_3repE0EEENS1_30default_config_static_selectorELNS0_4arch9wavefront6targetE0EEEvT1_, .Lfunc_end641-_ZN7rocprim17ROCPRIM_400000_NS6detail17trampoline_kernelINS0_14default_configENS1_25partition_config_selectorILNS1_17partition_subalgoE8EjNS0_10empty_typeEbEEZZNS1_14partition_implILS5_8ELb0ES3_jPKjPS6_PKS6_NS0_5tupleIJPjS6_EEENSE_IJSB_SB_EEENS0_18inequality_wrapperIN6hipcub16HIPCUB_304000_NS8EqualityEEEPlJS6_EEE10hipError_tPvRmT3_T4_T5_T6_T7_T9_mT8_P12ihipStream_tbDpT10_ENKUlT_T0_E_clISt17integral_constantIbLb0EES16_IbLb1EEEEDaS12_S13_EUlS12_E_NS1_11comp_targetILNS1_3genE0ELNS1_11target_archE4294967295ELNS1_3gpuE0ELNS1_3repE0EEENS1_30default_config_static_selectorELNS0_4arch9wavefront6targetE0EEEvT1_
                                        ; -- End function
	.set _ZN7rocprim17ROCPRIM_400000_NS6detail17trampoline_kernelINS0_14default_configENS1_25partition_config_selectorILNS1_17partition_subalgoE8EjNS0_10empty_typeEbEEZZNS1_14partition_implILS5_8ELb0ES3_jPKjPS6_PKS6_NS0_5tupleIJPjS6_EEENSE_IJSB_SB_EEENS0_18inequality_wrapperIN6hipcub16HIPCUB_304000_NS8EqualityEEEPlJS6_EEE10hipError_tPvRmT3_T4_T5_T6_T7_T9_mT8_P12ihipStream_tbDpT10_ENKUlT_T0_E_clISt17integral_constantIbLb0EES16_IbLb1EEEEDaS12_S13_EUlS12_E_NS1_11comp_targetILNS1_3genE0ELNS1_11target_archE4294967295ELNS1_3gpuE0ELNS1_3repE0EEENS1_30default_config_static_selectorELNS0_4arch9wavefront6targetE0EEEvT1_.num_vgpr, 62
	.set _ZN7rocprim17ROCPRIM_400000_NS6detail17trampoline_kernelINS0_14default_configENS1_25partition_config_selectorILNS1_17partition_subalgoE8EjNS0_10empty_typeEbEEZZNS1_14partition_implILS5_8ELb0ES3_jPKjPS6_PKS6_NS0_5tupleIJPjS6_EEENSE_IJSB_SB_EEENS0_18inequality_wrapperIN6hipcub16HIPCUB_304000_NS8EqualityEEEPlJS6_EEE10hipError_tPvRmT3_T4_T5_T6_T7_T9_mT8_P12ihipStream_tbDpT10_ENKUlT_T0_E_clISt17integral_constantIbLb0EES16_IbLb1EEEEDaS12_S13_EUlS12_E_NS1_11comp_targetILNS1_3genE0ELNS1_11target_archE4294967295ELNS1_3gpuE0ELNS1_3repE0EEENS1_30default_config_static_selectorELNS0_4arch9wavefront6targetE0EEEvT1_.num_agpr, 0
	.set _ZN7rocprim17ROCPRIM_400000_NS6detail17trampoline_kernelINS0_14default_configENS1_25partition_config_selectorILNS1_17partition_subalgoE8EjNS0_10empty_typeEbEEZZNS1_14partition_implILS5_8ELb0ES3_jPKjPS6_PKS6_NS0_5tupleIJPjS6_EEENSE_IJSB_SB_EEENS0_18inequality_wrapperIN6hipcub16HIPCUB_304000_NS8EqualityEEEPlJS6_EEE10hipError_tPvRmT3_T4_T5_T6_T7_T9_mT8_P12ihipStream_tbDpT10_ENKUlT_T0_E_clISt17integral_constantIbLb0EES16_IbLb1EEEEDaS12_S13_EUlS12_E_NS1_11comp_targetILNS1_3genE0ELNS1_11target_archE4294967295ELNS1_3gpuE0ELNS1_3repE0EEENS1_30default_config_static_selectorELNS0_4arch9wavefront6targetE0EEEvT1_.numbered_sgpr, 32
	.set _ZN7rocprim17ROCPRIM_400000_NS6detail17trampoline_kernelINS0_14default_configENS1_25partition_config_selectorILNS1_17partition_subalgoE8EjNS0_10empty_typeEbEEZZNS1_14partition_implILS5_8ELb0ES3_jPKjPS6_PKS6_NS0_5tupleIJPjS6_EEENSE_IJSB_SB_EEENS0_18inequality_wrapperIN6hipcub16HIPCUB_304000_NS8EqualityEEEPlJS6_EEE10hipError_tPvRmT3_T4_T5_T6_T7_T9_mT8_P12ihipStream_tbDpT10_ENKUlT_T0_E_clISt17integral_constantIbLb0EES16_IbLb1EEEEDaS12_S13_EUlS12_E_NS1_11comp_targetILNS1_3genE0ELNS1_11target_archE4294967295ELNS1_3gpuE0ELNS1_3repE0EEENS1_30default_config_static_selectorELNS0_4arch9wavefront6targetE0EEEvT1_.num_named_barrier, 0
	.set _ZN7rocprim17ROCPRIM_400000_NS6detail17trampoline_kernelINS0_14default_configENS1_25partition_config_selectorILNS1_17partition_subalgoE8EjNS0_10empty_typeEbEEZZNS1_14partition_implILS5_8ELb0ES3_jPKjPS6_PKS6_NS0_5tupleIJPjS6_EEENSE_IJSB_SB_EEENS0_18inequality_wrapperIN6hipcub16HIPCUB_304000_NS8EqualityEEEPlJS6_EEE10hipError_tPvRmT3_T4_T5_T6_T7_T9_mT8_P12ihipStream_tbDpT10_ENKUlT_T0_E_clISt17integral_constantIbLb0EES16_IbLb1EEEEDaS12_S13_EUlS12_E_NS1_11comp_targetILNS1_3genE0ELNS1_11target_archE4294967295ELNS1_3gpuE0ELNS1_3repE0EEENS1_30default_config_static_selectorELNS0_4arch9wavefront6targetE0EEEvT1_.private_seg_size, 0
	.set _ZN7rocprim17ROCPRIM_400000_NS6detail17trampoline_kernelINS0_14default_configENS1_25partition_config_selectorILNS1_17partition_subalgoE8EjNS0_10empty_typeEbEEZZNS1_14partition_implILS5_8ELb0ES3_jPKjPS6_PKS6_NS0_5tupleIJPjS6_EEENSE_IJSB_SB_EEENS0_18inequality_wrapperIN6hipcub16HIPCUB_304000_NS8EqualityEEEPlJS6_EEE10hipError_tPvRmT3_T4_T5_T6_T7_T9_mT8_P12ihipStream_tbDpT10_ENKUlT_T0_E_clISt17integral_constantIbLb0EES16_IbLb1EEEEDaS12_S13_EUlS12_E_NS1_11comp_targetILNS1_3genE0ELNS1_11target_archE4294967295ELNS1_3gpuE0ELNS1_3repE0EEENS1_30default_config_static_selectorELNS0_4arch9wavefront6targetE0EEEvT1_.uses_vcc, 1
	.set _ZN7rocprim17ROCPRIM_400000_NS6detail17trampoline_kernelINS0_14default_configENS1_25partition_config_selectorILNS1_17partition_subalgoE8EjNS0_10empty_typeEbEEZZNS1_14partition_implILS5_8ELb0ES3_jPKjPS6_PKS6_NS0_5tupleIJPjS6_EEENSE_IJSB_SB_EEENS0_18inequality_wrapperIN6hipcub16HIPCUB_304000_NS8EqualityEEEPlJS6_EEE10hipError_tPvRmT3_T4_T5_T6_T7_T9_mT8_P12ihipStream_tbDpT10_ENKUlT_T0_E_clISt17integral_constantIbLb0EES16_IbLb1EEEEDaS12_S13_EUlS12_E_NS1_11comp_targetILNS1_3genE0ELNS1_11target_archE4294967295ELNS1_3gpuE0ELNS1_3repE0EEENS1_30default_config_static_selectorELNS0_4arch9wavefront6targetE0EEEvT1_.uses_flat_scratch, 0
	.set _ZN7rocprim17ROCPRIM_400000_NS6detail17trampoline_kernelINS0_14default_configENS1_25partition_config_selectorILNS1_17partition_subalgoE8EjNS0_10empty_typeEbEEZZNS1_14partition_implILS5_8ELb0ES3_jPKjPS6_PKS6_NS0_5tupleIJPjS6_EEENSE_IJSB_SB_EEENS0_18inequality_wrapperIN6hipcub16HIPCUB_304000_NS8EqualityEEEPlJS6_EEE10hipError_tPvRmT3_T4_T5_T6_T7_T9_mT8_P12ihipStream_tbDpT10_ENKUlT_T0_E_clISt17integral_constantIbLb0EES16_IbLb1EEEEDaS12_S13_EUlS12_E_NS1_11comp_targetILNS1_3genE0ELNS1_11target_archE4294967295ELNS1_3gpuE0ELNS1_3repE0EEENS1_30default_config_static_selectorELNS0_4arch9wavefront6targetE0EEEvT1_.has_dyn_sized_stack, 0
	.set _ZN7rocprim17ROCPRIM_400000_NS6detail17trampoline_kernelINS0_14default_configENS1_25partition_config_selectorILNS1_17partition_subalgoE8EjNS0_10empty_typeEbEEZZNS1_14partition_implILS5_8ELb0ES3_jPKjPS6_PKS6_NS0_5tupleIJPjS6_EEENSE_IJSB_SB_EEENS0_18inequality_wrapperIN6hipcub16HIPCUB_304000_NS8EqualityEEEPlJS6_EEE10hipError_tPvRmT3_T4_T5_T6_T7_T9_mT8_P12ihipStream_tbDpT10_ENKUlT_T0_E_clISt17integral_constantIbLb0EES16_IbLb1EEEEDaS12_S13_EUlS12_E_NS1_11comp_targetILNS1_3genE0ELNS1_11target_archE4294967295ELNS1_3gpuE0ELNS1_3repE0EEENS1_30default_config_static_selectorELNS0_4arch9wavefront6targetE0EEEvT1_.has_recursion, 0
	.set _ZN7rocprim17ROCPRIM_400000_NS6detail17trampoline_kernelINS0_14default_configENS1_25partition_config_selectorILNS1_17partition_subalgoE8EjNS0_10empty_typeEbEEZZNS1_14partition_implILS5_8ELb0ES3_jPKjPS6_PKS6_NS0_5tupleIJPjS6_EEENSE_IJSB_SB_EEENS0_18inequality_wrapperIN6hipcub16HIPCUB_304000_NS8EqualityEEEPlJS6_EEE10hipError_tPvRmT3_T4_T5_T6_T7_T9_mT8_P12ihipStream_tbDpT10_ENKUlT_T0_E_clISt17integral_constantIbLb0EES16_IbLb1EEEEDaS12_S13_EUlS12_E_NS1_11comp_targetILNS1_3genE0ELNS1_11target_archE4294967295ELNS1_3gpuE0ELNS1_3repE0EEENS1_30default_config_static_selectorELNS0_4arch9wavefront6targetE0EEEvT1_.has_indirect_call, 0
	.section	.AMDGPU.csdata,"",@progbits
; Kernel info:
; codeLenInByte = 8944
; TotalNumSgprs: 34
; NumVgprs: 62
; ScratchSize: 0
; MemoryBound: 0
; FloatMode: 240
; IeeeMode: 1
; LDSByteSize: 22536 bytes/workgroup (compile time only)
; SGPRBlocks: 0
; VGPRBlocks: 3
; NumSGPRsForWavesPerEU: 34
; NumVGPRsForWavesPerEU: 62
; NamedBarCnt: 0
; Occupancy: 16
; WaveLimiterHint : 1
; COMPUTE_PGM_RSRC2:SCRATCH_EN: 0
; COMPUTE_PGM_RSRC2:USER_SGPR: 2
; COMPUTE_PGM_RSRC2:TRAP_HANDLER: 0
; COMPUTE_PGM_RSRC2:TGID_X_EN: 1
; COMPUTE_PGM_RSRC2:TGID_Y_EN: 0
; COMPUTE_PGM_RSRC2:TGID_Z_EN: 0
; COMPUTE_PGM_RSRC2:TIDIG_COMP_CNT: 0
	.section	.text._ZN7rocprim17ROCPRIM_400000_NS6detail17trampoline_kernelINS0_14default_configENS1_25partition_config_selectorILNS1_17partition_subalgoE8EjNS0_10empty_typeEbEEZZNS1_14partition_implILS5_8ELb0ES3_jPKjPS6_PKS6_NS0_5tupleIJPjS6_EEENSE_IJSB_SB_EEENS0_18inequality_wrapperIN6hipcub16HIPCUB_304000_NS8EqualityEEEPlJS6_EEE10hipError_tPvRmT3_T4_T5_T6_T7_T9_mT8_P12ihipStream_tbDpT10_ENKUlT_T0_E_clISt17integral_constantIbLb0EES16_IbLb1EEEEDaS12_S13_EUlS12_E_NS1_11comp_targetILNS1_3genE5ELNS1_11target_archE942ELNS1_3gpuE9ELNS1_3repE0EEENS1_30default_config_static_selectorELNS0_4arch9wavefront6targetE0EEEvT1_,"axG",@progbits,_ZN7rocprim17ROCPRIM_400000_NS6detail17trampoline_kernelINS0_14default_configENS1_25partition_config_selectorILNS1_17partition_subalgoE8EjNS0_10empty_typeEbEEZZNS1_14partition_implILS5_8ELb0ES3_jPKjPS6_PKS6_NS0_5tupleIJPjS6_EEENSE_IJSB_SB_EEENS0_18inequality_wrapperIN6hipcub16HIPCUB_304000_NS8EqualityEEEPlJS6_EEE10hipError_tPvRmT3_T4_T5_T6_T7_T9_mT8_P12ihipStream_tbDpT10_ENKUlT_T0_E_clISt17integral_constantIbLb0EES16_IbLb1EEEEDaS12_S13_EUlS12_E_NS1_11comp_targetILNS1_3genE5ELNS1_11target_archE942ELNS1_3gpuE9ELNS1_3repE0EEENS1_30default_config_static_selectorELNS0_4arch9wavefront6targetE0EEEvT1_,comdat
	.protected	_ZN7rocprim17ROCPRIM_400000_NS6detail17trampoline_kernelINS0_14default_configENS1_25partition_config_selectorILNS1_17partition_subalgoE8EjNS0_10empty_typeEbEEZZNS1_14partition_implILS5_8ELb0ES3_jPKjPS6_PKS6_NS0_5tupleIJPjS6_EEENSE_IJSB_SB_EEENS0_18inequality_wrapperIN6hipcub16HIPCUB_304000_NS8EqualityEEEPlJS6_EEE10hipError_tPvRmT3_T4_T5_T6_T7_T9_mT8_P12ihipStream_tbDpT10_ENKUlT_T0_E_clISt17integral_constantIbLb0EES16_IbLb1EEEEDaS12_S13_EUlS12_E_NS1_11comp_targetILNS1_3genE5ELNS1_11target_archE942ELNS1_3gpuE9ELNS1_3repE0EEENS1_30default_config_static_selectorELNS0_4arch9wavefront6targetE0EEEvT1_ ; -- Begin function _ZN7rocprim17ROCPRIM_400000_NS6detail17trampoline_kernelINS0_14default_configENS1_25partition_config_selectorILNS1_17partition_subalgoE8EjNS0_10empty_typeEbEEZZNS1_14partition_implILS5_8ELb0ES3_jPKjPS6_PKS6_NS0_5tupleIJPjS6_EEENSE_IJSB_SB_EEENS0_18inequality_wrapperIN6hipcub16HIPCUB_304000_NS8EqualityEEEPlJS6_EEE10hipError_tPvRmT3_T4_T5_T6_T7_T9_mT8_P12ihipStream_tbDpT10_ENKUlT_T0_E_clISt17integral_constantIbLb0EES16_IbLb1EEEEDaS12_S13_EUlS12_E_NS1_11comp_targetILNS1_3genE5ELNS1_11target_archE942ELNS1_3gpuE9ELNS1_3repE0EEENS1_30default_config_static_selectorELNS0_4arch9wavefront6targetE0EEEvT1_
	.globl	_ZN7rocprim17ROCPRIM_400000_NS6detail17trampoline_kernelINS0_14default_configENS1_25partition_config_selectorILNS1_17partition_subalgoE8EjNS0_10empty_typeEbEEZZNS1_14partition_implILS5_8ELb0ES3_jPKjPS6_PKS6_NS0_5tupleIJPjS6_EEENSE_IJSB_SB_EEENS0_18inequality_wrapperIN6hipcub16HIPCUB_304000_NS8EqualityEEEPlJS6_EEE10hipError_tPvRmT3_T4_T5_T6_T7_T9_mT8_P12ihipStream_tbDpT10_ENKUlT_T0_E_clISt17integral_constantIbLb0EES16_IbLb1EEEEDaS12_S13_EUlS12_E_NS1_11comp_targetILNS1_3genE5ELNS1_11target_archE942ELNS1_3gpuE9ELNS1_3repE0EEENS1_30default_config_static_selectorELNS0_4arch9wavefront6targetE0EEEvT1_
	.p2align	8
	.type	_ZN7rocprim17ROCPRIM_400000_NS6detail17trampoline_kernelINS0_14default_configENS1_25partition_config_selectorILNS1_17partition_subalgoE8EjNS0_10empty_typeEbEEZZNS1_14partition_implILS5_8ELb0ES3_jPKjPS6_PKS6_NS0_5tupleIJPjS6_EEENSE_IJSB_SB_EEENS0_18inequality_wrapperIN6hipcub16HIPCUB_304000_NS8EqualityEEEPlJS6_EEE10hipError_tPvRmT3_T4_T5_T6_T7_T9_mT8_P12ihipStream_tbDpT10_ENKUlT_T0_E_clISt17integral_constantIbLb0EES16_IbLb1EEEEDaS12_S13_EUlS12_E_NS1_11comp_targetILNS1_3genE5ELNS1_11target_archE942ELNS1_3gpuE9ELNS1_3repE0EEENS1_30default_config_static_selectorELNS0_4arch9wavefront6targetE0EEEvT1_,@function
_ZN7rocprim17ROCPRIM_400000_NS6detail17trampoline_kernelINS0_14default_configENS1_25partition_config_selectorILNS1_17partition_subalgoE8EjNS0_10empty_typeEbEEZZNS1_14partition_implILS5_8ELb0ES3_jPKjPS6_PKS6_NS0_5tupleIJPjS6_EEENSE_IJSB_SB_EEENS0_18inequality_wrapperIN6hipcub16HIPCUB_304000_NS8EqualityEEEPlJS6_EEE10hipError_tPvRmT3_T4_T5_T6_T7_T9_mT8_P12ihipStream_tbDpT10_ENKUlT_T0_E_clISt17integral_constantIbLb0EES16_IbLb1EEEEDaS12_S13_EUlS12_E_NS1_11comp_targetILNS1_3genE5ELNS1_11target_archE942ELNS1_3gpuE9ELNS1_3repE0EEENS1_30default_config_static_selectorELNS0_4arch9wavefront6targetE0EEEvT1_: ; @_ZN7rocprim17ROCPRIM_400000_NS6detail17trampoline_kernelINS0_14default_configENS1_25partition_config_selectorILNS1_17partition_subalgoE8EjNS0_10empty_typeEbEEZZNS1_14partition_implILS5_8ELb0ES3_jPKjPS6_PKS6_NS0_5tupleIJPjS6_EEENSE_IJSB_SB_EEENS0_18inequality_wrapperIN6hipcub16HIPCUB_304000_NS8EqualityEEEPlJS6_EEE10hipError_tPvRmT3_T4_T5_T6_T7_T9_mT8_P12ihipStream_tbDpT10_ENKUlT_T0_E_clISt17integral_constantIbLb0EES16_IbLb1EEEEDaS12_S13_EUlS12_E_NS1_11comp_targetILNS1_3genE5ELNS1_11target_archE942ELNS1_3gpuE9ELNS1_3repE0EEENS1_30default_config_static_selectorELNS0_4arch9wavefront6targetE0EEEvT1_
; %bb.0:
	.section	.rodata,"a",@progbits
	.p2align	6, 0x0
	.amdhsa_kernel _ZN7rocprim17ROCPRIM_400000_NS6detail17trampoline_kernelINS0_14default_configENS1_25partition_config_selectorILNS1_17partition_subalgoE8EjNS0_10empty_typeEbEEZZNS1_14partition_implILS5_8ELb0ES3_jPKjPS6_PKS6_NS0_5tupleIJPjS6_EEENSE_IJSB_SB_EEENS0_18inequality_wrapperIN6hipcub16HIPCUB_304000_NS8EqualityEEEPlJS6_EEE10hipError_tPvRmT3_T4_T5_T6_T7_T9_mT8_P12ihipStream_tbDpT10_ENKUlT_T0_E_clISt17integral_constantIbLb0EES16_IbLb1EEEEDaS12_S13_EUlS12_E_NS1_11comp_targetILNS1_3genE5ELNS1_11target_archE942ELNS1_3gpuE9ELNS1_3repE0EEENS1_30default_config_static_selectorELNS0_4arch9wavefront6targetE0EEEvT1_
		.amdhsa_group_segment_fixed_size 0
		.amdhsa_private_segment_fixed_size 0
		.amdhsa_kernarg_size 128
		.amdhsa_user_sgpr_count 2
		.amdhsa_user_sgpr_dispatch_ptr 0
		.amdhsa_user_sgpr_queue_ptr 0
		.amdhsa_user_sgpr_kernarg_segment_ptr 1
		.amdhsa_user_sgpr_dispatch_id 0
		.amdhsa_user_sgpr_kernarg_preload_length 0
		.amdhsa_user_sgpr_kernarg_preload_offset 0
		.amdhsa_user_sgpr_private_segment_size 0
		.amdhsa_wavefront_size32 1
		.amdhsa_uses_dynamic_stack 0
		.amdhsa_enable_private_segment 0
		.amdhsa_system_sgpr_workgroup_id_x 1
		.amdhsa_system_sgpr_workgroup_id_y 0
		.amdhsa_system_sgpr_workgroup_id_z 0
		.amdhsa_system_sgpr_workgroup_info 0
		.amdhsa_system_vgpr_workitem_id 0
		.amdhsa_next_free_vgpr 1
		.amdhsa_next_free_sgpr 1
		.amdhsa_named_barrier_count 0
		.amdhsa_reserve_vcc 0
		.amdhsa_float_round_mode_32 0
		.amdhsa_float_round_mode_16_64 0
		.amdhsa_float_denorm_mode_32 3
		.amdhsa_float_denorm_mode_16_64 3
		.amdhsa_fp16_overflow 0
		.amdhsa_memory_ordered 1
		.amdhsa_forward_progress 1
		.amdhsa_inst_pref_size 0
		.amdhsa_round_robin_scheduling 0
		.amdhsa_exception_fp_ieee_invalid_op 0
		.amdhsa_exception_fp_denorm_src 0
		.amdhsa_exception_fp_ieee_div_zero 0
		.amdhsa_exception_fp_ieee_overflow 0
		.amdhsa_exception_fp_ieee_underflow 0
		.amdhsa_exception_fp_ieee_inexact 0
		.amdhsa_exception_int_div_zero 0
	.end_amdhsa_kernel
	.section	.text._ZN7rocprim17ROCPRIM_400000_NS6detail17trampoline_kernelINS0_14default_configENS1_25partition_config_selectorILNS1_17partition_subalgoE8EjNS0_10empty_typeEbEEZZNS1_14partition_implILS5_8ELb0ES3_jPKjPS6_PKS6_NS0_5tupleIJPjS6_EEENSE_IJSB_SB_EEENS0_18inequality_wrapperIN6hipcub16HIPCUB_304000_NS8EqualityEEEPlJS6_EEE10hipError_tPvRmT3_T4_T5_T6_T7_T9_mT8_P12ihipStream_tbDpT10_ENKUlT_T0_E_clISt17integral_constantIbLb0EES16_IbLb1EEEEDaS12_S13_EUlS12_E_NS1_11comp_targetILNS1_3genE5ELNS1_11target_archE942ELNS1_3gpuE9ELNS1_3repE0EEENS1_30default_config_static_selectorELNS0_4arch9wavefront6targetE0EEEvT1_,"axG",@progbits,_ZN7rocprim17ROCPRIM_400000_NS6detail17trampoline_kernelINS0_14default_configENS1_25partition_config_selectorILNS1_17partition_subalgoE8EjNS0_10empty_typeEbEEZZNS1_14partition_implILS5_8ELb0ES3_jPKjPS6_PKS6_NS0_5tupleIJPjS6_EEENSE_IJSB_SB_EEENS0_18inequality_wrapperIN6hipcub16HIPCUB_304000_NS8EqualityEEEPlJS6_EEE10hipError_tPvRmT3_T4_T5_T6_T7_T9_mT8_P12ihipStream_tbDpT10_ENKUlT_T0_E_clISt17integral_constantIbLb0EES16_IbLb1EEEEDaS12_S13_EUlS12_E_NS1_11comp_targetILNS1_3genE5ELNS1_11target_archE942ELNS1_3gpuE9ELNS1_3repE0EEENS1_30default_config_static_selectorELNS0_4arch9wavefront6targetE0EEEvT1_,comdat
.Lfunc_end642:
	.size	_ZN7rocprim17ROCPRIM_400000_NS6detail17trampoline_kernelINS0_14default_configENS1_25partition_config_selectorILNS1_17partition_subalgoE8EjNS0_10empty_typeEbEEZZNS1_14partition_implILS5_8ELb0ES3_jPKjPS6_PKS6_NS0_5tupleIJPjS6_EEENSE_IJSB_SB_EEENS0_18inequality_wrapperIN6hipcub16HIPCUB_304000_NS8EqualityEEEPlJS6_EEE10hipError_tPvRmT3_T4_T5_T6_T7_T9_mT8_P12ihipStream_tbDpT10_ENKUlT_T0_E_clISt17integral_constantIbLb0EES16_IbLb1EEEEDaS12_S13_EUlS12_E_NS1_11comp_targetILNS1_3genE5ELNS1_11target_archE942ELNS1_3gpuE9ELNS1_3repE0EEENS1_30default_config_static_selectorELNS0_4arch9wavefront6targetE0EEEvT1_, .Lfunc_end642-_ZN7rocprim17ROCPRIM_400000_NS6detail17trampoline_kernelINS0_14default_configENS1_25partition_config_selectorILNS1_17partition_subalgoE8EjNS0_10empty_typeEbEEZZNS1_14partition_implILS5_8ELb0ES3_jPKjPS6_PKS6_NS0_5tupleIJPjS6_EEENSE_IJSB_SB_EEENS0_18inequality_wrapperIN6hipcub16HIPCUB_304000_NS8EqualityEEEPlJS6_EEE10hipError_tPvRmT3_T4_T5_T6_T7_T9_mT8_P12ihipStream_tbDpT10_ENKUlT_T0_E_clISt17integral_constantIbLb0EES16_IbLb1EEEEDaS12_S13_EUlS12_E_NS1_11comp_targetILNS1_3genE5ELNS1_11target_archE942ELNS1_3gpuE9ELNS1_3repE0EEENS1_30default_config_static_selectorELNS0_4arch9wavefront6targetE0EEEvT1_
                                        ; -- End function
	.set _ZN7rocprim17ROCPRIM_400000_NS6detail17trampoline_kernelINS0_14default_configENS1_25partition_config_selectorILNS1_17partition_subalgoE8EjNS0_10empty_typeEbEEZZNS1_14partition_implILS5_8ELb0ES3_jPKjPS6_PKS6_NS0_5tupleIJPjS6_EEENSE_IJSB_SB_EEENS0_18inequality_wrapperIN6hipcub16HIPCUB_304000_NS8EqualityEEEPlJS6_EEE10hipError_tPvRmT3_T4_T5_T6_T7_T9_mT8_P12ihipStream_tbDpT10_ENKUlT_T0_E_clISt17integral_constantIbLb0EES16_IbLb1EEEEDaS12_S13_EUlS12_E_NS1_11comp_targetILNS1_3genE5ELNS1_11target_archE942ELNS1_3gpuE9ELNS1_3repE0EEENS1_30default_config_static_selectorELNS0_4arch9wavefront6targetE0EEEvT1_.num_vgpr, 0
	.set _ZN7rocprim17ROCPRIM_400000_NS6detail17trampoline_kernelINS0_14default_configENS1_25partition_config_selectorILNS1_17partition_subalgoE8EjNS0_10empty_typeEbEEZZNS1_14partition_implILS5_8ELb0ES3_jPKjPS6_PKS6_NS0_5tupleIJPjS6_EEENSE_IJSB_SB_EEENS0_18inequality_wrapperIN6hipcub16HIPCUB_304000_NS8EqualityEEEPlJS6_EEE10hipError_tPvRmT3_T4_T5_T6_T7_T9_mT8_P12ihipStream_tbDpT10_ENKUlT_T0_E_clISt17integral_constantIbLb0EES16_IbLb1EEEEDaS12_S13_EUlS12_E_NS1_11comp_targetILNS1_3genE5ELNS1_11target_archE942ELNS1_3gpuE9ELNS1_3repE0EEENS1_30default_config_static_selectorELNS0_4arch9wavefront6targetE0EEEvT1_.num_agpr, 0
	.set _ZN7rocprim17ROCPRIM_400000_NS6detail17trampoline_kernelINS0_14default_configENS1_25partition_config_selectorILNS1_17partition_subalgoE8EjNS0_10empty_typeEbEEZZNS1_14partition_implILS5_8ELb0ES3_jPKjPS6_PKS6_NS0_5tupleIJPjS6_EEENSE_IJSB_SB_EEENS0_18inequality_wrapperIN6hipcub16HIPCUB_304000_NS8EqualityEEEPlJS6_EEE10hipError_tPvRmT3_T4_T5_T6_T7_T9_mT8_P12ihipStream_tbDpT10_ENKUlT_T0_E_clISt17integral_constantIbLb0EES16_IbLb1EEEEDaS12_S13_EUlS12_E_NS1_11comp_targetILNS1_3genE5ELNS1_11target_archE942ELNS1_3gpuE9ELNS1_3repE0EEENS1_30default_config_static_selectorELNS0_4arch9wavefront6targetE0EEEvT1_.numbered_sgpr, 0
	.set _ZN7rocprim17ROCPRIM_400000_NS6detail17trampoline_kernelINS0_14default_configENS1_25partition_config_selectorILNS1_17partition_subalgoE8EjNS0_10empty_typeEbEEZZNS1_14partition_implILS5_8ELb0ES3_jPKjPS6_PKS6_NS0_5tupleIJPjS6_EEENSE_IJSB_SB_EEENS0_18inequality_wrapperIN6hipcub16HIPCUB_304000_NS8EqualityEEEPlJS6_EEE10hipError_tPvRmT3_T4_T5_T6_T7_T9_mT8_P12ihipStream_tbDpT10_ENKUlT_T0_E_clISt17integral_constantIbLb0EES16_IbLb1EEEEDaS12_S13_EUlS12_E_NS1_11comp_targetILNS1_3genE5ELNS1_11target_archE942ELNS1_3gpuE9ELNS1_3repE0EEENS1_30default_config_static_selectorELNS0_4arch9wavefront6targetE0EEEvT1_.num_named_barrier, 0
	.set _ZN7rocprim17ROCPRIM_400000_NS6detail17trampoline_kernelINS0_14default_configENS1_25partition_config_selectorILNS1_17partition_subalgoE8EjNS0_10empty_typeEbEEZZNS1_14partition_implILS5_8ELb0ES3_jPKjPS6_PKS6_NS0_5tupleIJPjS6_EEENSE_IJSB_SB_EEENS0_18inequality_wrapperIN6hipcub16HIPCUB_304000_NS8EqualityEEEPlJS6_EEE10hipError_tPvRmT3_T4_T5_T6_T7_T9_mT8_P12ihipStream_tbDpT10_ENKUlT_T0_E_clISt17integral_constantIbLb0EES16_IbLb1EEEEDaS12_S13_EUlS12_E_NS1_11comp_targetILNS1_3genE5ELNS1_11target_archE942ELNS1_3gpuE9ELNS1_3repE0EEENS1_30default_config_static_selectorELNS0_4arch9wavefront6targetE0EEEvT1_.private_seg_size, 0
	.set _ZN7rocprim17ROCPRIM_400000_NS6detail17trampoline_kernelINS0_14default_configENS1_25partition_config_selectorILNS1_17partition_subalgoE8EjNS0_10empty_typeEbEEZZNS1_14partition_implILS5_8ELb0ES3_jPKjPS6_PKS6_NS0_5tupleIJPjS6_EEENSE_IJSB_SB_EEENS0_18inequality_wrapperIN6hipcub16HIPCUB_304000_NS8EqualityEEEPlJS6_EEE10hipError_tPvRmT3_T4_T5_T6_T7_T9_mT8_P12ihipStream_tbDpT10_ENKUlT_T0_E_clISt17integral_constantIbLb0EES16_IbLb1EEEEDaS12_S13_EUlS12_E_NS1_11comp_targetILNS1_3genE5ELNS1_11target_archE942ELNS1_3gpuE9ELNS1_3repE0EEENS1_30default_config_static_selectorELNS0_4arch9wavefront6targetE0EEEvT1_.uses_vcc, 0
	.set _ZN7rocprim17ROCPRIM_400000_NS6detail17trampoline_kernelINS0_14default_configENS1_25partition_config_selectorILNS1_17partition_subalgoE8EjNS0_10empty_typeEbEEZZNS1_14partition_implILS5_8ELb0ES3_jPKjPS6_PKS6_NS0_5tupleIJPjS6_EEENSE_IJSB_SB_EEENS0_18inequality_wrapperIN6hipcub16HIPCUB_304000_NS8EqualityEEEPlJS6_EEE10hipError_tPvRmT3_T4_T5_T6_T7_T9_mT8_P12ihipStream_tbDpT10_ENKUlT_T0_E_clISt17integral_constantIbLb0EES16_IbLb1EEEEDaS12_S13_EUlS12_E_NS1_11comp_targetILNS1_3genE5ELNS1_11target_archE942ELNS1_3gpuE9ELNS1_3repE0EEENS1_30default_config_static_selectorELNS0_4arch9wavefront6targetE0EEEvT1_.uses_flat_scratch, 0
	.set _ZN7rocprim17ROCPRIM_400000_NS6detail17trampoline_kernelINS0_14default_configENS1_25partition_config_selectorILNS1_17partition_subalgoE8EjNS0_10empty_typeEbEEZZNS1_14partition_implILS5_8ELb0ES3_jPKjPS6_PKS6_NS0_5tupleIJPjS6_EEENSE_IJSB_SB_EEENS0_18inequality_wrapperIN6hipcub16HIPCUB_304000_NS8EqualityEEEPlJS6_EEE10hipError_tPvRmT3_T4_T5_T6_T7_T9_mT8_P12ihipStream_tbDpT10_ENKUlT_T0_E_clISt17integral_constantIbLb0EES16_IbLb1EEEEDaS12_S13_EUlS12_E_NS1_11comp_targetILNS1_3genE5ELNS1_11target_archE942ELNS1_3gpuE9ELNS1_3repE0EEENS1_30default_config_static_selectorELNS0_4arch9wavefront6targetE0EEEvT1_.has_dyn_sized_stack, 0
	.set _ZN7rocprim17ROCPRIM_400000_NS6detail17trampoline_kernelINS0_14default_configENS1_25partition_config_selectorILNS1_17partition_subalgoE8EjNS0_10empty_typeEbEEZZNS1_14partition_implILS5_8ELb0ES3_jPKjPS6_PKS6_NS0_5tupleIJPjS6_EEENSE_IJSB_SB_EEENS0_18inequality_wrapperIN6hipcub16HIPCUB_304000_NS8EqualityEEEPlJS6_EEE10hipError_tPvRmT3_T4_T5_T6_T7_T9_mT8_P12ihipStream_tbDpT10_ENKUlT_T0_E_clISt17integral_constantIbLb0EES16_IbLb1EEEEDaS12_S13_EUlS12_E_NS1_11comp_targetILNS1_3genE5ELNS1_11target_archE942ELNS1_3gpuE9ELNS1_3repE0EEENS1_30default_config_static_selectorELNS0_4arch9wavefront6targetE0EEEvT1_.has_recursion, 0
	.set _ZN7rocprim17ROCPRIM_400000_NS6detail17trampoline_kernelINS0_14default_configENS1_25partition_config_selectorILNS1_17partition_subalgoE8EjNS0_10empty_typeEbEEZZNS1_14partition_implILS5_8ELb0ES3_jPKjPS6_PKS6_NS0_5tupleIJPjS6_EEENSE_IJSB_SB_EEENS0_18inequality_wrapperIN6hipcub16HIPCUB_304000_NS8EqualityEEEPlJS6_EEE10hipError_tPvRmT3_T4_T5_T6_T7_T9_mT8_P12ihipStream_tbDpT10_ENKUlT_T0_E_clISt17integral_constantIbLb0EES16_IbLb1EEEEDaS12_S13_EUlS12_E_NS1_11comp_targetILNS1_3genE5ELNS1_11target_archE942ELNS1_3gpuE9ELNS1_3repE0EEENS1_30default_config_static_selectorELNS0_4arch9wavefront6targetE0EEEvT1_.has_indirect_call, 0
	.section	.AMDGPU.csdata,"",@progbits
; Kernel info:
; codeLenInByte = 0
; TotalNumSgprs: 0
; NumVgprs: 0
; ScratchSize: 0
; MemoryBound: 0
; FloatMode: 240
; IeeeMode: 1
; LDSByteSize: 0 bytes/workgroup (compile time only)
; SGPRBlocks: 0
; VGPRBlocks: 0
; NumSGPRsForWavesPerEU: 1
; NumVGPRsForWavesPerEU: 1
; NamedBarCnt: 0
; Occupancy: 16
; WaveLimiterHint : 0
; COMPUTE_PGM_RSRC2:SCRATCH_EN: 0
; COMPUTE_PGM_RSRC2:USER_SGPR: 2
; COMPUTE_PGM_RSRC2:TRAP_HANDLER: 0
; COMPUTE_PGM_RSRC2:TGID_X_EN: 1
; COMPUTE_PGM_RSRC2:TGID_Y_EN: 0
; COMPUTE_PGM_RSRC2:TGID_Z_EN: 0
; COMPUTE_PGM_RSRC2:TIDIG_COMP_CNT: 0
	.section	.text._ZN7rocprim17ROCPRIM_400000_NS6detail17trampoline_kernelINS0_14default_configENS1_25partition_config_selectorILNS1_17partition_subalgoE8EjNS0_10empty_typeEbEEZZNS1_14partition_implILS5_8ELb0ES3_jPKjPS6_PKS6_NS0_5tupleIJPjS6_EEENSE_IJSB_SB_EEENS0_18inequality_wrapperIN6hipcub16HIPCUB_304000_NS8EqualityEEEPlJS6_EEE10hipError_tPvRmT3_T4_T5_T6_T7_T9_mT8_P12ihipStream_tbDpT10_ENKUlT_T0_E_clISt17integral_constantIbLb0EES16_IbLb1EEEEDaS12_S13_EUlS12_E_NS1_11comp_targetILNS1_3genE4ELNS1_11target_archE910ELNS1_3gpuE8ELNS1_3repE0EEENS1_30default_config_static_selectorELNS0_4arch9wavefront6targetE0EEEvT1_,"axG",@progbits,_ZN7rocprim17ROCPRIM_400000_NS6detail17trampoline_kernelINS0_14default_configENS1_25partition_config_selectorILNS1_17partition_subalgoE8EjNS0_10empty_typeEbEEZZNS1_14partition_implILS5_8ELb0ES3_jPKjPS6_PKS6_NS0_5tupleIJPjS6_EEENSE_IJSB_SB_EEENS0_18inequality_wrapperIN6hipcub16HIPCUB_304000_NS8EqualityEEEPlJS6_EEE10hipError_tPvRmT3_T4_T5_T6_T7_T9_mT8_P12ihipStream_tbDpT10_ENKUlT_T0_E_clISt17integral_constantIbLb0EES16_IbLb1EEEEDaS12_S13_EUlS12_E_NS1_11comp_targetILNS1_3genE4ELNS1_11target_archE910ELNS1_3gpuE8ELNS1_3repE0EEENS1_30default_config_static_selectorELNS0_4arch9wavefront6targetE0EEEvT1_,comdat
	.protected	_ZN7rocprim17ROCPRIM_400000_NS6detail17trampoline_kernelINS0_14default_configENS1_25partition_config_selectorILNS1_17partition_subalgoE8EjNS0_10empty_typeEbEEZZNS1_14partition_implILS5_8ELb0ES3_jPKjPS6_PKS6_NS0_5tupleIJPjS6_EEENSE_IJSB_SB_EEENS0_18inequality_wrapperIN6hipcub16HIPCUB_304000_NS8EqualityEEEPlJS6_EEE10hipError_tPvRmT3_T4_T5_T6_T7_T9_mT8_P12ihipStream_tbDpT10_ENKUlT_T0_E_clISt17integral_constantIbLb0EES16_IbLb1EEEEDaS12_S13_EUlS12_E_NS1_11comp_targetILNS1_3genE4ELNS1_11target_archE910ELNS1_3gpuE8ELNS1_3repE0EEENS1_30default_config_static_selectorELNS0_4arch9wavefront6targetE0EEEvT1_ ; -- Begin function _ZN7rocprim17ROCPRIM_400000_NS6detail17trampoline_kernelINS0_14default_configENS1_25partition_config_selectorILNS1_17partition_subalgoE8EjNS0_10empty_typeEbEEZZNS1_14partition_implILS5_8ELb0ES3_jPKjPS6_PKS6_NS0_5tupleIJPjS6_EEENSE_IJSB_SB_EEENS0_18inequality_wrapperIN6hipcub16HIPCUB_304000_NS8EqualityEEEPlJS6_EEE10hipError_tPvRmT3_T4_T5_T6_T7_T9_mT8_P12ihipStream_tbDpT10_ENKUlT_T0_E_clISt17integral_constantIbLb0EES16_IbLb1EEEEDaS12_S13_EUlS12_E_NS1_11comp_targetILNS1_3genE4ELNS1_11target_archE910ELNS1_3gpuE8ELNS1_3repE0EEENS1_30default_config_static_selectorELNS0_4arch9wavefront6targetE0EEEvT1_
	.globl	_ZN7rocprim17ROCPRIM_400000_NS6detail17trampoline_kernelINS0_14default_configENS1_25partition_config_selectorILNS1_17partition_subalgoE8EjNS0_10empty_typeEbEEZZNS1_14partition_implILS5_8ELb0ES3_jPKjPS6_PKS6_NS0_5tupleIJPjS6_EEENSE_IJSB_SB_EEENS0_18inequality_wrapperIN6hipcub16HIPCUB_304000_NS8EqualityEEEPlJS6_EEE10hipError_tPvRmT3_T4_T5_T6_T7_T9_mT8_P12ihipStream_tbDpT10_ENKUlT_T0_E_clISt17integral_constantIbLb0EES16_IbLb1EEEEDaS12_S13_EUlS12_E_NS1_11comp_targetILNS1_3genE4ELNS1_11target_archE910ELNS1_3gpuE8ELNS1_3repE0EEENS1_30default_config_static_selectorELNS0_4arch9wavefront6targetE0EEEvT1_
	.p2align	8
	.type	_ZN7rocprim17ROCPRIM_400000_NS6detail17trampoline_kernelINS0_14default_configENS1_25partition_config_selectorILNS1_17partition_subalgoE8EjNS0_10empty_typeEbEEZZNS1_14partition_implILS5_8ELb0ES3_jPKjPS6_PKS6_NS0_5tupleIJPjS6_EEENSE_IJSB_SB_EEENS0_18inequality_wrapperIN6hipcub16HIPCUB_304000_NS8EqualityEEEPlJS6_EEE10hipError_tPvRmT3_T4_T5_T6_T7_T9_mT8_P12ihipStream_tbDpT10_ENKUlT_T0_E_clISt17integral_constantIbLb0EES16_IbLb1EEEEDaS12_S13_EUlS12_E_NS1_11comp_targetILNS1_3genE4ELNS1_11target_archE910ELNS1_3gpuE8ELNS1_3repE0EEENS1_30default_config_static_selectorELNS0_4arch9wavefront6targetE0EEEvT1_,@function
_ZN7rocprim17ROCPRIM_400000_NS6detail17trampoline_kernelINS0_14default_configENS1_25partition_config_selectorILNS1_17partition_subalgoE8EjNS0_10empty_typeEbEEZZNS1_14partition_implILS5_8ELb0ES3_jPKjPS6_PKS6_NS0_5tupleIJPjS6_EEENSE_IJSB_SB_EEENS0_18inequality_wrapperIN6hipcub16HIPCUB_304000_NS8EqualityEEEPlJS6_EEE10hipError_tPvRmT3_T4_T5_T6_T7_T9_mT8_P12ihipStream_tbDpT10_ENKUlT_T0_E_clISt17integral_constantIbLb0EES16_IbLb1EEEEDaS12_S13_EUlS12_E_NS1_11comp_targetILNS1_3genE4ELNS1_11target_archE910ELNS1_3gpuE8ELNS1_3repE0EEENS1_30default_config_static_selectorELNS0_4arch9wavefront6targetE0EEEvT1_: ; @_ZN7rocprim17ROCPRIM_400000_NS6detail17trampoline_kernelINS0_14default_configENS1_25partition_config_selectorILNS1_17partition_subalgoE8EjNS0_10empty_typeEbEEZZNS1_14partition_implILS5_8ELb0ES3_jPKjPS6_PKS6_NS0_5tupleIJPjS6_EEENSE_IJSB_SB_EEENS0_18inequality_wrapperIN6hipcub16HIPCUB_304000_NS8EqualityEEEPlJS6_EEE10hipError_tPvRmT3_T4_T5_T6_T7_T9_mT8_P12ihipStream_tbDpT10_ENKUlT_T0_E_clISt17integral_constantIbLb0EES16_IbLb1EEEEDaS12_S13_EUlS12_E_NS1_11comp_targetILNS1_3genE4ELNS1_11target_archE910ELNS1_3gpuE8ELNS1_3repE0EEENS1_30default_config_static_selectorELNS0_4arch9wavefront6targetE0EEEvT1_
; %bb.0:
	.section	.rodata,"a",@progbits
	.p2align	6, 0x0
	.amdhsa_kernel _ZN7rocprim17ROCPRIM_400000_NS6detail17trampoline_kernelINS0_14default_configENS1_25partition_config_selectorILNS1_17partition_subalgoE8EjNS0_10empty_typeEbEEZZNS1_14partition_implILS5_8ELb0ES3_jPKjPS6_PKS6_NS0_5tupleIJPjS6_EEENSE_IJSB_SB_EEENS0_18inequality_wrapperIN6hipcub16HIPCUB_304000_NS8EqualityEEEPlJS6_EEE10hipError_tPvRmT3_T4_T5_T6_T7_T9_mT8_P12ihipStream_tbDpT10_ENKUlT_T0_E_clISt17integral_constantIbLb0EES16_IbLb1EEEEDaS12_S13_EUlS12_E_NS1_11comp_targetILNS1_3genE4ELNS1_11target_archE910ELNS1_3gpuE8ELNS1_3repE0EEENS1_30default_config_static_selectorELNS0_4arch9wavefront6targetE0EEEvT1_
		.amdhsa_group_segment_fixed_size 0
		.amdhsa_private_segment_fixed_size 0
		.amdhsa_kernarg_size 128
		.amdhsa_user_sgpr_count 2
		.amdhsa_user_sgpr_dispatch_ptr 0
		.amdhsa_user_sgpr_queue_ptr 0
		.amdhsa_user_sgpr_kernarg_segment_ptr 1
		.amdhsa_user_sgpr_dispatch_id 0
		.amdhsa_user_sgpr_kernarg_preload_length 0
		.amdhsa_user_sgpr_kernarg_preload_offset 0
		.amdhsa_user_sgpr_private_segment_size 0
		.amdhsa_wavefront_size32 1
		.amdhsa_uses_dynamic_stack 0
		.amdhsa_enable_private_segment 0
		.amdhsa_system_sgpr_workgroup_id_x 1
		.amdhsa_system_sgpr_workgroup_id_y 0
		.amdhsa_system_sgpr_workgroup_id_z 0
		.amdhsa_system_sgpr_workgroup_info 0
		.amdhsa_system_vgpr_workitem_id 0
		.amdhsa_next_free_vgpr 1
		.amdhsa_next_free_sgpr 1
		.amdhsa_named_barrier_count 0
		.amdhsa_reserve_vcc 0
		.amdhsa_float_round_mode_32 0
		.amdhsa_float_round_mode_16_64 0
		.amdhsa_float_denorm_mode_32 3
		.amdhsa_float_denorm_mode_16_64 3
		.amdhsa_fp16_overflow 0
		.amdhsa_memory_ordered 1
		.amdhsa_forward_progress 1
		.amdhsa_inst_pref_size 0
		.amdhsa_round_robin_scheduling 0
		.amdhsa_exception_fp_ieee_invalid_op 0
		.amdhsa_exception_fp_denorm_src 0
		.amdhsa_exception_fp_ieee_div_zero 0
		.amdhsa_exception_fp_ieee_overflow 0
		.amdhsa_exception_fp_ieee_underflow 0
		.amdhsa_exception_fp_ieee_inexact 0
		.amdhsa_exception_int_div_zero 0
	.end_amdhsa_kernel
	.section	.text._ZN7rocprim17ROCPRIM_400000_NS6detail17trampoline_kernelINS0_14default_configENS1_25partition_config_selectorILNS1_17partition_subalgoE8EjNS0_10empty_typeEbEEZZNS1_14partition_implILS5_8ELb0ES3_jPKjPS6_PKS6_NS0_5tupleIJPjS6_EEENSE_IJSB_SB_EEENS0_18inequality_wrapperIN6hipcub16HIPCUB_304000_NS8EqualityEEEPlJS6_EEE10hipError_tPvRmT3_T4_T5_T6_T7_T9_mT8_P12ihipStream_tbDpT10_ENKUlT_T0_E_clISt17integral_constantIbLb0EES16_IbLb1EEEEDaS12_S13_EUlS12_E_NS1_11comp_targetILNS1_3genE4ELNS1_11target_archE910ELNS1_3gpuE8ELNS1_3repE0EEENS1_30default_config_static_selectorELNS0_4arch9wavefront6targetE0EEEvT1_,"axG",@progbits,_ZN7rocprim17ROCPRIM_400000_NS6detail17trampoline_kernelINS0_14default_configENS1_25partition_config_selectorILNS1_17partition_subalgoE8EjNS0_10empty_typeEbEEZZNS1_14partition_implILS5_8ELb0ES3_jPKjPS6_PKS6_NS0_5tupleIJPjS6_EEENSE_IJSB_SB_EEENS0_18inequality_wrapperIN6hipcub16HIPCUB_304000_NS8EqualityEEEPlJS6_EEE10hipError_tPvRmT3_T4_T5_T6_T7_T9_mT8_P12ihipStream_tbDpT10_ENKUlT_T0_E_clISt17integral_constantIbLb0EES16_IbLb1EEEEDaS12_S13_EUlS12_E_NS1_11comp_targetILNS1_3genE4ELNS1_11target_archE910ELNS1_3gpuE8ELNS1_3repE0EEENS1_30default_config_static_selectorELNS0_4arch9wavefront6targetE0EEEvT1_,comdat
.Lfunc_end643:
	.size	_ZN7rocprim17ROCPRIM_400000_NS6detail17trampoline_kernelINS0_14default_configENS1_25partition_config_selectorILNS1_17partition_subalgoE8EjNS0_10empty_typeEbEEZZNS1_14partition_implILS5_8ELb0ES3_jPKjPS6_PKS6_NS0_5tupleIJPjS6_EEENSE_IJSB_SB_EEENS0_18inequality_wrapperIN6hipcub16HIPCUB_304000_NS8EqualityEEEPlJS6_EEE10hipError_tPvRmT3_T4_T5_T6_T7_T9_mT8_P12ihipStream_tbDpT10_ENKUlT_T0_E_clISt17integral_constantIbLb0EES16_IbLb1EEEEDaS12_S13_EUlS12_E_NS1_11comp_targetILNS1_3genE4ELNS1_11target_archE910ELNS1_3gpuE8ELNS1_3repE0EEENS1_30default_config_static_selectorELNS0_4arch9wavefront6targetE0EEEvT1_, .Lfunc_end643-_ZN7rocprim17ROCPRIM_400000_NS6detail17trampoline_kernelINS0_14default_configENS1_25partition_config_selectorILNS1_17partition_subalgoE8EjNS0_10empty_typeEbEEZZNS1_14partition_implILS5_8ELb0ES3_jPKjPS6_PKS6_NS0_5tupleIJPjS6_EEENSE_IJSB_SB_EEENS0_18inequality_wrapperIN6hipcub16HIPCUB_304000_NS8EqualityEEEPlJS6_EEE10hipError_tPvRmT3_T4_T5_T6_T7_T9_mT8_P12ihipStream_tbDpT10_ENKUlT_T0_E_clISt17integral_constantIbLb0EES16_IbLb1EEEEDaS12_S13_EUlS12_E_NS1_11comp_targetILNS1_3genE4ELNS1_11target_archE910ELNS1_3gpuE8ELNS1_3repE0EEENS1_30default_config_static_selectorELNS0_4arch9wavefront6targetE0EEEvT1_
                                        ; -- End function
	.set _ZN7rocprim17ROCPRIM_400000_NS6detail17trampoline_kernelINS0_14default_configENS1_25partition_config_selectorILNS1_17partition_subalgoE8EjNS0_10empty_typeEbEEZZNS1_14partition_implILS5_8ELb0ES3_jPKjPS6_PKS6_NS0_5tupleIJPjS6_EEENSE_IJSB_SB_EEENS0_18inequality_wrapperIN6hipcub16HIPCUB_304000_NS8EqualityEEEPlJS6_EEE10hipError_tPvRmT3_T4_T5_T6_T7_T9_mT8_P12ihipStream_tbDpT10_ENKUlT_T0_E_clISt17integral_constantIbLb0EES16_IbLb1EEEEDaS12_S13_EUlS12_E_NS1_11comp_targetILNS1_3genE4ELNS1_11target_archE910ELNS1_3gpuE8ELNS1_3repE0EEENS1_30default_config_static_selectorELNS0_4arch9wavefront6targetE0EEEvT1_.num_vgpr, 0
	.set _ZN7rocprim17ROCPRIM_400000_NS6detail17trampoline_kernelINS0_14default_configENS1_25partition_config_selectorILNS1_17partition_subalgoE8EjNS0_10empty_typeEbEEZZNS1_14partition_implILS5_8ELb0ES3_jPKjPS6_PKS6_NS0_5tupleIJPjS6_EEENSE_IJSB_SB_EEENS0_18inequality_wrapperIN6hipcub16HIPCUB_304000_NS8EqualityEEEPlJS6_EEE10hipError_tPvRmT3_T4_T5_T6_T7_T9_mT8_P12ihipStream_tbDpT10_ENKUlT_T0_E_clISt17integral_constantIbLb0EES16_IbLb1EEEEDaS12_S13_EUlS12_E_NS1_11comp_targetILNS1_3genE4ELNS1_11target_archE910ELNS1_3gpuE8ELNS1_3repE0EEENS1_30default_config_static_selectorELNS0_4arch9wavefront6targetE0EEEvT1_.num_agpr, 0
	.set _ZN7rocprim17ROCPRIM_400000_NS6detail17trampoline_kernelINS0_14default_configENS1_25partition_config_selectorILNS1_17partition_subalgoE8EjNS0_10empty_typeEbEEZZNS1_14partition_implILS5_8ELb0ES3_jPKjPS6_PKS6_NS0_5tupleIJPjS6_EEENSE_IJSB_SB_EEENS0_18inequality_wrapperIN6hipcub16HIPCUB_304000_NS8EqualityEEEPlJS6_EEE10hipError_tPvRmT3_T4_T5_T6_T7_T9_mT8_P12ihipStream_tbDpT10_ENKUlT_T0_E_clISt17integral_constantIbLb0EES16_IbLb1EEEEDaS12_S13_EUlS12_E_NS1_11comp_targetILNS1_3genE4ELNS1_11target_archE910ELNS1_3gpuE8ELNS1_3repE0EEENS1_30default_config_static_selectorELNS0_4arch9wavefront6targetE0EEEvT1_.numbered_sgpr, 0
	.set _ZN7rocprim17ROCPRIM_400000_NS6detail17trampoline_kernelINS0_14default_configENS1_25partition_config_selectorILNS1_17partition_subalgoE8EjNS0_10empty_typeEbEEZZNS1_14partition_implILS5_8ELb0ES3_jPKjPS6_PKS6_NS0_5tupleIJPjS6_EEENSE_IJSB_SB_EEENS0_18inequality_wrapperIN6hipcub16HIPCUB_304000_NS8EqualityEEEPlJS6_EEE10hipError_tPvRmT3_T4_T5_T6_T7_T9_mT8_P12ihipStream_tbDpT10_ENKUlT_T0_E_clISt17integral_constantIbLb0EES16_IbLb1EEEEDaS12_S13_EUlS12_E_NS1_11comp_targetILNS1_3genE4ELNS1_11target_archE910ELNS1_3gpuE8ELNS1_3repE0EEENS1_30default_config_static_selectorELNS0_4arch9wavefront6targetE0EEEvT1_.num_named_barrier, 0
	.set _ZN7rocprim17ROCPRIM_400000_NS6detail17trampoline_kernelINS0_14default_configENS1_25partition_config_selectorILNS1_17partition_subalgoE8EjNS0_10empty_typeEbEEZZNS1_14partition_implILS5_8ELb0ES3_jPKjPS6_PKS6_NS0_5tupleIJPjS6_EEENSE_IJSB_SB_EEENS0_18inequality_wrapperIN6hipcub16HIPCUB_304000_NS8EqualityEEEPlJS6_EEE10hipError_tPvRmT3_T4_T5_T6_T7_T9_mT8_P12ihipStream_tbDpT10_ENKUlT_T0_E_clISt17integral_constantIbLb0EES16_IbLb1EEEEDaS12_S13_EUlS12_E_NS1_11comp_targetILNS1_3genE4ELNS1_11target_archE910ELNS1_3gpuE8ELNS1_3repE0EEENS1_30default_config_static_selectorELNS0_4arch9wavefront6targetE0EEEvT1_.private_seg_size, 0
	.set _ZN7rocprim17ROCPRIM_400000_NS6detail17trampoline_kernelINS0_14default_configENS1_25partition_config_selectorILNS1_17partition_subalgoE8EjNS0_10empty_typeEbEEZZNS1_14partition_implILS5_8ELb0ES3_jPKjPS6_PKS6_NS0_5tupleIJPjS6_EEENSE_IJSB_SB_EEENS0_18inequality_wrapperIN6hipcub16HIPCUB_304000_NS8EqualityEEEPlJS6_EEE10hipError_tPvRmT3_T4_T5_T6_T7_T9_mT8_P12ihipStream_tbDpT10_ENKUlT_T0_E_clISt17integral_constantIbLb0EES16_IbLb1EEEEDaS12_S13_EUlS12_E_NS1_11comp_targetILNS1_3genE4ELNS1_11target_archE910ELNS1_3gpuE8ELNS1_3repE0EEENS1_30default_config_static_selectorELNS0_4arch9wavefront6targetE0EEEvT1_.uses_vcc, 0
	.set _ZN7rocprim17ROCPRIM_400000_NS6detail17trampoline_kernelINS0_14default_configENS1_25partition_config_selectorILNS1_17partition_subalgoE8EjNS0_10empty_typeEbEEZZNS1_14partition_implILS5_8ELb0ES3_jPKjPS6_PKS6_NS0_5tupleIJPjS6_EEENSE_IJSB_SB_EEENS0_18inequality_wrapperIN6hipcub16HIPCUB_304000_NS8EqualityEEEPlJS6_EEE10hipError_tPvRmT3_T4_T5_T6_T7_T9_mT8_P12ihipStream_tbDpT10_ENKUlT_T0_E_clISt17integral_constantIbLb0EES16_IbLb1EEEEDaS12_S13_EUlS12_E_NS1_11comp_targetILNS1_3genE4ELNS1_11target_archE910ELNS1_3gpuE8ELNS1_3repE0EEENS1_30default_config_static_selectorELNS0_4arch9wavefront6targetE0EEEvT1_.uses_flat_scratch, 0
	.set _ZN7rocprim17ROCPRIM_400000_NS6detail17trampoline_kernelINS0_14default_configENS1_25partition_config_selectorILNS1_17partition_subalgoE8EjNS0_10empty_typeEbEEZZNS1_14partition_implILS5_8ELb0ES3_jPKjPS6_PKS6_NS0_5tupleIJPjS6_EEENSE_IJSB_SB_EEENS0_18inequality_wrapperIN6hipcub16HIPCUB_304000_NS8EqualityEEEPlJS6_EEE10hipError_tPvRmT3_T4_T5_T6_T7_T9_mT8_P12ihipStream_tbDpT10_ENKUlT_T0_E_clISt17integral_constantIbLb0EES16_IbLb1EEEEDaS12_S13_EUlS12_E_NS1_11comp_targetILNS1_3genE4ELNS1_11target_archE910ELNS1_3gpuE8ELNS1_3repE0EEENS1_30default_config_static_selectorELNS0_4arch9wavefront6targetE0EEEvT1_.has_dyn_sized_stack, 0
	.set _ZN7rocprim17ROCPRIM_400000_NS6detail17trampoline_kernelINS0_14default_configENS1_25partition_config_selectorILNS1_17partition_subalgoE8EjNS0_10empty_typeEbEEZZNS1_14partition_implILS5_8ELb0ES3_jPKjPS6_PKS6_NS0_5tupleIJPjS6_EEENSE_IJSB_SB_EEENS0_18inequality_wrapperIN6hipcub16HIPCUB_304000_NS8EqualityEEEPlJS6_EEE10hipError_tPvRmT3_T4_T5_T6_T7_T9_mT8_P12ihipStream_tbDpT10_ENKUlT_T0_E_clISt17integral_constantIbLb0EES16_IbLb1EEEEDaS12_S13_EUlS12_E_NS1_11comp_targetILNS1_3genE4ELNS1_11target_archE910ELNS1_3gpuE8ELNS1_3repE0EEENS1_30default_config_static_selectorELNS0_4arch9wavefront6targetE0EEEvT1_.has_recursion, 0
	.set _ZN7rocprim17ROCPRIM_400000_NS6detail17trampoline_kernelINS0_14default_configENS1_25partition_config_selectorILNS1_17partition_subalgoE8EjNS0_10empty_typeEbEEZZNS1_14partition_implILS5_8ELb0ES3_jPKjPS6_PKS6_NS0_5tupleIJPjS6_EEENSE_IJSB_SB_EEENS0_18inequality_wrapperIN6hipcub16HIPCUB_304000_NS8EqualityEEEPlJS6_EEE10hipError_tPvRmT3_T4_T5_T6_T7_T9_mT8_P12ihipStream_tbDpT10_ENKUlT_T0_E_clISt17integral_constantIbLb0EES16_IbLb1EEEEDaS12_S13_EUlS12_E_NS1_11comp_targetILNS1_3genE4ELNS1_11target_archE910ELNS1_3gpuE8ELNS1_3repE0EEENS1_30default_config_static_selectorELNS0_4arch9wavefront6targetE0EEEvT1_.has_indirect_call, 0
	.section	.AMDGPU.csdata,"",@progbits
; Kernel info:
; codeLenInByte = 0
; TotalNumSgprs: 0
; NumVgprs: 0
; ScratchSize: 0
; MemoryBound: 0
; FloatMode: 240
; IeeeMode: 1
; LDSByteSize: 0 bytes/workgroup (compile time only)
; SGPRBlocks: 0
; VGPRBlocks: 0
; NumSGPRsForWavesPerEU: 1
; NumVGPRsForWavesPerEU: 1
; NamedBarCnt: 0
; Occupancy: 16
; WaveLimiterHint : 0
; COMPUTE_PGM_RSRC2:SCRATCH_EN: 0
; COMPUTE_PGM_RSRC2:USER_SGPR: 2
; COMPUTE_PGM_RSRC2:TRAP_HANDLER: 0
; COMPUTE_PGM_RSRC2:TGID_X_EN: 1
; COMPUTE_PGM_RSRC2:TGID_Y_EN: 0
; COMPUTE_PGM_RSRC2:TGID_Z_EN: 0
; COMPUTE_PGM_RSRC2:TIDIG_COMP_CNT: 0
	.section	.text._ZN7rocprim17ROCPRIM_400000_NS6detail17trampoline_kernelINS0_14default_configENS1_25partition_config_selectorILNS1_17partition_subalgoE8EjNS0_10empty_typeEbEEZZNS1_14partition_implILS5_8ELb0ES3_jPKjPS6_PKS6_NS0_5tupleIJPjS6_EEENSE_IJSB_SB_EEENS0_18inequality_wrapperIN6hipcub16HIPCUB_304000_NS8EqualityEEEPlJS6_EEE10hipError_tPvRmT3_T4_T5_T6_T7_T9_mT8_P12ihipStream_tbDpT10_ENKUlT_T0_E_clISt17integral_constantIbLb0EES16_IbLb1EEEEDaS12_S13_EUlS12_E_NS1_11comp_targetILNS1_3genE3ELNS1_11target_archE908ELNS1_3gpuE7ELNS1_3repE0EEENS1_30default_config_static_selectorELNS0_4arch9wavefront6targetE0EEEvT1_,"axG",@progbits,_ZN7rocprim17ROCPRIM_400000_NS6detail17trampoline_kernelINS0_14default_configENS1_25partition_config_selectorILNS1_17partition_subalgoE8EjNS0_10empty_typeEbEEZZNS1_14partition_implILS5_8ELb0ES3_jPKjPS6_PKS6_NS0_5tupleIJPjS6_EEENSE_IJSB_SB_EEENS0_18inequality_wrapperIN6hipcub16HIPCUB_304000_NS8EqualityEEEPlJS6_EEE10hipError_tPvRmT3_T4_T5_T6_T7_T9_mT8_P12ihipStream_tbDpT10_ENKUlT_T0_E_clISt17integral_constantIbLb0EES16_IbLb1EEEEDaS12_S13_EUlS12_E_NS1_11comp_targetILNS1_3genE3ELNS1_11target_archE908ELNS1_3gpuE7ELNS1_3repE0EEENS1_30default_config_static_selectorELNS0_4arch9wavefront6targetE0EEEvT1_,comdat
	.protected	_ZN7rocprim17ROCPRIM_400000_NS6detail17trampoline_kernelINS0_14default_configENS1_25partition_config_selectorILNS1_17partition_subalgoE8EjNS0_10empty_typeEbEEZZNS1_14partition_implILS5_8ELb0ES3_jPKjPS6_PKS6_NS0_5tupleIJPjS6_EEENSE_IJSB_SB_EEENS0_18inequality_wrapperIN6hipcub16HIPCUB_304000_NS8EqualityEEEPlJS6_EEE10hipError_tPvRmT3_T4_T5_T6_T7_T9_mT8_P12ihipStream_tbDpT10_ENKUlT_T0_E_clISt17integral_constantIbLb0EES16_IbLb1EEEEDaS12_S13_EUlS12_E_NS1_11comp_targetILNS1_3genE3ELNS1_11target_archE908ELNS1_3gpuE7ELNS1_3repE0EEENS1_30default_config_static_selectorELNS0_4arch9wavefront6targetE0EEEvT1_ ; -- Begin function _ZN7rocprim17ROCPRIM_400000_NS6detail17trampoline_kernelINS0_14default_configENS1_25partition_config_selectorILNS1_17partition_subalgoE8EjNS0_10empty_typeEbEEZZNS1_14partition_implILS5_8ELb0ES3_jPKjPS6_PKS6_NS0_5tupleIJPjS6_EEENSE_IJSB_SB_EEENS0_18inequality_wrapperIN6hipcub16HIPCUB_304000_NS8EqualityEEEPlJS6_EEE10hipError_tPvRmT3_T4_T5_T6_T7_T9_mT8_P12ihipStream_tbDpT10_ENKUlT_T0_E_clISt17integral_constantIbLb0EES16_IbLb1EEEEDaS12_S13_EUlS12_E_NS1_11comp_targetILNS1_3genE3ELNS1_11target_archE908ELNS1_3gpuE7ELNS1_3repE0EEENS1_30default_config_static_selectorELNS0_4arch9wavefront6targetE0EEEvT1_
	.globl	_ZN7rocprim17ROCPRIM_400000_NS6detail17trampoline_kernelINS0_14default_configENS1_25partition_config_selectorILNS1_17partition_subalgoE8EjNS0_10empty_typeEbEEZZNS1_14partition_implILS5_8ELb0ES3_jPKjPS6_PKS6_NS0_5tupleIJPjS6_EEENSE_IJSB_SB_EEENS0_18inequality_wrapperIN6hipcub16HIPCUB_304000_NS8EqualityEEEPlJS6_EEE10hipError_tPvRmT3_T4_T5_T6_T7_T9_mT8_P12ihipStream_tbDpT10_ENKUlT_T0_E_clISt17integral_constantIbLb0EES16_IbLb1EEEEDaS12_S13_EUlS12_E_NS1_11comp_targetILNS1_3genE3ELNS1_11target_archE908ELNS1_3gpuE7ELNS1_3repE0EEENS1_30default_config_static_selectorELNS0_4arch9wavefront6targetE0EEEvT1_
	.p2align	8
	.type	_ZN7rocprim17ROCPRIM_400000_NS6detail17trampoline_kernelINS0_14default_configENS1_25partition_config_selectorILNS1_17partition_subalgoE8EjNS0_10empty_typeEbEEZZNS1_14partition_implILS5_8ELb0ES3_jPKjPS6_PKS6_NS0_5tupleIJPjS6_EEENSE_IJSB_SB_EEENS0_18inequality_wrapperIN6hipcub16HIPCUB_304000_NS8EqualityEEEPlJS6_EEE10hipError_tPvRmT3_T4_T5_T6_T7_T9_mT8_P12ihipStream_tbDpT10_ENKUlT_T0_E_clISt17integral_constantIbLb0EES16_IbLb1EEEEDaS12_S13_EUlS12_E_NS1_11comp_targetILNS1_3genE3ELNS1_11target_archE908ELNS1_3gpuE7ELNS1_3repE0EEENS1_30default_config_static_selectorELNS0_4arch9wavefront6targetE0EEEvT1_,@function
_ZN7rocprim17ROCPRIM_400000_NS6detail17trampoline_kernelINS0_14default_configENS1_25partition_config_selectorILNS1_17partition_subalgoE8EjNS0_10empty_typeEbEEZZNS1_14partition_implILS5_8ELb0ES3_jPKjPS6_PKS6_NS0_5tupleIJPjS6_EEENSE_IJSB_SB_EEENS0_18inequality_wrapperIN6hipcub16HIPCUB_304000_NS8EqualityEEEPlJS6_EEE10hipError_tPvRmT3_T4_T5_T6_T7_T9_mT8_P12ihipStream_tbDpT10_ENKUlT_T0_E_clISt17integral_constantIbLb0EES16_IbLb1EEEEDaS12_S13_EUlS12_E_NS1_11comp_targetILNS1_3genE3ELNS1_11target_archE908ELNS1_3gpuE7ELNS1_3repE0EEENS1_30default_config_static_selectorELNS0_4arch9wavefront6targetE0EEEvT1_: ; @_ZN7rocprim17ROCPRIM_400000_NS6detail17trampoline_kernelINS0_14default_configENS1_25partition_config_selectorILNS1_17partition_subalgoE8EjNS0_10empty_typeEbEEZZNS1_14partition_implILS5_8ELb0ES3_jPKjPS6_PKS6_NS0_5tupleIJPjS6_EEENSE_IJSB_SB_EEENS0_18inequality_wrapperIN6hipcub16HIPCUB_304000_NS8EqualityEEEPlJS6_EEE10hipError_tPvRmT3_T4_T5_T6_T7_T9_mT8_P12ihipStream_tbDpT10_ENKUlT_T0_E_clISt17integral_constantIbLb0EES16_IbLb1EEEEDaS12_S13_EUlS12_E_NS1_11comp_targetILNS1_3genE3ELNS1_11target_archE908ELNS1_3gpuE7ELNS1_3repE0EEENS1_30default_config_static_selectorELNS0_4arch9wavefront6targetE0EEEvT1_
; %bb.0:
	.section	.rodata,"a",@progbits
	.p2align	6, 0x0
	.amdhsa_kernel _ZN7rocprim17ROCPRIM_400000_NS6detail17trampoline_kernelINS0_14default_configENS1_25partition_config_selectorILNS1_17partition_subalgoE8EjNS0_10empty_typeEbEEZZNS1_14partition_implILS5_8ELb0ES3_jPKjPS6_PKS6_NS0_5tupleIJPjS6_EEENSE_IJSB_SB_EEENS0_18inequality_wrapperIN6hipcub16HIPCUB_304000_NS8EqualityEEEPlJS6_EEE10hipError_tPvRmT3_T4_T5_T6_T7_T9_mT8_P12ihipStream_tbDpT10_ENKUlT_T0_E_clISt17integral_constantIbLb0EES16_IbLb1EEEEDaS12_S13_EUlS12_E_NS1_11comp_targetILNS1_3genE3ELNS1_11target_archE908ELNS1_3gpuE7ELNS1_3repE0EEENS1_30default_config_static_selectorELNS0_4arch9wavefront6targetE0EEEvT1_
		.amdhsa_group_segment_fixed_size 0
		.amdhsa_private_segment_fixed_size 0
		.amdhsa_kernarg_size 128
		.amdhsa_user_sgpr_count 2
		.amdhsa_user_sgpr_dispatch_ptr 0
		.amdhsa_user_sgpr_queue_ptr 0
		.amdhsa_user_sgpr_kernarg_segment_ptr 1
		.amdhsa_user_sgpr_dispatch_id 0
		.amdhsa_user_sgpr_kernarg_preload_length 0
		.amdhsa_user_sgpr_kernarg_preload_offset 0
		.amdhsa_user_sgpr_private_segment_size 0
		.amdhsa_wavefront_size32 1
		.amdhsa_uses_dynamic_stack 0
		.amdhsa_enable_private_segment 0
		.amdhsa_system_sgpr_workgroup_id_x 1
		.amdhsa_system_sgpr_workgroup_id_y 0
		.amdhsa_system_sgpr_workgroup_id_z 0
		.amdhsa_system_sgpr_workgroup_info 0
		.amdhsa_system_vgpr_workitem_id 0
		.amdhsa_next_free_vgpr 1
		.amdhsa_next_free_sgpr 1
		.amdhsa_named_barrier_count 0
		.amdhsa_reserve_vcc 0
		.amdhsa_float_round_mode_32 0
		.amdhsa_float_round_mode_16_64 0
		.amdhsa_float_denorm_mode_32 3
		.amdhsa_float_denorm_mode_16_64 3
		.amdhsa_fp16_overflow 0
		.amdhsa_memory_ordered 1
		.amdhsa_forward_progress 1
		.amdhsa_inst_pref_size 0
		.amdhsa_round_robin_scheduling 0
		.amdhsa_exception_fp_ieee_invalid_op 0
		.amdhsa_exception_fp_denorm_src 0
		.amdhsa_exception_fp_ieee_div_zero 0
		.amdhsa_exception_fp_ieee_overflow 0
		.amdhsa_exception_fp_ieee_underflow 0
		.amdhsa_exception_fp_ieee_inexact 0
		.amdhsa_exception_int_div_zero 0
	.end_amdhsa_kernel
	.section	.text._ZN7rocprim17ROCPRIM_400000_NS6detail17trampoline_kernelINS0_14default_configENS1_25partition_config_selectorILNS1_17partition_subalgoE8EjNS0_10empty_typeEbEEZZNS1_14partition_implILS5_8ELb0ES3_jPKjPS6_PKS6_NS0_5tupleIJPjS6_EEENSE_IJSB_SB_EEENS0_18inequality_wrapperIN6hipcub16HIPCUB_304000_NS8EqualityEEEPlJS6_EEE10hipError_tPvRmT3_T4_T5_T6_T7_T9_mT8_P12ihipStream_tbDpT10_ENKUlT_T0_E_clISt17integral_constantIbLb0EES16_IbLb1EEEEDaS12_S13_EUlS12_E_NS1_11comp_targetILNS1_3genE3ELNS1_11target_archE908ELNS1_3gpuE7ELNS1_3repE0EEENS1_30default_config_static_selectorELNS0_4arch9wavefront6targetE0EEEvT1_,"axG",@progbits,_ZN7rocprim17ROCPRIM_400000_NS6detail17trampoline_kernelINS0_14default_configENS1_25partition_config_selectorILNS1_17partition_subalgoE8EjNS0_10empty_typeEbEEZZNS1_14partition_implILS5_8ELb0ES3_jPKjPS6_PKS6_NS0_5tupleIJPjS6_EEENSE_IJSB_SB_EEENS0_18inequality_wrapperIN6hipcub16HIPCUB_304000_NS8EqualityEEEPlJS6_EEE10hipError_tPvRmT3_T4_T5_T6_T7_T9_mT8_P12ihipStream_tbDpT10_ENKUlT_T0_E_clISt17integral_constantIbLb0EES16_IbLb1EEEEDaS12_S13_EUlS12_E_NS1_11comp_targetILNS1_3genE3ELNS1_11target_archE908ELNS1_3gpuE7ELNS1_3repE0EEENS1_30default_config_static_selectorELNS0_4arch9wavefront6targetE0EEEvT1_,comdat
.Lfunc_end644:
	.size	_ZN7rocprim17ROCPRIM_400000_NS6detail17trampoline_kernelINS0_14default_configENS1_25partition_config_selectorILNS1_17partition_subalgoE8EjNS0_10empty_typeEbEEZZNS1_14partition_implILS5_8ELb0ES3_jPKjPS6_PKS6_NS0_5tupleIJPjS6_EEENSE_IJSB_SB_EEENS0_18inequality_wrapperIN6hipcub16HIPCUB_304000_NS8EqualityEEEPlJS6_EEE10hipError_tPvRmT3_T4_T5_T6_T7_T9_mT8_P12ihipStream_tbDpT10_ENKUlT_T0_E_clISt17integral_constantIbLb0EES16_IbLb1EEEEDaS12_S13_EUlS12_E_NS1_11comp_targetILNS1_3genE3ELNS1_11target_archE908ELNS1_3gpuE7ELNS1_3repE0EEENS1_30default_config_static_selectorELNS0_4arch9wavefront6targetE0EEEvT1_, .Lfunc_end644-_ZN7rocprim17ROCPRIM_400000_NS6detail17trampoline_kernelINS0_14default_configENS1_25partition_config_selectorILNS1_17partition_subalgoE8EjNS0_10empty_typeEbEEZZNS1_14partition_implILS5_8ELb0ES3_jPKjPS6_PKS6_NS0_5tupleIJPjS6_EEENSE_IJSB_SB_EEENS0_18inequality_wrapperIN6hipcub16HIPCUB_304000_NS8EqualityEEEPlJS6_EEE10hipError_tPvRmT3_T4_T5_T6_T7_T9_mT8_P12ihipStream_tbDpT10_ENKUlT_T0_E_clISt17integral_constantIbLb0EES16_IbLb1EEEEDaS12_S13_EUlS12_E_NS1_11comp_targetILNS1_3genE3ELNS1_11target_archE908ELNS1_3gpuE7ELNS1_3repE0EEENS1_30default_config_static_selectorELNS0_4arch9wavefront6targetE0EEEvT1_
                                        ; -- End function
	.set _ZN7rocprim17ROCPRIM_400000_NS6detail17trampoline_kernelINS0_14default_configENS1_25partition_config_selectorILNS1_17partition_subalgoE8EjNS0_10empty_typeEbEEZZNS1_14partition_implILS5_8ELb0ES3_jPKjPS6_PKS6_NS0_5tupleIJPjS6_EEENSE_IJSB_SB_EEENS0_18inequality_wrapperIN6hipcub16HIPCUB_304000_NS8EqualityEEEPlJS6_EEE10hipError_tPvRmT3_T4_T5_T6_T7_T9_mT8_P12ihipStream_tbDpT10_ENKUlT_T0_E_clISt17integral_constantIbLb0EES16_IbLb1EEEEDaS12_S13_EUlS12_E_NS1_11comp_targetILNS1_3genE3ELNS1_11target_archE908ELNS1_3gpuE7ELNS1_3repE0EEENS1_30default_config_static_selectorELNS0_4arch9wavefront6targetE0EEEvT1_.num_vgpr, 0
	.set _ZN7rocprim17ROCPRIM_400000_NS6detail17trampoline_kernelINS0_14default_configENS1_25partition_config_selectorILNS1_17partition_subalgoE8EjNS0_10empty_typeEbEEZZNS1_14partition_implILS5_8ELb0ES3_jPKjPS6_PKS6_NS0_5tupleIJPjS6_EEENSE_IJSB_SB_EEENS0_18inequality_wrapperIN6hipcub16HIPCUB_304000_NS8EqualityEEEPlJS6_EEE10hipError_tPvRmT3_T4_T5_T6_T7_T9_mT8_P12ihipStream_tbDpT10_ENKUlT_T0_E_clISt17integral_constantIbLb0EES16_IbLb1EEEEDaS12_S13_EUlS12_E_NS1_11comp_targetILNS1_3genE3ELNS1_11target_archE908ELNS1_3gpuE7ELNS1_3repE0EEENS1_30default_config_static_selectorELNS0_4arch9wavefront6targetE0EEEvT1_.num_agpr, 0
	.set _ZN7rocprim17ROCPRIM_400000_NS6detail17trampoline_kernelINS0_14default_configENS1_25partition_config_selectorILNS1_17partition_subalgoE8EjNS0_10empty_typeEbEEZZNS1_14partition_implILS5_8ELb0ES3_jPKjPS6_PKS6_NS0_5tupleIJPjS6_EEENSE_IJSB_SB_EEENS0_18inequality_wrapperIN6hipcub16HIPCUB_304000_NS8EqualityEEEPlJS6_EEE10hipError_tPvRmT3_T4_T5_T6_T7_T9_mT8_P12ihipStream_tbDpT10_ENKUlT_T0_E_clISt17integral_constantIbLb0EES16_IbLb1EEEEDaS12_S13_EUlS12_E_NS1_11comp_targetILNS1_3genE3ELNS1_11target_archE908ELNS1_3gpuE7ELNS1_3repE0EEENS1_30default_config_static_selectorELNS0_4arch9wavefront6targetE0EEEvT1_.numbered_sgpr, 0
	.set _ZN7rocprim17ROCPRIM_400000_NS6detail17trampoline_kernelINS0_14default_configENS1_25partition_config_selectorILNS1_17partition_subalgoE8EjNS0_10empty_typeEbEEZZNS1_14partition_implILS5_8ELb0ES3_jPKjPS6_PKS6_NS0_5tupleIJPjS6_EEENSE_IJSB_SB_EEENS0_18inequality_wrapperIN6hipcub16HIPCUB_304000_NS8EqualityEEEPlJS6_EEE10hipError_tPvRmT3_T4_T5_T6_T7_T9_mT8_P12ihipStream_tbDpT10_ENKUlT_T0_E_clISt17integral_constantIbLb0EES16_IbLb1EEEEDaS12_S13_EUlS12_E_NS1_11comp_targetILNS1_3genE3ELNS1_11target_archE908ELNS1_3gpuE7ELNS1_3repE0EEENS1_30default_config_static_selectorELNS0_4arch9wavefront6targetE0EEEvT1_.num_named_barrier, 0
	.set _ZN7rocprim17ROCPRIM_400000_NS6detail17trampoline_kernelINS0_14default_configENS1_25partition_config_selectorILNS1_17partition_subalgoE8EjNS0_10empty_typeEbEEZZNS1_14partition_implILS5_8ELb0ES3_jPKjPS6_PKS6_NS0_5tupleIJPjS6_EEENSE_IJSB_SB_EEENS0_18inequality_wrapperIN6hipcub16HIPCUB_304000_NS8EqualityEEEPlJS6_EEE10hipError_tPvRmT3_T4_T5_T6_T7_T9_mT8_P12ihipStream_tbDpT10_ENKUlT_T0_E_clISt17integral_constantIbLb0EES16_IbLb1EEEEDaS12_S13_EUlS12_E_NS1_11comp_targetILNS1_3genE3ELNS1_11target_archE908ELNS1_3gpuE7ELNS1_3repE0EEENS1_30default_config_static_selectorELNS0_4arch9wavefront6targetE0EEEvT1_.private_seg_size, 0
	.set _ZN7rocprim17ROCPRIM_400000_NS6detail17trampoline_kernelINS0_14default_configENS1_25partition_config_selectorILNS1_17partition_subalgoE8EjNS0_10empty_typeEbEEZZNS1_14partition_implILS5_8ELb0ES3_jPKjPS6_PKS6_NS0_5tupleIJPjS6_EEENSE_IJSB_SB_EEENS0_18inequality_wrapperIN6hipcub16HIPCUB_304000_NS8EqualityEEEPlJS6_EEE10hipError_tPvRmT3_T4_T5_T6_T7_T9_mT8_P12ihipStream_tbDpT10_ENKUlT_T0_E_clISt17integral_constantIbLb0EES16_IbLb1EEEEDaS12_S13_EUlS12_E_NS1_11comp_targetILNS1_3genE3ELNS1_11target_archE908ELNS1_3gpuE7ELNS1_3repE0EEENS1_30default_config_static_selectorELNS0_4arch9wavefront6targetE0EEEvT1_.uses_vcc, 0
	.set _ZN7rocprim17ROCPRIM_400000_NS6detail17trampoline_kernelINS0_14default_configENS1_25partition_config_selectorILNS1_17partition_subalgoE8EjNS0_10empty_typeEbEEZZNS1_14partition_implILS5_8ELb0ES3_jPKjPS6_PKS6_NS0_5tupleIJPjS6_EEENSE_IJSB_SB_EEENS0_18inequality_wrapperIN6hipcub16HIPCUB_304000_NS8EqualityEEEPlJS6_EEE10hipError_tPvRmT3_T4_T5_T6_T7_T9_mT8_P12ihipStream_tbDpT10_ENKUlT_T0_E_clISt17integral_constantIbLb0EES16_IbLb1EEEEDaS12_S13_EUlS12_E_NS1_11comp_targetILNS1_3genE3ELNS1_11target_archE908ELNS1_3gpuE7ELNS1_3repE0EEENS1_30default_config_static_selectorELNS0_4arch9wavefront6targetE0EEEvT1_.uses_flat_scratch, 0
	.set _ZN7rocprim17ROCPRIM_400000_NS6detail17trampoline_kernelINS0_14default_configENS1_25partition_config_selectorILNS1_17partition_subalgoE8EjNS0_10empty_typeEbEEZZNS1_14partition_implILS5_8ELb0ES3_jPKjPS6_PKS6_NS0_5tupleIJPjS6_EEENSE_IJSB_SB_EEENS0_18inequality_wrapperIN6hipcub16HIPCUB_304000_NS8EqualityEEEPlJS6_EEE10hipError_tPvRmT3_T4_T5_T6_T7_T9_mT8_P12ihipStream_tbDpT10_ENKUlT_T0_E_clISt17integral_constantIbLb0EES16_IbLb1EEEEDaS12_S13_EUlS12_E_NS1_11comp_targetILNS1_3genE3ELNS1_11target_archE908ELNS1_3gpuE7ELNS1_3repE0EEENS1_30default_config_static_selectorELNS0_4arch9wavefront6targetE0EEEvT1_.has_dyn_sized_stack, 0
	.set _ZN7rocprim17ROCPRIM_400000_NS6detail17trampoline_kernelINS0_14default_configENS1_25partition_config_selectorILNS1_17partition_subalgoE8EjNS0_10empty_typeEbEEZZNS1_14partition_implILS5_8ELb0ES3_jPKjPS6_PKS6_NS0_5tupleIJPjS6_EEENSE_IJSB_SB_EEENS0_18inequality_wrapperIN6hipcub16HIPCUB_304000_NS8EqualityEEEPlJS6_EEE10hipError_tPvRmT3_T4_T5_T6_T7_T9_mT8_P12ihipStream_tbDpT10_ENKUlT_T0_E_clISt17integral_constantIbLb0EES16_IbLb1EEEEDaS12_S13_EUlS12_E_NS1_11comp_targetILNS1_3genE3ELNS1_11target_archE908ELNS1_3gpuE7ELNS1_3repE0EEENS1_30default_config_static_selectorELNS0_4arch9wavefront6targetE0EEEvT1_.has_recursion, 0
	.set _ZN7rocprim17ROCPRIM_400000_NS6detail17trampoline_kernelINS0_14default_configENS1_25partition_config_selectorILNS1_17partition_subalgoE8EjNS0_10empty_typeEbEEZZNS1_14partition_implILS5_8ELb0ES3_jPKjPS6_PKS6_NS0_5tupleIJPjS6_EEENSE_IJSB_SB_EEENS0_18inequality_wrapperIN6hipcub16HIPCUB_304000_NS8EqualityEEEPlJS6_EEE10hipError_tPvRmT3_T4_T5_T6_T7_T9_mT8_P12ihipStream_tbDpT10_ENKUlT_T0_E_clISt17integral_constantIbLb0EES16_IbLb1EEEEDaS12_S13_EUlS12_E_NS1_11comp_targetILNS1_3genE3ELNS1_11target_archE908ELNS1_3gpuE7ELNS1_3repE0EEENS1_30default_config_static_selectorELNS0_4arch9wavefront6targetE0EEEvT1_.has_indirect_call, 0
	.section	.AMDGPU.csdata,"",@progbits
; Kernel info:
; codeLenInByte = 0
; TotalNumSgprs: 0
; NumVgprs: 0
; ScratchSize: 0
; MemoryBound: 0
; FloatMode: 240
; IeeeMode: 1
; LDSByteSize: 0 bytes/workgroup (compile time only)
; SGPRBlocks: 0
; VGPRBlocks: 0
; NumSGPRsForWavesPerEU: 1
; NumVGPRsForWavesPerEU: 1
; NamedBarCnt: 0
; Occupancy: 16
; WaveLimiterHint : 0
; COMPUTE_PGM_RSRC2:SCRATCH_EN: 0
; COMPUTE_PGM_RSRC2:USER_SGPR: 2
; COMPUTE_PGM_RSRC2:TRAP_HANDLER: 0
; COMPUTE_PGM_RSRC2:TGID_X_EN: 1
; COMPUTE_PGM_RSRC2:TGID_Y_EN: 0
; COMPUTE_PGM_RSRC2:TGID_Z_EN: 0
; COMPUTE_PGM_RSRC2:TIDIG_COMP_CNT: 0
	.section	.text._ZN7rocprim17ROCPRIM_400000_NS6detail17trampoline_kernelINS0_14default_configENS1_25partition_config_selectorILNS1_17partition_subalgoE8EjNS0_10empty_typeEbEEZZNS1_14partition_implILS5_8ELb0ES3_jPKjPS6_PKS6_NS0_5tupleIJPjS6_EEENSE_IJSB_SB_EEENS0_18inequality_wrapperIN6hipcub16HIPCUB_304000_NS8EqualityEEEPlJS6_EEE10hipError_tPvRmT3_T4_T5_T6_T7_T9_mT8_P12ihipStream_tbDpT10_ENKUlT_T0_E_clISt17integral_constantIbLb0EES16_IbLb1EEEEDaS12_S13_EUlS12_E_NS1_11comp_targetILNS1_3genE2ELNS1_11target_archE906ELNS1_3gpuE6ELNS1_3repE0EEENS1_30default_config_static_selectorELNS0_4arch9wavefront6targetE0EEEvT1_,"axG",@progbits,_ZN7rocprim17ROCPRIM_400000_NS6detail17trampoline_kernelINS0_14default_configENS1_25partition_config_selectorILNS1_17partition_subalgoE8EjNS0_10empty_typeEbEEZZNS1_14partition_implILS5_8ELb0ES3_jPKjPS6_PKS6_NS0_5tupleIJPjS6_EEENSE_IJSB_SB_EEENS0_18inequality_wrapperIN6hipcub16HIPCUB_304000_NS8EqualityEEEPlJS6_EEE10hipError_tPvRmT3_T4_T5_T6_T7_T9_mT8_P12ihipStream_tbDpT10_ENKUlT_T0_E_clISt17integral_constantIbLb0EES16_IbLb1EEEEDaS12_S13_EUlS12_E_NS1_11comp_targetILNS1_3genE2ELNS1_11target_archE906ELNS1_3gpuE6ELNS1_3repE0EEENS1_30default_config_static_selectorELNS0_4arch9wavefront6targetE0EEEvT1_,comdat
	.protected	_ZN7rocprim17ROCPRIM_400000_NS6detail17trampoline_kernelINS0_14default_configENS1_25partition_config_selectorILNS1_17partition_subalgoE8EjNS0_10empty_typeEbEEZZNS1_14partition_implILS5_8ELb0ES3_jPKjPS6_PKS6_NS0_5tupleIJPjS6_EEENSE_IJSB_SB_EEENS0_18inequality_wrapperIN6hipcub16HIPCUB_304000_NS8EqualityEEEPlJS6_EEE10hipError_tPvRmT3_T4_T5_T6_T7_T9_mT8_P12ihipStream_tbDpT10_ENKUlT_T0_E_clISt17integral_constantIbLb0EES16_IbLb1EEEEDaS12_S13_EUlS12_E_NS1_11comp_targetILNS1_3genE2ELNS1_11target_archE906ELNS1_3gpuE6ELNS1_3repE0EEENS1_30default_config_static_selectorELNS0_4arch9wavefront6targetE0EEEvT1_ ; -- Begin function _ZN7rocprim17ROCPRIM_400000_NS6detail17trampoline_kernelINS0_14default_configENS1_25partition_config_selectorILNS1_17partition_subalgoE8EjNS0_10empty_typeEbEEZZNS1_14partition_implILS5_8ELb0ES3_jPKjPS6_PKS6_NS0_5tupleIJPjS6_EEENSE_IJSB_SB_EEENS0_18inequality_wrapperIN6hipcub16HIPCUB_304000_NS8EqualityEEEPlJS6_EEE10hipError_tPvRmT3_T4_T5_T6_T7_T9_mT8_P12ihipStream_tbDpT10_ENKUlT_T0_E_clISt17integral_constantIbLb0EES16_IbLb1EEEEDaS12_S13_EUlS12_E_NS1_11comp_targetILNS1_3genE2ELNS1_11target_archE906ELNS1_3gpuE6ELNS1_3repE0EEENS1_30default_config_static_selectorELNS0_4arch9wavefront6targetE0EEEvT1_
	.globl	_ZN7rocprim17ROCPRIM_400000_NS6detail17trampoline_kernelINS0_14default_configENS1_25partition_config_selectorILNS1_17partition_subalgoE8EjNS0_10empty_typeEbEEZZNS1_14partition_implILS5_8ELb0ES3_jPKjPS6_PKS6_NS0_5tupleIJPjS6_EEENSE_IJSB_SB_EEENS0_18inequality_wrapperIN6hipcub16HIPCUB_304000_NS8EqualityEEEPlJS6_EEE10hipError_tPvRmT3_T4_T5_T6_T7_T9_mT8_P12ihipStream_tbDpT10_ENKUlT_T0_E_clISt17integral_constantIbLb0EES16_IbLb1EEEEDaS12_S13_EUlS12_E_NS1_11comp_targetILNS1_3genE2ELNS1_11target_archE906ELNS1_3gpuE6ELNS1_3repE0EEENS1_30default_config_static_selectorELNS0_4arch9wavefront6targetE0EEEvT1_
	.p2align	8
	.type	_ZN7rocprim17ROCPRIM_400000_NS6detail17trampoline_kernelINS0_14default_configENS1_25partition_config_selectorILNS1_17partition_subalgoE8EjNS0_10empty_typeEbEEZZNS1_14partition_implILS5_8ELb0ES3_jPKjPS6_PKS6_NS0_5tupleIJPjS6_EEENSE_IJSB_SB_EEENS0_18inequality_wrapperIN6hipcub16HIPCUB_304000_NS8EqualityEEEPlJS6_EEE10hipError_tPvRmT3_T4_T5_T6_T7_T9_mT8_P12ihipStream_tbDpT10_ENKUlT_T0_E_clISt17integral_constantIbLb0EES16_IbLb1EEEEDaS12_S13_EUlS12_E_NS1_11comp_targetILNS1_3genE2ELNS1_11target_archE906ELNS1_3gpuE6ELNS1_3repE0EEENS1_30default_config_static_selectorELNS0_4arch9wavefront6targetE0EEEvT1_,@function
_ZN7rocprim17ROCPRIM_400000_NS6detail17trampoline_kernelINS0_14default_configENS1_25partition_config_selectorILNS1_17partition_subalgoE8EjNS0_10empty_typeEbEEZZNS1_14partition_implILS5_8ELb0ES3_jPKjPS6_PKS6_NS0_5tupleIJPjS6_EEENSE_IJSB_SB_EEENS0_18inequality_wrapperIN6hipcub16HIPCUB_304000_NS8EqualityEEEPlJS6_EEE10hipError_tPvRmT3_T4_T5_T6_T7_T9_mT8_P12ihipStream_tbDpT10_ENKUlT_T0_E_clISt17integral_constantIbLb0EES16_IbLb1EEEEDaS12_S13_EUlS12_E_NS1_11comp_targetILNS1_3genE2ELNS1_11target_archE906ELNS1_3gpuE6ELNS1_3repE0EEENS1_30default_config_static_selectorELNS0_4arch9wavefront6targetE0EEEvT1_: ; @_ZN7rocprim17ROCPRIM_400000_NS6detail17trampoline_kernelINS0_14default_configENS1_25partition_config_selectorILNS1_17partition_subalgoE8EjNS0_10empty_typeEbEEZZNS1_14partition_implILS5_8ELb0ES3_jPKjPS6_PKS6_NS0_5tupleIJPjS6_EEENSE_IJSB_SB_EEENS0_18inequality_wrapperIN6hipcub16HIPCUB_304000_NS8EqualityEEEPlJS6_EEE10hipError_tPvRmT3_T4_T5_T6_T7_T9_mT8_P12ihipStream_tbDpT10_ENKUlT_T0_E_clISt17integral_constantIbLb0EES16_IbLb1EEEEDaS12_S13_EUlS12_E_NS1_11comp_targetILNS1_3genE2ELNS1_11target_archE906ELNS1_3gpuE6ELNS1_3repE0EEENS1_30default_config_static_selectorELNS0_4arch9wavefront6targetE0EEEvT1_
; %bb.0:
	.section	.rodata,"a",@progbits
	.p2align	6, 0x0
	.amdhsa_kernel _ZN7rocprim17ROCPRIM_400000_NS6detail17trampoline_kernelINS0_14default_configENS1_25partition_config_selectorILNS1_17partition_subalgoE8EjNS0_10empty_typeEbEEZZNS1_14partition_implILS5_8ELb0ES3_jPKjPS6_PKS6_NS0_5tupleIJPjS6_EEENSE_IJSB_SB_EEENS0_18inequality_wrapperIN6hipcub16HIPCUB_304000_NS8EqualityEEEPlJS6_EEE10hipError_tPvRmT3_T4_T5_T6_T7_T9_mT8_P12ihipStream_tbDpT10_ENKUlT_T0_E_clISt17integral_constantIbLb0EES16_IbLb1EEEEDaS12_S13_EUlS12_E_NS1_11comp_targetILNS1_3genE2ELNS1_11target_archE906ELNS1_3gpuE6ELNS1_3repE0EEENS1_30default_config_static_selectorELNS0_4arch9wavefront6targetE0EEEvT1_
		.amdhsa_group_segment_fixed_size 0
		.amdhsa_private_segment_fixed_size 0
		.amdhsa_kernarg_size 128
		.amdhsa_user_sgpr_count 2
		.amdhsa_user_sgpr_dispatch_ptr 0
		.amdhsa_user_sgpr_queue_ptr 0
		.amdhsa_user_sgpr_kernarg_segment_ptr 1
		.amdhsa_user_sgpr_dispatch_id 0
		.amdhsa_user_sgpr_kernarg_preload_length 0
		.amdhsa_user_sgpr_kernarg_preload_offset 0
		.amdhsa_user_sgpr_private_segment_size 0
		.amdhsa_wavefront_size32 1
		.amdhsa_uses_dynamic_stack 0
		.amdhsa_enable_private_segment 0
		.amdhsa_system_sgpr_workgroup_id_x 1
		.amdhsa_system_sgpr_workgroup_id_y 0
		.amdhsa_system_sgpr_workgroup_id_z 0
		.amdhsa_system_sgpr_workgroup_info 0
		.amdhsa_system_vgpr_workitem_id 0
		.amdhsa_next_free_vgpr 1
		.amdhsa_next_free_sgpr 1
		.amdhsa_named_barrier_count 0
		.amdhsa_reserve_vcc 0
		.amdhsa_float_round_mode_32 0
		.amdhsa_float_round_mode_16_64 0
		.amdhsa_float_denorm_mode_32 3
		.amdhsa_float_denorm_mode_16_64 3
		.amdhsa_fp16_overflow 0
		.amdhsa_memory_ordered 1
		.amdhsa_forward_progress 1
		.amdhsa_inst_pref_size 0
		.amdhsa_round_robin_scheduling 0
		.amdhsa_exception_fp_ieee_invalid_op 0
		.amdhsa_exception_fp_denorm_src 0
		.amdhsa_exception_fp_ieee_div_zero 0
		.amdhsa_exception_fp_ieee_overflow 0
		.amdhsa_exception_fp_ieee_underflow 0
		.amdhsa_exception_fp_ieee_inexact 0
		.amdhsa_exception_int_div_zero 0
	.end_amdhsa_kernel
	.section	.text._ZN7rocprim17ROCPRIM_400000_NS6detail17trampoline_kernelINS0_14default_configENS1_25partition_config_selectorILNS1_17partition_subalgoE8EjNS0_10empty_typeEbEEZZNS1_14partition_implILS5_8ELb0ES3_jPKjPS6_PKS6_NS0_5tupleIJPjS6_EEENSE_IJSB_SB_EEENS0_18inequality_wrapperIN6hipcub16HIPCUB_304000_NS8EqualityEEEPlJS6_EEE10hipError_tPvRmT3_T4_T5_T6_T7_T9_mT8_P12ihipStream_tbDpT10_ENKUlT_T0_E_clISt17integral_constantIbLb0EES16_IbLb1EEEEDaS12_S13_EUlS12_E_NS1_11comp_targetILNS1_3genE2ELNS1_11target_archE906ELNS1_3gpuE6ELNS1_3repE0EEENS1_30default_config_static_selectorELNS0_4arch9wavefront6targetE0EEEvT1_,"axG",@progbits,_ZN7rocprim17ROCPRIM_400000_NS6detail17trampoline_kernelINS0_14default_configENS1_25partition_config_selectorILNS1_17partition_subalgoE8EjNS0_10empty_typeEbEEZZNS1_14partition_implILS5_8ELb0ES3_jPKjPS6_PKS6_NS0_5tupleIJPjS6_EEENSE_IJSB_SB_EEENS0_18inequality_wrapperIN6hipcub16HIPCUB_304000_NS8EqualityEEEPlJS6_EEE10hipError_tPvRmT3_T4_T5_T6_T7_T9_mT8_P12ihipStream_tbDpT10_ENKUlT_T0_E_clISt17integral_constantIbLb0EES16_IbLb1EEEEDaS12_S13_EUlS12_E_NS1_11comp_targetILNS1_3genE2ELNS1_11target_archE906ELNS1_3gpuE6ELNS1_3repE0EEENS1_30default_config_static_selectorELNS0_4arch9wavefront6targetE0EEEvT1_,comdat
.Lfunc_end645:
	.size	_ZN7rocprim17ROCPRIM_400000_NS6detail17trampoline_kernelINS0_14default_configENS1_25partition_config_selectorILNS1_17partition_subalgoE8EjNS0_10empty_typeEbEEZZNS1_14partition_implILS5_8ELb0ES3_jPKjPS6_PKS6_NS0_5tupleIJPjS6_EEENSE_IJSB_SB_EEENS0_18inequality_wrapperIN6hipcub16HIPCUB_304000_NS8EqualityEEEPlJS6_EEE10hipError_tPvRmT3_T4_T5_T6_T7_T9_mT8_P12ihipStream_tbDpT10_ENKUlT_T0_E_clISt17integral_constantIbLb0EES16_IbLb1EEEEDaS12_S13_EUlS12_E_NS1_11comp_targetILNS1_3genE2ELNS1_11target_archE906ELNS1_3gpuE6ELNS1_3repE0EEENS1_30default_config_static_selectorELNS0_4arch9wavefront6targetE0EEEvT1_, .Lfunc_end645-_ZN7rocprim17ROCPRIM_400000_NS6detail17trampoline_kernelINS0_14default_configENS1_25partition_config_selectorILNS1_17partition_subalgoE8EjNS0_10empty_typeEbEEZZNS1_14partition_implILS5_8ELb0ES3_jPKjPS6_PKS6_NS0_5tupleIJPjS6_EEENSE_IJSB_SB_EEENS0_18inequality_wrapperIN6hipcub16HIPCUB_304000_NS8EqualityEEEPlJS6_EEE10hipError_tPvRmT3_T4_T5_T6_T7_T9_mT8_P12ihipStream_tbDpT10_ENKUlT_T0_E_clISt17integral_constantIbLb0EES16_IbLb1EEEEDaS12_S13_EUlS12_E_NS1_11comp_targetILNS1_3genE2ELNS1_11target_archE906ELNS1_3gpuE6ELNS1_3repE0EEENS1_30default_config_static_selectorELNS0_4arch9wavefront6targetE0EEEvT1_
                                        ; -- End function
	.set _ZN7rocprim17ROCPRIM_400000_NS6detail17trampoline_kernelINS0_14default_configENS1_25partition_config_selectorILNS1_17partition_subalgoE8EjNS0_10empty_typeEbEEZZNS1_14partition_implILS5_8ELb0ES3_jPKjPS6_PKS6_NS0_5tupleIJPjS6_EEENSE_IJSB_SB_EEENS0_18inequality_wrapperIN6hipcub16HIPCUB_304000_NS8EqualityEEEPlJS6_EEE10hipError_tPvRmT3_T4_T5_T6_T7_T9_mT8_P12ihipStream_tbDpT10_ENKUlT_T0_E_clISt17integral_constantIbLb0EES16_IbLb1EEEEDaS12_S13_EUlS12_E_NS1_11comp_targetILNS1_3genE2ELNS1_11target_archE906ELNS1_3gpuE6ELNS1_3repE0EEENS1_30default_config_static_selectorELNS0_4arch9wavefront6targetE0EEEvT1_.num_vgpr, 0
	.set _ZN7rocprim17ROCPRIM_400000_NS6detail17trampoline_kernelINS0_14default_configENS1_25partition_config_selectorILNS1_17partition_subalgoE8EjNS0_10empty_typeEbEEZZNS1_14partition_implILS5_8ELb0ES3_jPKjPS6_PKS6_NS0_5tupleIJPjS6_EEENSE_IJSB_SB_EEENS0_18inequality_wrapperIN6hipcub16HIPCUB_304000_NS8EqualityEEEPlJS6_EEE10hipError_tPvRmT3_T4_T5_T6_T7_T9_mT8_P12ihipStream_tbDpT10_ENKUlT_T0_E_clISt17integral_constantIbLb0EES16_IbLb1EEEEDaS12_S13_EUlS12_E_NS1_11comp_targetILNS1_3genE2ELNS1_11target_archE906ELNS1_3gpuE6ELNS1_3repE0EEENS1_30default_config_static_selectorELNS0_4arch9wavefront6targetE0EEEvT1_.num_agpr, 0
	.set _ZN7rocprim17ROCPRIM_400000_NS6detail17trampoline_kernelINS0_14default_configENS1_25partition_config_selectorILNS1_17partition_subalgoE8EjNS0_10empty_typeEbEEZZNS1_14partition_implILS5_8ELb0ES3_jPKjPS6_PKS6_NS0_5tupleIJPjS6_EEENSE_IJSB_SB_EEENS0_18inequality_wrapperIN6hipcub16HIPCUB_304000_NS8EqualityEEEPlJS6_EEE10hipError_tPvRmT3_T4_T5_T6_T7_T9_mT8_P12ihipStream_tbDpT10_ENKUlT_T0_E_clISt17integral_constantIbLb0EES16_IbLb1EEEEDaS12_S13_EUlS12_E_NS1_11comp_targetILNS1_3genE2ELNS1_11target_archE906ELNS1_3gpuE6ELNS1_3repE0EEENS1_30default_config_static_selectorELNS0_4arch9wavefront6targetE0EEEvT1_.numbered_sgpr, 0
	.set _ZN7rocprim17ROCPRIM_400000_NS6detail17trampoline_kernelINS0_14default_configENS1_25partition_config_selectorILNS1_17partition_subalgoE8EjNS0_10empty_typeEbEEZZNS1_14partition_implILS5_8ELb0ES3_jPKjPS6_PKS6_NS0_5tupleIJPjS6_EEENSE_IJSB_SB_EEENS0_18inequality_wrapperIN6hipcub16HIPCUB_304000_NS8EqualityEEEPlJS6_EEE10hipError_tPvRmT3_T4_T5_T6_T7_T9_mT8_P12ihipStream_tbDpT10_ENKUlT_T0_E_clISt17integral_constantIbLb0EES16_IbLb1EEEEDaS12_S13_EUlS12_E_NS1_11comp_targetILNS1_3genE2ELNS1_11target_archE906ELNS1_3gpuE6ELNS1_3repE0EEENS1_30default_config_static_selectorELNS0_4arch9wavefront6targetE0EEEvT1_.num_named_barrier, 0
	.set _ZN7rocprim17ROCPRIM_400000_NS6detail17trampoline_kernelINS0_14default_configENS1_25partition_config_selectorILNS1_17partition_subalgoE8EjNS0_10empty_typeEbEEZZNS1_14partition_implILS5_8ELb0ES3_jPKjPS6_PKS6_NS0_5tupleIJPjS6_EEENSE_IJSB_SB_EEENS0_18inequality_wrapperIN6hipcub16HIPCUB_304000_NS8EqualityEEEPlJS6_EEE10hipError_tPvRmT3_T4_T5_T6_T7_T9_mT8_P12ihipStream_tbDpT10_ENKUlT_T0_E_clISt17integral_constantIbLb0EES16_IbLb1EEEEDaS12_S13_EUlS12_E_NS1_11comp_targetILNS1_3genE2ELNS1_11target_archE906ELNS1_3gpuE6ELNS1_3repE0EEENS1_30default_config_static_selectorELNS0_4arch9wavefront6targetE0EEEvT1_.private_seg_size, 0
	.set _ZN7rocprim17ROCPRIM_400000_NS6detail17trampoline_kernelINS0_14default_configENS1_25partition_config_selectorILNS1_17partition_subalgoE8EjNS0_10empty_typeEbEEZZNS1_14partition_implILS5_8ELb0ES3_jPKjPS6_PKS6_NS0_5tupleIJPjS6_EEENSE_IJSB_SB_EEENS0_18inequality_wrapperIN6hipcub16HIPCUB_304000_NS8EqualityEEEPlJS6_EEE10hipError_tPvRmT3_T4_T5_T6_T7_T9_mT8_P12ihipStream_tbDpT10_ENKUlT_T0_E_clISt17integral_constantIbLb0EES16_IbLb1EEEEDaS12_S13_EUlS12_E_NS1_11comp_targetILNS1_3genE2ELNS1_11target_archE906ELNS1_3gpuE6ELNS1_3repE0EEENS1_30default_config_static_selectorELNS0_4arch9wavefront6targetE0EEEvT1_.uses_vcc, 0
	.set _ZN7rocprim17ROCPRIM_400000_NS6detail17trampoline_kernelINS0_14default_configENS1_25partition_config_selectorILNS1_17partition_subalgoE8EjNS0_10empty_typeEbEEZZNS1_14partition_implILS5_8ELb0ES3_jPKjPS6_PKS6_NS0_5tupleIJPjS6_EEENSE_IJSB_SB_EEENS0_18inequality_wrapperIN6hipcub16HIPCUB_304000_NS8EqualityEEEPlJS6_EEE10hipError_tPvRmT3_T4_T5_T6_T7_T9_mT8_P12ihipStream_tbDpT10_ENKUlT_T0_E_clISt17integral_constantIbLb0EES16_IbLb1EEEEDaS12_S13_EUlS12_E_NS1_11comp_targetILNS1_3genE2ELNS1_11target_archE906ELNS1_3gpuE6ELNS1_3repE0EEENS1_30default_config_static_selectorELNS0_4arch9wavefront6targetE0EEEvT1_.uses_flat_scratch, 0
	.set _ZN7rocprim17ROCPRIM_400000_NS6detail17trampoline_kernelINS0_14default_configENS1_25partition_config_selectorILNS1_17partition_subalgoE8EjNS0_10empty_typeEbEEZZNS1_14partition_implILS5_8ELb0ES3_jPKjPS6_PKS6_NS0_5tupleIJPjS6_EEENSE_IJSB_SB_EEENS0_18inequality_wrapperIN6hipcub16HIPCUB_304000_NS8EqualityEEEPlJS6_EEE10hipError_tPvRmT3_T4_T5_T6_T7_T9_mT8_P12ihipStream_tbDpT10_ENKUlT_T0_E_clISt17integral_constantIbLb0EES16_IbLb1EEEEDaS12_S13_EUlS12_E_NS1_11comp_targetILNS1_3genE2ELNS1_11target_archE906ELNS1_3gpuE6ELNS1_3repE0EEENS1_30default_config_static_selectorELNS0_4arch9wavefront6targetE0EEEvT1_.has_dyn_sized_stack, 0
	.set _ZN7rocprim17ROCPRIM_400000_NS6detail17trampoline_kernelINS0_14default_configENS1_25partition_config_selectorILNS1_17partition_subalgoE8EjNS0_10empty_typeEbEEZZNS1_14partition_implILS5_8ELb0ES3_jPKjPS6_PKS6_NS0_5tupleIJPjS6_EEENSE_IJSB_SB_EEENS0_18inequality_wrapperIN6hipcub16HIPCUB_304000_NS8EqualityEEEPlJS6_EEE10hipError_tPvRmT3_T4_T5_T6_T7_T9_mT8_P12ihipStream_tbDpT10_ENKUlT_T0_E_clISt17integral_constantIbLb0EES16_IbLb1EEEEDaS12_S13_EUlS12_E_NS1_11comp_targetILNS1_3genE2ELNS1_11target_archE906ELNS1_3gpuE6ELNS1_3repE0EEENS1_30default_config_static_selectorELNS0_4arch9wavefront6targetE0EEEvT1_.has_recursion, 0
	.set _ZN7rocprim17ROCPRIM_400000_NS6detail17trampoline_kernelINS0_14default_configENS1_25partition_config_selectorILNS1_17partition_subalgoE8EjNS0_10empty_typeEbEEZZNS1_14partition_implILS5_8ELb0ES3_jPKjPS6_PKS6_NS0_5tupleIJPjS6_EEENSE_IJSB_SB_EEENS0_18inequality_wrapperIN6hipcub16HIPCUB_304000_NS8EqualityEEEPlJS6_EEE10hipError_tPvRmT3_T4_T5_T6_T7_T9_mT8_P12ihipStream_tbDpT10_ENKUlT_T0_E_clISt17integral_constantIbLb0EES16_IbLb1EEEEDaS12_S13_EUlS12_E_NS1_11comp_targetILNS1_3genE2ELNS1_11target_archE906ELNS1_3gpuE6ELNS1_3repE0EEENS1_30default_config_static_selectorELNS0_4arch9wavefront6targetE0EEEvT1_.has_indirect_call, 0
	.section	.AMDGPU.csdata,"",@progbits
; Kernel info:
; codeLenInByte = 0
; TotalNumSgprs: 0
; NumVgprs: 0
; ScratchSize: 0
; MemoryBound: 0
; FloatMode: 240
; IeeeMode: 1
; LDSByteSize: 0 bytes/workgroup (compile time only)
; SGPRBlocks: 0
; VGPRBlocks: 0
; NumSGPRsForWavesPerEU: 1
; NumVGPRsForWavesPerEU: 1
; NamedBarCnt: 0
; Occupancy: 16
; WaveLimiterHint : 0
; COMPUTE_PGM_RSRC2:SCRATCH_EN: 0
; COMPUTE_PGM_RSRC2:USER_SGPR: 2
; COMPUTE_PGM_RSRC2:TRAP_HANDLER: 0
; COMPUTE_PGM_RSRC2:TGID_X_EN: 1
; COMPUTE_PGM_RSRC2:TGID_Y_EN: 0
; COMPUTE_PGM_RSRC2:TGID_Z_EN: 0
; COMPUTE_PGM_RSRC2:TIDIG_COMP_CNT: 0
	.section	.text._ZN7rocprim17ROCPRIM_400000_NS6detail17trampoline_kernelINS0_14default_configENS1_25partition_config_selectorILNS1_17partition_subalgoE8EjNS0_10empty_typeEbEEZZNS1_14partition_implILS5_8ELb0ES3_jPKjPS6_PKS6_NS0_5tupleIJPjS6_EEENSE_IJSB_SB_EEENS0_18inequality_wrapperIN6hipcub16HIPCUB_304000_NS8EqualityEEEPlJS6_EEE10hipError_tPvRmT3_T4_T5_T6_T7_T9_mT8_P12ihipStream_tbDpT10_ENKUlT_T0_E_clISt17integral_constantIbLb0EES16_IbLb1EEEEDaS12_S13_EUlS12_E_NS1_11comp_targetILNS1_3genE10ELNS1_11target_archE1200ELNS1_3gpuE4ELNS1_3repE0EEENS1_30default_config_static_selectorELNS0_4arch9wavefront6targetE0EEEvT1_,"axG",@progbits,_ZN7rocprim17ROCPRIM_400000_NS6detail17trampoline_kernelINS0_14default_configENS1_25partition_config_selectorILNS1_17partition_subalgoE8EjNS0_10empty_typeEbEEZZNS1_14partition_implILS5_8ELb0ES3_jPKjPS6_PKS6_NS0_5tupleIJPjS6_EEENSE_IJSB_SB_EEENS0_18inequality_wrapperIN6hipcub16HIPCUB_304000_NS8EqualityEEEPlJS6_EEE10hipError_tPvRmT3_T4_T5_T6_T7_T9_mT8_P12ihipStream_tbDpT10_ENKUlT_T0_E_clISt17integral_constantIbLb0EES16_IbLb1EEEEDaS12_S13_EUlS12_E_NS1_11comp_targetILNS1_3genE10ELNS1_11target_archE1200ELNS1_3gpuE4ELNS1_3repE0EEENS1_30default_config_static_selectorELNS0_4arch9wavefront6targetE0EEEvT1_,comdat
	.protected	_ZN7rocprim17ROCPRIM_400000_NS6detail17trampoline_kernelINS0_14default_configENS1_25partition_config_selectorILNS1_17partition_subalgoE8EjNS0_10empty_typeEbEEZZNS1_14partition_implILS5_8ELb0ES3_jPKjPS6_PKS6_NS0_5tupleIJPjS6_EEENSE_IJSB_SB_EEENS0_18inequality_wrapperIN6hipcub16HIPCUB_304000_NS8EqualityEEEPlJS6_EEE10hipError_tPvRmT3_T4_T5_T6_T7_T9_mT8_P12ihipStream_tbDpT10_ENKUlT_T0_E_clISt17integral_constantIbLb0EES16_IbLb1EEEEDaS12_S13_EUlS12_E_NS1_11comp_targetILNS1_3genE10ELNS1_11target_archE1200ELNS1_3gpuE4ELNS1_3repE0EEENS1_30default_config_static_selectorELNS0_4arch9wavefront6targetE0EEEvT1_ ; -- Begin function _ZN7rocprim17ROCPRIM_400000_NS6detail17trampoline_kernelINS0_14default_configENS1_25partition_config_selectorILNS1_17partition_subalgoE8EjNS0_10empty_typeEbEEZZNS1_14partition_implILS5_8ELb0ES3_jPKjPS6_PKS6_NS0_5tupleIJPjS6_EEENSE_IJSB_SB_EEENS0_18inequality_wrapperIN6hipcub16HIPCUB_304000_NS8EqualityEEEPlJS6_EEE10hipError_tPvRmT3_T4_T5_T6_T7_T9_mT8_P12ihipStream_tbDpT10_ENKUlT_T0_E_clISt17integral_constantIbLb0EES16_IbLb1EEEEDaS12_S13_EUlS12_E_NS1_11comp_targetILNS1_3genE10ELNS1_11target_archE1200ELNS1_3gpuE4ELNS1_3repE0EEENS1_30default_config_static_selectorELNS0_4arch9wavefront6targetE0EEEvT1_
	.globl	_ZN7rocprim17ROCPRIM_400000_NS6detail17trampoline_kernelINS0_14default_configENS1_25partition_config_selectorILNS1_17partition_subalgoE8EjNS0_10empty_typeEbEEZZNS1_14partition_implILS5_8ELb0ES3_jPKjPS6_PKS6_NS0_5tupleIJPjS6_EEENSE_IJSB_SB_EEENS0_18inequality_wrapperIN6hipcub16HIPCUB_304000_NS8EqualityEEEPlJS6_EEE10hipError_tPvRmT3_T4_T5_T6_T7_T9_mT8_P12ihipStream_tbDpT10_ENKUlT_T0_E_clISt17integral_constantIbLb0EES16_IbLb1EEEEDaS12_S13_EUlS12_E_NS1_11comp_targetILNS1_3genE10ELNS1_11target_archE1200ELNS1_3gpuE4ELNS1_3repE0EEENS1_30default_config_static_selectorELNS0_4arch9wavefront6targetE0EEEvT1_
	.p2align	8
	.type	_ZN7rocprim17ROCPRIM_400000_NS6detail17trampoline_kernelINS0_14default_configENS1_25partition_config_selectorILNS1_17partition_subalgoE8EjNS0_10empty_typeEbEEZZNS1_14partition_implILS5_8ELb0ES3_jPKjPS6_PKS6_NS0_5tupleIJPjS6_EEENSE_IJSB_SB_EEENS0_18inequality_wrapperIN6hipcub16HIPCUB_304000_NS8EqualityEEEPlJS6_EEE10hipError_tPvRmT3_T4_T5_T6_T7_T9_mT8_P12ihipStream_tbDpT10_ENKUlT_T0_E_clISt17integral_constantIbLb0EES16_IbLb1EEEEDaS12_S13_EUlS12_E_NS1_11comp_targetILNS1_3genE10ELNS1_11target_archE1200ELNS1_3gpuE4ELNS1_3repE0EEENS1_30default_config_static_selectorELNS0_4arch9wavefront6targetE0EEEvT1_,@function
_ZN7rocprim17ROCPRIM_400000_NS6detail17trampoline_kernelINS0_14default_configENS1_25partition_config_selectorILNS1_17partition_subalgoE8EjNS0_10empty_typeEbEEZZNS1_14partition_implILS5_8ELb0ES3_jPKjPS6_PKS6_NS0_5tupleIJPjS6_EEENSE_IJSB_SB_EEENS0_18inequality_wrapperIN6hipcub16HIPCUB_304000_NS8EqualityEEEPlJS6_EEE10hipError_tPvRmT3_T4_T5_T6_T7_T9_mT8_P12ihipStream_tbDpT10_ENKUlT_T0_E_clISt17integral_constantIbLb0EES16_IbLb1EEEEDaS12_S13_EUlS12_E_NS1_11comp_targetILNS1_3genE10ELNS1_11target_archE1200ELNS1_3gpuE4ELNS1_3repE0EEENS1_30default_config_static_selectorELNS0_4arch9wavefront6targetE0EEEvT1_: ; @_ZN7rocprim17ROCPRIM_400000_NS6detail17trampoline_kernelINS0_14default_configENS1_25partition_config_selectorILNS1_17partition_subalgoE8EjNS0_10empty_typeEbEEZZNS1_14partition_implILS5_8ELb0ES3_jPKjPS6_PKS6_NS0_5tupleIJPjS6_EEENSE_IJSB_SB_EEENS0_18inequality_wrapperIN6hipcub16HIPCUB_304000_NS8EqualityEEEPlJS6_EEE10hipError_tPvRmT3_T4_T5_T6_T7_T9_mT8_P12ihipStream_tbDpT10_ENKUlT_T0_E_clISt17integral_constantIbLb0EES16_IbLb1EEEEDaS12_S13_EUlS12_E_NS1_11comp_targetILNS1_3genE10ELNS1_11target_archE1200ELNS1_3gpuE4ELNS1_3repE0EEENS1_30default_config_static_selectorELNS0_4arch9wavefront6targetE0EEEvT1_
; %bb.0:
	.section	.rodata,"a",@progbits
	.p2align	6, 0x0
	.amdhsa_kernel _ZN7rocprim17ROCPRIM_400000_NS6detail17trampoline_kernelINS0_14default_configENS1_25partition_config_selectorILNS1_17partition_subalgoE8EjNS0_10empty_typeEbEEZZNS1_14partition_implILS5_8ELb0ES3_jPKjPS6_PKS6_NS0_5tupleIJPjS6_EEENSE_IJSB_SB_EEENS0_18inequality_wrapperIN6hipcub16HIPCUB_304000_NS8EqualityEEEPlJS6_EEE10hipError_tPvRmT3_T4_T5_T6_T7_T9_mT8_P12ihipStream_tbDpT10_ENKUlT_T0_E_clISt17integral_constantIbLb0EES16_IbLb1EEEEDaS12_S13_EUlS12_E_NS1_11comp_targetILNS1_3genE10ELNS1_11target_archE1200ELNS1_3gpuE4ELNS1_3repE0EEENS1_30default_config_static_selectorELNS0_4arch9wavefront6targetE0EEEvT1_
		.amdhsa_group_segment_fixed_size 0
		.amdhsa_private_segment_fixed_size 0
		.amdhsa_kernarg_size 128
		.amdhsa_user_sgpr_count 2
		.amdhsa_user_sgpr_dispatch_ptr 0
		.amdhsa_user_sgpr_queue_ptr 0
		.amdhsa_user_sgpr_kernarg_segment_ptr 1
		.amdhsa_user_sgpr_dispatch_id 0
		.amdhsa_user_sgpr_kernarg_preload_length 0
		.amdhsa_user_sgpr_kernarg_preload_offset 0
		.amdhsa_user_sgpr_private_segment_size 0
		.amdhsa_wavefront_size32 1
		.amdhsa_uses_dynamic_stack 0
		.amdhsa_enable_private_segment 0
		.amdhsa_system_sgpr_workgroup_id_x 1
		.amdhsa_system_sgpr_workgroup_id_y 0
		.amdhsa_system_sgpr_workgroup_id_z 0
		.amdhsa_system_sgpr_workgroup_info 0
		.amdhsa_system_vgpr_workitem_id 0
		.amdhsa_next_free_vgpr 1
		.amdhsa_next_free_sgpr 1
		.amdhsa_named_barrier_count 0
		.amdhsa_reserve_vcc 0
		.amdhsa_float_round_mode_32 0
		.amdhsa_float_round_mode_16_64 0
		.amdhsa_float_denorm_mode_32 3
		.amdhsa_float_denorm_mode_16_64 3
		.amdhsa_fp16_overflow 0
		.amdhsa_memory_ordered 1
		.amdhsa_forward_progress 1
		.amdhsa_inst_pref_size 0
		.amdhsa_round_robin_scheduling 0
		.amdhsa_exception_fp_ieee_invalid_op 0
		.amdhsa_exception_fp_denorm_src 0
		.amdhsa_exception_fp_ieee_div_zero 0
		.amdhsa_exception_fp_ieee_overflow 0
		.amdhsa_exception_fp_ieee_underflow 0
		.amdhsa_exception_fp_ieee_inexact 0
		.amdhsa_exception_int_div_zero 0
	.end_amdhsa_kernel
	.section	.text._ZN7rocprim17ROCPRIM_400000_NS6detail17trampoline_kernelINS0_14default_configENS1_25partition_config_selectorILNS1_17partition_subalgoE8EjNS0_10empty_typeEbEEZZNS1_14partition_implILS5_8ELb0ES3_jPKjPS6_PKS6_NS0_5tupleIJPjS6_EEENSE_IJSB_SB_EEENS0_18inequality_wrapperIN6hipcub16HIPCUB_304000_NS8EqualityEEEPlJS6_EEE10hipError_tPvRmT3_T4_T5_T6_T7_T9_mT8_P12ihipStream_tbDpT10_ENKUlT_T0_E_clISt17integral_constantIbLb0EES16_IbLb1EEEEDaS12_S13_EUlS12_E_NS1_11comp_targetILNS1_3genE10ELNS1_11target_archE1200ELNS1_3gpuE4ELNS1_3repE0EEENS1_30default_config_static_selectorELNS0_4arch9wavefront6targetE0EEEvT1_,"axG",@progbits,_ZN7rocprim17ROCPRIM_400000_NS6detail17trampoline_kernelINS0_14default_configENS1_25partition_config_selectorILNS1_17partition_subalgoE8EjNS0_10empty_typeEbEEZZNS1_14partition_implILS5_8ELb0ES3_jPKjPS6_PKS6_NS0_5tupleIJPjS6_EEENSE_IJSB_SB_EEENS0_18inequality_wrapperIN6hipcub16HIPCUB_304000_NS8EqualityEEEPlJS6_EEE10hipError_tPvRmT3_T4_T5_T6_T7_T9_mT8_P12ihipStream_tbDpT10_ENKUlT_T0_E_clISt17integral_constantIbLb0EES16_IbLb1EEEEDaS12_S13_EUlS12_E_NS1_11comp_targetILNS1_3genE10ELNS1_11target_archE1200ELNS1_3gpuE4ELNS1_3repE0EEENS1_30default_config_static_selectorELNS0_4arch9wavefront6targetE0EEEvT1_,comdat
.Lfunc_end646:
	.size	_ZN7rocprim17ROCPRIM_400000_NS6detail17trampoline_kernelINS0_14default_configENS1_25partition_config_selectorILNS1_17partition_subalgoE8EjNS0_10empty_typeEbEEZZNS1_14partition_implILS5_8ELb0ES3_jPKjPS6_PKS6_NS0_5tupleIJPjS6_EEENSE_IJSB_SB_EEENS0_18inequality_wrapperIN6hipcub16HIPCUB_304000_NS8EqualityEEEPlJS6_EEE10hipError_tPvRmT3_T4_T5_T6_T7_T9_mT8_P12ihipStream_tbDpT10_ENKUlT_T0_E_clISt17integral_constantIbLb0EES16_IbLb1EEEEDaS12_S13_EUlS12_E_NS1_11comp_targetILNS1_3genE10ELNS1_11target_archE1200ELNS1_3gpuE4ELNS1_3repE0EEENS1_30default_config_static_selectorELNS0_4arch9wavefront6targetE0EEEvT1_, .Lfunc_end646-_ZN7rocprim17ROCPRIM_400000_NS6detail17trampoline_kernelINS0_14default_configENS1_25partition_config_selectorILNS1_17partition_subalgoE8EjNS0_10empty_typeEbEEZZNS1_14partition_implILS5_8ELb0ES3_jPKjPS6_PKS6_NS0_5tupleIJPjS6_EEENSE_IJSB_SB_EEENS0_18inequality_wrapperIN6hipcub16HIPCUB_304000_NS8EqualityEEEPlJS6_EEE10hipError_tPvRmT3_T4_T5_T6_T7_T9_mT8_P12ihipStream_tbDpT10_ENKUlT_T0_E_clISt17integral_constantIbLb0EES16_IbLb1EEEEDaS12_S13_EUlS12_E_NS1_11comp_targetILNS1_3genE10ELNS1_11target_archE1200ELNS1_3gpuE4ELNS1_3repE0EEENS1_30default_config_static_selectorELNS0_4arch9wavefront6targetE0EEEvT1_
                                        ; -- End function
	.set _ZN7rocprim17ROCPRIM_400000_NS6detail17trampoline_kernelINS0_14default_configENS1_25partition_config_selectorILNS1_17partition_subalgoE8EjNS0_10empty_typeEbEEZZNS1_14partition_implILS5_8ELb0ES3_jPKjPS6_PKS6_NS0_5tupleIJPjS6_EEENSE_IJSB_SB_EEENS0_18inequality_wrapperIN6hipcub16HIPCUB_304000_NS8EqualityEEEPlJS6_EEE10hipError_tPvRmT3_T4_T5_T6_T7_T9_mT8_P12ihipStream_tbDpT10_ENKUlT_T0_E_clISt17integral_constantIbLb0EES16_IbLb1EEEEDaS12_S13_EUlS12_E_NS1_11comp_targetILNS1_3genE10ELNS1_11target_archE1200ELNS1_3gpuE4ELNS1_3repE0EEENS1_30default_config_static_selectorELNS0_4arch9wavefront6targetE0EEEvT1_.num_vgpr, 0
	.set _ZN7rocprim17ROCPRIM_400000_NS6detail17trampoline_kernelINS0_14default_configENS1_25partition_config_selectorILNS1_17partition_subalgoE8EjNS0_10empty_typeEbEEZZNS1_14partition_implILS5_8ELb0ES3_jPKjPS6_PKS6_NS0_5tupleIJPjS6_EEENSE_IJSB_SB_EEENS0_18inequality_wrapperIN6hipcub16HIPCUB_304000_NS8EqualityEEEPlJS6_EEE10hipError_tPvRmT3_T4_T5_T6_T7_T9_mT8_P12ihipStream_tbDpT10_ENKUlT_T0_E_clISt17integral_constantIbLb0EES16_IbLb1EEEEDaS12_S13_EUlS12_E_NS1_11comp_targetILNS1_3genE10ELNS1_11target_archE1200ELNS1_3gpuE4ELNS1_3repE0EEENS1_30default_config_static_selectorELNS0_4arch9wavefront6targetE0EEEvT1_.num_agpr, 0
	.set _ZN7rocprim17ROCPRIM_400000_NS6detail17trampoline_kernelINS0_14default_configENS1_25partition_config_selectorILNS1_17partition_subalgoE8EjNS0_10empty_typeEbEEZZNS1_14partition_implILS5_8ELb0ES3_jPKjPS6_PKS6_NS0_5tupleIJPjS6_EEENSE_IJSB_SB_EEENS0_18inequality_wrapperIN6hipcub16HIPCUB_304000_NS8EqualityEEEPlJS6_EEE10hipError_tPvRmT3_T4_T5_T6_T7_T9_mT8_P12ihipStream_tbDpT10_ENKUlT_T0_E_clISt17integral_constantIbLb0EES16_IbLb1EEEEDaS12_S13_EUlS12_E_NS1_11comp_targetILNS1_3genE10ELNS1_11target_archE1200ELNS1_3gpuE4ELNS1_3repE0EEENS1_30default_config_static_selectorELNS0_4arch9wavefront6targetE0EEEvT1_.numbered_sgpr, 0
	.set _ZN7rocprim17ROCPRIM_400000_NS6detail17trampoline_kernelINS0_14default_configENS1_25partition_config_selectorILNS1_17partition_subalgoE8EjNS0_10empty_typeEbEEZZNS1_14partition_implILS5_8ELb0ES3_jPKjPS6_PKS6_NS0_5tupleIJPjS6_EEENSE_IJSB_SB_EEENS0_18inequality_wrapperIN6hipcub16HIPCUB_304000_NS8EqualityEEEPlJS6_EEE10hipError_tPvRmT3_T4_T5_T6_T7_T9_mT8_P12ihipStream_tbDpT10_ENKUlT_T0_E_clISt17integral_constantIbLb0EES16_IbLb1EEEEDaS12_S13_EUlS12_E_NS1_11comp_targetILNS1_3genE10ELNS1_11target_archE1200ELNS1_3gpuE4ELNS1_3repE0EEENS1_30default_config_static_selectorELNS0_4arch9wavefront6targetE0EEEvT1_.num_named_barrier, 0
	.set _ZN7rocprim17ROCPRIM_400000_NS6detail17trampoline_kernelINS0_14default_configENS1_25partition_config_selectorILNS1_17partition_subalgoE8EjNS0_10empty_typeEbEEZZNS1_14partition_implILS5_8ELb0ES3_jPKjPS6_PKS6_NS0_5tupleIJPjS6_EEENSE_IJSB_SB_EEENS0_18inequality_wrapperIN6hipcub16HIPCUB_304000_NS8EqualityEEEPlJS6_EEE10hipError_tPvRmT3_T4_T5_T6_T7_T9_mT8_P12ihipStream_tbDpT10_ENKUlT_T0_E_clISt17integral_constantIbLb0EES16_IbLb1EEEEDaS12_S13_EUlS12_E_NS1_11comp_targetILNS1_3genE10ELNS1_11target_archE1200ELNS1_3gpuE4ELNS1_3repE0EEENS1_30default_config_static_selectorELNS0_4arch9wavefront6targetE0EEEvT1_.private_seg_size, 0
	.set _ZN7rocprim17ROCPRIM_400000_NS6detail17trampoline_kernelINS0_14default_configENS1_25partition_config_selectorILNS1_17partition_subalgoE8EjNS0_10empty_typeEbEEZZNS1_14partition_implILS5_8ELb0ES3_jPKjPS6_PKS6_NS0_5tupleIJPjS6_EEENSE_IJSB_SB_EEENS0_18inequality_wrapperIN6hipcub16HIPCUB_304000_NS8EqualityEEEPlJS6_EEE10hipError_tPvRmT3_T4_T5_T6_T7_T9_mT8_P12ihipStream_tbDpT10_ENKUlT_T0_E_clISt17integral_constantIbLb0EES16_IbLb1EEEEDaS12_S13_EUlS12_E_NS1_11comp_targetILNS1_3genE10ELNS1_11target_archE1200ELNS1_3gpuE4ELNS1_3repE0EEENS1_30default_config_static_selectorELNS0_4arch9wavefront6targetE0EEEvT1_.uses_vcc, 0
	.set _ZN7rocprim17ROCPRIM_400000_NS6detail17trampoline_kernelINS0_14default_configENS1_25partition_config_selectorILNS1_17partition_subalgoE8EjNS0_10empty_typeEbEEZZNS1_14partition_implILS5_8ELb0ES3_jPKjPS6_PKS6_NS0_5tupleIJPjS6_EEENSE_IJSB_SB_EEENS0_18inequality_wrapperIN6hipcub16HIPCUB_304000_NS8EqualityEEEPlJS6_EEE10hipError_tPvRmT3_T4_T5_T6_T7_T9_mT8_P12ihipStream_tbDpT10_ENKUlT_T0_E_clISt17integral_constantIbLb0EES16_IbLb1EEEEDaS12_S13_EUlS12_E_NS1_11comp_targetILNS1_3genE10ELNS1_11target_archE1200ELNS1_3gpuE4ELNS1_3repE0EEENS1_30default_config_static_selectorELNS0_4arch9wavefront6targetE0EEEvT1_.uses_flat_scratch, 0
	.set _ZN7rocprim17ROCPRIM_400000_NS6detail17trampoline_kernelINS0_14default_configENS1_25partition_config_selectorILNS1_17partition_subalgoE8EjNS0_10empty_typeEbEEZZNS1_14partition_implILS5_8ELb0ES3_jPKjPS6_PKS6_NS0_5tupleIJPjS6_EEENSE_IJSB_SB_EEENS0_18inequality_wrapperIN6hipcub16HIPCUB_304000_NS8EqualityEEEPlJS6_EEE10hipError_tPvRmT3_T4_T5_T6_T7_T9_mT8_P12ihipStream_tbDpT10_ENKUlT_T0_E_clISt17integral_constantIbLb0EES16_IbLb1EEEEDaS12_S13_EUlS12_E_NS1_11comp_targetILNS1_3genE10ELNS1_11target_archE1200ELNS1_3gpuE4ELNS1_3repE0EEENS1_30default_config_static_selectorELNS0_4arch9wavefront6targetE0EEEvT1_.has_dyn_sized_stack, 0
	.set _ZN7rocprim17ROCPRIM_400000_NS6detail17trampoline_kernelINS0_14default_configENS1_25partition_config_selectorILNS1_17partition_subalgoE8EjNS0_10empty_typeEbEEZZNS1_14partition_implILS5_8ELb0ES3_jPKjPS6_PKS6_NS0_5tupleIJPjS6_EEENSE_IJSB_SB_EEENS0_18inequality_wrapperIN6hipcub16HIPCUB_304000_NS8EqualityEEEPlJS6_EEE10hipError_tPvRmT3_T4_T5_T6_T7_T9_mT8_P12ihipStream_tbDpT10_ENKUlT_T0_E_clISt17integral_constantIbLb0EES16_IbLb1EEEEDaS12_S13_EUlS12_E_NS1_11comp_targetILNS1_3genE10ELNS1_11target_archE1200ELNS1_3gpuE4ELNS1_3repE0EEENS1_30default_config_static_selectorELNS0_4arch9wavefront6targetE0EEEvT1_.has_recursion, 0
	.set _ZN7rocprim17ROCPRIM_400000_NS6detail17trampoline_kernelINS0_14default_configENS1_25partition_config_selectorILNS1_17partition_subalgoE8EjNS0_10empty_typeEbEEZZNS1_14partition_implILS5_8ELb0ES3_jPKjPS6_PKS6_NS0_5tupleIJPjS6_EEENSE_IJSB_SB_EEENS0_18inequality_wrapperIN6hipcub16HIPCUB_304000_NS8EqualityEEEPlJS6_EEE10hipError_tPvRmT3_T4_T5_T6_T7_T9_mT8_P12ihipStream_tbDpT10_ENKUlT_T0_E_clISt17integral_constantIbLb0EES16_IbLb1EEEEDaS12_S13_EUlS12_E_NS1_11comp_targetILNS1_3genE10ELNS1_11target_archE1200ELNS1_3gpuE4ELNS1_3repE0EEENS1_30default_config_static_selectorELNS0_4arch9wavefront6targetE0EEEvT1_.has_indirect_call, 0
	.section	.AMDGPU.csdata,"",@progbits
; Kernel info:
; codeLenInByte = 0
; TotalNumSgprs: 0
; NumVgprs: 0
; ScratchSize: 0
; MemoryBound: 0
; FloatMode: 240
; IeeeMode: 1
; LDSByteSize: 0 bytes/workgroup (compile time only)
; SGPRBlocks: 0
; VGPRBlocks: 0
; NumSGPRsForWavesPerEU: 1
; NumVGPRsForWavesPerEU: 1
; NamedBarCnt: 0
; Occupancy: 16
; WaveLimiterHint : 0
; COMPUTE_PGM_RSRC2:SCRATCH_EN: 0
; COMPUTE_PGM_RSRC2:USER_SGPR: 2
; COMPUTE_PGM_RSRC2:TRAP_HANDLER: 0
; COMPUTE_PGM_RSRC2:TGID_X_EN: 1
; COMPUTE_PGM_RSRC2:TGID_Y_EN: 0
; COMPUTE_PGM_RSRC2:TGID_Z_EN: 0
; COMPUTE_PGM_RSRC2:TIDIG_COMP_CNT: 0
	.section	.text._ZN7rocprim17ROCPRIM_400000_NS6detail17trampoline_kernelINS0_14default_configENS1_25partition_config_selectorILNS1_17partition_subalgoE8EjNS0_10empty_typeEbEEZZNS1_14partition_implILS5_8ELb0ES3_jPKjPS6_PKS6_NS0_5tupleIJPjS6_EEENSE_IJSB_SB_EEENS0_18inequality_wrapperIN6hipcub16HIPCUB_304000_NS8EqualityEEEPlJS6_EEE10hipError_tPvRmT3_T4_T5_T6_T7_T9_mT8_P12ihipStream_tbDpT10_ENKUlT_T0_E_clISt17integral_constantIbLb0EES16_IbLb1EEEEDaS12_S13_EUlS12_E_NS1_11comp_targetILNS1_3genE9ELNS1_11target_archE1100ELNS1_3gpuE3ELNS1_3repE0EEENS1_30default_config_static_selectorELNS0_4arch9wavefront6targetE0EEEvT1_,"axG",@progbits,_ZN7rocprim17ROCPRIM_400000_NS6detail17trampoline_kernelINS0_14default_configENS1_25partition_config_selectorILNS1_17partition_subalgoE8EjNS0_10empty_typeEbEEZZNS1_14partition_implILS5_8ELb0ES3_jPKjPS6_PKS6_NS0_5tupleIJPjS6_EEENSE_IJSB_SB_EEENS0_18inequality_wrapperIN6hipcub16HIPCUB_304000_NS8EqualityEEEPlJS6_EEE10hipError_tPvRmT3_T4_T5_T6_T7_T9_mT8_P12ihipStream_tbDpT10_ENKUlT_T0_E_clISt17integral_constantIbLb0EES16_IbLb1EEEEDaS12_S13_EUlS12_E_NS1_11comp_targetILNS1_3genE9ELNS1_11target_archE1100ELNS1_3gpuE3ELNS1_3repE0EEENS1_30default_config_static_selectorELNS0_4arch9wavefront6targetE0EEEvT1_,comdat
	.protected	_ZN7rocprim17ROCPRIM_400000_NS6detail17trampoline_kernelINS0_14default_configENS1_25partition_config_selectorILNS1_17partition_subalgoE8EjNS0_10empty_typeEbEEZZNS1_14partition_implILS5_8ELb0ES3_jPKjPS6_PKS6_NS0_5tupleIJPjS6_EEENSE_IJSB_SB_EEENS0_18inequality_wrapperIN6hipcub16HIPCUB_304000_NS8EqualityEEEPlJS6_EEE10hipError_tPvRmT3_T4_T5_T6_T7_T9_mT8_P12ihipStream_tbDpT10_ENKUlT_T0_E_clISt17integral_constantIbLb0EES16_IbLb1EEEEDaS12_S13_EUlS12_E_NS1_11comp_targetILNS1_3genE9ELNS1_11target_archE1100ELNS1_3gpuE3ELNS1_3repE0EEENS1_30default_config_static_selectorELNS0_4arch9wavefront6targetE0EEEvT1_ ; -- Begin function _ZN7rocprim17ROCPRIM_400000_NS6detail17trampoline_kernelINS0_14default_configENS1_25partition_config_selectorILNS1_17partition_subalgoE8EjNS0_10empty_typeEbEEZZNS1_14partition_implILS5_8ELb0ES3_jPKjPS6_PKS6_NS0_5tupleIJPjS6_EEENSE_IJSB_SB_EEENS0_18inequality_wrapperIN6hipcub16HIPCUB_304000_NS8EqualityEEEPlJS6_EEE10hipError_tPvRmT3_T4_T5_T6_T7_T9_mT8_P12ihipStream_tbDpT10_ENKUlT_T0_E_clISt17integral_constantIbLb0EES16_IbLb1EEEEDaS12_S13_EUlS12_E_NS1_11comp_targetILNS1_3genE9ELNS1_11target_archE1100ELNS1_3gpuE3ELNS1_3repE0EEENS1_30default_config_static_selectorELNS0_4arch9wavefront6targetE0EEEvT1_
	.globl	_ZN7rocprim17ROCPRIM_400000_NS6detail17trampoline_kernelINS0_14default_configENS1_25partition_config_selectorILNS1_17partition_subalgoE8EjNS0_10empty_typeEbEEZZNS1_14partition_implILS5_8ELb0ES3_jPKjPS6_PKS6_NS0_5tupleIJPjS6_EEENSE_IJSB_SB_EEENS0_18inequality_wrapperIN6hipcub16HIPCUB_304000_NS8EqualityEEEPlJS6_EEE10hipError_tPvRmT3_T4_T5_T6_T7_T9_mT8_P12ihipStream_tbDpT10_ENKUlT_T0_E_clISt17integral_constantIbLb0EES16_IbLb1EEEEDaS12_S13_EUlS12_E_NS1_11comp_targetILNS1_3genE9ELNS1_11target_archE1100ELNS1_3gpuE3ELNS1_3repE0EEENS1_30default_config_static_selectorELNS0_4arch9wavefront6targetE0EEEvT1_
	.p2align	8
	.type	_ZN7rocprim17ROCPRIM_400000_NS6detail17trampoline_kernelINS0_14default_configENS1_25partition_config_selectorILNS1_17partition_subalgoE8EjNS0_10empty_typeEbEEZZNS1_14partition_implILS5_8ELb0ES3_jPKjPS6_PKS6_NS0_5tupleIJPjS6_EEENSE_IJSB_SB_EEENS0_18inequality_wrapperIN6hipcub16HIPCUB_304000_NS8EqualityEEEPlJS6_EEE10hipError_tPvRmT3_T4_T5_T6_T7_T9_mT8_P12ihipStream_tbDpT10_ENKUlT_T0_E_clISt17integral_constantIbLb0EES16_IbLb1EEEEDaS12_S13_EUlS12_E_NS1_11comp_targetILNS1_3genE9ELNS1_11target_archE1100ELNS1_3gpuE3ELNS1_3repE0EEENS1_30default_config_static_selectorELNS0_4arch9wavefront6targetE0EEEvT1_,@function
_ZN7rocprim17ROCPRIM_400000_NS6detail17trampoline_kernelINS0_14default_configENS1_25partition_config_selectorILNS1_17partition_subalgoE8EjNS0_10empty_typeEbEEZZNS1_14partition_implILS5_8ELb0ES3_jPKjPS6_PKS6_NS0_5tupleIJPjS6_EEENSE_IJSB_SB_EEENS0_18inequality_wrapperIN6hipcub16HIPCUB_304000_NS8EqualityEEEPlJS6_EEE10hipError_tPvRmT3_T4_T5_T6_T7_T9_mT8_P12ihipStream_tbDpT10_ENKUlT_T0_E_clISt17integral_constantIbLb0EES16_IbLb1EEEEDaS12_S13_EUlS12_E_NS1_11comp_targetILNS1_3genE9ELNS1_11target_archE1100ELNS1_3gpuE3ELNS1_3repE0EEENS1_30default_config_static_selectorELNS0_4arch9wavefront6targetE0EEEvT1_: ; @_ZN7rocprim17ROCPRIM_400000_NS6detail17trampoline_kernelINS0_14default_configENS1_25partition_config_selectorILNS1_17partition_subalgoE8EjNS0_10empty_typeEbEEZZNS1_14partition_implILS5_8ELb0ES3_jPKjPS6_PKS6_NS0_5tupleIJPjS6_EEENSE_IJSB_SB_EEENS0_18inequality_wrapperIN6hipcub16HIPCUB_304000_NS8EqualityEEEPlJS6_EEE10hipError_tPvRmT3_T4_T5_T6_T7_T9_mT8_P12ihipStream_tbDpT10_ENKUlT_T0_E_clISt17integral_constantIbLb0EES16_IbLb1EEEEDaS12_S13_EUlS12_E_NS1_11comp_targetILNS1_3genE9ELNS1_11target_archE1100ELNS1_3gpuE3ELNS1_3repE0EEENS1_30default_config_static_selectorELNS0_4arch9wavefront6targetE0EEEvT1_
; %bb.0:
	.section	.rodata,"a",@progbits
	.p2align	6, 0x0
	.amdhsa_kernel _ZN7rocprim17ROCPRIM_400000_NS6detail17trampoline_kernelINS0_14default_configENS1_25partition_config_selectorILNS1_17partition_subalgoE8EjNS0_10empty_typeEbEEZZNS1_14partition_implILS5_8ELb0ES3_jPKjPS6_PKS6_NS0_5tupleIJPjS6_EEENSE_IJSB_SB_EEENS0_18inequality_wrapperIN6hipcub16HIPCUB_304000_NS8EqualityEEEPlJS6_EEE10hipError_tPvRmT3_T4_T5_T6_T7_T9_mT8_P12ihipStream_tbDpT10_ENKUlT_T0_E_clISt17integral_constantIbLb0EES16_IbLb1EEEEDaS12_S13_EUlS12_E_NS1_11comp_targetILNS1_3genE9ELNS1_11target_archE1100ELNS1_3gpuE3ELNS1_3repE0EEENS1_30default_config_static_selectorELNS0_4arch9wavefront6targetE0EEEvT1_
		.amdhsa_group_segment_fixed_size 0
		.amdhsa_private_segment_fixed_size 0
		.amdhsa_kernarg_size 128
		.amdhsa_user_sgpr_count 2
		.amdhsa_user_sgpr_dispatch_ptr 0
		.amdhsa_user_sgpr_queue_ptr 0
		.amdhsa_user_sgpr_kernarg_segment_ptr 1
		.amdhsa_user_sgpr_dispatch_id 0
		.amdhsa_user_sgpr_kernarg_preload_length 0
		.amdhsa_user_sgpr_kernarg_preload_offset 0
		.amdhsa_user_sgpr_private_segment_size 0
		.amdhsa_wavefront_size32 1
		.amdhsa_uses_dynamic_stack 0
		.amdhsa_enable_private_segment 0
		.amdhsa_system_sgpr_workgroup_id_x 1
		.amdhsa_system_sgpr_workgroup_id_y 0
		.amdhsa_system_sgpr_workgroup_id_z 0
		.amdhsa_system_sgpr_workgroup_info 0
		.amdhsa_system_vgpr_workitem_id 0
		.amdhsa_next_free_vgpr 1
		.amdhsa_next_free_sgpr 1
		.amdhsa_named_barrier_count 0
		.amdhsa_reserve_vcc 0
		.amdhsa_float_round_mode_32 0
		.amdhsa_float_round_mode_16_64 0
		.amdhsa_float_denorm_mode_32 3
		.amdhsa_float_denorm_mode_16_64 3
		.amdhsa_fp16_overflow 0
		.amdhsa_memory_ordered 1
		.amdhsa_forward_progress 1
		.amdhsa_inst_pref_size 0
		.amdhsa_round_robin_scheduling 0
		.amdhsa_exception_fp_ieee_invalid_op 0
		.amdhsa_exception_fp_denorm_src 0
		.amdhsa_exception_fp_ieee_div_zero 0
		.amdhsa_exception_fp_ieee_overflow 0
		.amdhsa_exception_fp_ieee_underflow 0
		.amdhsa_exception_fp_ieee_inexact 0
		.amdhsa_exception_int_div_zero 0
	.end_amdhsa_kernel
	.section	.text._ZN7rocprim17ROCPRIM_400000_NS6detail17trampoline_kernelINS0_14default_configENS1_25partition_config_selectorILNS1_17partition_subalgoE8EjNS0_10empty_typeEbEEZZNS1_14partition_implILS5_8ELb0ES3_jPKjPS6_PKS6_NS0_5tupleIJPjS6_EEENSE_IJSB_SB_EEENS0_18inequality_wrapperIN6hipcub16HIPCUB_304000_NS8EqualityEEEPlJS6_EEE10hipError_tPvRmT3_T4_T5_T6_T7_T9_mT8_P12ihipStream_tbDpT10_ENKUlT_T0_E_clISt17integral_constantIbLb0EES16_IbLb1EEEEDaS12_S13_EUlS12_E_NS1_11comp_targetILNS1_3genE9ELNS1_11target_archE1100ELNS1_3gpuE3ELNS1_3repE0EEENS1_30default_config_static_selectorELNS0_4arch9wavefront6targetE0EEEvT1_,"axG",@progbits,_ZN7rocprim17ROCPRIM_400000_NS6detail17trampoline_kernelINS0_14default_configENS1_25partition_config_selectorILNS1_17partition_subalgoE8EjNS0_10empty_typeEbEEZZNS1_14partition_implILS5_8ELb0ES3_jPKjPS6_PKS6_NS0_5tupleIJPjS6_EEENSE_IJSB_SB_EEENS0_18inequality_wrapperIN6hipcub16HIPCUB_304000_NS8EqualityEEEPlJS6_EEE10hipError_tPvRmT3_T4_T5_T6_T7_T9_mT8_P12ihipStream_tbDpT10_ENKUlT_T0_E_clISt17integral_constantIbLb0EES16_IbLb1EEEEDaS12_S13_EUlS12_E_NS1_11comp_targetILNS1_3genE9ELNS1_11target_archE1100ELNS1_3gpuE3ELNS1_3repE0EEENS1_30default_config_static_selectorELNS0_4arch9wavefront6targetE0EEEvT1_,comdat
.Lfunc_end647:
	.size	_ZN7rocprim17ROCPRIM_400000_NS6detail17trampoline_kernelINS0_14default_configENS1_25partition_config_selectorILNS1_17partition_subalgoE8EjNS0_10empty_typeEbEEZZNS1_14partition_implILS5_8ELb0ES3_jPKjPS6_PKS6_NS0_5tupleIJPjS6_EEENSE_IJSB_SB_EEENS0_18inequality_wrapperIN6hipcub16HIPCUB_304000_NS8EqualityEEEPlJS6_EEE10hipError_tPvRmT3_T4_T5_T6_T7_T9_mT8_P12ihipStream_tbDpT10_ENKUlT_T0_E_clISt17integral_constantIbLb0EES16_IbLb1EEEEDaS12_S13_EUlS12_E_NS1_11comp_targetILNS1_3genE9ELNS1_11target_archE1100ELNS1_3gpuE3ELNS1_3repE0EEENS1_30default_config_static_selectorELNS0_4arch9wavefront6targetE0EEEvT1_, .Lfunc_end647-_ZN7rocprim17ROCPRIM_400000_NS6detail17trampoline_kernelINS0_14default_configENS1_25partition_config_selectorILNS1_17partition_subalgoE8EjNS0_10empty_typeEbEEZZNS1_14partition_implILS5_8ELb0ES3_jPKjPS6_PKS6_NS0_5tupleIJPjS6_EEENSE_IJSB_SB_EEENS0_18inequality_wrapperIN6hipcub16HIPCUB_304000_NS8EqualityEEEPlJS6_EEE10hipError_tPvRmT3_T4_T5_T6_T7_T9_mT8_P12ihipStream_tbDpT10_ENKUlT_T0_E_clISt17integral_constantIbLb0EES16_IbLb1EEEEDaS12_S13_EUlS12_E_NS1_11comp_targetILNS1_3genE9ELNS1_11target_archE1100ELNS1_3gpuE3ELNS1_3repE0EEENS1_30default_config_static_selectorELNS0_4arch9wavefront6targetE0EEEvT1_
                                        ; -- End function
	.set _ZN7rocprim17ROCPRIM_400000_NS6detail17trampoline_kernelINS0_14default_configENS1_25partition_config_selectorILNS1_17partition_subalgoE8EjNS0_10empty_typeEbEEZZNS1_14partition_implILS5_8ELb0ES3_jPKjPS6_PKS6_NS0_5tupleIJPjS6_EEENSE_IJSB_SB_EEENS0_18inequality_wrapperIN6hipcub16HIPCUB_304000_NS8EqualityEEEPlJS6_EEE10hipError_tPvRmT3_T4_T5_T6_T7_T9_mT8_P12ihipStream_tbDpT10_ENKUlT_T0_E_clISt17integral_constantIbLb0EES16_IbLb1EEEEDaS12_S13_EUlS12_E_NS1_11comp_targetILNS1_3genE9ELNS1_11target_archE1100ELNS1_3gpuE3ELNS1_3repE0EEENS1_30default_config_static_selectorELNS0_4arch9wavefront6targetE0EEEvT1_.num_vgpr, 0
	.set _ZN7rocprim17ROCPRIM_400000_NS6detail17trampoline_kernelINS0_14default_configENS1_25partition_config_selectorILNS1_17partition_subalgoE8EjNS0_10empty_typeEbEEZZNS1_14partition_implILS5_8ELb0ES3_jPKjPS6_PKS6_NS0_5tupleIJPjS6_EEENSE_IJSB_SB_EEENS0_18inequality_wrapperIN6hipcub16HIPCUB_304000_NS8EqualityEEEPlJS6_EEE10hipError_tPvRmT3_T4_T5_T6_T7_T9_mT8_P12ihipStream_tbDpT10_ENKUlT_T0_E_clISt17integral_constantIbLb0EES16_IbLb1EEEEDaS12_S13_EUlS12_E_NS1_11comp_targetILNS1_3genE9ELNS1_11target_archE1100ELNS1_3gpuE3ELNS1_3repE0EEENS1_30default_config_static_selectorELNS0_4arch9wavefront6targetE0EEEvT1_.num_agpr, 0
	.set _ZN7rocprim17ROCPRIM_400000_NS6detail17trampoline_kernelINS0_14default_configENS1_25partition_config_selectorILNS1_17partition_subalgoE8EjNS0_10empty_typeEbEEZZNS1_14partition_implILS5_8ELb0ES3_jPKjPS6_PKS6_NS0_5tupleIJPjS6_EEENSE_IJSB_SB_EEENS0_18inequality_wrapperIN6hipcub16HIPCUB_304000_NS8EqualityEEEPlJS6_EEE10hipError_tPvRmT3_T4_T5_T6_T7_T9_mT8_P12ihipStream_tbDpT10_ENKUlT_T0_E_clISt17integral_constantIbLb0EES16_IbLb1EEEEDaS12_S13_EUlS12_E_NS1_11comp_targetILNS1_3genE9ELNS1_11target_archE1100ELNS1_3gpuE3ELNS1_3repE0EEENS1_30default_config_static_selectorELNS0_4arch9wavefront6targetE0EEEvT1_.numbered_sgpr, 0
	.set _ZN7rocprim17ROCPRIM_400000_NS6detail17trampoline_kernelINS0_14default_configENS1_25partition_config_selectorILNS1_17partition_subalgoE8EjNS0_10empty_typeEbEEZZNS1_14partition_implILS5_8ELb0ES3_jPKjPS6_PKS6_NS0_5tupleIJPjS6_EEENSE_IJSB_SB_EEENS0_18inequality_wrapperIN6hipcub16HIPCUB_304000_NS8EqualityEEEPlJS6_EEE10hipError_tPvRmT3_T4_T5_T6_T7_T9_mT8_P12ihipStream_tbDpT10_ENKUlT_T0_E_clISt17integral_constantIbLb0EES16_IbLb1EEEEDaS12_S13_EUlS12_E_NS1_11comp_targetILNS1_3genE9ELNS1_11target_archE1100ELNS1_3gpuE3ELNS1_3repE0EEENS1_30default_config_static_selectorELNS0_4arch9wavefront6targetE0EEEvT1_.num_named_barrier, 0
	.set _ZN7rocprim17ROCPRIM_400000_NS6detail17trampoline_kernelINS0_14default_configENS1_25partition_config_selectorILNS1_17partition_subalgoE8EjNS0_10empty_typeEbEEZZNS1_14partition_implILS5_8ELb0ES3_jPKjPS6_PKS6_NS0_5tupleIJPjS6_EEENSE_IJSB_SB_EEENS0_18inequality_wrapperIN6hipcub16HIPCUB_304000_NS8EqualityEEEPlJS6_EEE10hipError_tPvRmT3_T4_T5_T6_T7_T9_mT8_P12ihipStream_tbDpT10_ENKUlT_T0_E_clISt17integral_constantIbLb0EES16_IbLb1EEEEDaS12_S13_EUlS12_E_NS1_11comp_targetILNS1_3genE9ELNS1_11target_archE1100ELNS1_3gpuE3ELNS1_3repE0EEENS1_30default_config_static_selectorELNS0_4arch9wavefront6targetE0EEEvT1_.private_seg_size, 0
	.set _ZN7rocprim17ROCPRIM_400000_NS6detail17trampoline_kernelINS0_14default_configENS1_25partition_config_selectorILNS1_17partition_subalgoE8EjNS0_10empty_typeEbEEZZNS1_14partition_implILS5_8ELb0ES3_jPKjPS6_PKS6_NS0_5tupleIJPjS6_EEENSE_IJSB_SB_EEENS0_18inequality_wrapperIN6hipcub16HIPCUB_304000_NS8EqualityEEEPlJS6_EEE10hipError_tPvRmT3_T4_T5_T6_T7_T9_mT8_P12ihipStream_tbDpT10_ENKUlT_T0_E_clISt17integral_constantIbLb0EES16_IbLb1EEEEDaS12_S13_EUlS12_E_NS1_11comp_targetILNS1_3genE9ELNS1_11target_archE1100ELNS1_3gpuE3ELNS1_3repE0EEENS1_30default_config_static_selectorELNS0_4arch9wavefront6targetE0EEEvT1_.uses_vcc, 0
	.set _ZN7rocprim17ROCPRIM_400000_NS6detail17trampoline_kernelINS0_14default_configENS1_25partition_config_selectorILNS1_17partition_subalgoE8EjNS0_10empty_typeEbEEZZNS1_14partition_implILS5_8ELb0ES3_jPKjPS6_PKS6_NS0_5tupleIJPjS6_EEENSE_IJSB_SB_EEENS0_18inequality_wrapperIN6hipcub16HIPCUB_304000_NS8EqualityEEEPlJS6_EEE10hipError_tPvRmT3_T4_T5_T6_T7_T9_mT8_P12ihipStream_tbDpT10_ENKUlT_T0_E_clISt17integral_constantIbLb0EES16_IbLb1EEEEDaS12_S13_EUlS12_E_NS1_11comp_targetILNS1_3genE9ELNS1_11target_archE1100ELNS1_3gpuE3ELNS1_3repE0EEENS1_30default_config_static_selectorELNS0_4arch9wavefront6targetE0EEEvT1_.uses_flat_scratch, 0
	.set _ZN7rocprim17ROCPRIM_400000_NS6detail17trampoline_kernelINS0_14default_configENS1_25partition_config_selectorILNS1_17partition_subalgoE8EjNS0_10empty_typeEbEEZZNS1_14partition_implILS5_8ELb0ES3_jPKjPS6_PKS6_NS0_5tupleIJPjS6_EEENSE_IJSB_SB_EEENS0_18inequality_wrapperIN6hipcub16HIPCUB_304000_NS8EqualityEEEPlJS6_EEE10hipError_tPvRmT3_T4_T5_T6_T7_T9_mT8_P12ihipStream_tbDpT10_ENKUlT_T0_E_clISt17integral_constantIbLb0EES16_IbLb1EEEEDaS12_S13_EUlS12_E_NS1_11comp_targetILNS1_3genE9ELNS1_11target_archE1100ELNS1_3gpuE3ELNS1_3repE0EEENS1_30default_config_static_selectorELNS0_4arch9wavefront6targetE0EEEvT1_.has_dyn_sized_stack, 0
	.set _ZN7rocprim17ROCPRIM_400000_NS6detail17trampoline_kernelINS0_14default_configENS1_25partition_config_selectorILNS1_17partition_subalgoE8EjNS0_10empty_typeEbEEZZNS1_14partition_implILS5_8ELb0ES3_jPKjPS6_PKS6_NS0_5tupleIJPjS6_EEENSE_IJSB_SB_EEENS0_18inequality_wrapperIN6hipcub16HIPCUB_304000_NS8EqualityEEEPlJS6_EEE10hipError_tPvRmT3_T4_T5_T6_T7_T9_mT8_P12ihipStream_tbDpT10_ENKUlT_T0_E_clISt17integral_constantIbLb0EES16_IbLb1EEEEDaS12_S13_EUlS12_E_NS1_11comp_targetILNS1_3genE9ELNS1_11target_archE1100ELNS1_3gpuE3ELNS1_3repE0EEENS1_30default_config_static_selectorELNS0_4arch9wavefront6targetE0EEEvT1_.has_recursion, 0
	.set _ZN7rocprim17ROCPRIM_400000_NS6detail17trampoline_kernelINS0_14default_configENS1_25partition_config_selectorILNS1_17partition_subalgoE8EjNS0_10empty_typeEbEEZZNS1_14partition_implILS5_8ELb0ES3_jPKjPS6_PKS6_NS0_5tupleIJPjS6_EEENSE_IJSB_SB_EEENS0_18inequality_wrapperIN6hipcub16HIPCUB_304000_NS8EqualityEEEPlJS6_EEE10hipError_tPvRmT3_T4_T5_T6_T7_T9_mT8_P12ihipStream_tbDpT10_ENKUlT_T0_E_clISt17integral_constantIbLb0EES16_IbLb1EEEEDaS12_S13_EUlS12_E_NS1_11comp_targetILNS1_3genE9ELNS1_11target_archE1100ELNS1_3gpuE3ELNS1_3repE0EEENS1_30default_config_static_selectorELNS0_4arch9wavefront6targetE0EEEvT1_.has_indirect_call, 0
	.section	.AMDGPU.csdata,"",@progbits
; Kernel info:
; codeLenInByte = 0
; TotalNumSgprs: 0
; NumVgprs: 0
; ScratchSize: 0
; MemoryBound: 0
; FloatMode: 240
; IeeeMode: 1
; LDSByteSize: 0 bytes/workgroup (compile time only)
; SGPRBlocks: 0
; VGPRBlocks: 0
; NumSGPRsForWavesPerEU: 1
; NumVGPRsForWavesPerEU: 1
; NamedBarCnt: 0
; Occupancy: 16
; WaveLimiterHint : 0
; COMPUTE_PGM_RSRC2:SCRATCH_EN: 0
; COMPUTE_PGM_RSRC2:USER_SGPR: 2
; COMPUTE_PGM_RSRC2:TRAP_HANDLER: 0
; COMPUTE_PGM_RSRC2:TGID_X_EN: 1
; COMPUTE_PGM_RSRC2:TGID_Y_EN: 0
; COMPUTE_PGM_RSRC2:TGID_Z_EN: 0
; COMPUTE_PGM_RSRC2:TIDIG_COMP_CNT: 0
	.section	.text._ZN7rocprim17ROCPRIM_400000_NS6detail17trampoline_kernelINS0_14default_configENS1_25partition_config_selectorILNS1_17partition_subalgoE8EjNS0_10empty_typeEbEEZZNS1_14partition_implILS5_8ELb0ES3_jPKjPS6_PKS6_NS0_5tupleIJPjS6_EEENSE_IJSB_SB_EEENS0_18inequality_wrapperIN6hipcub16HIPCUB_304000_NS8EqualityEEEPlJS6_EEE10hipError_tPvRmT3_T4_T5_T6_T7_T9_mT8_P12ihipStream_tbDpT10_ENKUlT_T0_E_clISt17integral_constantIbLb0EES16_IbLb1EEEEDaS12_S13_EUlS12_E_NS1_11comp_targetILNS1_3genE8ELNS1_11target_archE1030ELNS1_3gpuE2ELNS1_3repE0EEENS1_30default_config_static_selectorELNS0_4arch9wavefront6targetE0EEEvT1_,"axG",@progbits,_ZN7rocprim17ROCPRIM_400000_NS6detail17trampoline_kernelINS0_14default_configENS1_25partition_config_selectorILNS1_17partition_subalgoE8EjNS0_10empty_typeEbEEZZNS1_14partition_implILS5_8ELb0ES3_jPKjPS6_PKS6_NS0_5tupleIJPjS6_EEENSE_IJSB_SB_EEENS0_18inequality_wrapperIN6hipcub16HIPCUB_304000_NS8EqualityEEEPlJS6_EEE10hipError_tPvRmT3_T4_T5_T6_T7_T9_mT8_P12ihipStream_tbDpT10_ENKUlT_T0_E_clISt17integral_constantIbLb0EES16_IbLb1EEEEDaS12_S13_EUlS12_E_NS1_11comp_targetILNS1_3genE8ELNS1_11target_archE1030ELNS1_3gpuE2ELNS1_3repE0EEENS1_30default_config_static_selectorELNS0_4arch9wavefront6targetE0EEEvT1_,comdat
	.protected	_ZN7rocprim17ROCPRIM_400000_NS6detail17trampoline_kernelINS0_14default_configENS1_25partition_config_selectorILNS1_17partition_subalgoE8EjNS0_10empty_typeEbEEZZNS1_14partition_implILS5_8ELb0ES3_jPKjPS6_PKS6_NS0_5tupleIJPjS6_EEENSE_IJSB_SB_EEENS0_18inequality_wrapperIN6hipcub16HIPCUB_304000_NS8EqualityEEEPlJS6_EEE10hipError_tPvRmT3_T4_T5_T6_T7_T9_mT8_P12ihipStream_tbDpT10_ENKUlT_T0_E_clISt17integral_constantIbLb0EES16_IbLb1EEEEDaS12_S13_EUlS12_E_NS1_11comp_targetILNS1_3genE8ELNS1_11target_archE1030ELNS1_3gpuE2ELNS1_3repE0EEENS1_30default_config_static_selectorELNS0_4arch9wavefront6targetE0EEEvT1_ ; -- Begin function _ZN7rocprim17ROCPRIM_400000_NS6detail17trampoline_kernelINS0_14default_configENS1_25partition_config_selectorILNS1_17partition_subalgoE8EjNS0_10empty_typeEbEEZZNS1_14partition_implILS5_8ELb0ES3_jPKjPS6_PKS6_NS0_5tupleIJPjS6_EEENSE_IJSB_SB_EEENS0_18inequality_wrapperIN6hipcub16HIPCUB_304000_NS8EqualityEEEPlJS6_EEE10hipError_tPvRmT3_T4_T5_T6_T7_T9_mT8_P12ihipStream_tbDpT10_ENKUlT_T0_E_clISt17integral_constantIbLb0EES16_IbLb1EEEEDaS12_S13_EUlS12_E_NS1_11comp_targetILNS1_3genE8ELNS1_11target_archE1030ELNS1_3gpuE2ELNS1_3repE0EEENS1_30default_config_static_selectorELNS0_4arch9wavefront6targetE0EEEvT1_
	.globl	_ZN7rocprim17ROCPRIM_400000_NS6detail17trampoline_kernelINS0_14default_configENS1_25partition_config_selectorILNS1_17partition_subalgoE8EjNS0_10empty_typeEbEEZZNS1_14partition_implILS5_8ELb0ES3_jPKjPS6_PKS6_NS0_5tupleIJPjS6_EEENSE_IJSB_SB_EEENS0_18inequality_wrapperIN6hipcub16HIPCUB_304000_NS8EqualityEEEPlJS6_EEE10hipError_tPvRmT3_T4_T5_T6_T7_T9_mT8_P12ihipStream_tbDpT10_ENKUlT_T0_E_clISt17integral_constantIbLb0EES16_IbLb1EEEEDaS12_S13_EUlS12_E_NS1_11comp_targetILNS1_3genE8ELNS1_11target_archE1030ELNS1_3gpuE2ELNS1_3repE0EEENS1_30default_config_static_selectorELNS0_4arch9wavefront6targetE0EEEvT1_
	.p2align	8
	.type	_ZN7rocprim17ROCPRIM_400000_NS6detail17trampoline_kernelINS0_14default_configENS1_25partition_config_selectorILNS1_17partition_subalgoE8EjNS0_10empty_typeEbEEZZNS1_14partition_implILS5_8ELb0ES3_jPKjPS6_PKS6_NS0_5tupleIJPjS6_EEENSE_IJSB_SB_EEENS0_18inequality_wrapperIN6hipcub16HIPCUB_304000_NS8EqualityEEEPlJS6_EEE10hipError_tPvRmT3_T4_T5_T6_T7_T9_mT8_P12ihipStream_tbDpT10_ENKUlT_T0_E_clISt17integral_constantIbLb0EES16_IbLb1EEEEDaS12_S13_EUlS12_E_NS1_11comp_targetILNS1_3genE8ELNS1_11target_archE1030ELNS1_3gpuE2ELNS1_3repE0EEENS1_30default_config_static_selectorELNS0_4arch9wavefront6targetE0EEEvT1_,@function
_ZN7rocprim17ROCPRIM_400000_NS6detail17trampoline_kernelINS0_14default_configENS1_25partition_config_selectorILNS1_17partition_subalgoE8EjNS0_10empty_typeEbEEZZNS1_14partition_implILS5_8ELb0ES3_jPKjPS6_PKS6_NS0_5tupleIJPjS6_EEENSE_IJSB_SB_EEENS0_18inequality_wrapperIN6hipcub16HIPCUB_304000_NS8EqualityEEEPlJS6_EEE10hipError_tPvRmT3_T4_T5_T6_T7_T9_mT8_P12ihipStream_tbDpT10_ENKUlT_T0_E_clISt17integral_constantIbLb0EES16_IbLb1EEEEDaS12_S13_EUlS12_E_NS1_11comp_targetILNS1_3genE8ELNS1_11target_archE1030ELNS1_3gpuE2ELNS1_3repE0EEENS1_30default_config_static_selectorELNS0_4arch9wavefront6targetE0EEEvT1_: ; @_ZN7rocprim17ROCPRIM_400000_NS6detail17trampoline_kernelINS0_14default_configENS1_25partition_config_selectorILNS1_17partition_subalgoE8EjNS0_10empty_typeEbEEZZNS1_14partition_implILS5_8ELb0ES3_jPKjPS6_PKS6_NS0_5tupleIJPjS6_EEENSE_IJSB_SB_EEENS0_18inequality_wrapperIN6hipcub16HIPCUB_304000_NS8EqualityEEEPlJS6_EEE10hipError_tPvRmT3_T4_T5_T6_T7_T9_mT8_P12ihipStream_tbDpT10_ENKUlT_T0_E_clISt17integral_constantIbLb0EES16_IbLb1EEEEDaS12_S13_EUlS12_E_NS1_11comp_targetILNS1_3genE8ELNS1_11target_archE1030ELNS1_3gpuE2ELNS1_3repE0EEENS1_30default_config_static_selectorELNS0_4arch9wavefront6targetE0EEEvT1_
; %bb.0:
	.section	.rodata,"a",@progbits
	.p2align	6, 0x0
	.amdhsa_kernel _ZN7rocprim17ROCPRIM_400000_NS6detail17trampoline_kernelINS0_14default_configENS1_25partition_config_selectorILNS1_17partition_subalgoE8EjNS0_10empty_typeEbEEZZNS1_14partition_implILS5_8ELb0ES3_jPKjPS6_PKS6_NS0_5tupleIJPjS6_EEENSE_IJSB_SB_EEENS0_18inequality_wrapperIN6hipcub16HIPCUB_304000_NS8EqualityEEEPlJS6_EEE10hipError_tPvRmT3_T4_T5_T6_T7_T9_mT8_P12ihipStream_tbDpT10_ENKUlT_T0_E_clISt17integral_constantIbLb0EES16_IbLb1EEEEDaS12_S13_EUlS12_E_NS1_11comp_targetILNS1_3genE8ELNS1_11target_archE1030ELNS1_3gpuE2ELNS1_3repE0EEENS1_30default_config_static_selectorELNS0_4arch9wavefront6targetE0EEEvT1_
		.amdhsa_group_segment_fixed_size 0
		.amdhsa_private_segment_fixed_size 0
		.amdhsa_kernarg_size 128
		.amdhsa_user_sgpr_count 2
		.amdhsa_user_sgpr_dispatch_ptr 0
		.amdhsa_user_sgpr_queue_ptr 0
		.amdhsa_user_sgpr_kernarg_segment_ptr 1
		.amdhsa_user_sgpr_dispatch_id 0
		.amdhsa_user_sgpr_kernarg_preload_length 0
		.amdhsa_user_sgpr_kernarg_preload_offset 0
		.amdhsa_user_sgpr_private_segment_size 0
		.amdhsa_wavefront_size32 1
		.amdhsa_uses_dynamic_stack 0
		.amdhsa_enable_private_segment 0
		.amdhsa_system_sgpr_workgroup_id_x 1
		.amdhsa_system_sgpr_workgroup_id_y 0
		.amdhsa_system_sgpr_workgroup_id_z 0
		.amdhsa_system_sgpr_workgroup_info 0
		.amdhsa_system_vgpr_workitem_id 0
		.amdhsa_next_free_vgpr 1
		.amdhsa_next_free_sgpr 1
		.amdhsa_named_barrier_count 0
		.amdhsa_reserve_vcc 0
		.amdhsa_float_round_mode_32 0
		.amdhsa_float_round_mode_16_64 0
		.amdhsa_float_denorm_mode_32 3
		.amdhsa_float_denorm_mode_16_64 3
		.amdhsa_fp16_overflow 0
		.amdhsa_memory_ordered 1
		.amdhsa_forward_progress 1
		.amdhsa_inst_pref_size 0
		.amdhsa_round_robin_scheduling 0
		.amdhsa_exception_fp_ieee_invalid_op 0
		.amdhsa_exception_fp_denorm_src 0
		.amdhsa_exception_fp_ieee_div_zero 0
		.amdhsa_exception_fp_ieee_overflow 0
		.amdhsa_exception_fp_ieee_underflow 0
		.amdhsa_exception_fp_ieee_inexact 0
		.amdhsa_exception_int_div_zero 0
	.end_amdhsa_kernel
	.section	.text._ZN7rocprim17ROCPRIM_400000_NS6detail17trampoline_kernelINS0_14default_configENS1_25partition_config_selectorILNS1_17partition_subalgoE8EjNS0_10empty_typeEbEEZZNS1_14partition_implILS5_8ELb0ES3_jPKjPS6_PKS6_NS0_5tupleIJPjS6_EEENSE_IJSB_SB_EEENS0_18inequality_wrapperIN6hipcub16HIPCUB_304000_NS8EqualityEEEPlJS6_EEE10hipError_tPvRmT3_T4_T5_T6_T7_T9_mT8_P12ihipStream_tbDpT10_ENKUlT_T0_E_clISt17integral_constantIbLb0EES16_IbLb1EEEEDaS12_S13_EUlS12_E_NS1_11comp_targetILNS1_3genE8ELNS1_11target_archE1030ELNS1_3gpuE2ELNS1_3repE0EEENS1_30default_config_static_selectorELNS0_4arch9wavefront6targetE0EEEvT1_,"axG",@progbits,_ZN7rocprim17ROCPRIM_400000_NS6detail17trampoline_kernelINS0_14default_configENS1_25partition_config_selectorILNS1_17partition_subalgoE8EjNS0_10empty_typeEbEEZZNS1_14partition_implILS5_8ELb0ES3_jPKjPS6_PKS6_NS0_5tupleIJPjS6_EEENSE_IJSB_SB_EEENS0_18inequality_wrapperIN6hipcub16HIPCUB_304000_NS8EqualityEEEPlJS6_EEE10hipError_tPvRmT3_T4_T5_T6_T7_T9_mT8_P12ihipStream_tbDpT10_ENKUlT_T0_E_clISt17integral_constantIbLb0EES16_IbLb1EEEEDaS12_S13_EUlS12_E_NS1_11comp_targetILNS1_3genE8ELNS1_11target_archE1030ELNS1_3gpuE2ELNS1_3repE0EEENS1_30default_config_static_selectorELNS0_4arch9wavefront6targetE0EEEvT1_,comdat
.Lfunc_end648:
	.size	_ZN7rocprim17ROCPRIM_400000_NS6detail17trampoline_kernelINS0_14default_configENS1_25partition_config_selectorILNS1_17partition_subalgoE8EjNS0_10empty_typeEbEEZZNS1_14partition_implILS5_8ELb0ES3_jPKjPS6_PKS6_NS0_5tupleIJPjS6_EEENSE_IJSB_SB_EEENS0_18inequality_wrapperIN6hipcub16HIPCUB_304000_NS8EqualityEEEPlJS6_EEE10hipError_tPvRmT3_T4_T5_T6_T7_T9_mT8_P12ihipStream_tbDpT10_ENKUlT_T0_E_clISt17integral_constantIbLb0EES16_IbLb1EEEEDaS12_S13_EUlS12_E_NS1_11comp_targetILNS1_3genE8ELNS1_11target_archE1030ELNS1_3gpuE2ELNS1_3repE0EEENS1_30default_config_static_selectorELNS0_4arch9wavefront6targetE0EEEvT1_, .Lfunc_end648-_ZN7rocprim17ROCPRIM_400000_NS6detail17trampoline_kernelINS0_14default_configENS1_25partition_config_selectorILNS1_17partition_subalgoE8EjNS0_10empty_typeEbEEZZNS1_14partition_implILS5_8ELb0ES3_jPKjPS6_PKS6_NS0_5tupleIJPjS6_EEENSE_IJSB_SB_EEENS0_18inequality_wrapperIN6hipcub16HIPCUB_304000_NS8EqualityEEEPlJS6_EEE10hipError_tPvRmT3_T4_T5_T6_T7_T9_mT8_P12ihipStream_tbDpT10_ENKUlT_T0_E_clISt17integral_constantIbLb0EES16_IbLb1EEEEDaS12_S13_EUlS12_E_NS1_11comp_targetILNS1_3genE8ELNS1_11target_archE1030ELNS1_3gpuE2ELNS1_3repE0EEENS1_30default_config_static_selectorELNS0_4arch9wavefront6targetE0EEEvT1_
                                        ; -- End function
	.set _ZN7rocprim17ROCPRIM_400000_NS6detail17trampoline_kernelINS0_14default_configENS1_25partition_config_selectorILNS1_17partition_subalgoE8EjNS0_10empty_typeEbEEZZNS1_14partition_implILS5_8ELb0ES3_jPKjPS6_PKS6_NS0_5tupleIJPjS6_EEENSE_IJSB_SB_EEENS0_18inequality_wrapperIN6hipcub16HIPCUB_304000_NS8EqualityEEEPlJS6_EEE10hipError_tPvRmT3_T4_T5_T6_T7_T9_mT8_P12ihipStream_tbDpT10_ENKUlT_T0_E_clISt17integral_constantIbLb0EES16_IbLb1EEEEDaS12_S13_EUlS12_E_NS1_11comp_targetILNS1_3genE8ELNS1_11target_archE1030ELNS1_3gpuE2ELNS1_3repE0EEENS1_30default_config_static_selectorELNS0_4arch9wavefront6targetE0EEEvT1_.num_vgpr, 0
	.set _ZN7rocprim17ROCPRIM_400000_NS6detail17trampoline_kernelINS0_14default_configENS1_25partition_config_selectorILNS1_17partition_subalgoE8EjNS0_10empty_typeEbEEZZNS1_14partition_implILS5_8ELb0ES3_jPKjPS6_PKS6_NS0_5tupleIJPjS6_EEENSE_IJSB_SB_EEENS0_18inequality_wrapperIN6hipcub16HIPCUB_304000_NS8EqualityEEEPlJS6_EEE10hipError_tPvRmT3_T4_T5_T6_T7_T9_mT8_P12ihipStream_tbDpT10_ENKUlT_T0_E_clISt17integral_constantIbLb0EES16_IbLb1EEEEDaS12_S13_EUlS12_E_NS1_11comp_targetILNS1_3genE8ELNS1_11target_archE1030ELNS1_3gpuE2ELNS1_3repE0EEENS1_30default_config_static_selectorELNS0_4arch9wavefront6targetE0EEEvT1_.num_agpr, 0
	.set _ZN7rocprim17ROCPRIM_400000_NS6detail17trampoline_kernelINS0_14default_configENS1_25partition_config_selectorILNS1_17partition_subalgoE8EjNS0_10empty_typeEbEEZZNS1_14partition_implILS5_8ELb0ES3_jPKjPS6_PKS6_NS0_5tupleIJPjS6_EEENSE_IJSB_SB_EEENS0_18inequality_wrapperIN6hipcub16HIPCUB_304000_NS8EqualityEEEPlJS6_EEE10hipError_tPvRmT3_T4_T5_T6_T7_T9_mT8_P12ihipStream_tbDpT10_ENKUlT_T0_E_clISt17integral_constantIbLb0EES16_IbLb1EEEEDaS12_S13_EUlS12_E_NS1_11comp_targetILNS1_3genE8ELNS1_11target_archE1030ELNS1_3gpuE2ELNS1_3repE0EEENS1_30default_config_static_selectorELNS0_4arch9wavefront6targetE0EEEvT1_.numbered_sgpr, 0
	.set _ZN7rocprim17ROCPRIM_400000_NS6detail17trampoline_kernelINS0_14default_configENS1_25partition_config_selectorILNS1_17partition_subalgoE8EjNS0_10empty_typeEbEEZZNS1_14partition_implILS5_8ELb0ES3_jPKjPS6_PKS6_NS0_5tupleIJPjS6_EEENSE_IJSB_SB_EEENS0_18inequality_wrapperIN6hipcub16HIPCUB_304000_NS8EqualityEEEPlJS6_EEE10hipError_tPvRmT3_T4_T5_T6_T7_T9_mT8_P12ihipStream_tbDpT10_ENKUlT_T0_E_clISt17integral_constantIbLb0EES16_IbLb1EEEEDaS12_S13_EUlS12_E_NS1_11comp_targetILNS1_3genE8ELNS1_11target_archE1030ELNS1_3gpuE2ELNS1_3repE0EEENS1_30default_config_static_selectorELNS0_4arch9wavefront6targetE0EEEvT1_.num_named_barrier, 0
	.set _ZN7rocprim17ROCPRIM_400000_NS6detail17trampoline_kernelINS0_14default_configENS1_25partition_config_selectorILNS1_17partition_subalgoE8EjNS0_10empty_typeEbEEZZNS1_14partition_implILS5_8ELb0ES3_jPKjPS6_PKS6_NS0_5tupleIJPjS6_EEENSE_IJSB_SB_EEENS0_18inequality_wrapperIN6hipcub16HIPCUB_304000_NS8EqualityEEEPlJS6_EEE10hipError_tPvRmT3_T4_T5_T6_T7_T9_mT8_P12ihipStream_tbDpT10_ENKUlT_T0_E_clISt17integral_constantIbLb0EES16_IbLb1EEEEDaS12_S13_EUlS12_E_NS1_11comp_targetILNS1_3genE8ELNS1_11target_archE1030ELNS1_3gpuE2ELNS1_3repE0EEENS1_30default_config_static_selectorELNS0_4arch9wavefront6targetE0EEEvT1_.private_seg_size, 0
	.set _ZN7rocprim17ROCPRIM_400000_NS6detail17trampoline_kernelINS0_14default_configENS1_25partition_config_selectorILNS1_17partition_subalgoE8EjNS0_10empty_typeEbEEZZNS1_14partition_implILS5_8ELb0ES3_jPKjPS6_PKS6_NS0_5tupleIJPjS6_EEENSE_IJSB_SB_EEENS0_18inequality_wrapperIN6hipcub16HIPCUB_304000_NS8EqualityEEEPlJS6_EEE10hipError_tPvRmT3_T4_T5_T6_T7_T9_mT8_P12ihipStream_tbDpT10_ENKUlT_T0_E_clISt17integral_constantIbLb0EES16_IbLb1EEEEDaS12_S13_EUlS12_E_NS1_11comp_targetILNS1_3genE8ELNS1_11target_archE1030ELNS1_3gpuE2ELNS1_3repE0EEENS1_30default_config_static_selectorELNS0_4arch9wavefront6targetE0EEEvT1_.uses_vcc, 0
	.set _ZN7rocprim17ROCPRIM_400000_NS6detail17trampoline_kernelINS0_14default_configENS1_25partition_config_selectorILNS1_17partition_subalgoE8EjNS0_10empty_typeEbEEZZNS1_14partition_implILS5_8ELb0ES3_jPKjPS6_PKS6_NS0_5tupleIJPjS6_EEENSE_IJSB_SB_EEENS0_18inequality_wrapperIN6hipcub16HIPCUB_304000_NS8EqualityEEEPlJS6_EEE10hipError_tPvRmT3_T4_T5_T6_T7_T9_mT8_P12ihipStream_tbDpT10_ENKUlT_T0_E_clISt17integral_constantIbLb0EES16_IbLb1EEEEDaS12_S13_EUlS12_E_NS1_11comp_targetILNS1_3genE8ELNS1_11target_archE1030ELNS1_3gpuE2ELNS1_3repE0EEENS1_30default_config_static_selectorELNS0_4arch9wavefront6targetE0EEEvT1_.uses_flat_scratch, 0
	.set _ZN7rocprim17ROCPRIM_400000_NS6detail17trampoline_kernelINS0_14default_configENS1_25partition_config_selectorILNS1_17partition_subalgoE8EjNS0_10empty_typeEbEEZZNS1_14partition_implILS5_8ELb0ES3_jPKjPS6_PKS6_NS0_5tupleIJPjS6_EEENSE_IJSB_SB_EEENS0_18inequality_wrapperIN6hipcub16HIPCUB_304000_NS8EqualityEEEPlJS6_EEE10hipError_tPvRmT3_T4_T5_T6_T7_T9_mT8_P12ihipStream_tbDpT10_ENKUlT_T0_E_clISt17integral_constantIbLb0EES16_IbLb1EEEEDaS12_S13_EUlS12_E_NS1_11comp_targetILNS1_3genE8ELNS1_11target_archE1030ELNS1_3gpuE2ELNS1_3repE0EEENS1_30default_config_static_selectorELNS0_4arch9wavefront6targetE0EEEvT1_.has_dyn_sized_stack, 0
	.set _ZN7rocprim17ROCPRIM_400000_NS6detail17trampoline_kernelINS0_14default_configENS1_25partition_config_selectorILNS1_17partition_subalgoE8EjNS0_10empty_typeEbEEZZNS1_14partition_implILS5_8ELb0ES3_jPKjPS6_PKS6_NS0_5tupleIJPjS6_EEENSE_IJSB_SB_EEENS0_18inequality_wrapperIN6hipcub16HIPCUB_304000_NS8EqualityEEEPlJS6_EEE10hipError_tPvRmT3_T4_T5_T6_T7_T9_mT8_P12ihipStream_tbDpT10_ENKUlT_T0_E_clISt17integral_constantIbLb0EES16_IbLb1EEEEDaS12_S13_EUlS12_E_NS1_11comp_targetILNS1_3genE8ELNS1_11target_archE1030ELNS1_3gpuE2ELNS1_3repE0EEENS1_30default_config_static_selectorELNS0_4arch9wavefront6targetE0EEEvT1_.has_recursion, 0
	.set _ZN7rocprim17ROCPRIM_400000_NS6detail17trampoline_kernelINS0_14default_configENS1_25partition_config_selectorILNS1_17partition_subalgoE8EjNS0_10empty_typeEbEEZZNS1_14partition_implILS5_8ELb0ES3_jPKjPS6_PKS6_NS0_5tupleIJPjS6_EEENSE_IJSB_SB_EEENS0_18inequality_wrapperIN6hipcub16HIPCUB_304000_NS8EqualityEEEPlJS6_EEE10hipError_tPvRmT3_T4_T5_T6_T7_T9_mT8_P12ihipStream_tbDpT10_ENKUlT_T0_E_clISt17integral_constantIbLb0EES16_IbLb1EEEEDaS12_S13_EUlS12_E_NS1_11comp_targetILNS1_3genE8ELNS1_11target_archE1030ELNS1_3gpuE2ELNS1_3repE0EEENS1_30default_config_static_selectorELNS0_4arch9wavefront6targetE0EEEvT1_.has_indirect_call, 0
	.section	.AMDGPU.csdata,"",@progbits
; Kernel info:
; codeLenInByte = 0
; TotalNumSgprs: 0
; NumVgprs: 0
; ScratchSize: 0
; MemoryBound: 0
; FloatMode: 240
; IeeeMode: 1
; LDSByteSize: 0 bytes/workgroup (compile time only)
; SGPRBlocks: 0
; VGPRBlocks: 0
; NumSGPRsForWavesPerEU: 1
; NumVGPRsForWavesPerEU: 1
; NamedBarCnt: 0
; Occupancy: 16
; WaveLimiterHint : 0
; COMPUTE_PGM_RSRC2:SCRATCH_EN: 0
; COMPUTE_PGM_RSRC2:USER_SGPR: 2
; COMPUTE_PGM_RSRC2:TRAP_HANDLER: 0
; COMPUTE_PGM_RSRC2:TGID_X_EN: 1
; COMPUTE_PGM_RSRC2:TGID_Y_EN: 0
; COMPUTE_PGM_RSRC2:TGID_Z_EN: 0
; COMPUTE_PGM_RSRC2:TIDIG_COMP_CNT: 0
	.section	.text._ZN7rocprim17ROCPRIM_400000_NS6detail17trampoline_kernelINS0_14default_configENS1_33run_length_encode_config_selectorIjjNS0_4plusIjEEEEZZNS1_33reduce_by_key_impl_wrapped_configILNS1_25lookback_scan_determinismE0ES3_S7_PKjNS0_17constant_iteratorIjlEEPjPlSF_S6_NS0_8equal_toIjEEEE10hipError_tPvRmT2_T3_mT4_T5_T6_T7_T8_P12ihipStream_tbENKUlT_T0_E_clISt17integral_constantIbLb0EESZ_EEDaSU_SV_EUlSU_E_NS1_11comp_targetILNS1_3genE0ELNS1_11target_archE4294967295ELNS1_3gpuE0ELNS1_3repE0EEENS1_30default_config_static_selectorELNS0_4arch9wavefront6targetE0EEEvT1_,"axG",@progbits,_ZN7rocprim17ROCPRIM_400000_NS6detail17trampoline_kernelINS0_14default_configENS1_33run_length_encode_config_selectorIjjNS0_4plusIjEEEEZZNS1_33reduce_by_key_impl_wrapped_configILNS1_25lookback_scan_determinismE0ES3_S7_PKjNS0_17constant_iteratorIjlEEPjPlSF_S6_NS0_8equal_toIjEEEE10hipError_tPvRmT2_T3_mT4_T5_T6_T7_T8_P12ihipStream_tbENKUlT_T0_E_clISt17integral_constantIbLb0EESZ_EEDaSU_SV_EUlSU_E_NS1_11comp_targetILNS1_3genE0ELNS1_11target_archE4294967295ELNS1_3gpuE0ELNS1_3repE0EEENS1_30default_config_static_selectorELNS0_4arch9wavefront6targetE0EEEvT1_,comdat
	.protected	_ZN7rocprim17ROCPRIM_400000_NS6detail17trampoline_kernelINS0_14default_configENS1_33run_length_encode_config_selectorIjjNS0_4plusIjEEEEZZNS1_33reduce_by_key_impl_wrapped_configILNS1_25lookback_scan_determinismE0ES3_S7_PKjNS0_17constant_iteratorIjlEEPjPlSF_S6_NS0_8equal_toIjEEEE10hipError_tPvRmT2_T3_mT4_T5_T6_T7_T8_P12ihipStream_tbENKUlT_T0_E_clISt17integral_constantIbLb0EESZ_EEDaSU_SV_EUlSU_E_NS1_11comp_targetILNS1_3genE0ELNS1_11target_archE4294967295ELNS1_3gpuE0ELNS1_3repE0EEENS1_30default_config_static_selectorELNS0_4arch9wavefront6targetE0EEEvT1_ ; -- Begin function _ZN7rocprim17ROCPRIM_400000_NS6detail17trampoline_kernelINS0_14default_configENS1_33run_length_encode_config_selectorIjjNS0_4plusIjEEEEZZNS1_33reduce_by_key_impl_wrapped_configILNS1_25lookback_scan_determinismE0ES3_S7_PKjNS0_17constant_iteratorIjlEEPjPlSF_S6_NS0_8equal_toIjEEEE10hipError_tPvRmT2_T3_mT4_T5_T6_T7_T8_P12ihipStream_tbENKUlT_T0_E_clISt17integral_constantIbLb0EESZ_EEDaSU_SV_EUlSU_E_NS1_11comp_targetILNS1_3genE0ELNS1_11target_archE4294967295ELNS1_3gpuE0ELNS1_3repE0EEENS1_30default_config_static_selectorELNS0_4arch9wavefront6targetE0EEEvT1_
	.globl	_ZN7rocprim17ROCPRIM_400000_NS6detail17trampoline_kernelINS0_14default_configENS1_33run_length_encode_config_selectorIjjNS0_4plusIjEEEEZZNS1_33reduce_by_key_impl_wrapped_configILNS1_25lookback_scan_determinismE0ES3_S7_PKjNS0_17constant_iteratorIjlEEPjPlSF_S6_NS0_8equal_toIjEEEE10hipError_tPvRmT2_T3_mT4_T5_T6_T7_T8_P12ihipStream_tbENKUlT_T0_E_clISt17integral_constantIbLb0EESZ_EEDaSU_SV_EUlSU_E_NS1_11comp_targetILNS1_3genE0ELNS1_11target_archE4294967295ELNS1_3gpuE0ELNS1_3repE0EEENS1_30default_config_static_selectorELNS0_4arch9wavefront6targetE0EEEvT1_
	.p2align	8
	.type	_ZN7rocprim17ROCPRIM_400000_NS6detail17trampoline_kernelINS0_14default_configENS1_33run_length_encode_config_selectorIjjNS0_4plusIjEEEEZZNS1_33reduce_by_key_impl_wrapped_configILNS1_25lookback_scan_determinismE0ES3_S7_PKjNS0_17constant_iteratorIjlEEPjPlSF_S6_NS0_8equal_toIjEEEE10hipError_tPvRmT2_T3_mT4_T5_T6_T7_T8_P12ihipStream_tbENKUlT_T0_E_clISt17integral_constantIbLb0EESZ_EEDaSU_SV_EUlSU_E_NS1_11comp_targetILNS1_3genE0ELNS1_11target_archE4294967295ELNS1_3gpuE0ELNS1_3repE0EEENS1_30default_config_static_selectorELNS0_4arch9wavefront6targetE0EEEvT1_,@function
_ZN7rocprim17ROCPRIM_400000_NS6detail17trampoline_kernelINS0_14default_configENS1_33run_length_encode_config_selectorIjjNS0_4plusIjEEEEZZNS1_33reduce_by_key_impl_wrapped_configILNS1_25lookback_scan_determinismE0ES3_S7_PKjNS0_17constant_iteratorIjlEEPjPlSF_S6_NS0_8equal_toIjEEEE10hipError_tPvRmT2_T3_mT4_T5_T6_T7_T8_P12ihipStream_tbENKUlT_T0_E_clISt17integral_constantIbLb0EESZ_EEDaSU_SV_EUlSU_E_NS1_11comp_targetILNS1_3genE0ELNS1_11target_archE4294967295ELNS1_3gpuE0ELNS1_3repE0EEENS1_30default_config_static_selectorELNS0_4arch9wavefront6targetE0EEEvT1_: ; @_ZN7rocprim17ROCPRIM_400000_NS6detail17trampoline_kernelINS0_14default_configENS1_33run_length_encode_config_selectorIjjNS0_4plusIjEEEEZZNS1_33reduce_by_key_impl_wrapped_configILNS1_25lookback_scan_determinismE0ES3_S7_PKjNS0_17constant_iteratorIjlEEPjPlSF_S6_NS0_8equal_toIjEEEE10hipError_tPvRmT2_T3_mT4_T5_T6_T7_T8_P12ihipStream_tbENKUlT_T0_E_clISt17integral_constantIbLb0EESZ_EEDaSU_SV_EUlSU_E_NS1_11comp_targetILNS1_3genE0ELNS1_11target_archE4294967295ELNS1_3gpuE0ELNS1_3repE0EEENS1_30default_config_static_selectorELNS0_4arch9wavefront6targetE0EEEvT1_
; %bb.0:
	s_clause 0x1
	s_load_b128 s[8:11], s[0:1], 0x0
	s_load_b256 s[24:31], s[0:1], 0x40
	s_bfe_u32 s5, ttmp6, 0x4000c
	s_clause 0x1
	s_load_b32 s4, s[0:1], 0x10
	s_load_b128 s[20:23], s[0:1], 0x60
	s_add_co_i32 s5, s5, 1
	s_and_b32 s2, ttmp6, 15
	s_mul_i32 s5, ttmp9, s5
	s_getreg_b32 s12, hwreg(HW_REG_IB_STS2, 6, 4)
	s_add_co_i32 s2, s2, s5
	s_mov_b32 s3, 0
	s_delay_alu instid0(SALU_CYCLE_1)
	s_mov_b32 s35, s3
	s_wait_kmcnt 0x0
	s_lshl_b64 s[6:7], s[10:11], 2
	s_cmp_eq_u32 s12, 0
	s_mul_u64 s[10:11], s[28:29], s[26:27]
	s_cselect_b32 s34, ttmp9, s2
	s_add_nc_u64 s[12:13], s[30:31], -1
	s_mul_i32 s2, s34, 0xe00
	s_add_nc_u64 s[18:19], s[10:11], s[34:35]
	s_lshl_b64 s[10:11], s[2:3], 2
	s_cmp_eq_u64 s[18:19], s[12:13]
	s_add_nc_u64 s[6:7], s[8:9], s[6:7]
	s_cselect_b32 s33, -1, 0
	s_cmp_lg_u64 s[18:19], s[12:13]
	s_add_nc_u64 s[16:17], s[6:7], s[10:11]
	s_cselect_b32 s2, -1, 0
	s_and_b32 vcc_lo, exec_lo, s33
	s_mul_i32 s35, s12, 0xfffff200
	s_cbranch_vccnz .LBB649_2
; %bb.1:
	s_clause 0xd
	global_load_b32 v1, v0, s[16:17] scale_offset
	global_load_b32 v2, v0, s[16:17] offset:1024 scale_offset
	global_load_b32 v3, v0, s[16:17] offset:2048 scale_offset
	;; [unrolled: 1-line block ×13, first 2 shown]
	v_lshlrev_b32_e32 v15, 2, v0
	s_mov_b32 s5, 0
	s_mov_b32 s3, -1
	s_wait_loadcnt 0xc
	ds_store_2addr_stride64_b32 v15, v1, v2 offset1:4
	s_wait_loadcnt 0xa
	ds_store_2addr_stride64_b32 v15, v3, v4 offset0:8 offset1:12
	s_wait_loadcnt 0x8
	ds_store_2addr_stride64_b32 v15, v5, v6 offset0:16 offset1:20
	;; [unrolled: 2-line block ×6, first 2 shown]
	v_mad_u32_u24 v16, v0, 52, v15
	s_wait_dscnt 0x0
	s_barrier_signal -1
	s_barrier_wait -1
	ds_load_2addr_b64 v[10:13], v16 offset1:1
	ds_load_2addr_b64 v[6:9], v16 offset0:2 offset1:3
	ds_load_2addr_b64 v[2:5], v16 offset0:4 offset1:5
	ds_load_b64 v[22:23], v16 offset:48
	s_wait_dscnt 0x3
	v_dual_mov_b32 v14, v10 :: v_dual_mov_b32 v15, v12
	s_wait_dscnt 0x2
	v_dual_mov_b32 v16, v6 :: v_dual_mov_b32 v17, v8
	;; [unrolled: 2-line block ×3, first 2 shown]
	s_branch .LBB649_3
.LBB649_2:
	s_mov_b32 s5, -1
                                        ; implicit-def: $vgpr4
                                        ; implicit-def: $vgpr8
                                        ; implicit-def: $vgpr12
                                        ; implicit-def: $vgpr22_vgpr23
                                        ; implicit-def: $vgpr18_vgpr19
                                        ; implicit-def: $vgpr16_vgpr17
                                        ; implicit-def: $vgpr14_vgpr15
.LBB649_3:
	v_dual_mov_b32 v1, s4 :: v_dual_mov_b32 v50, s4
	v_dual_mov_b32 v51, s4 :: v_dual_mov_b32 v53, s4
	;; [unrolled: 1-line block ×6, first 2 shown]
	v_mov_b32_e32 v52, s4
	s_and_not1_b32 vcc_lo, exec_lo, s5
	s_add_co_i32 s35, s35, s20
                                        ; implicit-def: $vgpr76
	s_cbranch_vccnz .LBB649_33
; %bb.4:
	s_mov_b32 s3, exec_lo
                                        ; implicit-def: $vgpr1
	v_cmpx_gt_u32_e64 s35, v0
	s_cbranch_execz .LBB649_6
; %bb.5:
	global_load_b32 v1, v0, s[16:17] scale_offset
.LBB649_6:
	s_wait_xcnt 0x0
	s_or_b32 exec_lo, exec_lo, s3
	v_or_b32_e32 v2, 0x100, v0
	s_delay_alu instid0(VALU_DEP_1)
	v_cmp_gt_u32_e32 vcc_lo, s35, v2
                                        ; implicit-def: $vgpr2
	s_and_saveexec_b32 s3, vcc_lo
	s_cbranch_execz .LBB649_8
; %bb.7:
	global_load_b32 v2, v0, s[16:17] offset:1024 scale_offset
.LBB649_8:
	s_wait_xcnt 0x0
	s_or_b32 exec_lo, exec_lo, s3
	v_or_b32_e32 v3, 0x200, v0
	s_delay_alu instid0(VALU_DEP_1)
	v_cmp_gt_u32_e32 vcc_lo, s35, v3
                                        ; implicit-def: $vgpr3
	s_and_saveexec_b32 s3, vcc_lo
	s_cbranch_execz .LBB649_10
; %bb.9:
	global_load_b32 v3, v0, s[16:17] offset:2048 scale_offset
.LBB649_10:
	s_wait_xcnt 0x0
	s_or_b32 exec_lo, exec_lo, s3
	v_or_b32_e32 v4, 0x300, v0
	s_delay_alu instid0(VALU_DEP_1)
	v_cmp_gt_u32_e32 vcc_lo, s35, v4
                                        ; implicit-def: $vgpr4
	s_and_saveexec_b32 s3, vcc_lo
	s_cbranch_execz .LBB649_12
; %bb.11:
	global_load_b32 v4, v0, s[16:17] offset:3072 scale_offset
.LBB649_12:
	s_wait_xcnt 0x0
	s_or_b32 exec_lo, exec_lo, s3
	v_or_b32_e32 v5, 0x400, v0
	s_delay_alu instid0(VALU_DEP_1)
	v_cmp_gt_u32_e32 vcc_lo, s35, v5
                                        ; implicit-def: $vgpr5
	s_and_saveexec_b32 s3, vcc_lo
	s_cbranch_execz .LBB649_14
; %bb.13:
	global_load_b32 v5, v0, s[16:17] offset:4096 scale_offset
.LBB649_14:
	s_wait_xcnt 0x0
	s_or_b32 exec_lo, exec_lo, s3
	v_or_b32_e32 v6, 0x500, v0
	s_delay_alu instid0(VALU_DEP_1)
	v_cmp_gt_u32_e32 vcc_lo, s35, v6
                                        ; implicit-def: $vgpr6
	s_and_saveexec_b32 s3, vcc_lo
	s_cbranch_execz .LBB649_16
; %bb.15:
	global_load_b32 v6, v0, s[16:17] offset:5120 scale_offset
.LBB649_16:
	s_wait_xcnt 0x0
	s_or_b32 exec_lo, exec_lo, s3
	v_or_b32_e32 v7, 0x600, v0
	s_delay_alu instid0(VALU_DEP_1)
	v_cmp_gt_u32_e32 vcc_lo, s35, v7
                                        ; implicit-def: $vgpr7
	s_and_saveexec_b32 s3, vcc_lo
	s_cbranch_execz .LBB649_18
; %bb.17:
	global_load_b32 v7, v0, s[16:17] offset:6144 scale_offset
.LBB649_18:
	s_wait_xcnt 0x0
	s_or_b32 exec_lo, exec_lo, s3
	v_or_b32_e32 v8, 0x700, v0
	s_delay_alu instid0(VALU_DEP_1)
	v_cmp_gt_u32_e32 vcc_lo, s35, v8
                                        ; implicit-def: $vgpr8
	s_and_saveexec_b32 s3, vcc_lo
	s_cbranch_execz .LBB649_20
; %bb.19:
	global_load_b32 v8, v0, s[16:17] offset:7168 scale_offset
.LBB649_20:
	s_wait_xcnt 0x0
	s_or_b32 exec_lo, exec_lo, s3
	v_or_b32_e32 v9, 0x800, v0
	s_delay_alu instid0(VALU_DEP_1)
	v_cmp_gt_u32_e32 vcc_lo, s35, v9
                                        ; implicit-def: $vgpr9
	s_and_saveexec_b32 s3, vcc_lo
	s_cbranch_execz .LBB649_22
; %bb.21:
	global_load_b32 v9, v0, s[16:17] offset:8192 scale_offset
.LBB649_22:
	s_wait_xcnt 0x0
	s_or_b32 exec_lo, exec_lo, s3
	v_or_b32_e32 v10, 0x900, v0
	s_delay_alu instid0(VALU_DEP_1)
	v_cmp_gt_u32_e32 vcc_lo, s35, v10
                                        ; implicit-def: $vgpr10
	s_and_saveexec_b32 s3, vcc_lo
	s_cbranch_execz .LBB649_24
; %bb.23:
	global_load_b32 v10, v0, s[16:17] offset:9216 scale_offset
.LBB649_24:
	s_wait_xcnt 0x0
	s_or_b32 exec_lo, exec_lo, s3
	v_or_b32_e32 v11, 0xa00, v0
	s_delay_alu instid0(VALU_DEP_1)
	v_cmp_gt_u32_e32 vcc_lo, s35, v11
                                        ; implicit-def: $vgpr11
	s_and_saveexec_b32 s3, vcc_lo
	s_cbranch_execz .LBB649_26
; %bb.25:
	global_load_b32 v11, v0, s[16:17] offset:10240 scale_offset
.LBB649_26:
	s_wait_xcnt 0x0
	s_or_b32 exec_lo, exec_lo, s3
	v_or_b32_e32 v12, 0xb00, v0
	s_delay_alu instid0(VALU_DEP_1)
	v_cmp_gt_u32_e32 vcc_lo, s35, v12
                                        ; implicit-def: $vgpr12
	s_and_saveexec_b32 s3, vcc_lo
	s_cbranch_execz .LBB649_28
; %bb.27:
	global_load_b32 v12, v0, s[16:17] offset:11264 scale_offset
.LBB649_28:
	s_wait_xcnt 0x0
	s_or_b32 exec_lo, exec_lo, s3
	v_or_b32_e32 v13, 0xc00, v0
	s_delay_alu instid0(VALU_DEP_1)
	v_cmp_gt_u32_e32 vcc_lo, s35, v13
                                        ; implicit-def: $vgpr13
	s_and_saveexec_b32 s3, vcc_lo
	s_cbranch_execz .LBB649_30
; %bb.29:
	global_load_b32 v13, v0, s[16:17] offset:12288 scale_offset
.LBB649_30:
	s_wait_xcnt 0x0
	s_or_b32 exec_lo, exec_lo, s3
	v_or_b32_e32 v14, 0xd00, v0
	s_delay_alu instid0(VALU_DEP_1)
	v_cmp_gt_u32_e32 vcc_lo, s35, v14
                                        ; implicit-def: $vgpr14
	s_and_saveexec_b32 s3, vcc_lo
	s_cbranch_execz .LBB649_32
; %bb.31:
	global_load_b32 v14, v0, s[16:17] offset:13312 scale_offset
.LBB649_32:
	s_wait_xcnt 0x0
	s_or_b32 exec_lo, exec_lo, s3
	v_lshlrev_b32_e32 v15, 2, v0
	v_mad_u32_u24 v16, v0, 14, 13
	v_mov_b32_e32 v76, 0
	s_wait_loadcnt 0x0
	ds_store_2addr_stride64_b32 v15, v1, v2 offset1:4
	ds_store_2addr_stride64_b32 v15, v3, v4 offset0:8 offset1:12
	ds_store_2addr_stride64_b32 v15, v5, v6 offset0:16 offset1:20
	;; [unrolled: 1-line block ×6, first 2 shown]
	v_mad_u32_u24 v1, v0, 52, v15
	s_wait_dscnt 0x0
	s_barrier_signal -1
	s_barrier_wait -1
	ds_load_2addr_b64 v[10:13], v1 offset1:1
	ds_load_2addr_b64 v[6:9], v1 offset0:2 offset1:3
	v_mul_u32_u24_e32 v14, 14, v0
	ds_load_2addr_b64 v[2:5], v1 offset0:4 offset1:5
	ds_load_b64 v[22:23], v1 offset:48
	v_mad_u32_u24 v1, v0, 14, 2
	v_cmp_gt_u32_e64 s3, s35, v16
	v_or_b32_e32 v15, 1, v14
	v_cmp_gt_u32_e32 vcc_lo, s35, v14
	v_mad_u32_u24 v14, v0, 14, 3
	v_cndmask_b32_e64 v52, 0, s4, vcc_lo
	s_wait_dscnt 0x2
	v_mov_b32_e32 v16, v6
	v_cmp_gt_u32_e32 vcc_lo, s35, v15
	v_mad_u32_u24 v15, v0, 14, 4
	s_wait_dscnt 0x1
	v_dual_mov_b32 v18, v2 :: v_dual_mov_b32 v19, v4
	v_mov_b32_e32 v17, v8
	v_cndmask_b32_e64 v68, 0, s4, vcc_lo
	v_cmp_gt_u32_e32 vcc_lo, s35, v1
	v_mad_u32_u24 v1, v0, 14, 5
	v_cndmask_b32_e64 v72, 0, s4, vcc_lo
	v_cmp_gt_u32_e32 vcc_lo, s35, v14
	v_mad_u32_u24 v14, v0, 14, 6
	;; [unrolled: 3-line block ×8, first 2 shown]
	v_cndmask_b32_e64 v53, 0, s4, vcc_lo
	v_cmp_gt_u32_e32 vcc_lo, s35, v1
	v_cndmask_b32_e64 v51, 0, s4, vcc_lo
	s_delay_alu instid0(VALU_DEP_4)
	v_cmp_gt_u32_e32 vcc_lo, s35, v14
	v_mov_b32_e32 v14, v10
	v_cndmask_b32_e64 v50, 0, s4, vcc_lo
	v_cmp_gt_u32_e32 vcc_lo, s35, v15
	v_mov_b32_e32 v15, v12
	v_cndmask_b32_e64 v1, 0, s4, vcc_lo
.LBB649_33:
	s_and_saveexec_b32 s5, s3
; %bb.34:
	v_mov_b32_e32 v76, s4
; %bb.35:
	s_or_b32 exec_lo, exec_lo, s5
	s_load_b64 s[28:29], s[0:1], 0x70
	s_cmp_eq_u64 s[18:19], 0
	s_wait_dscnt 0x0
	s_cselect_b32 s36, -1, 0
	s_cmp_lg_u64 s[18:19], 0
	s_barrier_signal -1
	s_cselect_b32 s30, -1, 0
	s_and_b32 vcc_lo, exec_lo, s2
	s_barrier_wait -1
	s_cbranch_vccz .LBB649_40
; %bb.36:
	s_and_b32 vcc_lo, exec_lo, s30
	s_cbranch_vccz .LBB649_41
; %bb.37:
	s_add_nc_u64 s[2:3], s[16:17], -4
	s_load_b32 s2, s[2:3], 0x0
	v_lshlrev_b32_e32 v21, 2, v0
	s_wait_xcnt 0x0
	s_mov_b32 s3, exec_lo
	s_wait_kmcnt 0x0
	v_mov_b32_e32 v20, s2
	s_mov_b32 s2, 0
	ds_store_b32 v21, v23
	s_wait_dscnt 0x0
	s_barrier_signal -1
	s_barrier_wait -1
	v_cmpx_ne_u32_e32 0, v0
; %bb.38:
	v_add_nc_u32_e32 v20, -4, v21
	ds_load_b32 v20, v20
; %bb.39:
	s_or_b32 exec_lo, exec_lo, s3
	v_cmp_ne_u32_e32 vcc_lo, v22, v23
	s_wait_dscnt 0x0
	v_cmp_ne_u32_e64 s15, v20, v10
	s_mov_b32 s37, -1
	v_cndmask_b32_e64 v57, 0, 1, vcc_lo
	v_cmp_ne_u32_e32 vcc_lo, v14, v11
	v_cndmask_b32_e64 v66, 0, 1, vcc_lo
	v_cmp_ne_u32_e32 vcc_lo, v15, v11
	v_cndmask_b32_e64 v64, 0, 1, vcc_lo
	v_cmp_ne_u32_e32 vcc_lo, v15, v13
	v_cndmask_b32_e64 v63, 0, 1, vcc_lo
	v_cmp_ne_u32_e32 vcc_lo, v16, v13
	v_cndmask_b32_e64 v61, 0, 1, vcc_lo
	v_cmp_ne_u32_e32 vcc_lo, v16, v7
	v_cndmask_b32_e64 v65, 0, 1, vcc_lo
	v_cmp_ne_u32_e32 vcc_lo, v17, v7
	v_cndmask_b32_e64 v60, 0, 1, vcc_lo
	v_cmp_ne_u32_e32 vcc_lo, v17, v9
	v_cndmask_b32_e64 v59, 0, 1, vcc_lo
	v_cmp_ne_u32_e32 vcc_lo, v18, v9
	v_cndmask_b32_e64 v58, 0, 1, vcc_lo
	v_cmp_ne_u32_e32 vcc_lo, v18, v3
	v_cndmask_b32_e64 v55, 0, 1, vcc_lo
	v_cmp_ne_u32_e32 vcc_lo, v19, v3
	v_cndmask_b32_e64 v54, 0, 1, vcc_lo
	v_cmp_ne_u32_e32 vcc_lo, v19, v5
	v_cndmask_b32_e64 v56, 0, 1, vcc_lo
	v_cmp_ne_u32_e32 vcc_lo, v22, v5
	v_cndmask_b32_e64 v62, 0, 1, vcc_lo
	s_and_b32 vcc_lo, exec_lo, s2
	s_cbranch_vccnz .LBB649_42
	s_branch .LBB649_45
.LBB649_40:
	s_mov_b32 s37, 0
                                        ; implicit-def: $sgpr15
                                        ; implicit-def: $vgpr57
                                        ; implicit-def: $vgpr62
                                        ; implicit-def: $vgpr56
                                        ; implicit-def: $vgpr54
                                        ; implicit-def: $vgpr55
                                        ; implicit-def: $vgpr58
                                        ; implicit-def: $vgpr59
                                        ; implicit-def: $vgpr60
                                        ; implicit-def: $vgpr65
                                        ; implicit-def: $vgpr61
                                        ; implicit-def: $vgpr63
                                        ; implicit-def: $vgpr64
                                        ; implicit-def: $vgpr66
	s_cbranch_execnz .LBB649_46
	s_branch .LBB649_54
.LBB649_41:
	s_mov_b32 s37, 0
                                        ; implicit-def: $sgpr15
                                        ; implicit-def: $vgpr57
                                        ; implicit-def: $vgpr62
                                        ; implicit-def: $vgpr56
                                        ; implicit-def: $vgpr54
                                        ; implicit-def: $vgpr55
                                        ; implicit-def: $vgpr58
                                        ; implicit-def: $vgpr59
                                        ; implicit-def: $vgpr60
                                        ; implicit-def: $vgpr65
                                        ; implicit-def: $vgpr61
                                        ; implicit-def: $vgpr63
                                        ; implicit-def: $vgpr64
                                        ; implicit-def: $vgpr66
	s_cbranch_execz .LBB649_45
.LBB649_42:
	v_lshlrev_b32_e32 v20, 2, v0
	v_cmp_ne_u32_e64 s6, v22, v23
	v_cmp_ne_u32_e64 s2, v19, v5
	v_cmp_ne_u32_e64 s3, v3, v19
	v_cmp_ne_u32_e64 s4, v3, v18
	v_cmp_ne_u32_e64 s5, v18, v9
	v_cmp_ne_u32_e64 s7, v17, v9
	v_cmp_ne_u32_e64 s8, v7, v17
	v_cmp_ne_u32_e64 s9, v7, v16
	v_cmp_ne_u32_e64 s10, v16, v13
	v_cmp_ne_u32_e64 s11, v15, v13
	v_cmp_ne_u32_e64 s12, v11, v15
	v_cmp_ne_u32_e64 s13, v11, v14
	v_cmp_ne_u32_e64 s14, 0, v0
	v_cmp_ne_u32_e32 vcc_lo, v22, v5
	ds_store_b32 v20, v23
	s_wait_dscnt 0x0
	s_barrier_signal -1
	s_barrier_wait -1
                                        ; implicit-def: $sgpr15
	s_and_saveexec_b32 s31, s14
	s_delay_alu instid0(SALU_CYCLE_1)
	s_xor_b32 s14, exec_lo, s31
	s_cbranch_execz .LBB649_44
; %bb.43:
	v_add_nc_u32_e32 v14, -4, v20
	s_or_b32 s37, s37, exec_lo
	ds_load_b32 v14, v14
	s_wait_dscnt 0x0
	v_cmp_ne_u32_e64 s15, v14, v10
.LBB649_44:
	s_or_b32 exec_lo, exec_lo, s14
	v_cndmask_b32_e64 v57, 0, 1, s6
	v_cndmask_b32_e64 v66, 0, 1, s13
	;; [unrolled: 1-line block ×12, first 2 shown]
	v_cndmask_b32_e64 v62, 0, 1, vcc_lo
.LBB649_45:
	s_branch .LBB649_54
.LBB649_46:
	s_mov_b64 s[2:3], 0xfffffffffffff200
	v_cmp_ne_u32_e64 s13, v22, v23
	s_mul_u64 s[18:19], s[18:19], s[2:3]
	v_cmp_ne_u32_e64 s14, v5, v22
	v_cmp_ne_u32_e64 s15, v4, v5
	;; [unrolled: 1-line block ×12, first 2 shown]
	v_mul_u32_u24_e32 v14, 14, v0
	v_mad_u32_u24 v16, v0, 14, 13
	v_mad_u32_u24 v40, v0, 14, 12
	;; [unrolled: 1-line block ×12, first 2 shown]
	v_cmp_ne_u32_e64 s9, 0, v0
	s_and_b32 vcc_lo, exec_lo, s30
	s_add_nc_u64 s[30:31], s[18:19], s[20:21]
	s_cbranch_vccz .LBB649_50
; %bb.47:
	s_add_nc_u64 s[16:17], s[16:17], -4
	v_dual_mov_b32 v17, 0 :: v_dual_lshlrev_b32 v15, 2, v0
	s_load_b32 s38, s[16:17], 0x0
	s_delay_alu instid0(VALU_DEP_1)
	v_dual_mov_b32 v19, v17 :: v_dual_bitop2_b32 v42, 1, v14 bitop3:0x54
	v_dual_mov_b32 v41, v17 :: v_dual_mov_b32 v39, v17
	v_dual_mov_b32 v37, v17 :: v_dual_mov_b32 v35, v17
	;; [unrolled: 1-line block ×3, first 2 shown]
	v_cmp_gt_u64_e32 vcc_lo, s[30:31], v[16:17]
	s_wait_xcnt 0x0
	v_cmp_gt_u64_e64 s16, s[30:31], v[40:41]
	v_cmp_gt_u64_e64 s17, s[30:31], v[38:39]
	;; [unrolled: 1-line block ×5, first 2 shown]
	v_dual_mov_b32 v29, v17 :: v_dual_mov_b32 v27, v17
	v_dual_mov_b32 v25, v17 :: v_dual_mov_b32 v21, v17
	v_mov_b32_e32 v43, v17
	s_and_b32 s21, vcc_lo, s13
	s_and_b32 s37, s16, s14
	s_and_b32 s17, s17, s15
	;; [unrolled: 1-line block ×5, first 2 shown]
	v_cmp_gt_u64_e32 vcc_lo, s[30:31], v[30:31]
	v_cmp_gt_u64_e64 s10, s[30:31], v[28:29]
	v_cmp_gt_u64_e64 s11, s[30:31], v[26:27]
	;; [unrolled: 1-line block ×5, first 2 shown]
	s_wait_kmcnt 0x0
	v_mov_b32_e32 v19, s38
	v_cmp_gt_u64_e64 s15, s[30:31], v[42:43]
	s_and_b32 s20, vcc_lo, s2
	s_and_b32 s10, s10, s3
	s_and_b32 s11, s11, s4
	;; [unrolled: 1-line block ×6, first 2 shown]
	s_mov_b32 s3, 0
	ds_store_b32 v15, v23
	s_wait_dscnt 0x0
	s_barrier_signal -1
	s_barrier_wait -1
	s_and_saveexec_b32 s7, s9
; %bb.48:
	v_add_nc_u32_e32 v15, -4, v15
	ds_load_b32 v19, v15
; %bb.49:
	s_or_b32 exec_lo, exec_lo, s7
	v_mov_b32_e32 v15, v17
	v_cndmask_b32_e64 v61, 0, 1, s2
	s_wait_dscnt 0x0
	v_cmp_ne_u32_e64 s2, v19, v10
	v_cndmask_b32_e64 v57, 0, 1, s21
	v_cndmask_b32_e64 v62, 0, 1, s37
	v_cmp_gt_u64_e32 vcc_lo, s[30:31], v[14:15]
	v_cndmask_b32_e64 v56, 0, 1, s17
	v_cndmask_b32_e64 v54, 0, 1, s18
	;; [unrolled: 1-line block ×10, first 2 shown]
	s_and_b32 s15, vcc_lo, s2
	s_mov_b32 s37, -1
	s_and_b32 vcc_lo, exec_lo, s3
	s_cbranch_vccnz .LBB649_51
	s_branch .LBB649_54
.LBB649_50:
                                        ; implicit-def: $sgpr15
                                        ; implicit-def: $vgpr57
                                        ; implicit-def: $vgpr62
                                        ; implicit-def: $vgpr56
                                        ; implicit-def: $vgpr54
                                        ; implicit-def: $vgpr55
                                        ; implicit-def: $vgpr58
                                        ; implicit-def: $vgpr59
                                        ; implicit-def: $vgpr60
                                        ; implicit-def: $vgpr65
                                        ; implicit-def: $vgpr61
                                        ; implicit-def: $vgpr63
                                        ; implicit-def: $vgpr64
                                        ; implicit-def: $vgpr66
	s_cbranch_execz .LBB649_54
.LBB649_51:
	v_dual_mov_b32 v17, 0 :: v_dual_lshlrev_b32 v15, 2, v0
	v_cmp_ne_u32_e32 vcc_lo, v22, v23
	v_cmp_ne_u32_e64 s2, v5, v22
	v_cmp_ne_u32_e64 s3, v4, v5
	s_delay_alu instid0(VALU_DEP_4) | instskip(SKIP_2) | instid1(VALU_DEP_3)
	v_dual_mov_b32 v41, v17 :: v_dual_mov_b32 v39, v17
	v_dual_mov_b32 v37, v17 :: v_dual_mov_b32 v35, v17
	v_cmp_gt_u64_e64 s4, s[30:31], v[16:17]
	v_cmp_gt_u64_e64 s5, s[30:31], v[40:41]
	s_delay_alu instid0(VALU_DEP_4) | instskip(NEXT) | instid1(VALU_DEP_4)
	v_cmp_gt_u64_e64 s6, s[30:31], v[38:39]
	v_cmp_gt_u64_e64 s7, s[30:31], v[36:37]
	v_cmp_ne_u32_e64 s8, v3, v4
	v_dual_mov_b32 v33, v17 :: v_dual_mov_b32 v31, v17
	s_and_b32 s11, s4, vcc_lo
	v_cmp_gt_u64_e32 vcc_lo, s[30:31], v[34:35]
	v_dual_mov_b32 v29, v17 :: v_dual_mov_b32 v27, v17
	s_and_b32 s12, s5, s2
	v_cmp_ne_u32_e64 s2, v2, v3
	s_and_b32 s13, s6, s3
	s_and_b32 s14, s7, s8
	v_cmp_gt_u64_e64 s3, s[30:31], v[32:33]
	v_cmp_gt_u64_e64 s5, s[30:31], v[30:31]
	;; [unrolled: 1-line block ×3, first 2 shown]
	v_cmp_ne_u32_e64 s4, v9, v2
	v_cmp_ne_u32_e64 s6, v8, v9
	s_and_b32 s16, vcc_lo, s2
	v_cmp_ne_u32_e32 vcc_lo, v7, v8
	v_dual_mov_b32 v25, v17 :: v_dual_mov_b32 v21, v17
	v_dual_mov_b32 v19, v17 :: v_dual_bitop2_b32 v16, 1, v14 bitop3:0x54
	s_and_b32 s17, s3, s4
	s_and_b32 s18, s5, s6
	s_and_b32 s19, s7, vcc_lo
	v_cmp_gt_u64_e32 vcc_lo, s[30:31], v[26:27]
	v_cmp_gt_u64_e64 s3, s[30:31], v[24:25]
	v_cmp_gt_u64_e64 s5, s[30:31], v[20:21]
	;; [unrolled: 1-line block ×4, first 2 shown]
	v_cmp_ne_u32_e64 s2, v6, v7
	v_cmp_ne_u32_e64 s4, v13, v6
	;; [unrolled: 1-line block ×5, first 2 shown]
	s_and_b32 s20, vcc_lo, s2
	s_and_b32 s3, s3, s4
	s_and_b32 s4, s5, s6
	;; [unrolled: 1-line block ×4, first 2 shown]
	s_mov_b32 s7, exec_lo
	ds_store_b32 v15, v23
	s_wait_dscnt 0x0
	s_barrier_signal -1
	s_barrier_wait -1
                                        ; implicit-def: $sgpr15
	v_cmpx_ne_u32_e32 0, v0
	s_cbranch_execz .LBB649_53
; %bb.52:
	v_add_nc_u32_e32 v15, -4, v15
	s_or_b32 s37, s37, exec_lo
	ds_load_b32 v16, v15
	v_mov_b32_e32 v15, v17
	s_delay_alu instid0(VALU_DEP_1)
	v_cmp_gt_u64_e32 vcc_lo, s[30:31], v[14:15]
	s_wait_dscnt 0x0
	v_cmp_ne_u32_e64 s2, v16, v10
	s_and_b32 s15, vcc_lo, s2
.LBB649_53:
	s_or_b32 exec_lo, exec_lo, s7
	v_cndmask_b32_e64 v57, 0, 1, s11
	v_cndmask_b32_e64 v62, 0, 1, s12
	;; [unrolled: 1-line block ×13, first 2 shown]
.LBB649_54:
	v_mov_b32_e32 v67, 1
	s_and_saveexec_b32 s2, s37
; %bb.55:
	v_cndmask_b32_e64 v67, 0, 1, s15
; %bb.56:
	s_or_b32 exec_lo, exec_lo, s2
	s_clause 0x1
	s_load_b128 s[16:19], s[0:1], 0x20
	s_load_b64 s[20:21], s[0:1], 0x30
	v_dual_add_nc_u32 v14, v66, v67 :: v_dual_lshrrev_b32 v78, 5, v0
	v_cmp_eq_u32_e64 s11, 0, v66
	v_cmp_eq_u32_e64 s10, 0, v64
	;; [unrolled: 1-line block ×3, first 2 shown]
	s_delay_alu instid0(VALU_DEP_4)
	v_add3_u32 v80, v14, v64, v63
	v_cmp_eq_u32_e64 s8, 0, v61
	v_cmp_eq_u32_e64 s7, 0, v65
	;; [unrolled: 1-line block ×7, first 2 shown]
	s_wait_xcnt 0x0
	v_cmp_eq_u32_e64 s1, 0, v56
	v_cmp_eq_u32_e64 s0, 0, v62
	v_mbcnt_lo_u32_b32 v77, -1, 0
	v_or_b32_e32 v79, 31, v0
	s_cmp_eq_u64 s[26:27], 0
	v_cmp_eq_u32_e32 vcc_lo, 0, v57
	s_cselect_b32 s15, -1, 0
	s_cmp_lg_u32 s34, 0
	s_cbranch_scc0 .LBB649_77
; %bb.57:
	v_dual_cndmask_b32 v14, 0, v52, s11 :: v_dual_bitop2_b32 v17, 15, v77 bitop3:0x40
	v_add3_u32 v15, v80, v61, v65
	s_delay_alu instid0(VALU_DEP_2) | instskip(NEXT) | instid1(VALU_DEP_2)
	v_add_nc_u32_e32 v14, v14, v68
	v_add3_u32 v15, v15, v60, v59
	s_delay_alu instid0(VALU_DEP_2) | instskip(NEXT) | instid1(VALU_DEP_2)
	v_cndmask_b32_e64 v14, 0, v14, s10
	v_add3_u32 v15, v15, v58, v55
	s_delay_alu instid0(VALU_DEP_2) | instskip(NEXT) | instid1(VALU_DEP_2)
	v_add_nc_u32_e32 v14, v14, v72
	v_add3_u32 v15, v15, v54, v56
	s_delay_alu instid0(VALU_DEP_1) | instskip(NEXT) | instid1(VALU_DEP_3)
	v_add3_u32 v15, v15, v62, v57
	v_cndmask_b32_e64 v14, 0, v14, s9
	s_delay_alu instid0(VALU_DEP_2) | instskip(NEXT) | instid1(VALU_DEP_2)
	v_mov_b32_dpp v18, v15 row_shr:1 row_mask:0xf bank_mask:0xf
	v_add_nc_u32_e32 v14, v14, v74
	s_delay_alu instid0(VALU_DEP_1) | instskip(NEXT) | instid1(VALU_DEP_1)
	v_cndmask_b32_e64 v14, 0, v14, s8
	v_add_nc_u32_e32 v14, v14, v70
	s_delay_alu instid0(VALU_DEP_1) | instskip(NEXT) | instid1(VALU_DEP_1)
	v_cndmask_b32_e64 v14, 0, v14, s7
	;; [unrolled: 3-line block ×9, first 2 shown]
	v_add_nc_u32_e32 v14, v14, v1
	s_delay_alu instid0(VALU_DEP_1) | instskip(SKIP_1) | instid1(VALU_DEP_2)
	v_cndmask_b32_e32 v14, 0, v14, vcc_lo
	v_cmp_eq_u32_e32 vcc_lo, 0, v15
	v_add_nc_u32_e32 v14, v14, v76
	s_delay_alu instid0(VALU_DEP_1) | instskip(NEXT) | instid1(VALU_DEP_1)
	v_mov_b32_dpp v16, v14 row_shr:1 row_mask:0xf bank_mask:0xf
	v_cndmask_b32_e32 v16, 0, v16, vcc_lo
	v_cmp_eq_u32_e32 vcc_lo, 0, v17
	v_cndmask_b32_e64 v18, v18, 0, vcc_lo
	s_delay_alu instid0(VALU_DEP_3) | instskip(SKIP_1) | instid1(VALU_DEP_2)
	v_cndmask_b32_e64 v16, v16, 0, vcc_lo
	v_cmp_lt_u32_e32 vcc_lo, 1, v17
	v_dual_add_nc_u32 v15, v18, v15 :: v_dual_add_nc_u32 v14, v16, v14
	s_delay_alu instid0(VALU_DEP_1) | instskip(SKIP_1) | instid1(VALU_DEP_3)
	v_mov_b32_dpp v16, v15 row_shr:2 row_mask:0xf bank_mask:0xf
	v_cmp_eq_u32_e64 s12, 0, v15
	v_mov_b32_dpp v18, v14 row_shr:2 row_mask:0xf bank_mask:0xf
	s_delay_alu instid0(VALU_DEP_3) | instskip(SKIP_1) | instid1(VALU_DEP_2)
	v_cndmask_b32_e32 v16, 0, v16, vcc_lo
	s_and_b32 vcc_lo, vcc_lo, s12
	v_cndmask_b32_e32 v18, 0, v18, vcc_lo
	v_cmp_lt_u32_e32 vcc_lo, 3, v17
	s_delay_alu instid0(VALU_DEP_2) | instskip(NEXT) | instid1(VALU_DEP_1)
	v_dual_add_nc_u32 v15, v15, v16 :: v_dual_add_nc_u32 v14, v18, v14
	v_mov_b32_dpp v16, v15 row_shr:4 row_mask:0xf bank_mask:0xf
	v_cmp_eq_u32_e64 s12, 0, v15
	s_delay_alu instid0(VALU_DEP_3) | instskip(NEXT) | instid1(VALU_DEP_3)
	v_mov_b32_dpp v18, v14 row_shr:4 row_mask:0xf bank_mask:0xf
	v_cndmask_b32_e32 v16, 0, v16, vcc_lo
	s_and_b32 vcc_lo, vcc_lo, s12
	s_delay_alu instid0(VALU_DEP_2) | instskip(SKIP_1) | instid1(VALU_DEP_2)
	v_cndmask_b32_e32 v18, 0, v18, vcc_lo
	v_cmp_lt_u32_e32 vcc_lo, 7, v17
	v_dual_add_nc_u32 v15, v16, v15 :: v_dual_add_nc_u32 v14, v14, v18
	v_bfe_i32 v18, v77, 4, 1
	s_delay_alu instid0(VALU_DEP_2) | instskip(SKIP_1) | instid1(VALU_DEP_4)
	v_mov_b32_dpp v16, v15 row_shr:8 row_mask:0xf bank_mask:0xf
	v_cmp_eq_u32_e64 s12, 0, v15
	v_mov_b32_dpp v17, v14 row_shr:8 row_mask:0xf bank_mask:0xf
	s_delay_alu instid0(VALU_DEP_3) | instskip(SKIP_2) | instid1(VALU_DEP_2)
	v_cndmask_b32_e32 v16, 0, v16, vcc_lo
	s_and_b32 vcc_lo, vcc_lo, s12
	s_mov_b32 s12, exec_lo
	v_cndmask_b32_e32 v17, 0, v17, vcc_lo
	s_delay_alu instid0(VALU_DEP_1)
	v_dual_add_nc_u32 v17, v17, v14 :: v_dual_add_nc_u32 v14, v16, v15
	ds_swizzle_b32 v15, v17 offset:swizzle(BROADCAST,32,15)
	ds_swizzle_b32 v16, v14 offset:swizzle(BROADCAST,32,15)
	v_cmp_eq_u32_e32 vcc_lo, 0, v14
	s_wait_dscnt 0x0
	v_dual_cndmask_b32 v15, 0, v15, vcc_lo :: v_dual_bitop2_b32 v16, v18, v16 bitop3:0x40
	s_delay_alu instid0(VALU_DEP_1) | instskip(NEXT) | instid1(VALU_DEP_1)
	v_dual_add_nc_u32 v14, v16, v14 :: v_dual_bitop2_b32 v15, v18, v15 bitop3:0x40
	v_dual_lshlrev_b32 v16, 3, v78 :: v_dual_add_nc_u32 v15, v15, v17
	v_cmpx_eq_u32_e64 v0, v79
; %bb.58:
	ds_store_b64 v16, v[14:15] offset:2064
; %bb.59:
	s_or_b32 exec_lo, exec_lo, s12
	s_delay_alu instid0(SALU_CYCLE_1)
	s_mov_b32 s13, exec_lo
	s_wait_dscnt 0x0
	s_barrier_signal -1
	s_barrier_wait -1
	v_cmpx_gt_u32_e32 8, v0
	s_cbranch_execz .LBB649_61
; %bb.60:
	v_dual_lshlrev_b32 v17, 3, v0 :: v_dual_bitop2_b32 v21, 7, v77 bitop3:0x40
	ds_load_b64 v[18:19], v17 offset:2064
	s_wait_dscnt 0x0
	v_mov_b32_dpp v20, v19 row_shr:1 row_mask:0xf bank_mask:0xf
	v_cmp_eq_u32_e32 vcc_lo, 0, v18
	v_mov_b32_dpp v24, v18 row_shr:1 row_mask:0xf bank_mask:0xf
	s_delay_alu instid0(VALU_DEP_3) | instskip(SKIP_1) | instid1(VALU_DEP_3)
	v_cndmask_b32_e32 v20, 0, v20, vcc_lo
	v_cmp_eq_u32_e32 vcc_lo, 0, v21
	v_cndmask_b32_e64 v24, v24, 0, vcc_lo
	s_delay_alu instid0(VALU_DEP_1) | instskip(NEXT) | instid1(VALU_DEP_4)
	v_add_nc_u32_e32 v18, v24, v18
	v_cndmask_b32_e64 v20, v20, 0, vcc_lo
	v_cmp_lt_u32_e32 vcc_lo, 1, v21
	s_delay_alu instid0(VALU_DEP_3) | instskip(NEXT) | instid1(VALU_DEP_3)
	v_cmp_eq_u32_e64 s12, 0, v18
	v_add_nc_u32_e32 v19, v20, v19
	v_mov_b32_dpp v20, v18 row_shr:2 row_mask:0xf bank_mask:0xf
	s_delay_alu instid0(VALU_DEP_1) | instskip(NEXT) | instid1(VALU_DEP_3)
	v_cndmask_b32_e32 v20, 0, v20, vcc_lo
	v_mov_b32_dpp v24, v19 row_shr:2 row_mask:0xf bank_mask:0xf
	s_and_b32 vcc_lo, vcc_lo, s12
	s_delay_alu instid0(VALU_DEP_1) | instid1(SALU_CYCLE_1)
	v_dual_add_nc_u32 v18, v20, v18 :: v_dual_cndmask_b32 v24, 0, v24, vcc_lo
	v_cmp_lt_u32_e32 vcc_lo, 3, v21
	s_delay_alu instid0(VALU_DEP_2) | instskip(NEXT) | instid1(VALU_DEP_3)
	v_mov_b32_dpp v20, v18 row_shr:4 row_mask:0xf bank_mask:0xf
	v_add_nc_u32_e32 v19, v24, v19
	v_cmp_eq_u32_e64 s12, 0, v18
	s_delay_alu instid0(VALU_DEP_3) | instskip(NEXT) | instid1(VALU_DEP_3)
	v_cndmask_b32_e32 v20, 0, v20, vcc_lo
	v_mov_b32_dpp v21, v19 row_shr:4 row_mask:0xf bank_mask:0xf
	s_and_b32 vcc_lo, vcc_lo, s12
	s_delay_alu instid0(VALU_DEP_1) | instskip(NEXT) | instid1(VALU_DEP_1)
	v_dual_cndmask_b32 v21, 0, v21 :: v_dual_add_nc_u32 v18, v20, v18
	v_add_nc_u32_e32 v19, v21, v19
	ds_store_b64 v17, v[18:19] offset:2064
.LBB649_61:
	s_or_b32 exec_lo, exec_lo, s13
	v_dual_mov_b32 v24, 0 :: v_dual_mov_b32 v25, 0
	s_mov_b32 s13, exec_lo
	v_cmp_gt_u32_e32 vcc_lo, 32, v0
	s_wait_dscnt 0x0
	s_barrier_signal -1
	s_barrier_wait -1
	v_cmpx_lt_u32_e32 31, v0
	s_cbranch_execz .LBB649_63
; %bb.62:
	ds_load_b64 v[24:25], v16 offset:2056
	v_cmp_eq_u32_e64 s12, 0, v14
	s_wait_dscnt 0x0
	s_delay_alu instid0(VALU_DEP_1) | instskip(NEXT) | instid1(VALU_DEP_1)
	v_dual_cndmask_b32 v16, 0, v25, s12 :: v_dual_add_nc_u32 v14, v24, v14
	v_add_nc_u32_e32 v15, v16, v15
.LBB649_63:
	s_or_b32 exec_lo, exec_lo, s13
	v_sub_co_u32 v16, s12, v77, 1
	s_delay_alu instid0(VALU_DEP_1) | instskip(NEXT) | instid1(VALU_DEP_1)
	v_cmp_gt_i32_e64 s13, 0, v16
	v_cndmask_b32_e64 v16, v16, v77, s13
	s_delay_alu instid0(VALU_DEP_1)
	v_lshlrev_b32_e32 v16, 2, v16
	ds_bpermute_b32 v30, v16, v14
	ds_bpermute_b32 v31, v16, v15
	s_and_saveexec_b32 s26, vcc_lo
	s_cbranch_execz .LBB649_82
; %bb.64:
	v_mov_b32_e32 v17, 0
	ds_load_b64 v[14:15], v17 offset:2120
	s_and_saveexec_b32 s13, s12
	s_cbranch_execz .LBB649_66
; %bb.65:
	s_add_co_i32 s30, s34, 32
	s_mov_b32 s31, 0
	v_mov_b32_e32 v16, 1
	s_lshl_b64 s[30:31], s[30:31], 4
	s_delay_alu instid0(SALU_CYCLE_1) | instskip(NEXT) | instid1(SALU_CYCLE_1)
	s_add_nc_u64 s[30:31], s[24:25], s[30:31]
	v_mov_b64_e32 v[18:19], s[30:31]
	s_wait_dscnt 0x0
	;;#ASMSTART
	global_store_b128 v[18:19], v[14:17] off scope:SCOPE_DEV	
s_wait_storecnt 0x0
	;;#ASMEND
.LBB649_66:
	s_or_b32 exec_lo, exec_lo, s13
	v_xad_u32 v26, v77, -1, s34
	s_mov_b32 s14, 0
	s_mov_b32 s13, exec_lo
	s_delay_alu instid0(VALU_DEP_1) | instskip(NEXT) | instid1(VALU_DEP_1)
	v_add_nc_u32_e32 v16, 32, v26
	v_lshl_add_u64 v[16:17], v[16:17], 4, s[24:25]
	;;#ASMSTART
	global_load_b128 v[18:21], v[16:17] off scope:SCOPE_DEV	
s_wait_loadcnt 0x0
	;;#ASMEND
	v_and_b32_e32 v21, 0xff, v20
	s_delay_alu instid0(VALU_DEP_1)
	v_cmpx_eq_u16_e32 0, v21
	s_cbranch_execz .LBB649_69
.LBB649_67:                             ; =>This Inner Loop Header: Depth=1
	;;#ASMSTART
	global_load_b128 v[18:21], v[16:17] off scope:SCOPE_DEV	
s_wait_loadcnt 0x0
	;;#ASMEND
	v_and_b32_e32 v21, 0xff, v20
	s_delay_alu instid0(VALU_DEP_1) | instskip(SKIP_1) | instid1(SALU_CYCLE_1)
	v_cmp_ne_u16_e32 vcc_lo, 0, v21
	s_or_b32 s14, vcc_lo, s14
	s_and_not1_b32 exec_lo, exec_lo, s14
	s_cbranch_execnz .LBB649_67
; %bb.68:
	s_or_b32 exec_lo, exec_lo, s14
.LBB649_69:
	s_delay_alu instid0(SALU_CYCLE_1)
	s_or_b32 exec_lo, exec_lo, s13
	v_cmp_ne_u32_e32 vcc_lo, 31, v77
	v_lshlrev_b32_e64 v33, v77, -1
	v_cmp_gt_u32_e64 s14, 30, v77
	v_lshl_or_b32 v40, v77, 2, 64
	v_add_nc_u32_e32 v35, 2, v77
	v_add_co_ci_u32_e64 v16, null, 0, v77, vcc_lo
	s_delay_alu instid0(VALU_DEP_4) | instskip(SKIP_1) | instid1(VALU_DEP_3)
	v_cndmask_b32_e64 v27, 0, 2, s14
	v_dual_add_nc_u32 v37, 4, v77 :: v_dual_add_nc_u32 v39, 8, v77
	v_lshlrev_b32_e32 v32, 2, v16
	v_and_b32_e32 v16, 0xff, v20
	s_delay_alu instid0(VALU_DEP_4)
	v_add_lshl_u32 v34, v27, v77, 2
	v_add_nc_u32_e32 v41, 16, v77
	ds_bpermute_b32 v17, v32, v18
	v_cmp_eq_u16_e32 vcc_lo, 2, v16
	v_and_or_b32 v21, vcc_lo, v33, 0x80000000
	v_cmp_eq_u32_e32 vcc_lo, 0, v18
	s_delay_alu instid0(VALU_DEP_2) | instskip(NEXT) | instid1(VALU_DEP_1)
	v_ctz_i32_b32_e32 v21, v21
	v_cmp_lt_u32_e64 s13, v77, v21
	s_wait_dscnt 0x0
	s_delay_alu instid0(VALU_DEP_1) | instskip(SKIP_4) | instid1(VALU_DEP_1)
	v_cndmask_b32_e64 v17, 0, v17, s13
	ds_bpermute_b32 v16, v32, v19
	s_and_b32 vcc_lo, s13, vcc_lo
	s_wait_dscnt 0x0
	v_dual_cndmask_b32 v16, 0, v16 :: v_dual_add_nc_u32 v17, v17, v18
	v_cmp_eq_u32_e32 vcc_lo, 0, v17
	s_delay_alu instid0(VALU_DEP_2)
	v_add_nc_u32_e32 v16, v16, v19
	ds_bpermute_b32 v19, v34, v16
	s_wait_dscnt 0x0
	v_cndmask_b32_e32 v18, 0, v19, vcc_lo
	ds_bpermute_b32 v19, v34, v17
	v_cmp_gt_u32_e32 vcc_lo, 28, v77
	v_cndmask_b32_e64 v27, 0, 4, vcc_lo
	v_cmp_gt_u32_e32 vcc_lo, v35, v21
	s_delay_alu instid0(VALU_DEP_2) | instskip(SKIP_2) | instid1(VALU_DEP_1)
	v_add_lshl_u32 v36, v27, v77, 2
	s_wait_dscnt 0x0
	v_cndmask_b32_e64 v19, v19, 0, vcc_lo
	v_add_nc_u32_e32 v17, v17, v19
	v_cndmask_b32_e64 v18, v18, 0, vcc_lo
	ds_bpermute_b32 v19, v36, v17
	v_add_nc_u32_e32 v16, v18, v16
	v_cmp_eq_u32_e32 vcc_lo, 0, v17
	ds_bpermute_b32 v18, v36, v16
	s_wait_dscnt 0x0
	v_cndmask_b32_e32 v18, 0, v18, vcc_lo
	v_cmp_gt_u32_e32 vcc_lo, 24, v77
	v_cndmask_b32_e64 v27, 0, 8, vcc_lo
	v_cmp_gt_u32_e32 vcc_lo, v37, v21
	s_delay_alu instid0(VALU_DEP_2) | instskip(SKIP_1) | instid1(VALU_DEP_1)
	v_add_lshl_u32 v38, v27, v77, 2
	v_cndmask_b32_e64 v19, v19, 0, vcc_lo
	v_dual_mov_b32 v27, 0 :: v_dual_add_nc_u32 v17, v17, v19
	v_cndmask_b32_e64 v18, v18, 0, vcc_lo
	ds_bpermute_b32 v19, v38, v17
	v_add_nc_u32_e32 v16, v16, v18
	v_cmp_eq_u32_e32 vcc_lo, 0, v17
	ds_bpermute_b32 v18, v38, v16
	s_wait_dscnt 0x0
	v_cndmask_b32_e32 v18, 0, v18, vcc_lo
	v_cmp_gt_u32_e32 vcc_lo, v39, v21
	s_delay_alu instid0(VALU_DEP_2) | instskip(NEXT) | instid1(VALU_DEP_1)
	v_cndmask_b32_e64 v18, v18, 0, vcc_lo
	v_add_nc_u32_e32 v16, v16, v18
	v_cndmask_b32_e64 v18, v19, 0, vcc_lo
	s_delay_alu instid0(VALU_DEP_1)
	v_add_nc_u32_e32 v17, v17, v18
	ds_bpermute_b32 v19, v40, v16
	ds_bpermute_b32 v18, v40, v17
	v_cmp_eq_u32_e32 vcc_lo, 0, v17
	s_wait_dscnt 0x1
	v_cndmask_b32_e32 v19, 0, v19, vcc_lo
	v_cmp_gt_u32_e32 vcc_lo, v41, v21
	s_wait_dscnt 0x0
	v_cndmask_b32_e64 v18, v18, 0, vcc_lo
	s_delay_alu instid0(VALU_DEP_1) | instskip(SKIP_1) | instid1(VALU_DEP_1)
	v_add_nc_u32_e32 v18, v18, v17
	v_cndmask_b32_e64 v19, v19, 0, vcc_lo
	v_add_nc_u32_e32 v19, v19, v16
	s_branch .LBB649_73
.LBB649_70:                             ;   in Loop: Header=BB649_73 Depth=1
	s_or_b32 exec_lo, exec_lo, s14
.LBB649_71:                             ;   in Loop: Header=BB649_73 Depth=1
	s_delay_alu instid0(SALU_CYCLE_1)
	s_or_b32 exec_lo, exec_lo, s13
	v_and_b32_e32 v21, 0xff, v20
	ds_bpermute_b32 v28, v32, v18
	v_subrev_nc_u32_e32 v26, 32, v26
	v_cmp_eq_u16_e32 vcc_lo, 2, v21
	ds_bpermute_b32 v21, v32, v19
	v_and_or_b32 v29, vcc_lo, v33, 0x80000000
	v_cmp_eq_u32_e32 vcc_lo, 0, v18
	s_delay_alu instid0(VALU_DEP_2) | instskip(NEXT) | instid1(VALU_DEP_1)
	v_ctz_i32_b32_e32 v29, v29
	v_cmp_lt_u32_e64 s13, v77, v29
	s_and_b32 vcc_lo, s13, vcc_lo
	s_wait_dscnt 0x0
	v_dual_cndmask_b32 v28, 0, v28, s13 :: v_dual_cndmask_b32 v21, 0, v21, vcc_lo
	s_mov_b32 s13, 0
	s_delay_alu instid0(VALU_DEP_1)
	v_dual_add_nc_u32 v18, v28, v18 :: v_dual_add_nc_u32 v19, v21, v19
	ds_bpermute_b32 v28, v34, v18
	ds_bpermute_b32 v21, v34, v19
	v_cmp_eq_u32_e32 vcc_lo, 0, v18
	s_wait_dscnt 0x0
	v_cndmask_b32_e32 v21, 0, v21, vcc_lo
	v_cmp_gt_u32_e32 vcc_lo, v35, v29
	v_cndmask_b32_e64 v28, v28, 0, vcc_lo
	s_delay_alu instid0(VALU_DEP_1) | instskip(NEXT) | instid1(VALU_DEP_4)
	v_add_nc_u32_e32 v18, v18, v28
	v_cndmask_b32_e64 v21, v21, 0, vcc_lo
	s_delay_alu instid0(VALU_DEP_2) | instskip(NEXT) | instid1(VALU_DEP_2)
	v_cmp_eq_u32_e32 vcc_lo, 0, v18
	v_add_nc_u32_e32 v19, v21, v19
	ds_bpermute_b32 v28, v36, v18
	ds_bpermute_b32 v21, v36, v19
	s_wait_dscnt 0x0
	v_cndmask_b32_e32 v21, 0, v21, vcc_lo
	v_cmp_gt_u32_e32 vcc_lo, v37, v29
	s_delay_alu instid0(VALU_DEP_2) | instskip(SKIP_1) | instid1(VALU_DEP_1)
	v_cndmask_b32_e64 v21, v21, 0, vcc_lo
	v_cndmask_b32_e64 v28, v28, 0, vcc_lo
	v_dual_add_nc_u32 v19, v19, v21 :: v_dual_add_nc_u32 v18, v18, v28
	ds_bpermute_b32 v21, v38, v19
	ds_bpermute_b32 v28, v38, v18
	v_cmp_eq_u32_e32 vcc_lo, 0, v18
	s_wait_dscnt 0x1
	v_cndmask_b32_e32 v21, 0, v21, vcc_lo
	v_cmp_gt_u32_e32 vcc_lo, v39, v29
	s_wait_dscnt 0x0
	v_cndmask_b32_e64 v28, v28, 0, vcc_lo
	s_delay_alu instid0(VALU_DEP_1) | instskip(SKIP_1) | instid1(VALU_DEP_2)
	v_add_nc_u32_e32 v18, v18, v28
	v_cndmask_b32_e64 v21, v21, 0, vcc_lo
	v_cmp_eq_u32_e32 vcc_lo, 0, v18
	s_delay_alu instid0(VALU_DEP_2)
	v_add_nc_u32_e32 v19, v19, v21
	ds_bpermute_b32 v28, v40, v18
	ds_bpermute_b32 v21, v40, v19
	s_wait_dscnt 0x0
	v_cndmask_b32_e32 v21, 0, v21, vcc_lo
	v_cmp_gt_u32_e32 vcc_lo, v41, v29
	s_delay_alu instid0(VALU_DEP_2) | instskip(NEXT) | instid1(VALU_DEP_1)
	v_cndmask_b32_e64 v21, v21, 0, vcc_lo
	v_add_nc_u32_e32 v19, v21, v19
	v_cndmask_b32_e64 v21, v28, 0, vcc_lo
	v_cmp_eq_u32_e32 vcc_lo, 0, v16
	s_delay_alu instid0(VALU_DEP_2) | instskip(NEXT) | instid1(VALU_DEP_4)
	v_add3_u32 v18, v18, v16, v21
	v_cndmask_b32_e32 v19, 0, v19, vcc_lo
	s_delay_alu instid0(VALU_DEP_1)
	v_add_nc_u32_e32 v19, v19, v17
.LBB649_72:                             ;   in Loop: Header=BB649_73 Depth=1
	s_and_b32 vcc_lo, exec_lo, s13
	s_cbranch_vccnz .LBB649_78
.LBB649_73:                             ; =>This Loop Header: Depth=1
                                        ;     Child Loop BB649_76 Depth 2
	v_and_b32_e32 v16, 0xff, v20
	s_delay_alu instid0(VALU_DEP_2) | instskip(SKIP_1) | instid1(VALU_DEP_2)
	v_mov_b32_e32 v17, v19
	s_mov_b32 s13, -1
                                        ; implicit-def: $vgpr19
                                        ; implicit-def: $vgpr20
	v_cmp_ne_u16_e32 vcc_lo, 2, v16
	v_mov_b32_e32 v16, v18
                                        ; implicit-def: $vgpr18
	s_cmp_lg_u32 vcc_lo, exec_lo
	s_cbranch_scc1 .LBB649_72
; %bb.74:                               ;   in Loop: Header=BB649_73 Depth=1
	v_lshl_add_u64 v[28:29], v[26:27], 4, s[24:25]
	;;#ASMSTART
	global_load_b128 v[18:21], v[28:29] off scope:SCOPE_DEV	
s_wait_loadcnt 0x0
	;;#ASMEND
	v_and_b32_e32 v21, 0xff, v20
	s_mov_b32 s13, exec_lo
	s_delay_alu instid0(VALU_DEP_1)
	v_cmpx_eq_u16_e32 0, v21
	s_cbranch_execz .LBB649_71
; %bb.75:                               ;   in Loop: Header=BB649_73 Depth=1
	s_mov_b32 s14, 0
.LBB649_76:                             ;   Parent Loop BB649_73 Depth=1
                                        ; =>  This Inner Loop Header: Depth=2
	;;#ASMSTART
	global_load_b128 v[18:21], v[28:29] off scope:SCOPE_DEV	
s_wait_loadcnt 0x0
	;;#ASMEND
	v_and_b32_e32 v21, 0xff, v20
	s_delay_alu instid0(VALU_DEP_1) | instskip(SKIP_1) | instid1(SALU_CYCLE_1)
	v_cmp_ne_u16_e32 vcc_lo, 0, v21
	s_or_b32 s14, vcc_lo, s14
	s_and_not1_b32 exec_lo, exec_lo, s14
	s_cbranch_execnz .LBB649_76
	s_branch .LBB649_70
.LBB649_77:
                                        ; implicit-def: $vgpr14
                                        ; implicit-def: $vgpr18
                                        ; implicit-def: $vgpr20_vgpr21
                                        ; implicit-def: $vgpr28_vgpr29
                                        ; implicit-def: $vgpr36_vgpr37
                                        ; implicit-def: $vgpr30_vgpr31
                                        ; implicit-def: $vgpr44_vgpr45
                                        ; implicit-def: $vgpr48_vgpr49
                                        ; implicit-def: $vgpr46_vgpr47
                                        ; implicit-def: $vgpr42_vgpr43
                                        ; implicit-def: $vgpr38_vgpr39
                                        ; implicit-def: $vgpr32_vgpr33
                                        ; implicit-def: $vgpr34_vgpr35
                                        ; implicit-def: $vgpr40_vgpr41
                                        ; implicit-def: $vgpr24_vgpr25
                                        ; implicit-def: $vgpr26_vgpr27
	s_cbranch_execnz .LBB649_83
	s_branch .LBB649_94
.LBB649_78:
	s_and_saveexec_b32 s13, s12
	s_cbranch_execz .LBB649_80
; %bb.79:
	v_cmp_eq_u32_e32 vcc_lo, 0, v14
	s_mov_b32 s31, 0
	s_add_co_i32 s30, s34, 32
	v_mov_b32_e32 v21, 0
	s_lshl_b64 s[30:31], s[30:31], 4
	v_dual_cndmask_b32 v19, 0, v17 :: v_dual_add_nc_u32 v18, v16, v14
	s_add_nc_u64 s[30:31], s[24:25], s[30:31]
	v_mov_b32_e32 v20, 2
	v_mov_b64_e32 v[26:27], s[30:31]
	s_delay_alu instid0(VALU_DEP_3)
	v_add_nc_u32_e32 v19, v19, v15
	;;#ASMSTART
	global_store_b128 v[26:27], v[18:21] off scope:SCOPE_DEV	
s_wait_storecnt 0x0
	;;#ASMEND
	ds_store_b128 v21, v[14:17] offset:2048
.LBB649_80:
	s_or_b32 exec_lo, exec_lo, s13
	v_cmp_eq_u32_e32 vcc_lo, 0, v0
	s_and_b32 exec_lo, exec_lo, vcc_lo
; %bb.81:
	v_mov_b32_e32 v14, 0
	ds_store_b64 v14, v[16:17] offset:2120
.LBB649_82:
	s_or_b32 exec_lo, exec_lo, s26
	s_wait_dscnt 0x1
	v_dual_mov_b32 v16, 0 :: v_dual_cndmask_b32 v17, v30, v24, s12
	s_wait_dscnt 0x0
	s_barrier_signal -1
	s_barrier_wait -1
	ds_load_b64 v[14:15], v16 offset:2120
	v_cmp_eq_u32_e32 vcc_lo, 0, v17
	v_cndmask_b32_e64 v18, v31, v25, s12
	v_cmp_eq_u32_e64 s12, 0, v67
	s_wait_dscnt 0x0
	s_barrier_signal -1
	s_barrier_wait -1
	v_cndmask_b32_e32 v19, 0, v15, vcc_lo
	v_cmp_eq_u32_e32 vcc_lo, 0, v0
	s_delay_alu instid0(VALU_DEP_2) | instskip(SKIP_1) | instid1(VALU_DEP_2)
	v_add_nc_u32_e32 v18, v19, v18
	v_cndmask_b32_e64 v17, v17, 0, vcc_lo
	v_cndmask_b32_e32 v45, v18, v15, vcc_lo
	s_delay_alu instid0(VALU_DEP_2) | instskip(NEXT) | instid1(VALU_DEP_1)
	v_add_nc_u32_e32 v44, v14, v17
	v_dual_cndmask_b32 v15, 0, v45, s12 :: v_dual_add_nc_u32 v48, v44, v67
	s_delay_alu instid0(VALU_DEP_1) | instskip(NEXT) | instid1(VALU_DEP_1)
	v_dual_add_nc_u32 v49, v15, v52 :: v_dual_add_nc_u32 v46, v48, v66
	v_cndmask_b32_e64 v15, 0, v49, s11
	s_delay_alu instid0(VALU_DEP_1) | instskip(NEXT) | instid1(VALU_DEP_1)
	v_add_nc_u32_e32 v47, v15, v68
	v_cndmask_b32_e64 v15, 0, v47, s10
	s_delay_alu instid0(VALU_DEP_1) | instskip(NEXT) | instid1(VALU_DEP_1)
	v_add_nc_u32_e32 v43, v15, v72
	;; [unrolled: 3-line block ×7, first 2 shown]
	v_dual_add_nc_u32 v42, v46, v64 :: v_dual_cndmask_b32 v14, 0, v25, s4
	s_delay_alu instid0(VALU_DEP_1) | instskip(NEXT) | instid1(VALU_DEP_2)
	v_add_nc_u32_e32 v38, v42, v63
	v_add_nc_u32_e32 v27, v14, v69
	s_delay_alu instid0(VALU_DEP_1) | instskip(NEXT) | instid1(VALU_DEP_1)
	v_dual_add_nc_u32 v32, v38, v61 :: v_dual_cndmask_b32 v14, 0, v27, s3
	v_add_nc_u32_e32 v34, v32, v65
	s_delay_alu instid0(VALU_DEP_1) | instskip(NEXT) | instid1(VALU_DEP_1)
	v_add_nc_u32_e32 v40, v34, v60
	v_add_nc_u32_e32 v24, v40, v59
	s_delay_alu instid0(VALU_DEP_1) | instskip(NEXT) | instid1(VALU_DEP_1)
	v_add_nc_u32_e32 v26, v24, v58
	v_add_nc_u32_e32 v30, v26, v55
	s_delay_alu instid0(VALU_DEP_1) | instskip(SKIP_3) | instid1(VALU_DEP_1)
	v_add_nc_u32_e32 v36, v30, v54
	v_add_nc_u32_e32 v31, v14, v53
	ds_load_b128 v[14:17], v16 offset:2048
	v_dual_add_nc_u32 v28, v36, v56 :: v_dual_cndmask_b32 v18, 0, v31, s2
	v_dual_add_nc_u32 v20, v28, v62 :: v_dual_add_nc_u32 v37, v18, v51
	s_delay_alu instid0(VALU_DEP_1) | instskip(NEXT) | instid1(VALU_DEP_1)
	v_cndmask_b32_e64 v18, 0, v37, s1
	v_add_nc_u32_e32 v29, v18, v50
	s_wait_dscnt 0x0
	v_cmp_eq_u32_e32 vcc_lo, 0, v14
	s_delay_alu instid0(VALU_DEP_2) | instskip(SKIP_1) | instid1(VALU_DEP_1)
	v_cndmask_b32_e64 v18, 0, v29, s0
	v_cndmask_b32_e32 v17, 0, v17, vcc_lo
	v_dual_add_nc_u32 v21, v18, v1 :: v_dual_add_nc_u32 v18, v17, v15
	s_branch .LBB649_94
.LBB649_83:
	s_wait_kmcnt 0x0
	s_cmp_eq_u64 s[28:29], 0
	v_mov_b32_e32 v18, v52
	s_cselect_b32 s0, -1, 0
	s_delay_alu instid0(SALU_CYCLE_1) | instskip(NEXT) | instid1(SALU_CYCLE_1)
	s_or_b32 s0, s15, s0
	s_and_b32 vcc_lo, exec_lo, s0
	s_cbranch_vccnz .LBB649_85
; %bb.84:
	v_mov_b32_e32 v14, 0
	global_load_b32 v18, v14, s[28:29]
.LBB649_85:
	v_add3_u32 v15, v80, v61, v65
	v_cmp_eq_u32_e64 s5, 0, v66
	v_cmp_eq_u32_e64 s6, 0, v64
	;; [unrolled: 1-line block ×4, first 2 shown]
	v_add3_u32 v15, v15, v60, v59
	s_wait_xcnt 0x0
	v_dual_cndmask_b32 v14, 0, v52, s5 :: v_dual_bitop2_b32 v17, 15, v77 bitop3:0x40
	v_cmp_eq_u32_e64 s10, 0, v65
	v_cmp_eq_u32_e64 s9, 0, v60
	v_add3_u32 v15, v15, v58, v55
	v_cmp_eq_u32_e64 s4, 0, v59
	v_cmp_eq_u32_e64 s3, 0, v58
	;; [unrolled: 1-line block ×4, first 2 shown]
	v_add3_u32 v15, v15, v54, v56
	v_cmp_eq_u32_e32 vcc_lo, 0, v56
	v_cmp_eq_u32_e64 s0, 0, v62
	v_cmp_eq_u32_e64 s11, 0, v57
	s_delay_alu instid0(VALU_DEP_4) | instskip(SKIP_1) | instid1(VALU_DEP_2)
	v_add3_u32 v15, v15, v62, v57
	v_add_nc_u32_e32 v14, v14, v68
	v_mov_b32_dpp v19, v15 row_shr:1 row_mask:0xf bank_mask:0xf
	s_delay_alu instid0(VALU_DEP_2) | instskip(NEXT) | instid1(VALU_DEP_1)
	v_cndmask_b32_e64 v14, 0, v14, s6
	v_add_nc_u32_e32 v14, v14, v72
	s_delay_alu instid0(VALU_DEP_1) | instskip(NEXT) | instid1(VALU_DEP_1)
	v_cndmask_b32_e64 v14, 0, v14, s7
	v_add_nc_u32_e32 v14, v14, v74
	s_delay_alu instid0(VALU_DEP_1) | instskip(NEXT) | instid1(VALU_DEP_1)
	;; [unrolled: 3-line block ×9, first 2 shown]
	v_cndmask_b32_e32 v14, 0, v14, vcc_lo
	v_add_nc_u32_e32 v14, v14, v50
	s_delay_alu instid0(VALU_DEP_1) | instskip(NEXT) | instid1(VALU_DEP_1)
	v_cndmask_b32_e64 v14, 0, v14, s0
	v_add_nc_u32_e32 v14, v14, v1
	s_delay_alu instid0(VALU_DEP_1) | instskip(SKIP_1) | instid1(VALU_DEP_2)
	v_cndmask_b32_e64 v14, 0, v14, s11
	v_cmp_eq_u32_e64 s11, 0, v15
	v_add_nc_u32_e32 v14, v14, v76
	s_delay_alu instid0(VALU_DEP_1) | instskip(NEXT) | instid1(VALU_DEP_1)
	v_mov_b32_dpp v16, v14 row_shr:1 row_mask:0xf bank_mask:0xf
	v_cndmask_b32_e64 v16, 0, v16, s11
	v_cmp_eq_u32_e64 s11, 0, v17
	s_delay_alu instid0(VALU_DEP_1) | instskip(NEXT) | instid1(VALU_DEP_3)
	v_cndmask_b32_e64 v19, v19, 0, s11
	v_cndmask_b32_e64 v16, v16, 0, s11
	v_cmp_lt_u32_e64 s11, 1, v17
	s_delay_alu instid0(VALU_DEP_2) | instskip(NEXT) | instid1(VALU_DEP_1)
	v_dual_add_nc_u32 v15, v19, v15 :: v_dual_add_nc_u32 v14, v16, v14
	v_mov_b32_dpp v16, v15 row_shr:2 row_mask:0xf bank_mask:0xf
	v_cmp_eq_u32_e64 s12, 0, v15
	s_delay_alu instid0(VALU_DEP_3) | instskip(NEXT) | instid1(VALU_DEP_3)
	v_mov_b32_dpp v19, v14 row_shr:2 row_mask:0xf bank_mask:0xf
	v_cndmask_b32_e64 v16, 0, v16, s11
	s_and_b32 s11, s11, s12
	s_delay_alu instid0(VALU_DEP_2) | instid1(SALU_CYCLE_1)
	v_cndmask_b32_e64 v19, 0, v19, s11
	v_cmp_lt_u32_e64 s11, 3, v17
	s_delay_alu instid0(VALU_DEP_3) | instskip(NEXT) | instid1(VALU_DEP_3)
	v_add_nc_u32_e32 v15, v15, v16
	v_add_nc_u32_e32 v14, v19, v14
	s_delay_alu instid0(VALU_DEP_2) | instskip(SKIP_1) | instid1(VALU_DEP_3)
	v_mov_b32_dpp v16, v15 row_shr:4 row_mask:0xf bank_mask:0xf
	v_cmp_eq_u32_e64 s12, 0, v15
	v_mov_b32_dpp v19, v14 row_shr:4 row_mask:0xf bank_mask:0xf
	s_delay_alu instid0(VALU_DEP_3)
	v_cndmask_b32_e64 v16, 0, v16, s11
	s_and_b32 s11, s11, s12
	s_delay_alu instid0(VALU_DEP_2) | instid1(SALU_CYCLE_1)
	v_cndmask_b32_e64 v19, 0, v19, s11
	v_cmp_lt_u32_e64 s11, 7, v17
	s_delay_alu instid0(VALU_DEP_3) | instskip(NEXT) | instid1(VALU_DEP_3)
	v_add_nc_u32_e32 v15, v16, v15
	v_add_nc_u32_e32 v14, v14, v19
	v_bfe_i32 v19, v77, 4, 1
	s_delay_alu instid0(VALU_DEP_3) | instskip(SKIP_1) | instid1(VALU_DEP_4)
	v_mov_b32_dpp v16, v15 row_shr:8 row_mask:0xf bank_mask:0xf
	v_cmp_eq_u32_e64 s12, 0, v15
	v_mov_b32_dpp v17, v14 row_shr:8 row_mask:0xf bank_mask:0xf
	s_delay_alu instid0(VALU_DEP_3) | instskip(SKIP_2) | instid1(VALU_DEP_2)
	v_cndmask_b32_e64 v16, 0, v16, s11
	s_and_b32 s11, s11, s12
	s_mov_b32 s12, exec_lo
	v_cndmask_b32_e64 v17, 0, v17, s11
	s_delay_alu instid0(VALU_DEP_1) | instskip(SKIP_4) | instid1(VALU_DEP_1)
	v_dual_add_nc_u32 v17, v17, v14 :: v_dual_add_nc_u32 v14, v16, v15
	ds_swizzle_b32 v15, v17 offset:swizzle(BROADCAST,32,15)
	ds_swizzle_b32 v16, v14 offset:swizzle(BROADCAST,32,15)
	v_cmp_eq_u32_e64 s11, 0, v14
	s_wait_dscnt 0x0
	v_dual_cndmask_b32 v15, 0, v15, s11 :: v_dual_bitop2_b32 v16, v19, v16 bitop3:0x40
	s_delay_alu instid0(VALU_DEP_1) | instskip(NEXT) | instid1(VALU_DEP_1)
	v_dual_add_nc_u32 v14, v16, v14 :: v_dual_bitop2_b32 v15, v19, v15 bitop3:0x40
	v_dual_add_nc_u32 v15, v15, v17 :: v_dual_lshlrev_b32 v17, 3, v78
	v_cmpx_eq_u32_e64 v0, v79
; %bb.86:
	ds_store_b64 v17, v[14:15] offset:2064
; %bb.87:
	s_or_b32 exec_lo, exec_lo, s12
	s_delay_alu instid0(SALU_CYCLE_1)
	s_mov_b32 s13, exec_lo
	s_wait_loadcnt_dscnt 0x0
	s_barrier_signal -1
	s_barrier_wait -1
	v_cmpx_gt_u32_e32 8, v0
	s_cbranch_execz .LBB649_89
; %bb.88:
	v_dual_lshlrev_b32 v16, 3, v0 :: v_dual_bitop2_b32 v24, 7, v77 bitop3:0x40
	ds_load_b64 v[20:21], v16 offset:2064
	s_wait_dscnt 0x0
	v_mov_b32_dpp v19, v21 row_shr:1 row_mask:0xf bank_mask:0xf
	v_cmp_eq_u32_e64 s11, 0, v20
	v_mov_b32_dpp v25, v20 row_shr:1 row_mask:0xf bank_mask:0xf
	s_delay_alu instid0(VALU_DEP_2) | instskip(SKIP_1) | instid1(VALU_DEP_1)
	v_cndmask_b32_e64 v19, 0, v19, s11
	v_cmp_eq_u32_e64 s11, 0, v24
	v_cndmask_b32_e64 v25, v25, 0, s11
	s_delay_alu instid0(VALU_DEP_1) | instskip(NEXT) | instid1(VALU_DEP_4)
	v_add_nc_u32_e32 v20, v25, v20
	v_cndmask_b32_e64 v19, v19, 0, s11
	v_cmp_lt_u32_e64 s11, 1, v24
	s_delay_alu instid0(VALU_DEP_3) | instskip(NEXT) | instid1(VALU_DEP_3)
	v_cmp_eq_u32_e64 s12, 0, v20
	v_add_nc_u32_e32 v19, v19, v21
	v_mov_b32_dpp v21, v20 row_shr:2 row_mask:0xf bank_mask:0xf
	s_delay_alu instid0(VALU_DEP_1) | instskip(NEXT) | instid1(VALU_DEP_3)
	v_cndmask_b32_e64 v21, 0, v21, s11
	v_mov_b32_dpp v25, v19 row_shr:2 row_mask:0xf bank_mask:0xf
	s_and_b32 s11, s11, s12
	s_delay_alu instid0(VALU_DEP_1) | instid1(SALU_CYCLE_1)
	v_dual_add_nc_u32 v20, v21, v20 :: v_dual_cndmask_b32 v25, 0, v25, s11
	v_cmp_lt_u32_e64 s11, 3, v24
	s_delay_alu instid0(VALU_DEP_2) | instskip(NEXT) | instid1(VALU_DEP_3)
	v_mov_b32_dpp v21, v20 row_shr:4 row_mask:0xf bank_mask:0xf
	v_add_nc_u32_e32 v19, v25, v19
	v_cmp_eq_u32_e64 s12, 0, v20
	s_delay_alu instid0(VALU_DEP_3) | instskip(NEXT) | instid1(VALU_DEP_3)
	v_cndmask_b32_e64 v21, 0, v21, s11
	v_mov_b32_dpp v24, v19 row_shr:4 row_mask:0xf bank_mask:0xf
	s_and_b32 s11, s11, s12
	s_delay_alu instid0(VALU_DEP_1) | instid1(SALU_CYCLE_1)
	v_cndmask_b32_e64 v24, 0, v24, s11
	s_delay_alu instid0(VALU_DEP_1)
	v_dual_add_nc_u32 v20, v21, v20 :: v_dual_add_nc_u32 v21, v24, v19
	ds_store_b64 v16, v[20:21] offset:2064
.LBB649_89:
	s_or_b32 exec_lo, exec_lo, s13
	v_dual_mov_b32 v19, 0 :: v_dual_mov_b32 v16, 0
	v_mov_b32_e32 v20, v18
	s_mov_b32 s12, exec_lo
	s_wait_dscnt 0x0
	s_barrier_signal -1
	s_barrier_wait -1
	v_cmpx_lt_u32_e32 31, v0
	s_cbranch_execz .LBB649_91
; %bb.90:
	ds_load_b64 v[16:17], v17 offset:2056
	s_wait_dscnt 0x0
	v_cmp_eq_u32_e64 s11, 0, v16
	s_delay_alu instid0(VALU_DEP_1) | instskip(NEXT) | instid1(VALU_DEP_1)
	v_cndmask_b32_e64 v20, 0, v18, s11
	v_add_nc_u32_e32 v20, v20, v17
.LBB649_91:
	s_or_b32 exec_lo, exec_lo, s12
	v_sub_co_u32 v17, s11, v77, 1
	s_delay_alu instid0(VALU_DEP_1) | instskip(NEXT) | instid1(VALU_DEP_1)
	v_cmp_gt_i32_e64 s12, 0, v17
	v_cndmask_b32_e64 v17, v17, v77, s12
	v_cmp_eq_u32_e64 s12, 0, v14
	s_delay_alu instid0(VALU_DEP_1) | instskip(NEXT) | instid1(VALU_DEP_3)
	v_dual_cndmask_b32 v21, 0, v20, s12 :: v_dual_add_nc_u32 v14, v16, v14
	v_lshlrev_b32_e32 v17, 2, v17
	v_cmp_eq_u32_e64 s12, 0, v67
	ds_bpermute_b32 v14, v17, v14
	s_wait_dscnt 0x0
	v_dual_add_nc_u32 v15, v21, v15 :: v_dual_cndmask_b32 v14, v14, v16, s11
	ds_bpermute_b32 v15, v17, v15
	s_wait_dscnt 0x0
	v_cndmask_b32_e64 v15, v15, v20, s11
	v_cmp_eq_u32_e64 s11, 0, v0
	s_delay_alu instid0(VALU_DEP_1) | instskip(SKIP_1) | instid1(VALU_DEP_1)
	v_cndmask_b32_e64 v45, v15, v18, s11
	v_cndmask_b32_e64 v44, v14, 0, s11
	v_dual_cndmask_b32 v15, 0, v45, s12 :: v_dual_add_nc_u32 v48, v44, v67
	s_delay_alu instid0(VALU_DEP_1) | instskip(NEXT) | instid1(VALU_DEP_1)
	v_dual_add_nc_u32 v49, v15, v52 :: v_dual_add_nc_u32 v46, v48, v66
	v_dual_cndmask_b32 v15, 0, v49, s5 :: v_dual_add_nc_u32 v42, v46, v64
	s_delay_alu instid0(VALU_DEP_1) | instskip(NEXT) | instid1(VALU_DEP_1)
	v_add_nc_u32_e32 v47, v15, v68
	v_cndmask_b32_e64 v15, 0, v47, s6
	s_delay_alu instid0(VALU_DEP_1) | instskip(NEXT) | instid1(VALU_DEP_1)
	v_add_nc_u32_e32 v43, v15, v72
	v_cndmask_b32_e64 v15, 0, v43, s7
	;; [unrolled: 3-line block ×6, first 2 shown]
	s_delay_alu instid0(VALU_DEP_1) | instskip(NEXT) | instid1(VALU_DEP_1)
	v_add_nc_u32_e32 v25, v14, v73
	v_dual_add_nc_u32 v38, v42, v63 :: v_dual_cndmask_b32 v14, 0, v25, s3
	s_delay_alu instid0(VALU_DEP_1) | instskip(NEXT) | instid1(VALU_DEP_2)
	v_add_nc_u32_e32 v32, v38, v61
	v_add_nc_u32_e32 v27, v14, v69
	s_delay_alu instid0(VALU_DEP_1) | instskip(NEXT) | instid1(VALU_DEP_1)
	v_dual_add_nc_u32 v34, v32, v65 :: v_dual_cndmask_b32 v14, 0, v27, s2
	v_add_nc_u32_e32 v40, v34, v60
	s_delay_alu instid0(VALU_DEP_2) | instskip(SKIP_2) | instid1(VALU_DEP_1)
	v_add_nc_u32_e32 v31, v14, v53
	ds_load_b64 v[14:15], v19 offset:2120
	v_add_nc_u32_e32 v24, v40, v59
	v_dual_cndmask_b32 v16, 0, v31, s1 :: v_dual_add_nc_u32 v26, v24, v58
	s_delay_alu instid0(VALU_DEP_1) | instskip(NEXT) | instid1(VALU_DEP_1)
	v_add_nc_u32_e32 v37, v16, v51
	v_dual_add_nc_u32 v30, v26, v55 :: v_dual_cndmask_b32 v16, 0, v37, vcc_lo
	s_delay_alu instid0(VALU_DEP_1) | instskip(NEXT) | instid1(VALU_DEP_2)
	v_add_nc_u32_e32 v36, v30, v54
	v_add_nc_u32_e32 v29, v16, v50
	s_wait_dscnt 0x0
	v_cmp_eq_u32_e32 vcc_lo, 0, v14
	s_delay_alu instid0(VALU_DEP_2) | instskip(SKIP_1) | instid1(VALU_DEP_2)
	v_dual_add_nc_u32 v28, v36, v56 :: v_dual_cndmask_b32 v16, 0, v29, s0
	v_cndmask_b32_e32 v17, 0, v18, vcc_lo
	v_add_nc_u32_e32 v20, v28, v62
	s_delay_alu instid0(VALU_DEP_2)
	v_dual_add_nc_u32 v21, v16, v1 :: v_dual_add_nc_u32 v18, v17, v15
	s_and_saveexec_b32 s0, s11
	s_cbranch_execz .LBB649_93
; %bb.92:
	s_add_nc_u64 s[2:3], s[24:25], 0x200
	v_dual_mov_b32 v16, 2 :: v_dual_mov_b32 v17, 0
	v_mov_b32_e32 v15, v18
	v_mov_b64_e32 v[50:51], s[2:3]
	;;#ASMSTART
	global_store_b128 v[50:51], v[14:17] off scope:SCOPE_DEV	
s_wait_storecnt 0x0
	;;#ASMEND
.LBB649_93:
	s_or_b32 exec_lo, exec_lo, s0
	v_mov_b32_e32 v16, 0
.LBB649_94:
	s_cmp_eq_u64 s[22:23], 0
	v_mov_b64_e32 v[50:51], 0
	s_cselect_b32 s0, -1, 0
	s_delay_alu instid0(SALU_CYCLE_1)
	s_or_b32 s0, s15, s0
	s_barrier_signal -1
	s_and_b32 vcc_lo, exec_lo, s0
	s_barrier_wait -1
	s_cbranch_vccnz .LBB649_96
; %bb.95:
	v_mov_b32_e32 v1, 0
	global_load_b64 v[50:51], v1, s[22:23]
.LBB649_96:
	v_cmp_eq_u32_e32 vcc_lo, 0, v67
	s_wait_loadcnt 0x0
	v_lshlrev_b64_e32 v[52:53], 2, v[50:51]
	v_cmp_ne_u32_e64 s13, 0, v67
	v_cmp_ne_u32_e64 s12, 0, v66
	;; [unrolled: 1-line block ×3, first 2 shown]
	v_cndmask_b32_e64 v1, 1, 2, vcc_lo
	v_cmp_eq_u32_e32 vcc_lo, 0, v66
	v_cmp_ne_u32_e64 s10, 0, v63
	s_wait_kmcnt 0x0
	v_add_nc_u64_e32 v[52:53], s[16:17], v[52:53]
	v_cmp_ne_u32_e64 s9, 0, v61
	v_cmp_ne_u32_e64 s8, 0, v65
	v_cndmask_b32_e64 v15, 1, 2, vcc_lo
	v_cmp_eq_u32_e32 vcc_lo, 0, v64
	v_cmp_ne_u32_e64 s7, 0, v60
	v_cmp_ne_u32_e64 s6, 0, v59
	;; [unrolled: 1-line block ×3, first 2 shown]
	v_and_b32_e32 v1, v15, v1
	v_cndmask_b32_e64 v17, 1, 2, vcc_lo
	v_cmp_eq_u32_e32 vcc_lo, 0, v63
	v_cmp_ne_u32_e64 s4, 0, v55
	v_cmp_ne_u32_e64 s3, 0, v54
	v_cmp_ne_u32_e64 s2, 0, v56
	v_cmp_ne_u32_e64 s1, 0, v62
	v_cndmask_b32_e64 v19, 1, 2, vcc_lo
	v_cmp_eq_u32_e32 vcc_lo, 0, v61
	v_cmp_ne_u32_e64 s0, 0, v57
	s_mov_b32 s15, -1
	v_bitop3_b16 v1, v1, v19, v17 bitop3:0x80
	v_cndmask_b32_e64 v15, 1, 2, vcc_lo
	v_cmp_eq_u32_e32 vcc_lo, 0, v65
	v_mov_b32_e32 v17, 0
	v_cndmask_b32_e64 v19, 1, 2, vcc_lo
	v_cmp_eq_u32_e32 vcc_lo, 0, v60
	s_delay_alu instid0(VALU_DEP_3) | instskip(NEXT) | instid1(VALU_DEP_3)
	v_lshlrev_b64_e32 v[68:69], 2, v[16:17]
	v_bitop3_b16 v1, v1, v19, v15 bitop3:0x80
	v_cndmask_b32_e64 v15, 1, 2, vcc_lo
	v_cmp_eq_u32_e32 vcc_lo, 0, v59
	s_delay_alu instid0(VALU_DEP_4) | instskip(SKIP_2) | instid1(VALU_DEP_2)
	v_add_nc_u64_e32 v[52:53], v[52:53], v[68:69]
	v_cndmask_b32_e64 v19, 1, 2, vcc_lo
	v_cmp_eq_u32_e32 vcc_lo, 0, v58
	v_bitop3_b16 v1, v1, v19, v15 bitop3:0x80
	v_cndmask_b32_e64 v15, 1, 2, vcc_lo
	v_cmp_eq_u32_e32 vcc_lo, 0, v55
	v_cndmask_b32_e64 v19, 1, 2, vcc_lo
	v_cmp_eq_u32_e32 vcc_lo, 0, v54
	s_delay_alu instid0(VALU_DEP_2) | instskip(SKIP_4) | instid1(VALU_DEP_2)
	v_bitop3_b16 v1, v1, v19, v15 bitop3:0x80
	v_cndmask_b32_e64 v15, 1, 2, vcc_lo
	v_cmp_eq_u32_e32 vcc_lo, 0, v56
	v_cndmask_b32_e64 v19, 1, 2, vcc_lo
	v_cmp_eq_u32_e32 vcc_lo, 0, v62
	v_bitop3_b16 v1, v1, v19, v15 bitop3:0x80
	v_cndmask_b32_e64 v15, 1, 2, vcc_lo
	v_cmp_eq_u32_e32 vcc_lo, 0, v57
	v_cndmask_b32_e64 v19, 1, 2, vcc_lo
	v_cmp_gt_u32_e32 vcc_lo, 0x100, v14
	s_delay_alu instid0(VALU_DEP_2) | instskip(NEXT) | instid1(VALU_DEP_1)
	v_bitop3_b16 v1, v1, v19, v15 bitop3:0x80
	v_cmp_gt_i16_e64 s14, 2, v1
	s_cbranch_vccz .LBB649_103
; %bb.97:
	s_and_saveexec_b32 s15, s14
	s_cbranch_execz .LBB649_102
; %bb.98:
	s_mov_b32 s16, 0
	s_mov_b32 s14, exec_lo
	v_cmpx_ne_u16_e32 1, v1
	s_xor_b32 s14, exec_lo, s14
	s_cbranch_execnz .LBB649_146
; %bb.99:
	s_and_not1_saveexec_b32 s14, s14
	s_cbranch_execnz .LBB649_161
.LBB649_100:
	s_or_b32 exec_lo, exec_lo, s14
	s_delay_alu instid0(SALU_CYCLE_1)
	s_and_b32 exec_lo, exec_lo, s16
	s_cbranch_execz .LBB649_102
.LBB649_101:
	v_sub_nc_u32_e32 v15, v20, v16
	v_readfirstlane_b32 s16, v52
	v_readfirstlane_b32 s17, v53
	global_store_b32 v15, v23, s[16:17] scale_offset
.LBB649_102:
	s_wait_xcnt 0x0
	s_or_b32 exec_lo, exec_lo, s15
	s_mov_b32 s15, 0
.LBB649_103:
	s_delay_alu instid0(SALU_CYCLE_1)
	s_and_b32 vcc_lo, exec_lo, s15
	s_cbranch_vccz .LBB649_125
; %bb.104:
	s_mov_b32 s14, exec_lo
	v_cmpx_gt_i16_e32 2, v1
	s_cbranch_execz .LBB649_109
; %bb.105:
	s_mov_b32 s16, 0
	s_mov_b32 s15, exec_lo
	v_cmpx_ne_u16_e32 1, v1
	s_xor_b32 s15, exec_lo, s15
	s_cbranch_execnz .LBB649_162
; %bb.106:
	s_and_not1_saveexec_b32 s0, s15
	s_cbranch_execnz .LBB649_177
.LBB649_107:
	s_or_b32 exec_lo, exec_lo, s0
	s_delay_alu instid0(SALU_CYCLE_1)
	s_and_b32 exec_lo, exec_lo, s16
.LBB649_108:
	v_sub_nc_u32_e32 v1, v20, v16
	s_delay_alu instid0(VALU_DEP_1)
	v_lshlrev_b32_e32 v1, 2, v1
	ds_store_b32 v1, v23
.LBB649_109:
	s_or_b32 exec_lo, exec_lo, s14
	s_delay_alu instid0(SALU_CYCLE_1)
	s_mov_b32 s0, exec_lo
	s_wait_storecnt_dscnt 0x0
	s_barrier_signal -1
	s_barrier_wait -1
	v_cmpx_lt_u32_e64 v0, v14
	s_cbranch_execz .LBB649_124
; %bb.110:
	v_xad_u32 v2, v0, -1, v14
	v_mov_b32_e32 v1, v0
	s_mov_b32 s4, -1
	s_mov_b32 s2, exec_lo
	s_delay_alu instid0(VALU_DEP_2)
	v_cmp_gt_u32_e64 s1, 0x1900, v2
	v_cmpx_lt_u32_e32 0x18ff, v2
	s_cbranch_execz .LBB649_121
; %bb.111:
	v_sub_nc_u32_e32 v1, v0, v14
	s_delay_alu instid0(VALU_DEP_1) | instskip(NEXT) | instid1(VALU_DEP_1)
	v_or_b32_e32 v1, 0xff, v1
	v_cmp_ge_u32_e32 vcc_lo, v1, v0
	v_mov_b32_e32 v1, v0
	s_and_saveexec_b32 s3, vcc_lo
	s_cbranch_execz .LBB649_120
; %bb.112:
	v_lshrrev_b32_e32 v6, 8, v2
	v_or_b32_e32 v1, 0x100, v0
	s_delay_alu instid0(VALU_DEP_2) | instskip(NEXT) | instid1(VALU_DEP_1)
	v_dual_mov_b32 v10, 0 :: v_dual_add_nc_u32 v2, -1, v6
	v_lshrrev_b32_e32 v3, 1, v2
	v_cmp_lt_u32_e32 vcc_lo, 13, v2
	s_delay_alu instid0(VALU_DEP_2)
	v_add_nc_u32_e32 v7, 1, v3
	v_mov_b64_e32 v[2:3], v[0:1]
	s_and_saveexec_b32 s4, vcc_lo
	s_cbranch_execz .LBB649_116
; %bb.113:
	v_mov_b64_e32 v[2:3], v[0:1]
	v_dual_lshlrev_b32 v9, 2, v0 :: v_dual_bitop2_b32 v8, -8, v7 bitop3:0x40
	v_mov_b32_e32 v5, 0
	s_mov_b32 s5, 0
	s_mov_b32 s6, 0
.LBB649_114:                            ; =>This Inner Loop Header: Depth=1
	s_delay_alu instid0(VALU_DEP_1)
	v_dual_mov_b32 v4, v2 :: v_dual_mov_b32 v23, v5
	ds_load_2addr_stride64_b32 v[12:13], v9 offset1:4
	v_add_nc_u32_e32 v8, -8, v8
	ds_load_2addr_stride64_b32 v[68:69], v9 offset0:8 offset1:12
	v_lshl_add_u64 v[94:95], v[4:5], 2, v[52:53]
	v_mov_b32_e32 v4, v3
	ds_load_2addr_stride64_b32 v[72:73], v9 offset0:16 offset1:20
	ds_load_2addr_stride64_b32 v[76:77], v9 offset0:24 offset1:28
	v_dual_mov_b32 v71, v5 :: v_dual_add_nc_u32 v22, 0x200, v3
	v_lshl_add_u64 v[96:97], v[4:5], 2, v[52:53]
	v_add_nc_u32_e32 v4, 0x200, v2
	ds_load_2addr_stride64_b32 v[80:81], v9 offset0:32 offset1:36
	v_lshl_add_u64 v[22:23], v[22:23], 2, v[52:53]
	ds_load_2addr_stride64_b32 v[84:85], v9 offset0:40 offset1:44
	ds_load_2addr_stride64_b32 v[88:89], v9 offset0:48 offset1:52
	v_lshl_add_u64 v[98:99], v[4:5], 2, v[52:53]
	v_add_nc_u32_e32 v4, 0x400, v2
	ds_load_2addr_stride64_b32 v[92:93], v9 offset0:56 offset1:60
	s_wait_dscnt 0x7
	s_clause 0x1
	global_store_b32 v[94:95], v12, off
	global_store_b32 v[96:97], v13, off
	s_wait_dscnt 0x6
	s_clause 0x1
	global_store_b32 v[98:99], v68, off
	global_store_b32 v[22:23], v69, off
	v_lshl_add_u64 v[100:101], v[4:5], 2, v[52:53]
	v_add_nc_u32_e32 v4, 0x600, v2
	v_dual_mov_b32 v75, v5 :: v_dual_add_nc_u32 v70, 0x400, v3
	v_dual_mov_b32 v79, v5 :: v_dual_add_nc_u32 v74, 0x600, v3
	s_wait_xcnt 0x2
	s_delay_alu instid0(VALU_DEP_3)
	v_lshl_add_u64 v[12:13], v[4:5], 2, v[52:53]
	v_add_nc_u32_e32 v4, 0x800, v2
	v_lshl_add_u64 v[70:71], v[70:71], 2, v[52:53]
	v_dual_mov_b32 v83, v5 :: v_dual_add_nc_u32 v78, 0x800, v3
	v_lshl_add_u64 v[74:75], v[74:75], 2, v[52:53]
	s_wait_xcnt 0x0
	v_lshl_add_u64 v[22:23], v[4:5], 2, v[52:53]
	v_add_nc_u32_e32 v4, 0xa00, v2
	s_wait_dscnt 0x5
	s_clause 0x1
	global_store_b32 v[100:101], v72, off
	global_store_b32 v[70:71], v73, off
	s_wait_dscnt 0x4
	global_store_b32 v[12:13], v76, off
	v_dual_mov_b32 v87, v5 :: v_dual_add_nc_u32 v82, 0xa00, v3
	s_wait_xcnt 0x0
	v_lshl_add_u64 v[12:13], v[4:5], 2, v[52:53]
	v_add_nc_u32_e32 v4, 0xc00, v2
	v_dual_mov_b32 v91, v5 :: v_dual_add_nc_u32 v86, 0xc00, v3
	v_lshl_add_u64 v[78:79], v[78:79], 2, v[52:53]
	global_store_b32 v[74:75], v77, off
	s_wait_dscnt 0x3
	global_store_b32 v[22:23], v80, off
	s_wait_xcnt 0x0
	v_lshl_add_u64 v[22:23], v[4:5], 2, v[52:53]
	v_add_nc_u32_e32 v4, 0xe00, v2
	v_add_nc_u32_e32 v90, 0xe00, v3
	s_add_co_i32 s6, s6, 16
	v_cmp_eq_u32_e32 vcc_lo, 0, v8
	v_lshl_add_u64 v[82:83], v[82:83], 2, v[52:53]
	v_dual_mov_b32 v10, s6 :: v_dual_add_nc_u32 v9, 0x4000, v9
	v_add_nc_u32_e32 v3, 0x1000, v3
	v_add_nc_u32_e32 v2, 0x1000, v2
	v_lshl_add_u64 v[86:87], v[86:87], 2, v[52:53]
	global_store_b32 v[78:79], v81, off
	s_wait_dscnt 0x2
	s_clause 0x1
	global_store_b32 v[12:13], v84, off
	global_store_b32 v[82:83], v85, off
	s_wait_xcnt 0x1
	v_lshl_add_u64 v[12:13], v[4:5], 2, v[52:53]
	v_lshl_add_u64 v[90:91], v[90:91], 2, v[52:53]
	s_or_b32 s5, vcc_lo, s5
	s_wait_dscnt 0x1
	s_clause 0x1
	global_store_b32 v[22:23], v88, off
	global_store_b32 v[86:87], v89, off
	s_wait_dscnt 0x0
	s_clause 0x1
	global_store_b32 v[12:13], v92, off
	global_store_b32 v[90:91], v93, off
	s_wait_xcnt 0x0
	s_and_not1_b32 exec_lo, exec_lo, s5
	s_cbranch_execnz .LBB649_114
; %bb.115:
	s_or_b32 exec_lo, exec_lo, s5
.LBB649_116:
	s_delay_alu instid0(SALU_CYCLE_1) | instskip(SKIP_3) | instid1(VALU_DEP_1)
	s_or_b32 exec_lo, exec_lo, s4
	v_and_b32_e32 v1, 7, v7
	s_mov_b32 s5, 0
	s_mov_b32 s4, exec_lo
	v_cmpx_ne_u32_e32 0, v1
	s_cbranch_execz .LBB649_119
; %bb.117:
	v_dual_mov_b32 v5, 0 :: v_dual_lshlrev_b32 v4, 2, v0
	s_delay_alu instid0(VALU_DEP_1)
	v_lshl_or_b32 v7, v10, 10, v4
.LBB649_118:                            ; =>This Inner Loop Header: Depth=1
	ds_load_2addr_stride64_b32 v[8:9], v7 offset1:4
	v_dual_mov_b32 v4, v2 :: v_dual_add_nc_u32 v1, -1, v1
	v_add_nc_u32_e32 v2, 0x200, v2
	v_add_nc_u32_e32 v7, 0x800, v7
	s_delay_alu instid0(VALU_DEP_3) | instskip(SKIP_3) | instid1(VALU_DEP_3)
	v_lshl_add_u64 v[10:11], v[4:5], 2, v[52:53]
	v_mov_b32_e32 v4, v3
	v_cmp_eq_u32_e32 vcc_lo, 0, v1
	v_add_nc_u32_e32 v3, 0x200, v3
	v_lshl_add_u64 v[12:13], v[4:5], 2, v[52:53]
	s_or_b32 s5, vcc_lo, s5
	s_wait_dscnt 0x0
	s_clause 0x1
	global_store_b32 v[10:11], v8, off
	global_store_b32 v[12:13], v9, off
	s_wait_xcnt 0x0
	s_and_not1_b32 exec_lo, exec_lo, s5
	s_cbranch_execnz .LBB649_118
.LBB649_119:
	s_or_b32 exec_lo, exec_lo, s4
	v_add_nc_u32_e32 v1, 1, v6
	s_delay_alu instid0(VALU_DEP_1) | instskip(NEXT) | instid1(VALU_DEP_1)
	v_and_b32_e32 v2, 0x1fffffe, v1
	v_cmp_ne_u32_e32 vcc_lo, v1, v2
	v_lshl_or_b32 v1, v2, 8, v0
	s_or_not1_b32 s4, vcc_lo, exec_lo
.LBB649_120:
	s_or_b32 exec_lo, exec_lo, s3
	s_delay_alu instid0(SALU_CYCLE_1) | instskip(SKIP_1) | instid1(SALU_CYCLE_1)
	s_and_not1_b32 s1, s1, exec_lo
	s_and_b32 s3, s4, exec_lo
	s_or_b32 s1, s1, s3
.LBB649_121:
	s_or_b32 exec_lo, exec_lo, s2
	s_delay_alu instid0(SALU_CYCLE_1)
	s_and_b32 exec_lo, exec_lo, s1
	s_cbranch_execz .LBB649_124
; %bb.122:
	v_lshlrev_b32_e32 v2, 2, v1
	s_mov_b32 s1, 0
.LBB649_123:                            ; =>This Inner Loop Header: Depth=1
	ds_load_b32 v3, v2
	v_readfirstlane_b32 s2, v52
	v_readfirstlane_b32 s3, v53
	v_add_nc_u32_e32 v2, 0x400, v2
	s_wait_dscnt 0x0
	global_store_b32 v1, v3, s[2:3] scale_offset
	s_wait_xcnt 0x0
	v_add_nc_u32_e32 v1, 0x100, v1
	s_delay_alu instid0(VALU_DEP_1) | instskip(SKIP_1) | instid1(SALU_CYCLE_1)
	v_cmp_ge_u32_e32 vcc_lo, v1, v14
	s_or_b32 s1, vcc_lo, s1
	s_and_not1_b32 exec_lo, exec_lo, s1
	s_cbranch_execnz .LBB649_123
.LBB649_124:
	s_or_b32 exec_lo, exec_lo, s0
.LBB649_125:
	s_cmp_lg_u32 s35, 0xe00
	v_cmp_eq_u32_e32 vcc_lo, 0, v0
	s_cselect_b32 s0, -1, 0
	s_lshr_b32 s1, s35, 1
	s_and_b32 s0, s33, s0
	v_cndmask_b32_e64 v6, 0, 1, s36
	v_mad_i32_i24 v3, v0, -14, s35
	v_cndmask_b32_e64 v2, 0, 1, s0
	s_mul_hi_u32 s0, s1, 0x92492493
	s_and_b32 s1, vcc_lo, s36
	s_lshr_b32 s0, s0, 2
	v_cndmask_b32_e64 v4, v67, 0, s1
	v_cmp_eq_u32_e32 vcc_lo, s0, v0
	v_cmp_ne_u32_e64 s0, 0, v3
	v_sub_nc_u32_e32 v1, v14, v6
	s_mov_b32 s15, -1
	s_wait_storecnt 0x0
	s_and_b32 vcc_lo, s33, vcc_lo
	s_barrier_signal -1
	v_dual_add_nc_u32 v1, v1, v2 :: v_dual_cndmask_b32 v2, 1, v4, s0
	v_cmp_ne_u32_e64 s0, 1, v3
	s_barrier_wait -1
	s_delay_alu instid0(VALU_DEP_1) | instskip(SKIP_1) | instid1(VALU_DEP_1)
	v_cndmask_b32_e64 v5, 1, v66, s0
	v_cmp_ne_u32_e64 s0, 2, v3
	v_cndmask_b32_e64 v7, 1, v64, s0
	v_cmp_ne_u32_e64 s0, 3, v3
	s_delay_alu instid0(VALU_DEP_2) | instskip(NEXT) | instid1(VALU_DEP_2)
	v_cndmask_b32_e32 v7, v64, v7, vcc_lo
	v_cndmask_b32_e64 v8, 1, v63, s0
	v_cmp_ne_u32_e64 s0, 4, v3
	v_cndmask_b32_e32 v53, v4, v2, vcc_lo
	s_delay_alu instid0(VALU_DEP_4) | instskip(NEXT) | instid1(VALU_DEP_3)
	v_cmp_ne_u32_e64 s11, 0, v7
	v_cndmask_b32_e64 v9, 1, v61, s0
	v_cmp_ne_u32_e64 s0, 5, v3
	s_delay_alu instid0(VALU_DEP_1) | instskip(SKIP_1) | instid1(VALU_DEP_1)
	v_cndmask_b32_e64 v10, 1, v65, s0
	v_cmp_ne_u32_e64 s0, 6, v3
	v_cndmask_b32_e64 v11, 1, v60, s0
	v_cmp_ne_u32_e64 s0, 7, v3
	s_delay_alu instid0(VALU_DEP_2) | instskip(NEXT) | instid1(VALU_DEP_2)
	v_dual_cndmask_b32 v9, v61, v9, vcc_lo :: v_dual_cndmask_b32 v11, v60, v11, vcc_lo
	v_cndmask_b32_e64 v12, 1, v59, s0
	v_cmp_ne_u32_e64 s0, 8, v3
	v_cndmask_b32_e32 v10, v65, v10, vcc_lo
	s_delay_alu instid0(VALU_DEP_4) | instskip(NEXT) | instid1(VALU_DEP_3)
	v_cmp_ne_u32_e64 s7, 0, v11
	v_cndmask_b32_e64 v13, 1, v58, s0
	v_cmp_ne_u32_e64 s0, 9, v3
	s_delay_alu instid0(VALU_DEP_4) | instskip(NEXT) | instid1(VALU_DEP_2)
	v_cmp_ne_u32_e64 s8, 0, v10
	v_cndmask_b32_e64 v15, 1, v55, s0
	v_cmp_ne_u32_e64 s0, 10, v3
	s_delay_alu instid0(VALU_DEP_2) | instskip(NEXT) | instid1(VALU_DEP_2)
	v_dual_cndmask_b32 v13, v58, v13, vcc_lo :: v_dual_cndmask_b32 v15, v55, v15, vcc_lo
	v_cndmask_b32_e64 v19, 1, v54, s0
	v_cmp_ne_u32_e64 s0, 13, v3
	s_delay_alu instid0(VALU_DEP_3) | instskip(NEXT) | instid1(VALU_DEP_2)
	v_cmp_ne_u32_e64 s5, 0, v13
	v_cndmask_b32_e64 v22, 1, v57, s0
	v_cmp_ne_u32_e64 s0, 12, v3
	v_dual_cndmask_b32 v12, v59, v12 :: v_dual_cndmask_b32 v19, v54, v19
	s_delay_alu instid0(VALU_DEP_2) | instskip(SKIP_2) | instid1(VALU_DEP_4)
	v_cndmask_b32_e64 v23, 1, v62, s0
	v_cmp_ne_u32_e64 s0, 11, v3
	v_lshlrev_b64_e32 v[2:3], 3, v[50:51]
	v_cmp_ne_u32_e64 s6, 0, v12
	v_cmp_ne_u32_e64 s3, 0, v19
	s_delay_alu instid0(VALU_DEP_4)
	v_dual_cndmask_b32 v52, 1, v56, s0 :: v_dual_cndmask_b32 v22, v57, v22, vcc_lo
	v_cndmask_b32_e32 v23, v62, v23, vcc_lo
	v_cndmask_b32_e32 v57, v66, v5, vcc_lo
	v_cmp_eq_u32_e64 s0, 0, v53
	v_add_nc_u64_e32 v[2:3], s[18:19], v[2:3]
	v_lshlrev_b64_e32 v[4:5], 3, v[16:17]
	v_cndmask_b32_e32 v52, v56, v52, vcc_lo
	v_cmp_ne_u32_e64 s13, 0, v53
	v_cndmask_b32_e64 v62, 1, 2, s0
	v_cmp_eq_u32_e64 s0, 0, v57
	v_cmp_ne_u32_e64 s12, 0, v57
	v_cmp_ne_u32_e64 s2, 0, v52
	v_add_nc_u64_e32 v[2:3], v[2:3], v[4:5]
	v_lshlrev_b32_e32 v4, 3, v6
	v_cndmask_b32_e64 v65, 1, 2, s0
	v_cndmask_b32_e32 v8, v63, v8, vcc_lo
	v_cmp_eq_u32_e64 s0, 0, v7
	v_mov_b32_e32 v5, 0
	v_cmp_eq_u32_e32 vcc_lo, 0, v13
	v_and_b32_e32 v62, v65, v62
	v_add_nc_u32_e32 v6, v16, v6
	v_cndmask_b32_e64 v63, 1, 2, s0
	v_cmp_eq_u32_e64 s0, 0, v8
	v_cndmask_b32_e64 v55, 1, 2, vcc_lo
	v_cmp_eq_u32_e32 vcc_lo, 0, v15
	v_cmp_ne_u32_e64 s10, 0, v8
	v_cmp_ne_u32_e64 s9, 0, v9
	v_cndmask_b32_e64 v64, 1, 2, s0
	v_cmp_eq_u32_e64 s0, 0, v9
	v_add_nc_u64_e32 v[4:5], v[2:3], v[4:5]
	v_cmp_ne_u32_e64 s4, 0, v15
	v_cmp_ne_u32_e64 s1, 0, v23
	v_bitop3_b16 v61, v62, v64, v63 bitop3:0x80
	v_cndmask_b32_e64 v62, 1, 2, s0
	v_cmp_eq_u32_e64 s0, 0, v10
	v_add_nc_u64_e32 v[4:5], -8, v[4:5]
	s_delay_alu instid0(VALU_DEP_2) | instskip(SKIP_1) | instid1(VALU_DEP_2)
	v_cndmask_b32_e64 v63, 1, 2, s0
	v_cmp_eq_u32_e64 s0, 0, v11
	v_bitop3_b16 v56, v61, v63, v62 bitop3:0x80
	s_delay_alu instid0(VALU_DEP_2) | instskip(SKIP_1) | instid1(VALU_DEP_1)
	v_cndmask_b32_e64 v59, 1, 2, s0
	v_cmp_eq_u32_e64 s0, 0, v12
	v_cndmask_b32_e64 v60, 1, 2, s0
	v_cmp_ne_u32_e64 s0, 0, v22
	s_delay_alu instid0(VALU_DEP_2) | instskip(SKIP_2) | instid1(VALU_DEP_2)
	v_bitop3_b16 v54, v56, v60, v59 bitop3:0x80
	v_cndmask_b32_e64 v56, 1, 2, vcc_lo
	v_cmp_eq_u32_e32 vcc_lo, 0, v19
	v_bitop3_b16 v7, v54, v56, v55 bitop3:0x80
	v_cndmask_b32_e64 v53, 1, 2, vcc_lo
	v_cmp_eq_u32_e32 vcc_lo, 0, v52
	v_cndmask_b32_e64 v54, 1, 2, vcc_lo
	v_cmp_eq_u32_e32 vcc_lo, 0, v23
	s_delay_alu instid0(VALU_DEP_2) | instskip(SKIP_4) | instid1(VALU_DEP_2)
	v_bitop3_b16 v7, v7, v54, v53 bitop3:0x80
	v_cndmask_b32_e64 v8, 1, 2, vcc_lo
	v_cmp_eq_u32_e32 vcc_lo, 0, v22
	v_cndmask_b32_e64 v9, 1, 2, vcc_lo
	v_cmp_gt_u32_e32 vcc_lo, 0x100, v1
	v_bitop3_b16 v7, v7, v9, v8 bitop3:0x80
	s_delay_alu instid0(VALU_DEP_1)
	v_cmp_gt_i16_e64 s14, 2, v7
	s_cbranch_vccnz .LBB649_129
; %bb.126:
	s_and_b32 vcc_lo, exec_lo, s15
	s_cbranch_vccnz .LBB649_135
.LBB649_127:
	v_cmp_eq_u32_e32 vcc_lo, 0xff, v0
	s_and_b32 s0, vcc_lo, s33
	s_delay_alu instid0(SALU_CYCLE_1)
	s_and_saveexec_b32 s1, s0
	s_cbranch_execnz .LBB649_144
.LBB649_128:
	s_sendmsg sendmsg(MSG_DEALLOC_VGPRS)
	s_endpgm
.LBB649_129:
	s_and_saveexec_b32 s15, s14
	s_cbranch_execz .LBB649_134
; %bb.130:
	s_mov_b32 s16, 0
	s_mov_b32 s14, exec_lo
	v_cmpx_ne_u16_e32 1, v7
	s_xor_b32 s14, exec_lo, s14
	s_cbranch_execnz .LBB649_178
; %bb.131:
	s_and_not1_saveexec_b32 s14, s14
	s_cbranch_execnz .LBB649_193
.LBB649_132:
	s_or_b32 exec_lo, exec_lo, s14
	s_delay_alu instid0(SALU_CYCLE_1)
	s_and_b32 exec_lo, exec_lo, s16
	s_cbranch_execz .LBB649_134
.LBB649_133:
	v_dual_mov_b32 v9, 0 :: v_dual_mov_b32 v8, v21
	v_sub_nc_u32_e32 v10, v20, v6
	v_readfirstlane_b32 s16, v4
	v_readfirstlane_b32 s17, v5
	global_store_b64 v10, v[8:9], s[16:17] scale_offset
.LBB649_134:
	s_wait_xcnt 0x0
	s_or_b32 exec_lo, exec_lo, s15
	s_branch .LBB649_127
.LBB649_135:
	s_mov_b32 s14, exec_lo
	v_cmpx_gt_i16_e32 2, v7
	s_cbranch_execz .LBB649_140
; %bb.136:
	s_mov_b32 s16, 0
	s_mov_b32 s15, exec_lo
	v_cmpx_ne_u16_e32 1, v7
	s_xor_b32 s15, exec_lo, s15
	s_cbranch_execnz .LBB649_194
; %bb.137:
	s_and_not1_saveexec_b32 s0, s15
	s_cbranch_execnz .LBB649_209
.LBB649_138:
	s_or_b32 exec_lo, exec_lo, s0
	s_delay_alu instid0(SALU_CYCLE_1)
	s_and_b32 exec_lo, exec_lo, s16
.LBB649_139:
	v_sub_nc_u32_e32 v6, v20, v6
	s_delay_alu instid0(VALU_DEP_1)
	v_lshlrev_b32_e32 v6, 2, v6
	ds_store_b32 v6, v21
.LBB649_140:
	s_or_b32 exec_lo, exec_lo, s14
	s_delay_alu instid0(SALU_CYCLE_1)
	s_mov_b32 s0, exec_lo
	s_wait_storecnt_dscnt 0x0
	s_barrier_signal -1
	s_barrier_wait -1
	v_cmpx_lt_u32_e64 v0, v1
	s_cbranch_execz .LBB649_143
; %bb.141:
	v_dual_mov_b32 v7, 0 :: v_dual_lshlrev_b32 v8, 2, v0
	v_mov_b32_e32 v9, v0
	s_mov_b32 s1, 0
.LBB649_142:                            ; =>This Inner Loop Header: Depth=1
	ds_load_b32 v6, v8
	v_readfirstlane_b32 s2, v4
	v_readfirstlane_b32 s3, v5
	v_add_nc_u32_e32 v8, 0x400, v8
	s_wait_dscnt 0x0
	global_store_b64 v9, v[6:7], s[2:3] scale_offset
	s_wait_xcnt 0x0
	v_add_nc_u32_e32 v9, 0x100, v9
	s_delay_alu instid0(VALU_DEP_1) | instskip(SKIP_1) | instid1(SALU_CYCLE_1)
	v_cmp_ge_u32_e32 vcc_lo, v9, v1
	s_or_b32 s1, vcc_lo, s1
	s_and_not1_b32 exec_lo, exec_lo, s1
	s_cbranch_execnz .LBB649_142
.LBB649_143:
	s_or_b32 exec_lo, exec_lo, s0
	v_cmp_eq_u32_e32 vcc_lo, 0xff, v0
	s_and_b32 s0, vcc_lo, s33
	s_delay_alu instid0(SALU_CYCLE_1)
	s_and_saveexec_b32 s1, s0
	s_cbranch_execz .LBB649_128
.LBB649_144:
	v_mov_b32_e32 v15, 0
	s_cmp_lg_u32 s35, 0xe00
	s_delay_alu instid0(VALU_DEP_1) | instskip(NEXT) | instid1(VALU_DEP_1)
	v_add_nc_u64_e32 v[0:1], v[14:15], v[16:17]
	v_add_nc_u64_e32 v[0:1], v[0:1], v[50:51]
	global_store_b64 v15, v[0:1], s[20:21]
	s_cbranch_scc1 .LBB649_128
; %bb.145:
	s_wait_xcnt 0x0
	v_lshlrev_b64_e32 v[0:1], 3, v[14:15]
	v_mov_b32_e32 v19, v15
	s_delay_alu instid0(VALU_DEP_2)
	v_add_nc_u64_e32 v[0:1], v[2:3], v[0:1]
	global_store_b64 v[0:1], v[18:19], off offset:-8
	s_sendmsg sendmsg(MSG_DEALLOC_VGPRS)
	s_endpgm
.LBB649_146:
	s_and_saveexec_b32 s16, s13
	s_cbranch_execnz .LBB649_210
; %bb.147:
	s_or_b32 exec_lo, exec_lo, s16
	s_and_saveexec_b32 s16, s12
	s_cbranch_execnz .LBB649_211
.LBB649_148:
	s_or_b32 exec_lo, exec_lo, s16
	s_and_saveexec_b32 s16, s11
	s_cbranch_execnz .LBB649_212
.LBB649_149:
	s_or_b32 exec_lo, exec_lo, s16
	s_and_saveexec_b32 s16, s10
	s_cbranch_execnz .LBB649_213
.LBB649_150:
	s_or_b32 exec_lo, exec_lo, s16
	s_and_saveexec_b32 s16, s9
	s_cbranch_execnz .LBB649_214
.LBB649_151:
	s_or_b32 exec_lo, exec_lo, s16
	s_and_saveexec_b32 s16, s8
	s_cbranch_execnz .LBB649_215
.LBB649_152:
	s_or_b32 exec_lo, exec_lo, s16
	s_and_saveexec_b32 s16, s7
	s_cbranch_execnz .LBB649_216
.LBB649_153:
	s_or_b32 exec_lo, exec_lo, s16
	s_and_saveexec_b32 s16, s6
	s_cbranch_execnz .LBB649_217
.LBB649_154:
	s_or_b32 exec_lo, exec_lo, s16
	s_and_saveexec_b32 s16, s5
	s_cbranch_execnz .LBB649_218
.LBB649_155:
	s_or_b32 exec_lo, exec_lo, s16
	s_and_saveexec_b32 s16, s4
	s_cbranch_execnz .LBB649_219
.LBB649_156:
	s_or_b32 exec_lo, exec_lo, s16
	s_and_saveexec_b32 s16, s3
	s_cbranch_execnz .LBB649_220
.LBB649_157:
	s_or_b32 exec_lo, exec_lo, s16
	s_and_saveexec_b32 s16, s2
	s_cbranch_execnz .LBB649_221
.LBB649_158:
	s_or_b32 exec_lo, exec_lo, s16
	s_and_saveexec_b32 s16, s1
	s_cbranch_execz .LBB649_160
.LBB649_159:
	v_sub_nc_u32_e32 v15, v28, v16
	v_readfirstlane_b32 s22, v52
	v_readfirstlane_b32 s23, v53
	global_store_b32 v15, v22, s[22:23] scale_offset
.LBB649_160:
	s_wait_xcnt 0x0
	s_or_b32 exec_lo, exec_lo, s16
	s_delay_alu instid0(SALU_CYCLE_1)
	s_and_b32 s16, s0, exec_lo
	s_and_not1_saveexec_b32 s14, s14
	s_cbranch_execz .LBB649_100
.LBB649_161:
	v_dual_sub_nc_u32 v15, v44, v16 :: v_dual_sub_nc_u32 v68, v46, v16
	v_readfirstlane_b32 s22, v52
	v_readfirstlane_b32 s23, v53
	v_sub_nc_u32_e32 v19, v48, v16
	s_clause 0x1
	global_store_b32 v15, v10, s[22:23] scale_offset
	global_store_b32 v19, v11, s[22:23] scale_offset
	s_wait_xcnt 0x1
	v_sub_nc_u32_e32 v15, v42, v16
	s_wait_xcnt 0x0
	v_sub_nc_u32_e32 v19, v38, v16
	global_store_b32 v68, v12, s[22:23] scale_offset
	s_wait_xcnt 0x0
	v_dual_sub_nc_u32 v68, v32, v16 :: v_dual_sub_nc_u32 v69, v34, v16
	global_store_b32 v15, v13, s[22:23] scale_offset
	s_wait_xcnt 0x0
	v_sub_nc_u32_e32 v15, v40, v16
	s_clause 0x2
	global_store_b32 v19, v6, s[22:23] scale_offset
	global_store_b32 v68, v7, s[22:23] scale_offset
	;; [unrolled: 1-line block ×3, first 2 shown]
	s_wait_xcnt 0x1
	v_dual_sub_nc_u32 v19, v24, v16 :: v_dual_sub_nc_u32 v68, v30, v16
	s_wait_xcnt 0x0
	v_sub_nc_u32_e32 v69, v36, v16
	global_store_b32 v15, v9, s[22:23] scale_offset
	s_wait_xcnt 0x0
	v_sub_nc_u32_e32 v15, v26, v16
	global_store_b32 v19, v2, s[22:23] scale_offset
	s_wait_xcnt 0x0
	v_sub_nc_u32_e32 v19, v28, v16
	s_or_b32 s16, s16, exec_lo
	s_clause 0x3
	global_store_b32 v15, v3, s[22:23] scale_offset
	global_store_b32 v68, v4, s[22:23] scale_offset
	;; [unrolled: 1-line block ×4, first 2 shown]
	s_wait_xcnt 0x0
	s_or_b32 exec_lo, exec_lo, s14
	s_delay_alu instid0(SALU_CYCLE_1)
	s_and_b32 exec_lo, exec_lo, s16
	s_cbranch_execnz .LBB649_101
	s_branch .LBB649_102
.LBB649_162:
	s_and_saveexec_b32 s16, s13
	s_cbranch_execnz .LBB649_222
; %bb.163:
	s_or_b32 exec_lo, exec_lo, s16
	s_and_saveexec_b32 s13, s12
	s_cbranch_execnz .LBB649_223
.LBB649_164:
	s_or_b32 exec_lo, exec_lo, s13
	s_and_saveexec_b32 s12, s11
	s_cbranch_execnz .LBB649_224
.LBB649_165:
	s_or_b32 exec_lo, exec_lo, s12
	s_and_saveexec_b32 s11, s10
	s_cbranch_execnz .LBB649_225
.LBB649_166:
	s_or_b32 exec_lo, exec_lo, s11
	s_and_saveexec_b32 s10, s9
	s_cbranch_execnz .LBB649_226
.LBB649_167:
	s_or_b32 exec_lo, exec_lo, s10
	s_and_saveexec_b32 s9, s8
	s_cbranch_execnz .LBB649_227
.LBB649_168:
	s_or_b32 exec_lo, exec_lo, s9
	s_and_saveexec_b32 s8, s7
	s_cbranch_execnz .LBB649_228
.LBB649_169:
	s_or_b32 exec_lo, exec_lo, s8
	s_and_saveexec_b32 s7, s6
	s_cbranch_execnz .LBB649_229
.LBB649_170:
	s_or_b32 exec_lo, exec_lo, s7
	s_and_saveexec_b32 s6, s5
	s_cbranch_execnz .LBB649_230
.LBB649_171:
	s_or_b32 exec_lo, exec_lo, s6
	s_and_saveexec_b32 s5, s4
	s_cbranch_execnz .LBB649_231
.LBB649_172:
	s_or_b32 exec_lo, exec_lo, s5
	s_and_saveexec_b32 s4, s3
	s_cbranch_execnz .LBB649_232
.LBB649_173:
	s_or_b32 exec_lo, exec_lo, s4
	s_and_saveexec_b32 s3, s2
	s_cbranch_execnz .LBB649_233
.LBB649_174:
	s_or_b32 exec_lo, exec_lo, s3
	s_and_saveexec_b32 s2, s1
.LBB649_175:
	v_sub_nc_u32_e32 v1, v28, v16
	s_delay_alu instid0(VALU_DEP_1)
	v_lshlrev_b32_e32 v1, 2, v1
	ds_store_b32 v1, v22
.LBB649_176:
	s_or_b32 exec_lo, exec_lo, s2
	s_delay_alu instid0(SALU_CYCLE_1)
	s_and_b32 s16, s0, exec_lo
                                        ; implicit-def: $vgpr4
                                        ; implicit-def: $vgpr8
                                        ; implicit-def: $vgpr12
	s_and_not1_saveexec_b32 s0, s15
	s_cbranch_execz .LBB649_107
.LBB649_177:
	v_dual_sub_nc_u32 v1, v44, v16 :: v_dual_sub_nc_u32 v19, v46, v16
	v_sub_nc_u32_e32 v15, v48, v16
	s_or_b32 s16, s16, exec_lo
	s_delay_alu instid0(VALU_DEP_2) | instskip(NEXT) | instid1(VALU_DEP_3)
	v_dual_sub_nc_u32 v68, v42, v16 :: v_dual_lshlrev_b32 v1, 2, v1
	v_dual_lshlrev_b32 v19, 2, v19 :: v_dual_sub_nc_u32 v69, v38, v16
	s_delay_alu instid0(VALU_DEP_3)
	v_lshlrev_b32_e32 v15, 2, v15
	ds_store_b32 v1, v10
	ds_store_b32 v15, v11
	;; [unrolled: 1-line block ×3, first 2 shown]
	v_dual_sub_nc_u32 v1, v32, v16 :: v_dual_sub_nc_u32 v10, v34, v16
	v_dual_lshlrev_b32 v11, 2, v68 :: v_dual_lshlrev_b32 v15, 2, v69
	s_delay_alu instid0(VALU_DEP_2) | instskip(NEXT) | instid1(VALU_DEP_3)
	v_dual_sub_nc_u32 v12, v40, v16 :: v_dual_lshlrev_b32 v1, 2, v1
	v_lshlrev_b32_e32 v10, 2, v10
	ds_store_b32 v11, v13
	v_lshlrev_b32_e32 v11, 2, v12
	ds_store_b32 v15, v6
	ds_store_b32 v1, v7
	;; [unrolled: 1-line block ×3, first 2 shown]
	v_dual_sub_nc_u32 v1, v24, v16 :: v_dual_sub_nc_u32 v6, v26, v16
	v_dual_sub_nc_u32 v7, v30, v16 :: v_dual_sub_nc_u32 v8, v36, v16
	ds_store_b32 v11, v9
	v_dual_lshlrev_b32 v1, 2, v1 :: v_dual_sub_nc_u32 v9, v28, v16
	v_dual_lshlrev_b32 v6, 2, v6 :: v_dual_lshlrev_b32 v7, 2, v7
	v_lshlrev_b32_e32 v8, 2, v8
	ds_store_b32 v1, v2
	v_lshlrev_b32_e32 v1, 2, v9
	ds_store_b32 v6, v3
	ds_store_b32 v7, v4
	;; [unrolled: 1-line block ×4, first 2 shown]
	s_or_b32 exec_lo, exec_lo, s0
	s_delay_alu instid0(SALU_CYCLE_1)
	s_and_b32 exec_lo, exec_lo, s16
	s_cbranch_execnz .LBB649_108
	s_branch .LBB649_109
.LBB649_178:
	s_and_saveexec_b32 s16, s13
	s_cbranch_execnz .LBB649_234
; %bb.179:
	s_or_b32 exec_lo, exec_lo, s16
	s_and_saveexec_b32 s16, s12
	s_cbranch_execnz .LBB649_235
.LBB649_180:
	s_or_b32 exec_lo, exec_lo, s16
	s_and_saveexec_b32 s16, s11
	s_cbranch_execnz .LBB649_236
.LBB649_181:
	s_or_b32 exec_lo, exec_lo, s16
	s_and_saveexec_b32 s16, s10
	s_cbranch_execnz .LBB649_237
.LBB649_182:
	s_or_b32 exec_lo, exec_lo, s16
	s_and_saveexec_b32 s16, s9
	s_cbranch_execnz .LBB649_238
.LBB649_183:
	s_or_b32 exec_lo, exec_lo, s16
	s_and_saveexec_b32 s16, s8
	s_cbranch_execnz .LBB649_239
.LBB649_184:
	s_or_b32 exec_lo, exec_lo, s16
	s_and_saveexec_b32 s16, s7
	s_cbranch_execnz .LBB649_240
.LBB649_185:
	s_or_b32 exec_lo, exec_lo, s16
	s_and_saveexec_b32 s16, s6
	s_cbranch_execnz .LBB649_241
.LBB649_186:
	s_or_b32 exec_lo, exec_lo, s16
	s_and_saveexec_b32 s16, s5
	s_cbranch_execnz .LBB649_242
.LBB649_187:
	s_or_b32 exec_lo, exec_lo, s16
	s_and_saveexec_b32 s16, s4
	s_cbranch_execnz .LBB649_243
.LBB649_188:
	s_or_b32 exec_lo, exec_lo, s16
	s_and_saveexec_b32 s16, s3
	s_cbranch_execnz .LBB649_244
.LBB649_189:
	s_or_b32 exec_lo, exec_lo, s16
	s_and_saveexec_b32 s16, s2
	s_cbranch_execnz .LBB649_245
.LBB649_190:
	s_or_b32 exec_lo, exec_lo, s16
	s_and_saveexec_b32 s16, s1
	s_cbranch_execz .LBB649_192
.LBB649_191:
	v_dual_mov_b32 v9, 0 :: v_dual_sub_nc_u32 v10, v28, v6
	v_mov_b32_e32 v8, v29
	v_readfirstlane_b32 s18, v4
	v_readfirstlane_b32 s19, v5
	global_store_b64 v10, v[8:9], s[18:19] scale_offset
.LBB649_192:
	s_wait_xcnt 0x0
	s_or_b32 exec_lo, exec_lo, s16
	s_delay_alu instid0(SALU_CYCLE_1)
	s_and_b32 s16, s0, exec_lo
	s_and_not1_saveexec_b32 s14, s14
	s_cbranch_execz .LBB649_132
.LBB649_193:
	v_dual_mov_b32 v9, 0 :: v_dual_mov_b32 v8, v45
	v_sub_nc_u32_e32 v10, v44, v6
	v_readfirstlane_b32 s18, v4
	v_readfirstlane_b32 s19, v5
	v_sub_nc_u32_e32 v11, v46, v6
	s_or_b32 s16, s16, exec_lo
	global_store_b64 v10, v[8:9], s[18:19] scale_offset
	s_wait_xcnt 0x0
	v_dual_sub_nc_u32 v10, v48, v6 :: v_dual_mov_b32 v8, v49
	global_store_b64 v10, v[8:9], s[18:19] scale_offset
	s_wait_xcnt 0x0
	v_dual_mov_b32 v8, v47 :: v_dual_sub_nc_u32 v10, v42, v6
	global_store_b64 v11, v[8:9], s[18:19] scale_offset
	s_wait_xcnt 0x0
	v_dual_mov_b32 v8, v43 :: v_dual_sub_nc_u32 v11, v38, v6
	;; [unrolled: 3-line block ×9, first 2 shown]
	global_store_b64 v11, v[8:9], s[18:19] scale_offset
	s_wait_xcnt 0x0
	v_mov_b32_e32 v8, v37
	global_store_b64 v10, v[8:9], s[18:19] scale_offset
	s_wait_xcnt 0x0
	v_dual_mov_b32 v8, v29 :: v_dual_sub_nc_u32 v10, v28, v6
	global_store_b64 v10, v[8:9], s[18:19] scale_offset
	s_wait_xcnt 0x0
	s_or_b32 exec_lo, exec_lo, s14
	s_delay_alu instid0(SALU_CYCLE_1)
	s_and_b32 exec_lo, exec_lo, s16
	s_cbranch_execnz .LBB649_133
	s_branch .LBB649_134
.LBB649_194:
	s_and_saveexec_b32 s16, s13
	s_cbranch_execnz .LBB649_246
; %bb.195:
	s_or_b32 exec_lo, exec_lo, s16
	s_and_saveexec_b32 s13, s12
	s_cbranch_execnz .LBB649_247
.LBB649_196:
	s_or_b32 exec_lo, exec_lo, s13
	s_and_saveexec_b32 s12, s11
	s_cbranch_execnz .LBB649_248
.LBB649_197:
	s_or_b32 exec_lo, exec_lo, s12
	s_and_saveexec_b32 s11, s10
	s_cbranch_execnz .LBB649_249
.LBB649_198:
	s_or_b32 exec_lo, exec_lo, s11
	s_and_saveexec_b32 s10, s9
	s_cbranch_execnz .LBB649_250
.LBB649_199:
	s_or_b32 exec_lo, exec_lo, s10
	s_and_saveexec_b32 s9, s8
	s_cbranch_execnz .LBB649_251
.LBB649_200:
	s_or_b32 exec_lo, exec_lo, s9
	s_and_saveexec_b32 s8, s7
	s_cbranch_execnz .LBB649_252
.LBB649_201:
	s_or_b32 exec_lo, exec_lo, s8
	s_and_saveexec_b32 s7, s6
	s_cbranch_execnz .LBB649_253
.LBB649_202:
	s_or_b32 exec_lo, exec_lo, s7
	s_and_saveexec_b32 s6, s5
	s_cbranch_execnz .LBB649_254
.LBB649_203:
	s_or_b32 exec_lo, exec_lo, s6
	s_and_saveexec_b32 s5, s4
	s_cbranch_execnz .LBB649_255
.LBB649_204:
	s_or_b32 exec_lo, exec_lo, s5
	s_and_saveexec_b32 s4, s3
	s_cbranch_execnz .LBB649_256
.LBB649_205:
	s_or_b32 exec_lo, exec_lo, s4
	s_and_saveexec_b32 s3, s2
	s_cbranch_execnz .LBB649_257
.LBB649_206:
	s_or_b32 exec_lo, exec_lo, s3
	s_and_saveexec_b32 s2, s1
.LBB649_207:
	v_sub_nc_u32_e32 v7, v28, v6
	s_delay_alu instid0(VALU_DEP_1)
	v_lshlrev_b32_e32 v7, 2, v7
	ds_store_b32 v7, v29
.LBB649_208:
	s_or_b32 exec_lo, exec_lo, s2
	s_delay_alu instid0(SALU_CYCLE_1)
	s_and_b32 s16, s0, exec_lo
                                        ; implicit-def: $vgpr28_vgpr29
                                        ; implicit-def: $vgpr36_vgpr37
                                        ; implicit-def: $vgpr30_vgpr31
                                        ; implicit-def: $vgpr44_vgpr45
                                        ; implicit-def: $vgpr48_vgpr49
                                        ; implicit-def: $vgpr46_vgpr47
                                        ; implicit-def: $vgpr42_vgpr43
                                        ; implicit-def: $vgpr38_vgpr39
                                        ; implicit-def: $vgpr32_vgpr33
                                        ; implicit-def: $vgpr34_vgpr35
                                        ; implicit-def: $vgpr40_vgpr41
                                        ; implicit-def: $vgpr24_vgpr25
                                        ; implicit-def: $vgpr26_vgpr27
	s_and_not1_saveexec_b32 s0, s15
	s_cbranch_execz .LBB649_138
.LBB649_209:
	v_dual_sub_nc_u32 v7, v44, v6 :: v_dual_sub_nc_u32 v9, v46, v6
	v_dual_sub_nc_u32 v8, v48, v6 :: v_dual_sub_nc_u32 v10, v42, v6
	s_delay_alu instid0(VALU_DEP_2) | instskip(NEXT) | instid1(VALU_DEP_2)
	v_dual_sub_nc_u32 v11, v38, v6 :: v_dual_lshlrev_b32 v7, 2, v7
	v_dual_lshlrev_b32 v9, 2, v9 :: v_dual_lshlrev_b32 v8, 2, v8
	s_or_b32 s16, s16, exec_lo
	ds_store_b32 v7, v45
	ds_store_b32 v8, v49
	;; [unrolled: 1-line block ×3, first 2 shown]
	v_sub_nc_u32_e32 v7, v32, v6
	v_lshlrev_b32_e32 v9, 2, v10
	v_dual_sub_nc_u32 v10, v40, v6 :: v_dual_sub_nc_u32 v8, v34, v6
	v_lshlrev_b32_e32 v11, 2, v11
	s_delay_alu instid0(VALU_DEP_4)
	v_lshlrev_b32_e32 v7, 2, v7
	ds_store_b32 v9, v43
	v_dual_lshlrev_b32 v9, 2, v10 :: v_dual_lshlrev_b32 v8, 2, v8
	ds_store_b32 v11, v39
	ds_store_b32 v7, v33
	;; [unrolled: 1-line block ×3, first 2 shown]
	v_dual_sub_nc_u32 v7, v24, v6 :: v_dual_sub_nc_u32 v8, v26, v6
	ds_store_b32 v9, v41
	v_dual_sub_nc_u32 v9, v30, v6 :: v_dual_sub_nc_u32 v10, v36, v6
	v_dual_lshlrev_b32 v7, 2, v7 :: v_dual_sub_nc_u32 v11, v28, v6
	s_delay_alu instid0(VALU_DEP_2) | instskip(NEXT) | instid1(VALU_DEP_3)
	v_dual_lshlrev_b32 v8, 2, v8 :: v_dual_lshlrev_b32 v9, 2, v9
	v_lshlrev_b32_e32 v10, 2, v10
	ds_store_b32 v7, v25
	v_lshlrev_b32_e32 v7, 2, v11
	ds_store_b32 v8, v27
	ds_store_b32 v9, v31
	;; [unrolled: 1-line block ×4, first 2 shown]
	s_or_b32 exec_lo, exec_lo, s0
	s_delay_alu instid0(SALU_CYCLE_1)
	s_and_b32 exec_lo, exec_lo, s16
	s_cbranch_execnz .LBB649_139
	s_branch .LBB649_140
.LBB649_210:
	v_sub_nc_u32_e32 v15, v44, v16
	v_readfirstlane_b32 s22, v52
	v_readfirstlane_b32 s23, v53
	global_store_b32 v15, v10, s[22:23] scale_offset
	s_wait_xcnt 0x0
	s_or_b32 exec_lo, exec_lo, s16
	s_and_saveexec_b32 s16, s12
	s_cbranch_execz .LBB649_148
.LBB649_211:
	v_sub_nc_u32_e32 v15, v48, v16
	v_readfirstlane_b32 s22, v52
	v_readfirstlane_b32 s23, v53
	global_store_b32 v15, v11, s[22:23] scale_offset
	s_wait_xcnt 0x0
	s_or_b32 exec_lo, exec_lo, s16
	s_and_saveexec_b32 s16, s11
	s_cbranch_execz .LBB649_149
.LBB649_212:
	v_sub_nc_u32_e32 v15, v46, v16
	v_readfirstlane_b32 s22, v52
	v_readfirstlane_b32 s23, v53
	global_store_b32 v15, v12, s[22:23] scale_offset
	s_wait_xcnt 0x0
	s_or_b32 exec_lo, exec_lo, s16
	s_and_saveexec_b32 s16, s10
	s_cbranch_execz .LBB649_150
.LBB649_213:
	v_sub_nc_u32_e32 v15, v42, v16
	v_readfirstlane_b32 s22, v52
	v_readfirstlane_b32 s23, v53
	global_store_b32 v15, v13, s[22:23] scale_offset
	s_wait_xcnt 0x0
	s_or_b32 exec_lo, exec_lo, s16
	s_and_saveexec_b32 s16, s9
	s_cbranch_execz .LBB649_151
.LBB649_214:
	v_sub_nc_u32_e32 v15, v38, v16
	v_readfirstlane_b32 s22, v52
	v_readfirstlane_b32 s23, v53
	global_store_b32 v15, v6, s[22:23] scale_offset
	s_wait_xcnt 0x0
	s_or_b32 exec_lo, exec_lo, s16
	s_and_saveexec_b32 s16, s8
	s_cbranch_execz .LBB649_152
.LBB649_215:
	v_sub_nc_u32_e32 v15, v32, v16
	v_readfirstlane_b32 s22, v52
	v_readfirstlane_b32 s23, v53
	global_store_b32 v15, v7, s[22:23] scale_offset
	s_wait_xcnt 0x0
	s_or_b32 exec_lo, exec_lo, s16
	s_and_saveexec_b32 s16, s7
	s_cbranch_execz .LBB649_153
.LBB649_216:
	v_sub_nc_u32_e32 v15, v34, v16
	v_readfirstlane_b32 s22, v52
	v_readfirstlane_b32 s23, v53
	global_store_b32 v15, v8, s[22:23] scale_offset
	s_wait_xcnt 0x0
	s_or_b32 exec_lo, exec_lo, s16
	s_and_saveexec_b32 s16, s6
	s_cbranch_execz .LBB649_154
.LBB649_217:
	v_sub_nc_u32_e32 v15, v40, v16
	v_readfirstlane_b32 s22, v52
	v_readfirstlane_b32 s23, v53
	global_store_b32 v15, v9, s[22:23] scale_offset
	s_wait_xcnt 0x0
	s_or_b32 exec_lo, exec_lo, s16
	s_and_saveexec_b32 s16, s5
	s_cbranch_execz .LBB649_155
.LBB649_218:
	v_sub_nc_u32_e32 v15, v24, v16
	v_readfirstlane_b32 s22, v52
	v_readfirstlane_b32 s23, v53
	global_store_b32 v15, v2, s[22:23] scale_offset
	s_wait_xcnt 0x0
	s_or_b32 exec_lo, exec_lo, s16
	s_and_saveexec_b32 s16, s4
	s_cbranch_execz .LBB649_156
.LBB649_219:
	v_sub_nc_u32_e32 v15, v26, v16
	v_readfirstlane_b32 s22, v52
	v_readfirstlane_b32 s23, v53
	global_store_b32 v15, v3, s[22:23] scale_offset
	s_wait_xcnt 0x0
	s_or_b32 exec_lo, exec_lo, s16
	s_and_saveexec_b32 s16, s3
	s_cbranch_execz .LBB649_157
.LBB649_220:
	v_sub_nc_u32_e32 v15, v30, v16
	v_readfirstlane_b32 s22, v52
	v_readfirstlane_b32 s23, v53
	global_store_b32 v15, v4, s[22:23] scale_offset
	s_wait_xcnt 0x0
	s_or_b32 exec_lo, exec_lo, s16
	s_and_saveexec_b32 s16, s2
	s_cbranch_execz .LBB649_158
.LBB649_221:
	v_sub_nc_u32_e32 v15, v36, v16
	v_readfirstlane_b32 s22, v52
	v_readfirstlane_b32 s23, v53
	global_store_b32 v15, v5, s[22:23] scale_offset
	s_wait_xcnt 0x0
	s_or_b32 exec_lo, exec_lo, s16
	s_and_saveexec_b32 s16, s1
	s_cbranch_execnz .LBB649_159
	s_branch .LBB649_160
.LBB649_222:
	v_sub_nc_u32_e32 v1, v44, v16
	s_delay_alu instid0(VALU_DEP_1)
	v_lshlrev_b32_e32 v1, 2, v1
	ds_store_b32 v1, v10
	s_or_b32 exec_lo, exec_lo, s16
	s_and_saveexec_b32 s13, s12
	s_cbranch_execz .LBB649_164
.LBB649_223:
	v_sub_nc_u32_e32 v1, v48, v16
	s_delay_alu instid0(VALU_DEP_1)
	v_lshlrev_b32_e32 v1, 2, v1
	ds_store_b32 v1, v11
	s_or_b32 exec_lo, exec_lo, s13
	s_and_saveexec_b32 s12, s11
	s_cbranch_execz .LBB649_165
.LBB649_224:
	v_sub_nc_u32_e32 v1, v46, v16
	s_delay_alu instid0(VALU_DEP_1)
	v_lshlrev_b32_e32 v1, 2, v1
	ds_store_b32 v1, v12
	s_or_b32 exec_lo, exec_lo, s12
	s_and_saveexec_b32 s11, s10
	s_cbranch_execz .LBB649_166
.LBB649_225:
	v_sub_nc_u32_e32 v1, v42, v16
	s_delay_alu instid0(VALU_DEP_1)
	v_lshlrev_b32_e32 v1, 2, v1
	ds_store_b32 v1, v13
	s_or_b32 exec_lo, exec_lo, s11
	s_and_saveexec_b32 s10, s9
	s_cbranch_execz .LBB649_167
.LBB649_226:
	v_sub_nc_u32_e32 v1, v38, v16
	s_delay_alu instid0(VALU_DEP_1)
	v_lshlrev_b32_e32 v1, 2, v1
	ds_store_b32 v1, v6
	s_or_b32 exec_lo, exec_lo, s10
	s_and_saveexec_b32 s9, s8
	s_cbranch_execz .LBB649_168
.LBB649_227:
	v_sub_nc_u32_e32 v1, v32, v16
	s_delay_alu instid0(VALU_DEP_1)
	v_lshlrev_b32_e32 v1, 2, v1
	ds_store_b32 v1, v7
	s_or_b32 exec_lo, exec_lo, s9
	s_and_saveexec_b32 s8, s7
	s_cbranch_execz .LBB649_169
.LBB649_228:
	v_sub_nc_u32_e32 v1, v34, v16
	s_delay_alu instid0(VALU_DEP_1)
	v_lshlrev_b32_e32 v1, 2, v1
	ds_store_b32 v1, v8
	s_or_b32 exec_lo, exec_lo, s8
	s_and_saveexec_b32 s7, s6
	s_cbranch_execz .LBB649_170
.LBB649_229:
	v_sub_nc_u32_e32 v1, v40, v16
	s_delay_alu instid0(VALU_DEP_1)
	v_lshlrev_b32_e32 v1, 2, v1
	ds_store_b32 v1, v9
	s_or_b32 exec_lo, exec_lo, s7
	s_and_saveexec_b32 s6, s5
	s_cbranch_execz .LBB649_171
.LBB649_230:
	v_sub_nc_u32_e32 v1, v24, v16
	s_delay_alu instid0(VALU_DEP_1)
	v_lshlrev_b32_e32 v1, 2, v1
	ds_store_b32 v1, v2
	s_or_b32 exec_lo, exec_lo, s6
	s_and_saveexec_b32 s5, s4
	s_cbranch_execz .LBB649_172
.LBB649_231:
	v_sub_nc_u32_e32 v1, v26, v16
	s_delay_alu instid0(VALU_DEP_1)
	v_lshlrev_b32_e32 v1, 2, v1
	ds_store_b32 v1, v3
	s_or_b32 exec_lo, exec_lo, s5
	s_and_saveexec_b32 s4, s3
	s_cbranch_execz .LBB649_173
.LBB649_232:
	v_sub_nc_u32_e32 v1, v30, v16
	s_delay_alu instid0(VALU_DEP_1)
	v_lshlrev_b32_e32 v1, 2, v1
	ds_store_b32 v1, v4
	s_or_b32 exec_lo, exec_lo, s4
	s_and_saveexec_b32 s3, s2
	s_cbranch_execz .LBB649_174
.LBB649_233:
	v_sub_nc_u32_e32 v1, v36, v16
	s_delay_alu instid0(VALU_DEP_1)
	v_lshlrev_b32_e32 v1, 2, v1
	ds_store_b32 v1, v5
	s_or_b32 exec_lo, exec_lo, s3
	s_and_saveexec_b32 s2, s1
	s_cbranch_execnz .LBB649_175
	s_branch .LBB649_176
.LBB649_234:
	v_dual_mov_b32 v9, 0 :: v_dual_sub_nc_u32 v10, v44, v6
	v_mov_b32_e32 v8, v45
	v_readfirstlane_b32 s18, v4
	v_readfirstlane_b32 s19, v5
	global_store_b64 v10, v[8:9], s[18:19] scale_offset
	s_wait_xcnt 0x0
	s_or_b32 exec_lo, exec_lo, s16
	s_and_saveexec_b32 s16, s12
	s_cbranch_execz .LBB649_180
.LBB649_235:
	v_dual_mov_b32 v9, 0 :: v_dual_sub_nc_u32 v10, v48, v6
	v_mov_b32_e32 v8, v49
	v_readfirstlane_b32 s18, v4
	v_readfirstlane_b32 s19, v5
	global_store_b64 v10, v[8:9], s[18:19] scale_offset
	s_wait_xcnt 0x0
	s_or_b32 exec_lo, exec_lo, s16
	s_and_saveexec_b32 s16, s11
	s_cbranch_execz .LBB649_181
.LBB649_236:
	v_dual_mov_b32 v9, 0 :: v_dual_sub_nc_u32 v10, v46, v6
	v_mov_b32_e32 v8, v47
	v_readfirstlane_b32 s18, v4
	v_readfirstlane_b32 s19, v5
	global_store_b64 v10, v[8:9], s[18:19] scale_offset
	s_wait_xcnt 0x0
	s_or_b32 exec_lo, exec_lo, s16
	s_and_saveexec_b32 s16, s10
	s_cbranch_execz .LBB649_182
.LBB649_237:
	v_dual_mov_b32 v9, 0 :: v_dual_sub_nc_u32 v10, v42, v6
	v_mov_b32_e32 v8, v43
	v_readfirstlane_b32 s18, v4
	v_readfirstlane_b32 s19, v5
	global_store_b64 v10, v[8:9], s[18:19] scale_offset
	s_wait_xcnt 0x0
	s_or_b32 exec_lo, exec_lo, s16
	s_and_saveexec_b32 s16, s9
	s_cbranch_execz .LBB649_183
.LBB649_238:
	v_dual_mov_b32 v9, 0 :: v_dual_sub_nc_u32 v10, v38, v6
	v_mov_b32_e32 v8, v39
	v_readfirstlane_b32 s18, v4
	v_readfirstlane_b32 s19, v5
	global_store_b64 v10, v[8:9], s[18:19] scale_offset
	s_wait_xcnt 0x0
	s_or_b32 exec_lo, exec_lo, s16
	s_and_saveexec_b32 s16, s8
	s_cbranch_execz .LBB649_184
.LBB649_239:
	v_dual_mov_b32 v9, 0 :: v_dual_sub_nc_u32 v10, v32, v6
	v_mov_b32_e32 v8, v33
	v_readfirstlane_b32 s18, v4
	v_readfirstlane_b32 s19, v5
	global_store_b64 v10, v[8:9], s[18:19] scale_offset
	s_wait_xcnt 0x0
	s_or_b32 exec_lo, exec_lo, s16
	s_and_saveexec_b32 s16, s7
	s_cbranch_execz .LBB649_185
.LBB649_240:
	v_dual_mov_b32 v9, 0 :: v_dual_sub_nc_u32 v10, v34, v6
	v_mov_b32_e32 v8, v35
	v_readfirstlane_b32 s18, v4
	v_readfirstlane_b32 s19, v5
	global_store_b64 v10, v[8:9], s[18:19] scale_offset
	s_wait_xcnt 0x0
	s_or_b32 exec_lo, exec_lo, s16
	s_and_saveexec_b32 s16, s6
	s_cbranch_execz .LBB649_186
.LBB649_241:
	v_dual_mov_b32 v9, 0 :: v_dual_sub_nc_u32 v10, v40, v6
	v_mov_b32_e32 v8, v41
	v_readfirstlane_b32 s18, v4
	v_readfirstlane_b32 s19, v5
	global_store_b64 v10, v[8:9], s[18:19] scale_offset
	s_wait_xcnt 0x0
	s_or_b32 exec_lo, exec_lo, s16
	s_and_saveexec_b32 s16, s5
	s_cbranch_execz .LBB649_187
.LBB649_242:
	v_dual_mov_b32 v9, 0 :: v_dual_sub_nc_u32 v10, v24, v6
	v_mov_b32_e32 v8, v25
	v_readfirstlane_b32 s18, v4
	v_readfirstlane_b32 s19, v5
	global_store_b64 v10, v[8:9], s[18:19] scale_offset
	s_wait_xcnt 0x0
	s_or_b32 exec_lo, exec_lo, s16
	s_and_saveexec_b32 s16, s4
	s_cbranch_execz .LBB649_188
.LBB649_243:
	v_dual_mov_b32 v9, 0 :: v_dual_sub_nc_u32 v10, v26, v6
	v_mov_b32_e32 v8, v27
	v_readfirstlane_b32 s18, v4
	v_readfirstlane_b32 s19, v5
	global_store_b64 v10, v[8:9], s[18:19] scale_offset
	s_wait_xcnt 0x0
	s_or_b32 exec_lo, exec_lo, s16
	s_and_saveexec_b32 s16, s3
	s_cbranch_execz .LBB649_189
.LBB649_244:
	v_dual_mov_b32 v9, 0 :: v_dual_sub_nc_u32 v10, v30, v6
	v_mov_b32_e32 v8, v31
	v_readfirstlane_b32 s18, v4
	v_readfirstlane_b32 s19, v5
	global_store_b64 v10, v[8:9], s[18:19] scale_offset
	s_wait_xcnt 0x0
	s_or_b32 exec_lo, exec_lo, s16
	s_and_saveexec_b32 s16, s2
	s_cbranch_execz .LBB649_190
.LBB649_245:
	v_dual_mov_b32 v9, 0 :: v_dual_sub_nc_u32 v10, v36, v6
	v_mov_b32_e32 v8, v37
	v_readfirstlane_b32 s18, v4
	v_readfirstlane_b32 s19, v5
	global_store_b64 v10, v[8:9], s[18:19] scale_offset
	s_wait_xcnt 0x0
	s_or_b32 exec_lo, exec_lo, s16
	s_and_saveexec_b32 s16, s1
	s_cbranch_execnz .LBB649_191
	s_branch .LBB649_192
.LBB649_246:
	v_sub_nc_u32_e32 v7, v44, v6
	s_delay_alu instid0(VALU_DEP_1)
	v_lshlrev_b32_e32 v7, 2, v7
	ds_store_b32 v7, v45
	s_or_b32 exec_lo, exec_lo, s16
	s_and_saveexec_b32 s13, s12
	s_cbranch_execz .LBB649_196
.LBB649_247:
	v_sub_nc_u32_e32 v7, v48, v6
	s_delay_alu instid0(VALU_DEP_1)
	v_lshlrev_b32_e32 v7, 2, v7
	ds_store_b32 v7, v49
	s_or_b32 exec_lo, exec_lo, s13
	s_and_saveexec_b32 s12, s11
	s_cbranch_execz .LBB649_197
.LBB649_248:
	v_sub_nc_u32_e32 v7, v46, v6
	s_delay_alu instid0(VALU_DEP_1)
	v_lshlrev_b32_e32 v7, 2, v7
	ds_store_b32 v7, v47
	s_or_b32 exec_lo, exec_lo, s12
	s_and_saveexec_b32 s11, s10
	s_cbranch_execz .LBB649_198
.LBB649_249:
	v_sub_nc_u32_e32 v7, v42, v6
	s_delay_alu instid0(VALU_DEP_1)
	v_lshlrev_b32_e32 v7, 2, v7
	ds_store_b32 v7, v43
	s_or_b32 exec_lo, exec_lo, s11
	s_and_saveexec_b32 s10, s9
	s_cbranch_execz .LBB649_199
.LBB649_250:
	v_sub_nc_u32_e32 v7, v38, v6
	s_delay_alu instid0(VALU_DEP_1)
	v_lshlrev_b32_e32 v7, 2, v7
	ds_store_b32 v7, v39
	s_or_b32 exec_lo, exec_lo, s10
	s_and_saveexec_b32 s9, s8
	s_cbranch_execz .LBB649_200
.LBB649_251:
	v_sub_nc_u32_e32 v7, v32, v6
	s_delay_alu instid0(VALU_DEP_1)
	v_lshlrev_b32_e32 v7, 2, v7
	ds_store_b32 v7, v33
	s_or_b32 exec_lo, exec_lo, s9
	s_and_saveexec_b32 s8, s7
	s_cbranch_execz .LBB649_201
.LBB649_252:
	v_sub_nc_u32_e32 v7, v34, v6
	s_delay_alu instid0(VALU_DEP_1)
	v_lshlrev_b32_e32 v7, 2, v7
	ds_store_b32 v7, v35
	s_or_b32 exec_lo, exec_lo, s8
	s_and_saveexec_b32 s7, s6
	s_cbranch_execz .LBB649_202
.LBB649_253:
	v_sub_nc_u32_e32 v7, v40, v6
	s_delay_alu instid0(VALU_DEP_1)
	v_lshlrev_b32_e32 v7, 2, v7
	ds_store_b32 v7, v41
	s_or_b32 exec_lo, exec_lo, s7
	s_and_saveexec_b32 s6, s5
	s_cbranch_execz .LBB649_203
.LBB649_254:
	v_sub_nc_u32_e32 v7, v24, v6
	s_delay_alu instid0(VALU_DEP_1)
	v_lshlrev_b32_e32 v7, 2, v7
	ds_store_b32 v7, v25
	s_or_b32 exec_lo, exec_lo, s6
	s_and_saveexec_b32 s5, s4
	s_cbranch_execz .LBB649_204
.LBB649_255:
	v_sub_nc_u32_e32 v7, v26, v6
	s_delay_alu instid0(VALU_DEP_1)
	v_lshlrev_b32_e32 v7, 2, v7
	ds_store_b32 v7, v27
	s_or_b32 exec_lo, exec_lo, s5
	s_and_saveexec_b32 s4, s3
	s_cbranch_execz .LBB649_205
.LBB649_256:
	v_sub_nc_u32_e32 v7, v30, v6
	s_delay_alu instid0(VALU_DEP_1)
	v_lshlrev_b32_e32 v7, 2, v7
	ds_store_b32 v7, v31
	s_or_b32 exec_lo, exec_lo, s4
	s_and_saveexec_b32 s3, s2
	s_cbranch_execz .LBB649_206
.LBB649_257:
	v_sub_nc_u32_e32 v7, v36, v6
	s_delay_alu instid0(VALU_DEP_1)
	v_lshlrev_b32_e32 v7, 2, v7
	ds_store_b32 v7, v37
	s_or_b32 exec_lo, exec_lo, s3
	s_and_saveexec_b32 s2, s1
	s_cbranch_execnz .LBB649_207
	s_branch .LBB649_208
	.section	.rodata,"a",@progbits
	.p2align	6, 0x0
	.amdhsa_kernel _ZN7rocprim17ROCPRIM_400000_NS6detail17trampoline_kernelINS0_14default_configENS1_33run_length_encode_config_selectorIjjNS0_4plusIjEEEEZZNS1_33reduce_by_key_impl_wrapped_configILNS1_25lookback_scan_determinismE0ES3_S7_PKjNS0_17constant_iteratorIjlEEPjPlSF_S6_NS0_8equal_toIjEEEE10hipError_tPvRmT2_T3_mT4_T5_T6_T7_T8_P12ihipStream_tbENKUlT_T0_E_clISt17integral_constantIbLb0EESZ_EEDaSU_SV_EUlSU_E_NS1_11comp_targetILNS1_3genE0ELNS1_11target_archE4294967295ELNS1_3gpuE0ELNS1_3repE0EEENS1_30default_config_static_selectorELNS0_4arch9wavefront6targetE0EEEvT1_
		.amdhsa_group_segment_fixed_size 14336
		.amdhsa_private_segment_fixed_size 0
		.amdhsa_kernarg_size 128
		.amdhsa_user_sgpr_count 2
		.amdhsa_user_sgpr_dispatch_ptr 0
		.amdhsa_user_sgpr_queue_ptr 0
		.amdhsa_user_sgpr_kernarg_segment_ptr 1
		.amdhsa_user_sgpr_dispatch_id 0
		.amdhsa_user_sgpr_kernarg_preload_length 0
		.amdhsa_user_sgpr_kernarg_preload_offset 0
		.amdhsa_user_sgpr_private_segment_size 0
		.amdhsa_wavefront_size32 1
		.amdhsa_uses_dynamic_stack 0
		.amdhsa_enable_private_segment 0
		.amdhsa_system_sgpr_workgroup_id_x 1
		.amdhsa_system_sgpr_workgroup_id_y 0
		.amdhsa_system_sgpr_workgroup_id_z 0
		.amdhsa_system_sgpr_workgroup_info 0
		.amdhsa_system_vgpr_workitem_id 0
		.amdhsa_next_free_vgpr 102
		.amdhsa_next_free_sgpr 39
		.amdhsa_named_barrier_count 0
		.amdhsa_reserve_vcc 1
		.amdhsa_float_round_mode_32 0
		.amdhsa_float_round_mode_16_64 0
		.amdhsa_float_denorm_mode_32 3
		.amdhsa_float_denorm_mode_16_64 3
		.amdhsa_fp16_overflow 0
		.amdhsa_memory_ordered 1
		.amdhsa_forward_progress 1
		.amdhsa_inst_pref_size 117
		.amdhsa_round_robin_scheduling 0
		.amdhsa_exception_fp_ieee_invalid_op 0
		.amdhsa_exception_fp_denorm_src 0
		.amdhsa_exception_fp_ieee_div_zero 0
		.amdhsa_exception_fp_ieee_overflow 0
		.amdhsa_exception_fp_ieee_underflow 0
		.amdhsa_exception_fp_ieee_inexact 0
		.amdhsa_exception_int_div_zero 0
	.end_amdhsa_kernel
	.section	.text._ZN7rocprim17ROCPRIM_400000_NS6detail17trampoline_kernelINS0_14default_configENS1_33run_length_encode_config_selectorIjjNS0_4plusIjEEEEZZNS1_33reduce_by_key_impl_wrapped_configILNS1_25lookback_scan_determinismE0ES3_S7_PKjNS0_17constant_iteratorIjlEEPjPlSF_S6_NS0_8equal_toIjEEEE10hipError_tPvRmT2_T3_mT4_T5_T6_T7_T8_P12ihipStream_tbENKUlT_T0_E_clISt17integral_constantIbLb0EESZ_EEDaSU_SV_EUlSU_E_NS1_11comp_targetILNS1_3genE0ELNS1_11target_archE4294967295ELNS1_3gpuE0ELNS1_3repE0EEENS1_30default_config_static_selectorELNS0_4arch9wavefront6targetE0EEEvT1_,"axG",@progbits,_ZN7rocprim17ROCPRIM_400000_NS6detail17trampoline_kernelINS0_14default_configENS1_33run_length_encode_config_selectorIjjNS0_4plusIjEEEEZZNS1_33reduce_by_key_impl_wrapped_configILNS1_25lookback_scan_determinismE0ES3_S7_PKjNS0_17constant_iteratorIjlEEPjPlSF_S6_NS0_8equal_toIjEEEE10hipError_tPvRmT2_T3_mT4_T5_T6_T7_T8_P12ihipStream_tbENKUlT_T0_E_clISt17integral_constantIbLb0EESZ_EEDaSU_SV_EUlSU_E_NS1_11comp_targetILNS1_3genE0ELNS1_11target_archE4294967295ELNS1_3gpuE0ELNS1_3repE0EEENS1_30default_config_static_selectorELNS0_4arch9wavefront6targetE0EEEvT1_,comdat
.Lfunc_end649:
	.size	_ZN7rocprim17ROCPRIM_400000_NS6detail17trampoline_kernelINS0_14default_configENS1_33run_length_encode_config_selectorIjjNS0_4plusIjEEEEZZNS1_33reduce_by_key_impl_wrapped_configILNS1_25lookback_scan_determinismE0ES3_S7_PKjNS0_17constant_iteratorIjlEEPjPlSF_S6_NS0_8equal_toIjEEEE10hipError_tPvRmT2_T3_mT4_T5_T6_T7_T8_P12ihipStream_tbENKUlT_T0_E_clISt17integral_constantIbLb0EESZ_EEDaSU_SV_EUlSU_E_NS1_11comp_targetILNS1_3genE0ELNS1_11target_archE4294967295ELNS1_3gpuE0ELNS1_3repE0EEENS1_30default_config_static_selectorELNS0_4arch9wavefront6targetE0EEEvT1_, .Lfunc_end649-_ZN7rocprim17ROCPRIM_400000_NS6detail17trampoline_kernelINS0_14default_configENS1_33run_length_encode_config_selectorIjjNS0_4plusIjEEEEZZNS1_33reduce_by_key_impl_wrapped_configILNS1_25lookback_scan_determinismE0ES3_S7_PKjNS0_17constant_iteratorIjlEEPjPlSF_S6_NS0_8equal_toIjEEEE10hipError_tPvRmT2_T3_mT4_T5_T6_T7_T8_P12ihipStream_tbENKUlT_T0_E_clISt17integral_constantIbLb0EESZ_EEDaSU_SV_EUlSU_E_NS1_11comp_targetILNS1_3genE0ELNS1_11target_archE4294967295ELNS1_3gpuE0ELNS1_3repE0EEENS1_30default_config_static_selectorELNS0_4arch9wavefront6targetE0EEEvT1_
                                        ; -- End function
	.set _ZN7rocprim17ROCPRIM_400000_NS6detail17trampoline_kernelINS0_14default_configENS1_33run_length_encode_config_selectorIjjNS0_4plusIjEEEEZZNS1_33reduce_by_key_impl_wrapped_configILNS1_25lookback_scan_determinismE0ES3_S7_PKjNS0_17constant_iteratorIjlEEPjPlSF_S6_NS0_8equal_toIjEEEE10hipError_tPvRmT2_T3_mT4_T5_T6_T7_T8_P12ihipStream_tbENKUlT_T0_E_clISt17integral_constantIbLb0EESZ_EEDaSU_SV_EUlSU_E_NS1_11comp_targetILNS1_3genE0ELNS1_11target_archE4294967295ELNS1_3gpuE0ELNS1_3repE0EEENS1_30default_config_static_selectorELNS0_4arch9wavefront6targetE0EEEvT1_.num_vgpr, 102
	.set _ZN7rocprim17ROCPRIM_400000_NS6detail17trampoline_kernelINS0_14default_configENS1_33run_length_encode_config_selectorIjjNS0_4plusIjEEEEZZNS1_33reduce_by_key_impl_wrapped_configILNS1_25lookback_scan_determinismE0ES3_S7_PKjNS0_17constant_iteratorIjlEEPjPlSF_S6_NS0_8equal_toIjEEEE10hipError_tPvRmT2_T3_mT4_T5_T6_T7_T8_P12ihipStream_tbENKUlT_T0_E_clISt17integral_constantIbLb0EESZ_EEDaSU_SV_EUlSU_E_NS1_11comp_targetILNS1_3genE0ELNS1_11target_archE4294967295ELNS1_3gpuE0ELNS1_3repE0EEENS1_30default_config_static_selectorELNS0_4arch9wavefront6targetE0EEEvT1_.num_agpr, 0
	.set _ZN7rocprim17ROCPRIM_400000_NS6detail17trampoline_kernelINS0_14default_configENS1_33run_length_encode_config_selectorIjjNS0_4plusIjEEEEZZNS1_33reduce_by_key_impl_wrapped_configILNS1_25lookback_scan_determinismE0ES3_S7_PKjNS0_17constant_iteratorIjlEEPjPlSF_S6_NS0_8equal_toIjEEEE10hipError_tPvRmT2_T3_mT4_T5_T6_T7_T8_P12ihipStream_tbENKUlT_T0_E_clISt17integral_constantIbLb0EESZ_EEDaSU_SV_EUlSU_E_NS1_11comp_targetILNS1_3genE0ELNS1_11target_archE4294967295ELNS1_3gpuE0ELNS1_3repE0EEENS1_30default_config_static_selectorELNS0_4arch9wavefront6targetE0EEEvT1_.numbered_sgpr, 39
	.set _ZN7rocprim17ROCPRIM_400000_NS6detail17trampoline_kernelINS0_14default_configENS1_33run_length_encode_config_selectorIjjNS0_4plusIjEEEEZZNS1_33reduce_by_key_impl_wrapped_configILNS1_25lookback_scan_determinismE0ES3_S7_PKjNS0_17constant_iteratorIjlEEPjPlSF_S6_NS0_8equal_toIjEEEE10hipError_tPvRmT2_T3_mT4_T5_T6_T7_T8_P12ihipStream_tbENKUlT_T0_E_clISt17integral_constantIbLb0EESZ_EEDaSU_SV_EUlSU_E_NS1_11comp_targetILNS1_3genE0ELNS1_11target_archE4294967295ELNS1_3gpuE0ELNS1_3repE0EEENS1_30default_config_static_selectorELNS0_4arch9wavefront6targetE0EEEvT1_.num_named_barrier, 0
	.set _ZN7rocprim17ROCPRIM_400000_NS6detail17trampoline_kernelINS0_14default_configENS1_33run_length_encode_config_selectorIjjNS0_4plusIjEEEEZZNS1_33reduce_by_key_impl_wrapped_configILNS1_25lookback_scan_determinismE0ES3_S7_PKjNS0_17constant_iteratorIjlEEPjPlSF_S6_NS0_8equal_toIjEEEE10hipError_tPvRmT2_T3_mT4_T5_T6_T7_T8_P12ihipStream_tbENKUlT_T0_E_clISt17integral_constantIbLb0EESZ_EEDaSU_SV_EUlSU_E_NS1_11comp_targetILNS1_3genE0ELNS1_11target_archE4294967295ELNS1_3gpuE0ELNS1_3repE0EEENS1_30default_config_static_selectorELNS0_4arch9wavefront6targetE0EEEvT1_.private_seg_size, 0
	.set _ZN7rocprim17ROCPRIM_400000_NS6detail17trampoline_kernelINS0_14default_configENS1_33run_length_encode_config_selectorIjjNS0_4plusIjEEEEZZNS1_33reduce_by_key_impl_wrapped_configILNS1_25lookback_scan_determinismE0ES3_S7_PKjNS0_17constant_iteratorIjlEEPjPlSF_S6_NS0_8equal_toIjEEEE10hipError_tPvRmT2_T3_mT4_T5_T6_T7_T8_P12ihipStream_tbENKUlT_T0_E_clISt17integral_constantIbLb0EESZ_EEDaSU_SV_EUlSU_E_NS1_11comp_targetILNS1_3genE0ELNS1_11target_archE4294967295ELNS1_3gpuE0ELNS1_3repE0EEENS1_30default_config_static_selectorELNS0_4arch9wavefront6targetE0EEEvT1_.uses_vcc, 1
	.set _ZN7rocprim17ROCPRIM_400000_NS6detail17trampoline_kernelINS0_14default_configENS1_33run_length_encode_config_selectorIjjNS0_4plusIjEEEEZZNS1_33reduce_by_key_impl_wrapped_configILNS1_25lookback_scan_determinismE0ES3_S7_PKjNS0_17constant_iteratorIjlEEPjPlSF_S6_NS0_8equal_toIjEEEE10hipError_tPvRmT2_T3_mT4_T5_T6_T7_T8_P12ihipStream_tbENKUlT_T0_E_clISt17integral_constantIbLb0EESZ_EEDaSU_SV_EUlSU_E_NS1_11comp_targetILNS1_3genE0ELNS1_11target_archE4294967295ELNS1_3gpuE0ELNS1_3repE0EEENS1_30default_config_static_selectorELNS0_4arch9wavefront6targetE0EEEvT1_.uses_flat_scratch, 0
	.set _ZN7rocprim17ROCPRIM_400000_NS6detail17trampoline_kernelINS0_14default_configENS1_33run_length_encode_config_selectorIjjNS0_4plusIjEEEEZZNS1_33reduce_by_key_impl_wrapped_configILNS1_25lookback_scan_determinismE0ES3_S7_PKjNS0_17constant_iteratorIjlEEPjPlSF_S6_NS0_8equal_toIjEEEE10hipError_tPvRmT2_T3_mT4_T5_T6_T7_T8_P12ihipStream_tbENKUlT_T0_E_clISt17integral_constantIbLb0EESZ_EEDaSU_SV_EUlSU_E_NS1_11comp_targetILNS1_3genE0ELNS1_11target_archE4294967295ELNS1_3gpuE0ELNS1_3repE0EEENS1_30default_config_static_selectorELNS0_4arch9wavefront6targetE0EEEvT1_.has_dyn_sized_stack, 0
	.set _ZN7rocprim17ROCPRIM_400000_NS6detail17trampoline_kernelINS0_14default_configENS1_33run_length_encode_config_selectorIjjNS0_4plusIjEEEEZZNS1_33reduce_by_key_impl_wrapped_configILNS1_25lookback_scan_determinismE0ES3_S7_PKjNS0_17constant_iteratorIjlEEPjPlSF_S6_NS0_8equal_toIjEEEE10hipError_tPvRmT2_T3_mT4_T5_T6_T7_T8_P12ihipStream_tbENKUlT_T0_E_clISt17integral_constantIbLb0EESZ_EEDaSU_SV_EUlSU_E_NS1_11comp_targetILNS1_3genE0ELNS1_11target_archE4294967295ELNS1_3gpuE0ELNS1_3repE0EEENS1_30default_config_static_selectorELNS0_4arch9wavefront6targetE0EEEvT1_.has_recursion, 0
	.set _ZN7rocprim17ROCPRIM_400000_NS6detail17trampoline_kernelINS0_14default_configENS1_33run_length_encode_config_selectorIjjNS0_4plusIjEEEEZZNS1_33reduce_by_key_impl_wrapped_configILNS1_25lookback_scan_determinismE0ES3_S7_PKjNS0_17constant_iteratorIjlEEPjPlSF_S6_NS0_8equal_toIjEEEE10hipError_tPvRmT2_T3_mT4_T5_T6_T7_T8_P12ihipStream_tbENKUlT_T0_E_clISt17integral_constantIbLb0EESZ_EEDaSU_SV_EUlSU_E_NS1_11comp_targetILNS1_3genE0ELNS1_11target_archE4294967295ELNS1_3gpuE0ELNS1_3repE0EEENS1_30default_config_static_selectorELNS0_4arch9wavefront6targetE0EEEvT1_.has_indirect_call, 0
	.section	.AMDGPU.csdata,"",@progbits
; Kernel info:
; codeLenInByte = 14976
; TotalNumSgprs: 41
; NumVgprs: 102
; ScratchSize: 0
; MemoryBound: 0
; FloatMode: 240
; IeeeMode: 1
; LDSByteSize: 14336 bytes/workgroup (compile time only)
; SGPRBlocks: 0
; VGPRBlocks: 6
; NumSGPRsForWavesPerEU: 41
; NumVGPRsForWavesPerEU: 102
; NamedBarCnt: 0
; Occupancy: 9
; WaveLimiterHint : 1
; COMPUTE_PGM_RSRC2:SCRATCH_EN: 0
; COMPUTE_PGM_RSRC2:USER_SGPR: 2
; COMPUTE_PGM_RSRC2:TRAP_HANDLER: 0
; COMPUTE_PGM_RSRC2:TGID_X_EN: 1
; COMPUTE_PGM_RSRC2:TGID_Y_EN: 0
; COMPUTE_PGM_RSRC2:TGID_Z_EN: 0
; COMPUTE_PGM_RSRC2:TIDIG_COMP_CNT: 0
	.section	.text._ZN7rocprim17ROCPRIM_400000_NS6detail17trampoline_kernelINS0_14default_configENS1_33run_length_encode_config_selectorIjjNS0_4plusIjEEEEZZNS1_33reduce_by_key_impl_wrapped_configILNS1_25lookback_scan_determinismE0ES3_S7_PKjNS0_17constant_iteratorIjlEEPjPlSF_S6_NS0_8equal_toIjEEEE10hipError_tPvRmT2_T3_mT4_T5_T6_T7_T8_P12ihipStream_tbENKUlT_T0_E_clISt17integral_constantIbLb0EESZ_EEDaSU_SV_EUlSU_E_NS1_11comp_targetILNS1_3genE5ELNS1_11target_archE942ELNS1_3gpuE9ELNS1_3repE0EEENS1_30default_config_static_selectorELNS0_4arch9wavefront6targetE0EEEvT1_,"axG",@progbits,_ZN7rocprim17ROCPRIM_400000_NS6detail17trampoline_kernelINS0_14default_configENS1_33run_length_encode_config_selectorIjjNS0_4plusIjEEEEZZNS1_33reduce_by_key_impl_wrapped_configILNS1_25lookback_scan_determinismE0ES3_S7_PKjNS0_17constant_iteratorIjlEEPjPlSF_S6_NS0_8equal_toIjEEEE10hipError_tPvRmT2_T3_mT4_T5_T6_T7_T8_P12ihipStream_tbENKUlT_T0_E_clISt17integral_constantIbLb0EESZ_EEDaSU_SV_EUlSU_E_NS1_11comp_targetILNS1_3genE5ELNS1_11target_archE942ELNS1_3gpuE9ELNS1_3repE0EEENS1_30default_config_static_selectorELNS0_4arch9wavefront6targetE0EEEvT1_,comdat
	.protected	_ZN7rocprim17ROCPRIM_400000_NS6detail17trampoline_kernelINS0_14default_configENS1_33run_length_encode_config_selectorIjjNS0_4plusIjEEEEZZNS1_33reduce_by_key_impl_wrapped_configILNS1_25lookback_scan_determinismE0ES3_S7_PKjNS0_17constant_iteratorIjlEEPjPlSF_S6_NS0_8equal_toIjEEEE10hipError_tPvRmT2_T3_mT4_T5_T6_T7_T8_P12ihipStream_tbENKUlT_T0_E_clISt17integral_constantIbLb0EESZ_EEDaSU_SV_EUlSU_E_NS1_11comp_targetILNS1_3genE5ELNS1_11target_archE942ELNS1_3gpuE9ELNS1_3repE0EEENS1_30default_config_static_selectorELNS0_4arch9wavefront6targetE0EEEvT1_ ; -- Begin function _ZN7rocprim17ROCPRIM_400000_NS6detail17trampoline_kernelINS0_14default_configENS1_33run_length_encode_config_selectorIjjNS0_4plusIjEEEEZZNS1_33reduce_by_key_impl_wrapped_configILNS1_25lookback_scan_determinismE0ES3_S7_PKjNS0_17constant_iteratorIjlEEPjPlSF_S6_NS0_8equal_toIjEEEE10hipError_tPvRmT2_T3_mT4_T5_T6_T7_T8_P12ihipStream_tbENKUlT_T0_E_clISt17integral_constantIbLb0EESZ_EEDaSU_SV_EUlSU_E_NS1_11comp_targetILNS1_3genE5ELNS1_11target_archE942ELNS1_3gpuE9ELNS1_3repE0EEENS1_30default_config_static_selectorELNS0_4arch9wavefront6targetE0EEEvT1_
	.globl	_ZN7rocprim17ROCPRIM_400000_NS6detail17trampoline_kernelINS0_14default_configENS1_33run_length_encode_config_selectorIjjNS0_4plusIjEEEEZZNS1_33reduce_by_key_impl_wrapped_configILNS1_25lookback_scan_determinismE0ES3_S7_PKjNS0_17constant_iteratorIjlEEPjPlSF_S6_NS0_8equal_toIjEEEE10hipError_tPvRmT2_T3_mT4_T5_T6_T7_T8_P12ihipStream_tbENKUlT_T0_E_clISt17integral_constantIbLb0EESZ_EEDaSU_SV_EUlSU_E_NS1_11comp_targetILNS1_3genE5ELNS1_11target_archE942ELNS1_3gpuE9ELNS1_3repE0EEENS1_30default_config_static_selectorELNS0_4arch9wavefront6targetE0EEEvT1_
	.p2align	8
	.type	_ZN7rocprim17ROCPRIM_400000_NS6detail17trampoline_kernelINS0_14default_configENS1_33run_length_encode_config_selectorIjjNS0_4plusIjEEEEZZNS1_33reduce_by_key_impl_wrapped_configILNS1_25lookback_scan_determinismE0ES3_S7_PKjNS0_17constant_iteratorIjlEEPjPlSF_S6_NS0_8equal_toIjEEEE10hipError_tPvRmT2_T3_mT4_T5_T6_T7_T8_P12ihipStream_tbENKUlT_T0_E_clISt17integral_constantIbLb0EESZ_EEDaSU_SV_EUlSU_E_NS1_11comp_targetILNS1_3genE5ELNS1_11target_archE942ELNS1_3gpuE9ELNS1_3repE0EEENS1_30default_config_static_selectorELNS0_4arch9wavefront6targetE0EEEvT1_,@function
_ZN7rocprim17ROCPRIM_400000_NS6detail17trampoline_kernelINS0_14default_configENS1_33run_length_encode_config_selectorIjjNS0_4plusIjEEEEZZNS1_33reduce_by_key_impl_wrapped_configILNS1_25lookback_scan_determinismE0ES3_S7_PKjNS0_17constant_iteratorIjlEEPjPlSF_S6_NS0_8equal_toIjEEEE10hipError_tPvRmT2_T3_mT4_T5_T6_T7_T8_P12ihipStream_tbENKUlT_T0_E_clISt17integral_constantIbLb0EESZ_EEDaSU_SV_EUlSU_E_NS1_11comp_targetILNS1_3genE5ELNS1_11target_archE942ELNS1_3gpuE9ELNS1_3repE0EEENS1_30default_config_static_selectorELNS0_4arch9wavefront6targetE0EEEvT1_: ; @_ZN7rocprim17ROCPRIM_400000_NS6detail17trampoline_kernelINS0_14default_configENS1_33run_length_encode_config_selectorIjjNS0_4plusIjEEEEZZNS1_33reduce_by_key_impl_wrapped_configILNS1_25lookback_scan_determinismE0ES3_S7_PKjNS0_17constant_iteratorIjlEEPjPlSF_S6_NS0_8equal_toIjEEEE10hipError_tPvRmT2_T3_mT4_T5_T6_T7_T8_P12ihipStream_tbENKUlT_T0_E_clISt17integral_constantIbLb0EESZ_EEDaSU_SV_EUlSU_E_NS1_11comp_targetILNS1_3genE5ELNS1_11target_archE942ELNS1_3gpuE9ELNS1_3repE0EEENS1_30default_config_static_selectorELNS0_4arch9wavefront6targetE0EEEvT1_
; %bb.0:
	.section	.rodata,"a",@progbits
	.p2align	6, 0x0
	.amdhsa_kernel _ZN7rocprim17ROCPRIM_400000_NS6detail17trampoline_kernelINS0_14default_configENS1_33run_length_encode_config_selectorIjjNS0_4plusIjEEEEZZNS1_33reduce_by_key_impl_wrapped_configILNS1_25lookback_scan_determinismE0ES3_S7_PKjNS0_17constant_iteratorIjlEEPjPlSF_S6_NS0_8equal_toIjEEEE10hipError_tPvRmT2_T3_mT4_T5_T6_T7_T8_P12ihipStream_tbENKUlT_T0_E_clISt17integral_constantIbLb0EESZ_EEDaSU_SV_EUlSU_E_NS1_11comp_targetILNS1_3genE5ELNS1_11target_archE942ELNS1_3gpuE9ELNS1_3repE0EEENS1_30default_config_static_selectorELNS0_4arch9wavefront6targetE0EEEvT1_
		.amdhsa_group_segment_fixed_size 0
		.amdhsa_private_segment_fixed_size 0
		.amdhsa_kernarg_size 128
		.amdhsa_user_sgpr_count 2
		.amdhsa_user_sgpr_dispatch_ptr 0
		.amdhsa_user_sgpr_queue_ptr 0
		.amdhsa_user_sgpr_kernarg_segment_ptr 1
		.amdhsa_user_sgpr_dispatch_id 0
		.amdhsa_user_sgpr_kernarg_preload_length 0
		.amdhsa_user_sgpr_kernarg_preload_offset 0
		.amdhsa_user_sgpr_private_segment_size 0
		.amdhsa_wavefront_size32 1
		.amdhsa_uses_dynamic_stack 0
		.amdhsa_enable_private_segment 0
		.amdhsa_system_sgpr_workgroup_id_x 1
		.amdhsa_system_sgpr_workgroup_id_y 0
		.amdhsa_system_sgpr_workgroup_id_z 0
		.amdhsa_system_sgpr_workgroup_info 0
		.amdhsa_system_vgpr_workitem_id 0
		.amdhsa_next_free_vgpr 1
		.amdhsa_next_free_sgpr 1
		.amdhsa_named_barrier_count 0
		.amdhsa_reserve_vcc 0
		.amdhsa_float_round_mode_32 0
		.amdhsa_float_round_mode_16_64 0
		.amdhsa_float_denorm_mode_32 3
		.amdhsa_float_denorm_mode_16_64 3
		.amdhsa_fp16_overflow 0
		.amdhsa_memory_ordered 1
		.amdhsa_forward_progress 1
		.amdhsa_inst_pref_size 0
		.amdhsa_round_robin_scheduling 0
		.amdhsa_exception_fp_ieee_invalid_op 0
		.amdhsa_exception_fp_denorm_src 0
		.amdhsa_exception_fp_ieee_div_zero 0
		.amdhsa_exception_fp_ieee_overflow 0
		.amdhsa_exception_fp_ieee_underflow 0
		.amdhsa_exception_fp_ieee_inexact 0
		.amdhsa_exception_int_div_zero 0
	.end_amdhsa_kernel
	.section	.text._ZN7rocprim17ROCPRIM_400000_NS6detail17trampoline_kernelINS0_14default_configENS1_33run_length_encode_config_selectorIjjNS0_4plusIjEEEEZZNS1_33reduce_by_key_impl_wrapped_configILNS1_25lookback_scan_determinismE0ES3_S7_PKjNS0_17constant_iteratorIjlEEPjPlSF_S6_NS0_8equal_toIjEEEE10hipError_tPvRmT2_T3_mT4_T5_T6_T7_T8_P12ihipStream_tbENKUlT_T0_E_clISt17integral_constantIbLb0EESZ_EEDaSU_SV_EUlSU_E_NS1_11comp_targetILNS1_3genE5ELNS1_11target_archE942ELNS1_3gpuE9ELNS1_3repE0EEENS1_30default_config_static_selectorELNS0_4arch9wavefront6targetE0EEEvT1_,"axG",@progbits,_ZN7rocprim17ROCPRIM_400000_NS6detail17trampoline_kernelINS0_14default_configENS1_33run_length_encode_config_selectorIjjNS0_4plusIjEEEEZZNS1_33reduce_by_key_impl_wrapped_configILNS1_25lookback_scan_determinismE0ES3_S7_PKjNS0_17constant_iteratorIjlEEPjPlSF_S6_NS0_8equal_toIjEEEE10hipError_tPvRmT2_T3_mT4_T5_T6_T7_T8_P12ihipStream_tbENKUlT_T0_E_clISt17integral_constantIbLb0EESZ_EEDaSU_SV_EUlSU_E_NS1_11comp_targetILNS1_3genE5ELNS1_11target_archE942ELNS1_3gpuE9ELNS1_3repE0EEENS1_30default_config_static_selectorELNS0_4arch9wavefront6targetE0EEEvT1_,comdat
.Lfunc_end650:
	.size	_ZN7rocprim17ROCPRIM_400000_NS6detail17trampoline_kernelINS0_14default_configENS1_33run_length_encode_config_selectorIjjNS0_4plusIjEEEEZZNS1_33reduce_by_key_impl_wrapped_configILNS1_25lookback_scan_determinismE0ES3_S7_PKjNS0_17constant_iteratorIjlEEPjPlSF_S6_NS0_8equal_toIjEEEE10hipError_tPvRmT2_T3_mT4_T5_T6_T7_T8_P12ihipStream_tbENKUlT_T0_E_clISt17integral_constantIbLb0EESZ_EEDaSU_SV_EUlSU_E_NS1_11comp_targetILNS1_3genE5ELNS1_11target_archE942ELNS1_3gpuE9ELNS1_3repE0EEENS1_30default_config_static_selectorELNS0_4arch9wavefront6targetE0EEEvT1_, .Lfunc_end650-_ZN7rocprim17ROCPRIM_400000_NS6detail17trampoline_kernelINS0_14default_configENS1_33run_length_encode_config_selectorIjjNS0_4plusIjEEEEZZNS1_33reduce_by_key_impl_wrapped_configILNS1_25lookback_scan_determinismE0ES3_S7_PKjNS0_17constant_iteratorIjlEEPjPlSF_S6_NS0_8equal_toIjEEEE10hipError_tPvRmT2_T3_mT4_T5_T6_T7_T8_P12ihipStream_tbENKUlT_T0_E_clISt17integral_constantIbLb0EESZ_EEDaSU_SV_EUlSU_E_NS1_11comp_targetILNS1_3genE5ELNS1_11target_archE942ELNS1_3gpuE9ELNS1_3repE0EEENS1_30default_config_static_selectorELNS0_4arch9wavefront6targetE0EEEvT1_
                                        ; -- End function
	.set _ZN7rocprim17ROCPRIM_400000_NS6detail17trampoline_kernelINS0_14default_configENS1_33run_length_encode_config_selectorIjjNS0_4plusIjEEEEZZNS1_33reduce_by_key_impl_wrapped_configILNS1_25lookback_scan_determinismE0ES3_S7_PKjNS0_17constant_iteratorIjlEEPjPlSF_S6_NS0_8equal_toIjEEEE10hipError_tPvRmT2_T3_mT4_T5_T6_T7_T8_P12ihipStream_tbENKUlT_T0_E_clISt17integral_constantIbLb0EESZ_EEDaSU_SV_EUlSU_E_NS1_11comp_targetILNS1_3genE5ELNS1_11target_archE942ELNS1_3gpuE9ELNS1_3repE0EEENS1_30default_config_static_selectorELNS0_4arch9wavefront6targetE0EEEvT1_.num_vgpr, 0
	.set _ZN7rocprim17ROCPRIM_400000_NS6detail17trampoline_kernelINS0_14default_configENS1_33run_length_encode_config_selectorIjjNS0_4plusIjEEEEZZNS1_33reduce_by_key_impl_wrapped_configILNS1_25lookback_scan_determinismE0ES3_S7_PKjNS0_17constant_iteratorIjlEEPjPlSF_S6_NS0_8equal_toIjEEEE10hipError_tPvRmT2_T3_mT4_T5_T6_T7_T8_P12ihipStream_tbENKUlT_T0_E_clISt17integral_constantIbLb0EESZ_EEDaSU_SV_EUlSU_E_NS1_11comp_targetILNS1_3genE5ELNS1_11target_archE942ELNS1_3gpuE9ELNS1_3repE0EEENS1_30default_config_static_selectorELNS0_4arch9wavefront6targetE0EEEvT1_.num_agpr, 0
	.set _ZN7rocprim17ROCPRIM_400000_NS6detail17trampoline_kernelINS0_14default_configENS1_33run_length_encode_config_selectorIjjNS0_4plusIjEEEEZZNS1_33reduce_by_key_impl_wrapped_configILNS1_25lookback_scan_determinismE0ES3_S7_PKjNS0_17constant_iteratorIjlEEPjPlSF_S6_NS0_8equal_toIjEEEE10hipError_tPvRmT2_T3_mT4_T5_T6_T7_T8_P12ihipStream_tbENKUlT_T0_E_clISt17integral_constantIbLb0EESZ_EEDaSU_SV_EUlSU_E_NS1_11comp_targetILNS1_3genE5ELNS1_11target_archE942ELNS1_3gpuE9ELNS1_3repE0EEENS1_30default_config_static_selectorELNS0_4arch9wavefront6targetE0EEEvT1_.numbered_sgpr, 0
	.set _ZN7rocprim17ROCPRIM_400000_NS6detail17trampoline_kernelINS0_14default_configENS1_33run_length_encode_config_selectorIjjNS0_4plusIjEEEEZZNS1_33reduce_by_key_impl_wrapped_configILNS1_25lookback_scan_determinismE0ES3_S7_PKjNS0_17constant_iteratorIjlEEPjPlSF_S6_NS0_8equal_toIjEEEE10hipError_tPvRmT2_T3_mT4_T5_T6_T7_T8_P12ihipStream_tbENKUlT_T0_E_clISt17integral_constantIbLb0EESZ_EEDaSU_SV_EUlSU_E_NS1_11comp_targetILNS1_3genE5ELNS1_11target_archE942ELNS1_3gpuE9ELNS1_3repE0EEENS1_30default_config_static_selectorELNS0_4arch9wavefront6targetE0EEEvT1_.num_named_barrier, 0
	.set _ZN7rocprim17ROCPRIM_400000_NS6detail17trampoline_kernelINS0_14default_configENS1_33run_length_encode_config_selectorIjjNS0_4plusIjEEEEZZNS1_33reduce_by_key_impl_wrapped_configILNS1_25lookback_scan_determinismE0ES3_S7_PKjNS0_17constant_iteratorIjlEEPjPlSF_S6_NS0_8equal_toIjEEEE10hipError_tPvRmT2_T3_mT4_T5_T6_T7_T8_P12ihipStream_tbENKUlT_T0_E_clISt17integral_constantIbLb0EESZ_EEDaSU_SV_EUlSU_E_NS1_11comp_targetILNS1_3genE5ELNS1_11target_archE942ELNS1_3gpuE9ELNS1_3repE0EEENS1_30default_config_static_selectorELNS0_4arch9wavefront6targetE0EEEvT1_.private_seg_size, 0
	.set _ZN7rocprim17ROCPRIM_400000_NS6detail17trampoline_kernelINS0_14default_configENS1_33run_length_encode_config_selectorIjjNS0_4plusIjEEEEZZNS1_33reduce_by_key_impl_wrapped_configILNS1_25lookback_scan_determinismE0ES3_S7_PKjNS0_17constant_iteratorIjlEEPjPlSF_S6_NS0_8equal_toIjEEEE10hipError_tPvRmT2_T3_mT4_T5_T6_T7_T8_P12ihipStream_tbENKUlT_T0_E_clISt17integral_constantIbLb0EESZ_EEDaSU_SV_EUlSU_E_NS1_11comp_targetILNS1_3genE5ELNS1_11target_archE942ELNS1_3gpuE9ELNS1_3repE0EEENS1_30default_config_static_selectorELNS0_4arch9wavefront6targetE0EEEvT1_.uses_vcc, 0
	.set _ZN7rocprim17ROCPRIM_400000_NS6detail17trampoline_kernelINS0_14default_configENS1_33run_length_encode_config_selectorIjjNS0_4plusIjEEEEZZNS1_33reduce_by_key_impl_wrapped_configILNS1_25lookback_scan_determinismE0ES3_S7_PKjNS0_17constant_iteratorIjlEEPjPlSF_S6_NS0_8equal_toIjEEEE10hipError_tPvRmT2_T3_mT4_T5_T6_T7_T8_P12ihipStream_tbENKUlT_T0_E_clISt17integral_constantIbLb0EESZ_EEDaSU_SV_EUlSU_E_NS1_11comp_targetILNS1_3genE5ELNS1_11target_archE942ELNS1_3gpuE9ELNS1_3repE0EEENS1_30default_config_static_selectorELNS0_4arch9wavefront6targetE0EEEvT1_.uses_flat_scratch, 0
	.set _ZN7rocprim17ROCPRIM_400000_NS6detail17trampoline_kernelINS0_14default_configENS1_33run_length_encode_config_selectorIjjNS0_4plusIjEEEEZZNS1_33reduce_by_key_impl_wrapped_configILNS1_25lookback_scan_determinismE0ES3_S7_PKjNS0_17constant_iteratorIjlEEPjPlSF_S6_NS0_8equal_toIjEEEE10hipError_tPvRmT2_T3_mT4_T5_T6_T7_T8_P12ihipStream_tbENKUlT_T0_E_clISt17integral_constantIbLb0EESZ_EEDaSU_SV_EUlSU_E_NS1_11comp_targetILNS1_3genE5ELNS1_11target_archE942ELNS1_3gpuE9ELNS1_3repE0EEENS1_30default_config_static_selectorELNS0_4arch9wavefront6targetE0EEEvT1_.has_dyn_sized_stack, 0
	.set _ZN7rocprim17ROCPRIM_400000_NS6detail17trampoline_kernelINS0_14default_configENS1_33run_length_encode_config_selectorIjjNS0_4plusIjEEEEZZNS1_33reduce_by_key_impl_wrapped_configILNS1_25lookback_scan_determinismE0ES3_S7_PKjNS0_17constant_iteratorIjlEEPjPlSF_S6_NS0_8equal_toIjEEEE10hipError_tPvRmT2_T3_mT4_T5_T6_T7_T8_P12ihipStream_tbENKUlT_T0_E_clISt17integral_constantIbLb0EESZ_EEDaSU_SV_EUlSU_E_NS1_11comp_targetILNS1_3genE5ELNS1_11target_archE942ELNS1_3gpuE9ELNS1_3repE0EEENS1_30default_config_static_selectorELNS0_4arch9wavefront6targetE0EEEvT1_.has_recursion, 0
	.set _ZN7rocprim17ROCPRIM_400000_NS6detail17trampoline_kernelINS0_14default_configENS1_33run_length_encode_config_selectorIjjNS0_4plusIjEEEEZZNS1_33reduce_by_key_impl_wrapped_configILNS1_25lookback_scan_determinismE0ES3_S7_PKjNS0_17constant_iteratorIjlEEPjPlSF_S6_NS0_8equal_toIjEEEE10hipError_tPvRmT2_T3_mT4_T5_T6_T7_T8_P12ihipStream_tbENKUlT_T0_E_clISt17integral_constantIbLb0EESZ_EEDaSU_SV_EUlSU_E_NS1_11comp_targetILNS1_3genE5ELNS1_11target_archE942ELNS1_3gpuE9ELNS1_3repE0EEENS1_30default_config_static_selectorELNS0_4arch9wavefront6targetE0EEEvT1_.has_indirect_call, 0
	.section	.AMDGPU.csdata,"",@progbits
; Kernel info:
; codeLenInByte = 0
; TotalNumSgprs: 0
; NumVgprs: 0
; ScratchSize: 0
; MemoryBound: 0
; FloatMode: 240
; IeeeMode: 1
; LDSByteSize: 0 bytes/workgroup (compile time only)
; SGPRBlocks: 0
; VGPRBlocks: 0
; NumSGPRsForWavesPerEU: 1
; NumVGPRsForWavesPerEU: 1
; NamedBarCnt: 0
; Occupancy: 16
; WaveLimiterHint : 0
; COMPUTE_PGM_RSRC2:SCRATCH_EN: 0
; COMPUTE_PGM_RSRC2:USER_SGPR: 2
; COMPUTE_PGM_RSRC2:TRAP_HANDLER: 0
; COMPUTE_PGM_RSRC2:TGID_X_EN: 1
; COMPUTE_PGM_RSRC2:TGID_Y_EN: 0
; COMPUTE_PGM_RSRC2:TGID_Z_EN: 0
; COMPUTE_PGM_RSRC2:TIDIG_COMP_CNT: 0
	.section	.text._ZN7rocprim17ROCPRIM_400000_NS6detail17trampoline_kernelINS0_14default_configENS1_33run_length_encode_config_selectorIjjNS0_4plusIjEEEEZZNS1_33reduce_by_key_impl_wrapped_configILNS1_25lookback_scan_determinismE0ES3_S7_PKjNS0_17constant_iteratorIjlEEPjPlSF_S6_NS0_8equal_toIjEEEE10hipError_tPvRmT2_T3_mT4_T5_T6_T7_T8_P12ihipStream_tbENKUlT_T0_E_clISt17integral_constantIbLb0EESZ_EEDaSU_SV_EUlSU_E_NS1_11comp_targetILNS1_3genE4ELNS1_11target_archE910ELNS1_3gpuE8ELNS1_3repE0EEENS1_30default_config_static_selectorELNS0_4arch9wavefront6targetE0EEEvT1_,"axG",@progbits,_ZN7rocprim17ROCPRIM_400000_NS6detail17trampoline_kernelINS0_14default_configENS1_33run_length_encode_config_selectorIjjNS0_4plusIjEEEEZZNS1_33reduce_by_key_impl_wrapped_configILNS1_25lookback_scan_determinismE0ES3_S7_PKjNS0_17constant_iteratorIjlEEPjPlSF_S6_NS0_8equal_toIjEEEE10hipError_tPvRmT2_T3_mT4_T5_T6_T7_T8_P12ihipStream_tbENKUlT_T0_E_clISt17integral_constantIbLb0EESZ_EEDaSU_SV_EUlSU_E_NS1_11comp_targetILNS1_3genE4ELNS1_11target_archE910ELNS1_3gpuE8ELNS1_3repE0EEENS1_30default_config_static_selectorELNS0_4arch9wavefront6targetE0EEEvT1_,comdat
	.protected	_ZN7rocprim17ROCPRIM_400000_NS6detail17trampoline_kernelINS0_14default_configENS1_33run_length_encode_config_selectorIjjNS0_4plusIjEEEEZZNS1_33reduce_by_key_impl_wrapped_configILNS1_25lookback_scan_determinismE0ES3_S7_PKjNS0_17constant_iteratorIjlEEPjPlSF_S6_NS0_8equal_toIjEEEE10hipError_tPvRmT2_T3_mT4_T5_T6_T7_T8_P12ihipStream_tbENKUlT_T0_E_clISt17integral_constantIbLb0EESZ_EEDaSU_SV_EUlSU_E_NS1_11comp_targetILNS1_3genE4ELNS1_11target_archE910ELNS1_3gpuE8ELNS1_3repE0EEENS1_30default_config_static_selectorELNS0_4arch9wavefront6targetE0EEEvT1_ ; -- Begin function _ZN7rocprim17ROCPRIM_400000_NS6detail17trampoline_kernelINS0_14default_configENS1_33run_length_encode_config_selectorIjjNS0_4plusIjEEEEZZNS1_33reduce_by_key_impl_wrapped_configILNS1_25lookback_scan_determinismE0ES3_S7_PKjNS0_17constant_iteratorIjlEEPjPlSF_S6_NS0_8equal_toIjEEEE10hipError_tPvRmT2_T3_mT4_T5_T6_T7_T8_P12ihipStream_tbENKUlT_T0_E_clISt17integral_constantIbLb0EESZ_EEDaSU_SV_EUlSU_E_NS1_11comp_targetILNS1_3genE4ELNS1_11target_archE910ELNS1_3gpuE8ELNS1_3repE0EEENS1_30default_config_static_selectorELNS0_4arch9wavefront6targetE0EEEvT1_
	.globl	_ZN7rocprim17ROCPRIM_400000_NS6detail17trampoline_kernelINS0_14default_configENS1_33run_length_encode_config_selectorIjjNS0_4plusIjEEEEZZNS1_33reduce_by_key_impl_wrapped_configILNS1_25lookback_scan_determinismE0ES3_S7_PKjNS0_17constant_iteratorIjlEEPjPlSF_S6_NS0_8equal_toIjEEEE10hipError_tPvRmT2_T3_mT4_T5_T6_T7_T8_P12ihipStream_tbENKUlT_T0_E_clISt17integral_constantIbLb0EESZ_EEDaSU_SV_EUlSU_E_NS1_11comp_targetILNS1_3genE4ELNS1_11target_archE910ELNS1_3gpuE8ELNS1_3repE0EEENS1_30default_config_static_selectorELNS0_4arch9wavefront6targetE0EEEvT1_
	.p2align	8
	.type	_ZN7rocprim17ROCPRIM_400000_NS6detail17trampoline_kernelINS0_14default_configENS1_33run_length_encode_config_selectorIjjNS0_4plusIjEEEEZZNS1_33reduce_by_key_impl_wrapped_configILNS1_25lookback_scan_determinismE0ES3_S7_PKjNS0_17constant_iteratorIjlEEPjPlSF_S6_NS0_8equal_toIjEEEE10hipError_tPvRmT2_T3_mT4_T5_T6_T7_T8_P12ihipStream_tbENKUlT_T0_E_clISt17integral_constantIbLb0EESZ_EEDaSU_SV_EUlSU_E_NS1_11comp_targetILNS1_3genE4ELNS1_11target_archE910ELNS1_3gpuE8ELNS1_3repE0EEENS1_30default_config_static_selectorELNS0_4arch9wavefront6targetE0EEEvT1_,@function
_ZN7rocprim17ROCPRIM_400000_NS6detail17trampoline_kernelINS0_14default_configENS1_33run_length_encode_config_selectorIjjNS0_4plusIjEEEEZZNS1_33reduce_by_key_impl_wrapped_configILNS1_25lookback_scan_determinismE0ES3_S7_PKjNS0_17constant_iteratorIjlEEPjPlSF_S6_NS0_8equal_toIjEEEE10hipError_tPvRmT2_T3_mT4_T5_T6_T7_T8_P12ihipStream_tbENKUlT_T0_E_clISt17integral_constantIbLb0EESZ_EEDaSU_SV_EUlSU_E_NS1_11comp_targetILNS1_3genE4ELNS1_11target_archE910ELNS1_3gpuE8ELNS1_3repE0EEENS1_30default_config_static_selectorELNS0_4arch9wavefront6targetE0EEEvT1_: ; @_ZN7rocprim17ROCPRIM_400000_NS6detail17trampoline_kernelINS0_14default_configENS1_33run_length_encode_config_selectorIjjNS0_4plusIjEEEEZZNS1_33reduce_by_key_impl_wrapped_configILNS1_25lookback_scan_determinismE0ES3_S7_PKjNS0_17constant_iteratorIjlEEPjPlSF_S6_NS0_8equal_toIjEEEE10hipError_tPvRmT2_T3_mT4_T5_T6_T7_T8_P12ihipStream_tbENKUlT_T0_E_clISt17integral_constantIbLb0EESZ_EEDaSU_SV_EUlSU_E_NS1_11comp_targetILNS1_3genE4ELNS1_11target_archE910ELNS1_3gpuE8ELNS1_3repE0EEENS1_30default_config_static_selectorELNS0_4arch9wavefront6targetE0EEEvT1_
; %bb.0:
	.section	.rodata,"a",@progbits
	.p2align	6, 0x0
	.amdhsa_kernel _ZN7rocprim17ROCPRIM_400000_NS6detail17trampoline_kernelINS0_14default_configENS1_33run_length_encode_config_selectorIjjNS0_4plusIjEEEEZZNS1_33reduce_by_key_impl_wrapped_configILNS1_25lookback_scan_determinismE0ES3_S7_PKjNS0_17constant_iteratorIjlEEPjPlSF_S6_NS0_8equal_toIjEEEE10hipError_tPvRmT2_T3_mT4_T5_T6_T7_T8_P12ihipStream_tbENKUlT_T0_E_clISt17integral_constantIbLb0EESZ_EEDaSU_SV_EUlSU_E_NS1_11comp_targetILNS1_3genE4ELNS1_11target_archE910ELNS1_3gpuE8ELNS1_3repE0EEENS1_30default_config_static_selectorELNS0_4arch9wavefront6targetE0EEEvT1_
		.amdhsa_group_segment_fixed_size 0
		.amdhsa_private_segment_fixed_size 0
		.amdhsa_kernarg_size 128
		.amdhsa_user_sgpr_count 2
		.amdhsa_user_sgpr_dispatch_ptr 0
		.amdhsa_user_sgpr_queue_ptr 0
		.amdhsa_user_sgpr_kernarg_segment_ptr 1
		.amdhsa_user_sgpr_dispatch_id 0
		.amdhsa_user_sgpr_kernarg_preload_length 0
		.amdhsa_user_sgpr_kernarg_preload_offset 0
		.amdhsa_user_sgpr_private_segment_size 0
		.amdhsa_wavefront_size32 1
		.amdhsa_uses_dynamic_stack 0
		.amdhsa_enable_private_segment 0
		.amdhsa_system_sgpr_workgroup_id_x 1
		.amdhsa_system_sgpr_workgroup_id_y 0
		.amdhsa_system_sgpr_workgroup_id_z 0
		.amdhsa_system_sgpr_workgroup_info 0
		.amdhsa_system_vgpr_workitem_id 0
		.amdhsa_next_free_vgpr 1
		.amdhsa_next_free_sgpr 1
		.amdhsa_named_barrier_count 0
		.amdhsa_reserve_vcc 0
		.amdhsa_float_round_mode_32 0
		.amdhsa_float_round_mode_16_64 0
		.amdhsa_float_denorm_mode_32 3
		.amdhsa_float_denorm_mode_16_64 3
		.amdhsa_fp16_overflow 0
		.amdhsa_memory_ordered 1
		.amdhsa_forward_progress 1
		.amdhsa_inst_pref_size 0
		.amdhsa_round_robin_scheduling 0
		.amdhsa_exception_fp_ieee_invalid_op 0
		.amdhsa_exception_fp_denorm_src 0
		.amdhsa_exception_fp_ieee_div_zero 0
		.amdhsa_exception_fp_ieee_overflow 0
		.amdhsa_exception_fp_ieee_underflow 0
		.amdhsa_exception_fp_ieee_inexact 0
		.amdhsa_exception_int_div_zero 0
	.end_amdhsa_kernel
	.section	.text._ZN7rocprim17ROCPRIM_400000_NS6detail17trampoline_kernelINS0_14default_configENS1_33run_length_encode_config_selectorIjjNS0_4plusIjEEEEZZNS1_33reduce_by_key_impl_wrapped_configILNS1_25lookback_scan_determinismE0ES3_S7_PKjNS0_17constant_iteratorIjlEEPjPlSF_S6_NS0_8equal_toIjEEEE10hipError_tPvRmT2_T3_mT4_T5_T6_T7_T8_P12ihipStream_tbENKUlT_T0_E_clISt17integral_constantIbLb0EESZ_EEDaSU_SV_EUlSU_E_NS1_11comp_targetILNS1_3genE4ELNS1_11target_archE910ELNS1_3gpuE8ELNS1_3repE0EEENS1_30default_config_static_selectorELNS0_4arch9wavefront6targetE0EEEvT1_,"axG",@progbits,_ZN7rocprim17ROCPRIM_400000_NS6detail17trampoline_kernelINS0_14default_configENS1_33run_length_encode_config_selectorIjjNS0_4plusIjEEEEZZNS1_33reduce_by_key_impl_wrapped_configILNS1_25lookback_scan_determinismE0ES3_S7_PKjNS0_17constant_iteratorIjlEEPjPlSF_S6_NS0_8equal_toIjEEEE10hipError_tPvRmT2_T3_mT4_T5_T6_T7_T8_P12ihipStream_tbENKUlT_T0_E_clISt17integral_constantIbLb0EESZ_EEDaSU_SV_EUlSU_E_NS1_11comp_targetILNS1_3genE4ELNS1_11target_archE910ELNS1_3gpuE8ELNS1_3repE0EEENS1_30default_config_static_selectorELNS0_4arch9wavefront6targetE0EEEvT1_,comdat
.Lfunc_end651:
	.size	_ZN7rocprim17ROCPRIM_400000_NS6detail17trampoline_kernelINS0_14default_configENS1_33run_length_encode_config_selectorIjjNS0_4plusIjEEEEZZNS1_33reduce_by_key_impl_wrapped_configILNS1_25lookback_scan_determinismE0ES3_S7_PKjNS0_17constant_iteratorIjlEEPjPlSF_S6_NS0_8equal_toIjEEEE10hipError_tPvRmT2_T3_mT4_T5_T6_T7_T8_P12ihipStream_tbENKUlT_T0_E_clISt17integral_constantIbLb0EESZ_EEDaSU_SV_EUlSU_E_NS1_11comp_targetILNS1_3genE4ELNS1_11target_archE910ELNS1_3gpuE8ELNS1_3repE0EEENS1_30default_config_static_selectorELNS0_4arch9wavefront6targetE0EEEvT1_, .Lfunc_end651-_ZN7rocprim17ROCPRIM_400000_NS6detail17trampoline_kernelINS0_14default_configENS1_33run_length_encode_config_selectorIjjNS0_4plusIjEEEEZZNS1_33reduce_by_key_impl_wrapped_configILNS1_25lookback_scan_determinismE0ES3_S7_PKjNS0_17constant_iteratorIjlEEPjPlSF_S6_NS0_8equal_toIjEEEE10hipError_tPvRmT2_T3_mT4_T5_T6_T7_T8_P12ihipStream_tbENKUlT_T0_E_clISt17integral_constantIbLb0EESZ_EEDaSU_SV_EUlSU_E_NS1_11comp_targetILNS1_3genE4ELNS1_11target_archE910ELNS1_3gpuE8ELNS1_3repE0EEENS1_30default_config_static_selectorELNS0_4arch9wavefront6targetE0EEEvT1_
                                        ; -- End function
	.set _ZN7rocprim17ROCPRIM_400000_NS6detail17trampoline_kernelINS0_14default_configENS1_33run_length_encode_config_selectorIjjNS0_4plusIjEEEEZZNS1_33reduce_by_key_impl_wrapped_configILNS1_25lookback_scan_determinismE0ES3_S7_PKjNS0_17constant_iteratorIjlEEPjPlSF_S6_NS0_8equal_toIjEEEE10hipError_tPvRmT2_T3_mT4_T5_T6_T7_T8_P12ihipStream_tbENKUlT_T0_E_clISt17integral_constantIbLb0EESZ_EEDaSU_SV_EUlSU_E_NS1_11comp_targetILNS1_3genE4ELNS1_11target_archE910ELNS1_3gpuE8ELNS1_3repE0EEENS1_30default_config_static_selectorELNS0_4arch9wavefront6targetE0EEEvT1_.num_vgpr, 0
	.set _ZN7rocprim17ROCPRIM_400000_NS6detail17trampoline_kernelINS0_14default_configENS1_33run_length_encode_config_selectorIjjNS0_4plusIjEEEEZZNS1_33reduce_by_key_impl_wrapped_configILNS1_25lookback_scan_determinismE0ES3_S7_PKjNS0_17constant_iteratorIjlEEPjPlSF_S6_NS0_8equal_toIjEEEE10hipError_tPvRmT2_T3_mT4_T5_T6_T7_T8_P12ihipStream_tbENKUlT_T0_E_clISt17integral_constantIbLb0EESZ_EEDaSU_SV_EUlSU_E_NS1_11comp_targetILNS1_3genE4ELNS1_11target_archE910ELNS1_3gpuE8ELNS1_3repE0EEENS1_30default_config_static_selectorELNS0_4arch9wavefront6targetE0EEEvT1_.num_agpr, 0
	.set _ZN7rocprim17ROCPRIM_400000_NS6detail17trampoline_kernelINS0_14default_configENS1_33run_length_encode_config_selectorIjjNS0_4plusIjEEEEZZNS1_33reduce_by_key_impl_wrapped_configILNS1_25lookback_scan_determinismE0ES3_S7_PKjNS0_17constant_iteratorIjlEEPjPlSF_S6_NS0_8equal_toIjEEEE10hipError_tPvRmT2_T3_mT4_T5_T6_T7_T8_P12ihipStream_tbENKUlT_T0_E_clISt17integral_constantIbLb0EESZ_EEDaSU_SV_EUlSU_E_NS1_11comp_targetILNS1_3genE4ELNS1_11target_archE910ELNS1_3gpuE8ELNS1_3repE0EEENS1_30default_config_static_selectorELNS0_4arch9wavefront6targetE0EEEvT1_.numbered_sgpr, 0
	.set _ZN7rocprim17ROCPRIM_400000_NS6detail17trampoline_kernelINS0_14default_configENS1_33run_length_encode_config_selectorIjjNS0_4plusIjEEEEZZNS1_33reduce_by_key_impl_wrapped_configILNS1_25lookback_scan_determinismE0ES3_S7_PKjNS0_17constant_iteratorIjlEEPjPlSF_S6_NS0_8equal_toIjEEEE10hipError_tPvRmT2_T3_mT4_T5_T6_T7_T8_P12ihipStream_tbENKUlT_T0_E_clISt17integral_constantIbLb0EESZ_EEDaSU_SV_EUlSU_E_NS1_11comp_targetILNS1_3genE4ELNS1_11target_archE910ELNS1_3gpuE8ELNS1_3repE0EEENS1_30default_config_static_selectorELNS0_4arch9wavefront6targetE0EEEvT1_.num_named_barrier, 0
	.set _ZN7rocprim17ROCPRIM_400000_NS6detail17trampoline_kernelINS0_14default_configENS1_33run_length_encode_config_selectorIjjNS0_4plusIjEEEEZZNS1_33reduce_by_key_impl_wrapped_configILNS1_25lookback_scan_determinismE0ES3_S7_PKjNS0_17constant_iteratorIjlEEPjPlSF_S6_NS0_8equal_toIjEEEE10hipError_tPvRmT2_T3_mT4_T5_T6_T7_T8_P12ihipStream_tbENKUlT_T0_E_clISt17integral_constantIbLb0EESZ_EEDaSU_SV_EUlSU_E_NS1_11comp_targetILNS1_3genE4ELNS1_11target_archE910ELNS1_3gpuE8ELNS1_3repE0EEENS1_30default_config_static_selectorELNS0_4arch9wavefront6targetE0EEEvT1_.private_seg_size, 0
	.set _ZN7rocprim17ROCPRIM_400000_NS6detail17trampoline_kernelINS0_14default_configENS1_33run_length_encode_config_selectorIjjNS0_4plusIjEEEEZZNS1_33reduce_by_key_impl_wrapped_configILNS1_25lookback_scan_determinismE0ES3_S7_PKjNS0_17constant_iteratorIjlEEPjPlSF_S6_NS0_8equal_toIjEEEE10hipError_tPvRmT2_T3_mT4_T5_T6_T7_T8_P12ihipStream_tbENKUlT_T0_E_clISt17integral_constantIbLb0EESZ_EEDaSU_SV_EUlSU_E_NS1_11comp_targetILNS1_3genE4ELNS1_11target_archE910ELNS1_3gpuE8ELNS1_3repE0EEENS1_30default_config_static_selectorELNS0_4arch9wavefront6targetE0EEEvT1_.uses_vcc, 0
	.set _ZN7rocprim17ROCPRIM_400000_NS6detail17trampoline_kernelINS0_14default_configENS1_33run_length_encode_config_selectorIjjNS0_4plusIjEEEEZZNS1_33reduce_by_key_impl_wrapped_configILNS1_25lookback_scan_determinismE0ES3_S7_PKjNS0_17constant_iteratorIjlEEPjPlSF_S6_NS0_8equal_toIjEEEE10hipError_tPvRmT2_T3_mT4_T5_T6_T7_T8_P12ihipStream_tbENKUlT_T0_E_clISt17integral_constantIbLb0EESZ_EEDaSU_SV_EUlSU_E_NS1_11comp_targetILNS1_3genE4ELNS1_11target_archE910ELNS1_3gpuE8ELNS1_3repE0EEENS1_30default_config_static_selectorELNS0_4arch9wavefront6targetE0EEEvT1_.uses_flat_scratch, 0
	.set _ZN7rocprim17ROCPRIM_400000_NS6detail17trampoline_kernelINS0_14default_configENS1_33run_length_encode_config_selectorIjjNS0_4plusIjEEEEZZNS1_33reduce_by_key_impl_wrapped_configILNS1_25lookback_scan_determinismE0ES3_S7_PKjNS0_17constant_iteratorIjlEEPjPlSF_S6_NS0_8equal_toIjEEEE10hipError_tPvRmT2_T3_mT4_T5_T6_T7_T8_P12ihipStream_tbENKUlT_T0_E_clISt17integral_constantIbLb0EESZ_EEDaSU_SV_EUlSU_E_NS1_11comp_targetILNS1_3genE4ELNS1_11target_archE910ELNS1_3gpuE8ELNS1_3repE0EEENS1_30default_config_static_selectorELNS0_4arch9wavefront6targetE0EEEvT1_.has_dyn_sized_stack, 0
	.set _ZN7rocprim17ROCPRIM_400000_NS6detail17trampoline_kernelINS0_14default_configENS1_33run_length_encode_config_selectorIjjNS0_4plusIjEEEEZZNS1_33reduce_by_key_impl_wrapped_configILNS1_25lookback_scan_determinismE0ES3_S7_PKjNS0_17constant_iteratorIjlEEPjPlSF_S6_NS0_8equal_toIjEEEE10hipError_tPvRmT2_T3_mT4_T5_T6_T7_T8_P12ihipStream_tbENKUlT_T0_E_clISt17integral_constantIbLb0EESZ_EEDaSU_SV_EUlSU_E_NS1_11comp_targetILNS1_3genE4ELNS1_11target_archE910ELNS1_3gpuE8ELNS1_3repE0EEENS1_30default_config_static_selectorELNS0_4arch9wavefront6targetE0EEEvT1_.has_recursion, 0
	.set _ZN7rocprim17ROCPRIM_400000_NS6detail17trampoline_kernelINS0_14default_configENS1_33run_length_encode_config_selectorIjjNS0_4plusIjEEEEZZNS1_33reduce_by_key_impl_wrapped_configILNS1_25lookback_scan_determinismE0ES3_S7_PKjNS0_17constant_iteratorIjlEEPjPlSF_S6_NS0_8equal_toIjEEEE10hipError_tPvRmT2_T3_mT4_T5_T6_T7_T8_P12ihipStream_tbENKUlT_T0_E_clISt17integral_constantIbLb0EESZ_EEDaSU_SV_EUlSU_E_NS1_11comp_targetILNS1_3genE4ELNS1_11target_archE910ELNS1_3gpuE8ELNS1_3repE0EEENS1_30default_config_static_selectorELNS0_4arch9wavefront6targetE0EEEvT1_.has_indirect_call, 0
	.section	.AMDGPU.csdata,"",@progbits
; Kernel info:
; codeLenInByte = 0
; TotalNumSgprs: 0
; NumVgprs: 0
; ScratchSize: 0
; MemoryBound: 0
; FloatMode: 240
; IeeeMode: 1
; LDSByteSize: 0 bytes/workgroup (compile time only)
; SGPRBlocks: 0
; VGPRBlocks: 0
; NumSGPRsForWavesPerEU: 1
; NumVGPRsForWavesPerEU: 1
; NamedBarCnt: 0
; Occupancy: 16
; WaveLimiterHint : 0
; COMPUTE_PGM_RSRC2:SCRATCH_EN: 0
; COMPUTE_PGM_RSRC2:USER_SGPR: 2
; COMPUTE_PGM_RSRC2:TRAP_HANDLER: 0
; COMPUTE_PGM_RSRC2:TGID_X_EN: 1
; COMPUTE_PGM_RSRC2:TGID_Y_EN: 0
; COMPUTE_PGM_RSRC2:TGID_Z_EN: 0
; COMPUTE_PGM_RSRC2:TIDIG_COMP_CNT: 0
	.section	.text._ZN7rocprim17ROCPRIM_400000_NS6detail17trampoline_kernelINS0_14default_configENS1_33run_length_encode_config_selectorIjjNS0_4plusIjEEEEZZNS1_33reduce_by_key_impl_wrapped_configILNS1_25lookback_scan_determinismE0ES3_S7_PKjNS0_17constant_iteratorIjlEEPjPlSF_S6_NS0_8equal_toIjEEEE10hipError_tPvRmT2_T3_mT4_T5_T6_T7_T8_P12ihipStream_tbENKUlT_T0_E_clISt17integral_constantIbLb0EESZ_EEDaSU_SV_EUlSU_E_NS1_11comp_targetILNS1_3genE3ELNS1_11target_archE908ELNS1_3gpuE7ELNS1_3repE0EEENS1_30default_config_static_selectorELNS0_4arch9wavefront6targetE0EEEvT1_,"axG",@progbits,_ZN7rocprim17ROCPRIM_400000_NS6detail17trampoline_kernelINS0_14default_configENS1_33run_length_encode_config_selectorIjjNS0_4plusIjEEEEZZNS1_33reduce_by_key_impl_wrapped_configILNS1_25lookback_scan_determinismE0ES3_S7_PKjNS0_17constant_iteratorIjlEEPjPlSF_S6_NS0_8equal_toIjEEEE10hipError_tPvRmT2_T3_mT4_T5_T6_T7_T8_P12ihipStream_tbENKUlT_T0_E_clISt17integral_constantIbLb0EESZ_EEDaSU_SV_EUlSU_E_NS1_11comp_targetILNS1_3genE3ELNS1_11target_archE908ELNS1_3gpuE7ELNS1_3repE0EEENS1_30default_config_static_selectorELNS0_4arch9wavefront6targetE0EEEvT1_,comdat
	.protected	_ZN7rocprim17ROCPRIM_400000_NS6detail17trampoline_kernelINS0_14default_configENS1_33run_length_encode_config_selectorIjjNS0_4plusIjEEEEZZNS1_33reduce_by_key_impl_wrapped_configILNS1_25lookback_scan_determinismE0ES3_S7_PKjNS0_17constant_iteratorIjlEEPjPlSF_S6_NS0_8equal_toIjEEEE10hipError_tPvRmT2_T3_mT4_T5_T6_T7_T8_P12ihipStream_tbENKUlT_T0_E_clISt17integral_constantIbLb0EESZ_EEDaSU_SV_EUlSU_E_NS1_11comp_targetILNS1_3genE3ELNS1_11target_archE908ELNS1_3gpuE7ELNS1_3repE0EEENS1_30default_config_static_selectorELNS0_4arch9wavefront6targetE0EEEvT1_ ; -- Begin function _ZN7rocprim17ROCPRIM_400000_NS6detail17trampoline_kernelINS0_14default_configENS1_33run_length_encode_config_selectorIjjNS0_4plusIjEEEEZZNS1_33reduce_by_key_impl_wrapped_configILNS1_25lookback_scan_determinismE0ES3_S7_PKjNS0_17constant_iteratorIjlEEPjPlSF_S6_NS0_8equal_toIjEEEE10hipError_tPvRmT2_T3_mT4_T5_T6_T7_T8_P12ihipStream_tbENKUlT_T0_E_clISt17integral_constantIbLb0EESZ_EEDaSU_SV_EUlSU_E_NS1_11comp_targetILNS1_3genE3ELNS1_11target_archE908ELNS1_3gpuE7ELNS1_3repE0EEENS1_30default_config_static_selectorELNS0_4arch9wavefront6targetE0EEEvT1_
	.globl	_ZN7rocprim17ROCPRIM_400000_NS6detail17trampoline_kernelINS0_14default_configENS1_33run_length_encode_config_selectorIjjNS0_4plusIjEEEEZZNS1_33reduce_by_key_impl_wrapped_configILNS1_25lookback_scan_determinismE0ES3_S7_PKjNS0_17constant_iteratorIjlEEPjPlSF_S6_NS0_8equal_toIjEEEE10hipError_tPvRmT2_T3_mT4_T5_T6_T7_T8_P12ihipStream_tbENKUlT_T0_E_clISt17integral_constantIbLb0EESZ_EEDaSU_SV_EUlSU_E_NS1_11comp_targetILNS1_3genE3ELNS1_11target_archE908ELNS1_3gpuE7ELNS1_3repE0EEENS1_30default_config_static_selectorELNS0_4arch9wavefront6targetE0EEEvT1_
	.p2align	8
	.type	_ZN7rocprim17ROCPRIM_400000_NS6detail17trampoline_kernelINS0_14default_configENS1_33run_length_encode_config_selectorIjjNS0_4plusIjEEEEZZNS1_33reduce_by_key_impl_wrapped_configILNS1_25lookback_scan_determinismE0ES3_S7_PKjNS0_17constant_iteratorIjlEEPjPlSF_S6_NS0_8equal_toIjEEEE10hipError_tPvRmT2_T3_mT4_T5_T6_T7_T8_P12ihipStream_tbENKUlT_T0_E_clISt17integral_constantIbLb0EESZ_EEDaSU_SV_EUlSU_E_NS1_11comp_targetILNS1_3genE3ELNS1_11target_archE908ELNS1_3gpuE7ELNS1_3repE0EEENS1_30default_config_static_selectorELNS0_4arch9wavefront6targetE0EEEvT1_,@function
_ZN7rocprim17ROCPRIM_400000_NS6detail17trampoline_kernelINS0_14default_configENS1_33run_length_encode_config_selectorIjjNS0_4plusIjEEEEZZNS1_33reduce_by_key_impl_wrapped_configILNS1_25lookback_scan_determinismE0ES3_S7_PKjNS0_17constant_iteratorIjlEEPjPlSF_S6_NS0_8equal_toIjEEEE10hipError_tPvRmT2_T3_mT4_T5_T6_T7_T8_P12ihipStream_tbENKUlT_T0_E_clISt17integral_constantIbLb0EESZ_EEDaSU_SV_EUlSU_E_NS1_11comp_targetILNS1_3genE3ELNS1_11target_archE908ELNS1_3gpuE7ELNS1_3repE0EEENS1_30default_config_static_selectorELNS0_4arch9wavefront6targetE0EEEvT1_: ; @_ZN7rocprim17ROCPRIM_400000_NS6detail17trampoline_kernelINS0_14default_configENS1_33run_length_encode_config_selectorIjjNS0_4plusIjEEEEZZNS1_33reduce_by_key_impl_wrapped_configILNS1_25lookback_scan_determinismE0ES3_S7_PKjNS0_17constant_iteratorIjlEEPjPlSF_S6_NS0_8equal_toIjEEEE10hipError_tPvRmT2_T3_mT4_T5_T6_T7_T8_P12ihipStream_tbENKUlT_T0_E_clISt17integral_constantIbLb0EESZ_EEDaSU_SV_EUlSU_E_NS1_11comp_targetILNS1_3genE3ELNS1_11target_archE908ELNS1_3gpuE7ELNS1_3repE0EEENS1_30default_config_static_selectorELNS0_4arch9wavefront6targetE0EEEvT1_
; %bb.0:
	.section	.rodata,"a",@progbits
	.p2align	6, 0x0
	.amdhsa_kernel _ZN7rocprim17ROCPRIM_400000_NS6detail17trampoline_kernelINS0_14default_configENS1_33run_length_encode_config_selectorIjjNS0_4plusIjEEEEZZNS1_33reduce_by_key_impl_wrapped_configILNS1_25lookback_scan_determinismE0ES3_S7_PKjNS0_17constant_iteratorIjlEEPjPlSF_S6_NS0_8equal_toIjEEEE10hipError_tPvRmT2_T3_mT4_T5_T6_T7_T8_P12ihipStream_tbENKUlT_T0_E_clISt17integral_constantIbLb0EESZ_EEDaSU_SV_EUlSU_E_NS1_11comp_targetILNS1_3genE3ELNS1_11target_archE908ELNS1_3gpuE7ELNS1_3repE0EEENS1_30default_config_static_selectorELNS0_4arch9wavefront6targetE0EEEvT1_
		.amdhsa_group_segment_fixed_size 0
		.amdhsa_private_segment_fixed_size 0
		.amdhsa_kernarg_size 128
		.amdhsa_user_sgpr_count 2
		.amdhsa_user_sgpr_dispatch_ptr 0
		.amdhsa_user_sgpr_queue_ptr 0
		.amdhsa_user_sgpr_kernarg_segment_ptr 1
		.amdhsa_user_sgpr_dispatch_id 0
		.amdhsa_user_sgpr_kernarg_preload_length 0
		.amdhsa_user_sgpr_kernarg_preload_offset 0
		.amdhsa_user_sgpr_private_segment_size 0
		.amdhsa_wavefront_size32 1
		.amdhsa_uses_dynamic_stack 0
		.amdhsa_enable_private_segment 0
		.amdhsa_system_sgpr_workgroup_id_x 1
		.amdhsa_system_sgpr_workgroup_id_y 0
		.amdhsa_system_sgpr_workgroup_id_z 0
		.amdhsa_system_sgpr_workgroup_info 0
		.amdhsa_system_vgpr_workitem_id 0
		.amdhsa_next_free_vgpr 1
		.amdhsa_next_free_sgpr 1
		.amdhsa_named_barrier_count 0
		.amdhsa_reserve_vcc 0
		.amdhsa_float_round_mode_32 0
		.amdhsa_float_round_mode_16_64 0
		.amdhsa_float_denorm_mode_32 3
		.amdhsa_float_denorm_mode_16_64 3
		.amdhsa_fp16_overflow 0
		.amdhsa_memory_ordered 1
		.amdhsa_forward_progress 1
		.amdhsa_inst_pref_size 0
		.amdhsa_round_robin_scheduling 0
		.amdhsa_exception_fp_ieee_invalid_op 0
		.amdhsa_exception_fp_denorm_src 0
		.amdhsa_exception_fp_ieee_div_zero 0
		.amdhsa_exception_fp_ieee_overflow 0
		.amdhsa_exception_fp_ieee_underflow 0
		.amdhsa_exception_fp_ieee_inexact 0
		.amdhsa_exception_int_div_zero 0
	.end_amdhsa_kernel
	.section	.text._ZN7rocprim17ROCPRIM_400000_NS6detail17trampoline_kernelINS0_14default_configENS1_33run_length_encode_config_selectorIjjNS0_4plusIjEEEEZZNS1_33reduce_by_key_impl_wrapped_configILNS1_25lookback_scan_determinismE0ES3_S7_PKjNS0_17constant_iteratorIjlEEPjPlSF_S6_NS0_8equal_toIjEEEE10hipError_tPvRmT2_T3_mT4_T5_T6_T7_T8_P12ihipStream_tbENKUlT_T0_E_clISt17integral_constantIbLb0EESZ_EEDaSU_SV_EUlSU_E_NS1_11comp_targetILNS1_3genE3ELNS1_11target_archE908ELNS1_3gpuE7ELNS1_3repE0EEENS1_30default_config_static_selectorELNS0_4arch9wavefront6targetE0EEEvT1_,"axG",@progbits,_ZN7rocprim17ROCPRIM_400000_NS6detail17trampoline_kernelINS0_14default_configENS1_33run_length_encode_config_selectorIjjNS0_4plusIjEEEEZZNS1_33reduce_by_key_impl_wrapped_configILNS1_25lookback_scan_determinismE0ES3_S7_PKjNS0_17constant_iteratorIjlEEPjPlSF_S6_NS0_8equal_toIjEEEE10hipError_tPvRmT2_T3_mT4_T5_T6_T7_T8_P12ihipStream_tbENKUlT_T0_E_clISt17integral_constantIbLb0EESZ_EEDaSU_SV_EUlSU_E_NS1_11comp_targetILNS1_3genE3ELNS1_11target_archE908ELNS1_3gpuE7ELNS1_3repE0EEENS1_30default_config_static_selectorELNS0_4arch9wavefront6targetE0EEEvT1_,comdat
.Lfunc_end652:
	.size	_ZN7rocprim17ROCPRIM_400000_NS6detail17trampoline_kernelINS0_14default_configENS1_33run_length_encode_config_selectorIjjNS0_4plusIjEEEEZZNS1_33reduce_by_key_impl_wrapped_configILNS1_25lookback_scan_determinismE0ES3_S7_PKjNS0_17constant_iteratorIjlEEPjPlSF_S6_NS0_8equal_toIjEEEE10hipError_tPvRmT2_T3_mT4_T5_T6_T7_T8_P12ihipStream_tbENKUlT_T0_E_clISt17integral_constantIbLb0EESZ_EEDaSU_SV_EUlSU_E_NS1_11comp_targetILNS1_3genE3ELNS1_11target_archE908ELNS1_3gpuE7ELNS1_3repE0EEENS1_30default_config_static_selectorELNS0_4arch9wavefront6targetE0EEEvT1_, .Lfunc_end652-_ZN7rocprim17ROCPRIM_400000_NS6detail17trampoline_kernelINS0_14default_configENS1_33run_length_encode_config_selectorIjjNS0_4plusIjEEEEZZNS1_33reduce_by_key_impl_wrapped_configILNS1_25lookback_scan_determinismE0ES3_S7_PKjNS0_17constant_iteratorIjlEEPjPlSF_S6_NS0_8equal_toIjEEEE10hipError_tPvRmT2_T3_mT4_T5_T6_T7_T8_P12ihipStream_tbENKUlT_T0_E_clISt17integral_constantIbLb0EESZ_EEDaSU_SV_EUlSU_E_NS1_11comp_targetILNS1_3genE3ELNS1_11target_archE908ELNS1_3gpuE7ELNS1_3repE0EEENS1_30default_config_static_selectorELNS0_4arch9wavefront6targetE0EEEvT1_
                                        ; -- End function
	.set _ZN7rocprim17ROCPRIM_400000_NS6detail17trampoline_kernelINS0_14default_configENS1_33run_length_encode_config_selectorIjjNS0_4plusIjEEEEZZNS1_33reduce_by_key_impl_wrapped_configILNS1_25lookback_scan_determinismE0ES3_S7_PKjNS0_17constant_iteratorIjlEEPjPlSF_S6_NS0_8equal_toIjEEEE10hipError_tPvRmT2_T3_mT4_T5_T6_T7_T8_P12ihipStream_tbENKUlT_T0_E_clISt17integral_constantIbLb0EESZ_EEDaSU_SV_EUlSU_E_NS1_11comp_targetILNS1_3genE3ELNS1_11target_archE908ELNS1_3gpuE7ELNS1_3repE0EEENS1_30default_config_static_selectorELNS0_4arch9wavefront6targetE0EEEvT1_.num_vgpr, 0
	.set _ZN7rocprim17ROCPRIM_400000_NS6detail17trampoline_kernelINS0_14default_configENS1_33run_length_encode_config_selectorIjjNS0_4plusIjEEEEZZNS1_33reduce_by_key_impl_wrapped_configILNS1_25lookback_scan_determinismE0ES3_S7_PKjNS0_17constant_iteratorIjlEEPjPlSF_S6_NS0_8equal_toIjEEEE10hipError_tPvRmT2_T3_mT4_T5_T6_T7_T8_P12ihipStream_tbENKUlT_T0_E_clISt17integral_constantIbLb0EESZ_EEDaSU_SV_EUlSU_E_NS1_11comp_targetILNS1_3genE3ELNS1_11target_archE908ELNS1_3gpuE7ELNS1_3repE0EEENS1_30default_config_static_selectorELNS0_4arch9wavefront6targetE0EEEvT1_.num_agpr, 0
	.set _ZN7rocprim17ROCPRIM_400000_NS6detail17trampoline_kernelINS0_14default_configENS1_33run_length_encode_config_selectorIjjNS0_4plusIjEEEEZZNS1_33reduce_by_key_impl_wrapped_configILNS1_25lookback_scan_determinismE0ES3_S7_PKjNS0_17constant_iteratorIjlEEPjPlSF_S6_NS0_8equal_toIjEEEE10hipError_tPvRmT2_T3_mT4_T5_T6_T7_T8_P12ihipStream_tbENKUlT_T0_E_clISt17integral_constantIbLb0EESZ_EEDaSU_SV_EUlSU_E_NS1_11comp_targetILNS1_3genE3ELNS1_11target_archE908ELNS1_3gpuE7ELNS1_3repE0EEENS1_30default_config_static_selectorELNS0_4arch9wavefront6targetE0EEEvT1_.numbered_sgpr, 0
	.set _ZN7rocprim17ROCPRIM_400000_NS6detail17trampoline_kernelINS0_14default_configENS1_33run_length_encode_config_selectorIjjNS0_4plusIjEEEEZZNS1_33reduce_by_key_impl_wrapped_configILNS1_25lookback_scan_determinismE0ES3_S7_PKjNS0_17constant_iteratorIjlEEPjPlSF_S6_NS0_8equal_toIjEEEE10hipError_tPvRmT2_T3_mT4_T5_T6_T7_T8_P12ihipStream_tbENKUlT_T0_E_clISt17integral_constantIbLb0EESZ_EEDaSU_SV_EUlSU_E_NS1_11comp_targetILNS1_3genE3ELNS1_11target_archE908ELNS1_3gpuE7ELNS1_3repE0EEENS1_30default_config_static_selectorELNS0_4arch9wavefront6targetE0EEEvT1_.num_named_barrier, 0
	.set _ZN7rocprim17ROCPRIM_400000_NS6detail17trampoline_kernelINS0_14default_configENS1_33run_length_encode_config_selectorIjjNS0_4plusIjEEEEZZNS1_33reduce_by_key_impl_wrapped_configILNS1_25lookback_scan_determinismE0ES3_S7_PKjNS0_17constant_iteratorIjlEEPjPlSF_S6_NS0_8equal_toIjEEEE10hipError_tPvRmT2_T3_mT4_T5_T6_T7_T8_P12ihipStream_tbENKUlT_T0_E_clISt17integral_constantIbLb0EESZ_EEDaSU_SV_EUlSU_E_NS1_11comp_targetILNS1_3genE3ELNS1_11target_archE908ELNS1_3gpuE7ELNS1_3repE0EEENS1_30default_config_static_selectorELNS0_4arch9wavefront6targetE0EEEvT1_.private_seg_size, 0
	.set _ZN7rocprim17ROCPRIM_400000_NS6detail17trampoline_kernelINS0_14default_configENS1_33run_length_encode_config_selectorIjjNS0_4plusIjEEEEZZNS1_33reduce_by_key_impl_wrapped_configILNS1_25lookback_scan_determinismE0ES3_S7_PKjNS0_17constant_iteratorIjlEEPjPlSF_S6_NS0_8equal_toIjEEEE10hipError_tPvRmT2_T3_mT4_T5_T6_T7_T8_P12ihipStream_tbENKUlT_T0_E_clISt17integral_constantIbLb0EESZ_EEDaSU_SV_EUlSU_E_NS1_11comp_targetILNS1_3genE3ELNS1_11target_archE908ELNS1_3gpuE7ELNS1_3repE0EEENS1_30default_config_static_selectorELNS0_4arch9wavefront6targetE0EEEvT1_.uses_vcc, 0
	.set _ZN7rocprim17ROCPRIM_400000_NS6detail17trampoline_kernelINS0_14default_configENS1_33run_length_encode_config_selectorIjjNS0_4plusIjEEEEZZNS1_33reduce_by_key_impl_wrapped_configILNS1_25lookback_scan_determinismE0ES3_S7_PKjNS0_17constant_iteratorIjlEEPjPlSF_S6_NS0_8equal_toIjEEEE10hipError_tPvRmT2_T3_mT4_T5_T6_T7_T8_P12ihipStream_tbENKUlT_T0_E_clISt17integral_constantIbLb0EESZ_EEDaSU_SV_EUlSU_E_NS1_11comp_targetILNS1_3genE3ELNS1_11target_archE908ELNS1_3gpuE7ELNS1_3repE0EEENS1_30default_config_static_selectorELNS0_4arch9wavefront6targetE0EEEvT1_.uses_flat_scratch, 0
	.set _ZN7rocprim17ROCPRIM_400000_NS6detail17trampoline_kernelINS0_14default_configENS1_33run_length_encode_config_selectorIjjNS0_4plusIjEEEEZZNS1_33reduce_by_key_impl_wrapped_configILNS1_25lookback_scan_determinismE0ES3_S7_PKjNS0_17constant_iteratorIjlEEPjPlSF_S6_NS0_8equal_toIjEEEE10hipError_tPvRmT2_T3_mT4_T5_T6_T7_T8_P12ihipStream_tbENKUlT_T0_E_clISt17integral_constantIbLb0EESZ_EEDaSU_SV_EUlSU_E_NS1_11comp_targetILNS1_3genE3ELNS1_11target_archE908ELNS1_3gpuE7ELNS1_3repE0EEENS1_30default_config_static_selectorELNS0_4arch9wavefront6targetE0EEEvT1_.has_dyn_sized_stack, 0
	.set _ZN7rocprim17ROCPRIM_400000_NS6detail17trampoline_kernelINS0_14default_configENS1_33run_length_encode_config_selectorIjjNS0_4plusIjEEEEZZNS1_33reduce_by_key_impl_wrapped_configILNS1_25lookback_scan_determinismE0ES3_S7_PKjNS0_17constant_iteratorIjlEEPjPlSF_S6_NS0_8equal_toIjEEEE10hipError_tPvRmT2_T3_mT4_T5_T6_T7_T8_P12ihipStream_tbENKUlT_T0_E_clISt17integral_constantIbLb0EESZ_EEDaSU_SV_EUlSU_E_NS1_11comp_targetILNS1_3genE3ELNS1_11target_archE908ELNS1_3gpuE7ELNS1_3repE0EEENS1_30default_config_static_selectorELNS0_4arch9wavefront6targetE0EEEvT1_.has_recursion, 0
	.set _ZN7rocprim17ROCPRIM_400000_NS6detail17trampoline_kernelINS0_14default_configENS1_33run_length_encode_config_selectorIjjNS0_4plusIjEEEEZZNS1_33reduce_by_key_impl_wrapped_configILNS1_25lookback_scan_determinismE0ES3_S7_PKjNS0_17constant_iteratorIjlEEPjPlSF_S6_NS0_8equal_toIjEEEE10hipError_tPvRmT2_T3_mT4_T5_T6_T7_T8_P12ihipStream_tbENKUlT_T0_E_clISt17integral_constantIbLb0EESZ_EEDaSU_SV_EUlSU_E_NS1_11comp_targetILNS1_3genE3ELNS1_11target_archE908ELNS1_3gpuE7ELNS1_3repE0EEENS1_30default_config_static_selectorELNS0_4arch9wavefront6targetE0EEEvT1_.has_indirect_call, 0
	.section	.AMDGPU.csdata,"",@progbits
; Kernel info:
; codeLenInByte = 0
; TotalNumSgprs: 0
; NumVgprs: 0
; ScratchSize: 0
; MemoryBound: 0
; FloatMode: 240
; IeeeMode: 1
; LDSByteSize: 0 bytes/workgroup (compile time only)
; SGPRBlocks: 0
; VGPRBlocks: 0
; NumSGPRsForWavesPerEU: 1
; NumVGPRsForWavesPerEU: 1
; NamedBarCnt: 0
; Occupancy: 16
; WaveLimiterHint : 0
; COMPUTE_PGM_RSRC2:SCRATCH_EN: 0
; COMPUTE_PGM_RSRC2:USER_SGPR: 2
; COMPUTE_PGM_RSRC2:TRAP_HANDLER: 0
; COMPUTE_PGM_RSRC2:TGID_X_EN: 1
; COMPUTE_PGM_RSRC2:TGID_Y_EN: 0
; COMPUTE_PGM_RSRC2:TGID_Z_EN: 0
; COMPUTE_PGM_RSRC2:TIDIG_COMP_CNT: 0
	.section	.text._ZN7rocprim17ROCPRIM_400000_NS6detail17trampoline_kernelINS0_14default_configENS1_33run_length_encode_config_selectorIjjNS0_4plusIjEEEEZZNS1_33reduce_by_key_impl_wrapped_configILNS1_25lookback_scan_determinismE0ES3_S7_PKjNS0_17constant_iteratorIjlEEPjPlSF_S6_NS0_8equal_toIjEEEE10hipError_tPvRmT2_T3_mT4_T5_T6_T7_T8_P12ihipStream_tbENKUlT_T0_E_clISt17integral_constantIbLb0EESZ_EEDaSU_SV_EUlSU_E_NS1_11comp_targetILNS1_3genE2ELNS1_11target_archE906ELNS1_3gpuE6ELNS1_3repE0EEENS1_30default_config_static_selectorELNS0_4arch9wavefront6targetE0EEEvT1_,"axG",@progbits,_ZN7rocprim17ROCPRIM_400000_NS6detail17trampoline_kernelINS0_14default_configENS1_33run_length_encode_config_selectorIjjNS0_4plusIjEEEEZZNS1_33reduce_by_key_impl_wrapped_configILNS1_25lookback_scan_determinismE0ES3_S7_PKjNS0_17constant_iteratorIjlEEPjPlSF_S6_NS0_8equal_toIjEEEE10hipError_tPvRmT2_T3_mT4_T5_T6_T7_T8_P12ihipStream_tbENKUlT_T0_E_clISt17integral_constantIbLb0EESZ_EEDaSU_SV_EUlSU_E_NS1_11comp_targetILNS1_3genE2ELNS1_11target_archE906ELNS1_3gpuE6ELNS1_3repE0EEENS1_30default_config_static_selectorELNS0_4arch9wavefront6targetE0EEEvT1_,comdat
	.protected	_ZN7rocprim17ROCPRIM_400000_NS6detail17trampoline_kernelINS0_14default_configENS1_33run_length_encode_config_selectorIjjNS0_4plusIjEEEEZZNS1_33reduce_by_key_impl_wrapped_configILNS1_25lookback_scan_determinismE0ES3_S7_PKjNS0_17constant_iteratorIjlEEPjPlSF_S6_NS0_8equal_toIjEEEE10hipError_tPvRmT2_T3_mT4_T5_T6_T7_T8_P12ihipStream_tbENKUlT_T0_E_clISt17integral_constantIbLb0EESZ_EEDaSU_SV_EUlSU_E_NS1_11comp_targetILNS1_3genE2ELNS1_11target_archE906ELNS1_3gpuE6ELNS1_3repE0EEENS1_30default_config_static_selectorELNS0_4arch9wavefront6targetE0EEEvT1_ ; -- Begin function _ZN7rocprim17ROCPRIM_400000_NS6detail17trampoline_kernelINS0_14default_configENS1_33run_length_encode_config_selectorIjjNS0_4plusIjEEEEZZNS1_33reduce_by_key_impl_wrapped_configILNS1_25lookback_scan_determinismE0ES3_S7_PKjNS0_17constant_iteratorIjlEEPjPlSF_S6_NS0_8equal_toIjEEEE10hipError_tPvRmT2_T3_mT4_T5_T6_T7_T8_P12ihipStream_tbENKUlT_T0_E_clISt17integral_constantIbLb0EESZ_EEDaSU_SV_EUlSU_E_NS1_11comp_targetILNS1_3genE2ELNS1_11target_archE906ELNS1_3gpuE6ELNS1_3repE0EEENS1_30default_config_static_selectorELNS0_4arch9wavefront6targetE0EEEvT1_
	.globl	_ZN7rocprim17ROCPRIM_400000_NS6detail17trampoline_kernelINS0_14default_configENS1_33run_length_encode_config_selectorIjjNS0_4plusIjEEEEZZNS1_33reduce_by_key_impl_wrapped_configILNS1_25lookback_scan_determinismE0ES3_S7_PKjNS0_17constant_iteratorIjlEEPjPlSF_S6_NS0_8equal_toIjEEEE10hipError_tPvRmT2_T3_mT4_T5_T6_T7_T8_P12ihipStream_tbENKUlT_T0_E_clISt17integral_constantIbLb0EESZ_EEDaSU_SV_EUlSU_E_NS1_11comp_targetILNS1_3genE2ELNS1_11target_archE906ELNS1_3gpuE6ELNS1_3repE0EEENS1_30default_config_static_selectorELNS0_4arch9wavefront6targetE0EEEvT1_
	.p2align	8
	.type	_ZN7rocprim17ROCPRIM_400000_NS6detail17trampoline_kernelINS0_14default_configENS1_33run_length_encode_config_selectorIjjNS0_4plusIjEEEEZZNS1_33reduce_by_key_impl_wrapped_configILNS1_25lookback_scan_determinismE0ES3_S7_PKjNS0_17constant_iteratorIjlEEPjPlSF_S6_NS0_8equal_toIjEEEE10hipError_tPvRmT2_T3_mT4_T5_T6_T7_T8_P12ihipStream_tbENKUlT_T0_E_clISt17integral_constantIbLb0EESZ_EEDaSU_SV_EUlSU_E_NS1_11comp_targetILNS1_3genE2ELNS1_11target_archE906ELNS1_3gpuE6ELNS1_3repE0EEENS1_30default_config_static_selectorELNS0_4arch9wavefront6targetE0EEEvT1_,@function
_ZN7rocprim17ROCPRIM_400000_NS6detail17trampoline_kernelINS0_14default_configENS1_33run_length_encode_config_selectorIjjNS0_4plusIjEEEEZZNS1_33reduce_by_key_impl_wrapped_configILNS1_25lookback_scan_determinismE0ES3_S7_PKjNS0_17constant_iteratorIjlEEPjPlSF_S6_NS0_8equal_toIjEEEE10hipError_tPvRmT2_T3_mT4_T5_T6_T7_T8_P12ihipStream_tbENKUlT_T0_E_clISt17integral_constantIbLb0EESZ_EEDaSU_SV_EUlSU_E_NS1_11comp_targetILNS1_3genE2ELNS1_11target_archE906ELNS1_3gpuE6ELNS1_3repE0EEENS1_30default_config_static_selectorELNS0_4arch9wavefront6targetE0EEEvT1_: ; @_ZN7rocprim17ROCPRIM_400000_NS6detail17trampoline_kernelINS0_14default_configENS1_33run_length_encode_config_selectorIjjNS0_4plusIjEEEEZZNS1_33reduce_by_key_impl_wrapped_configILNS1_25lookback_scan_determinismE0ES3_S7_PKjNS0_17constant_iteratorIjlEEPjPlSF_S6_NS0_8equal_toIjEEEE10hipError_tPvRmT2_T3_mT4_T5_T6_T7_T8_P12ihipStream_tbENKUlT_T0_E_clISt17integral_constantIbLb0EESZ_EEDaSU_SV_EUlSU_E_NS1_11comp_targetILNS1_3genE2ELNS1_11target_archE906ELNS1_3gpuE6ELNS1_3repE0EEENS1_30default_config_static_selectorELNS0_4arch9wavefront6targetE0EEEvT1_
; %bb.0:
	.section	.rodata,"a",@progbits
	.p2align	6, 0x0
	.amdhsa_kernel _ZN7rocprim17ROCPRIM_400000_NS6detail17trampoline_kernelINS0_14default_configENS1_33run_length_encode_config_selectorIjjNS0_4plusIjEEEEZZNS1_33reduce_by_key_impl_wrapped_configILNS1_25lookback_scan_determinismE0ES3_S7_PKjNS0_17constant_iteratorIjlEEPjPlSF_S6_NS0_8equal_toIjEEEE10hipError_tPvRmT2_T3_mT4_T5_T6_T7_T8_P12ihipStream_tbENKUlT_T0_E_clISt17integral_constantIbLb0EESZ_EEDaSU_SV_EUlSU_E_NS1_11comp_targetILNS1_3genE2ELNS1_11target_archE906ELNS1_3gpuE6ELNS1_3repE0EEENS1_30default_config_static_selectorELNS0_4arch9wavefront6targetE0EEEvT1_
		.amdhsa_group_segment_fixed_size 0
		.amdhsa_private_segment_fixed_size 0
		.amdhsa_kernarg_size 128
		.amdhsa_user_sgpr_count 2
		.amdhsa_user_sgpr_dispatch_ptr 0
		.amdhsa_user_sgpr_queue_ptr 0
		.amdhsa_user_sgpr_kernarg_segment_ptr 1
		.amdhsa_user_sgpr_dispatch_id 0
		.amdhsa_user_sgpr_kernarg_preload_length 0
		.amdhsa_user_sgpr_kernarg_preload_offset 0
		.amdhsa_user_sgpr_private_segment_size 0
		.amdhsa_wavefront_size32 1
		.amdhsa_uses_dynamic_stack 0
		.amdhsa_enable_private_segment 0
		.amdhsa_system_sgpr_workgroup_id_x 1
		.amdhsa_system_sgpr_workgroup_id_y 0
		.amdhsa_system_sgpr_workgroup_id_z 0
		.amdhsa_system_sgpr_workgroup_info 0
		.amdhsa_system_vgpr_workitem_id 0
		.amdhsa_next_free_vgpr 1
		.amdhsa_next_free_sgpr 1
		.amdhsa_named_barrier_count 0
		.amdhsa_reserve_vcc 0
		.amdhsa_float_round_mode_32 0
		.amdhsa_float_round_mode_16_64 0
		.amdhsa_float_denorm_mode_32 3
		.amdhsa_float_denorm_mode_16_64 3
		.amdhsa_fp16_overflow 0
		.amdhsa_memory_ordered 1
		.amdhsa_forward_progress 1
		.amdhsa_inst_pref_size 0
		.amdhsa_round_robin_scheduling 0
		.amdhsa_exception_fp_ieee_invalid_op 0
		.amdhsa_exception_fp_denorm_src 0
		.amdhsa_exception_fp_ieee_div_zero 0
		.amdhsa_exception_fp_ieee_overflow 0
		.amdhsa_exception_fp_ieee_underflow 0
		.amdhsa_exception_fp_ieee_inexact 0
		.amdhsa_exception_int_div_zero 0
	.end_amdhsa_kernel
	.section	.text._ZN7rocprim17ROCPRIM_400000_NS6detail17trampoline_kernelINS0_14default_configENS1_33run_length_encode_config_selectorIjjNS0_4plusIjEEEEZZNS1_33reduce_by_key_impl_wrapped_configILNS1_25lookback_scan_determinismE0ES3_S7_PKjNS0_17constant_iteratorIjlEEPjPlSF_S6_NS0_8equal_toIjEEEE10hipError_tPvRmT2_T3_mT4_T5_T6_T7_T8_P12ihipStream_tbENKUlT_T0_E_clISt17integral_constantIbLb0EESZ_EEDaSU_SV_EUlSU_E_NS1_11comp_targetILNS1_3genE2ELNS1_11target_archE906ELNS1_3gpuE6ELNS1_3repE0EEENS1_30default_config_static_selectorELNS0_4arch9wavefront6targetE0EEEvT1_,"axG",@progbits,_ZN7rocprim17ROCPRIM_400000_NS6detail17trampoline_kernelINS0_14default_configENS1_33run_length_encode_config_selectorIjjNS0_4plusIjEEEEZZNS1_33reduce_by_key_impl_wrapped_configILNS1_25lookback_scan_determinismE0ES3_S7_PKjNS0_17constant_iteratorIjlEEPjPlSF_S6_NS0_8equal_toIjEEEE10hipError_tPvRmT2_T3_mT4_T5_T6_T7_T8_P12ihipStream_tbENKUlT_T0_E_clISt17integral_constantIbLb0EESZ_EEDaSU_SV_EUlSU_E_NS1_11comp_targetILNS1_3genE2ELNS1_11target_archE906ELNS1_3gpuE6ELNS1_3repE0EEENS1_30default_config_static_selectorELNS0_4arch9wavefront6targetE0EEEvT1_,comdat
.Lfunc_end653:
	.size	_ZN7rocprim17ROCPRIM_400000_NS6detail17trampoline_kernelINS0_14default_configENS1_33run_length_encode_config_selectorIjjNS0_4plusIjEEEEZZNS1_33reduce_by_key_impl_wrapped_configILNS1_25lookback_scan_determinismE0ES3_S7_PKjNS0_17constant_iteratorIjlEEPjPlSF_S6_NS0_8equal_toIjEEEE10hipError_tPvRmT2_T3_mT4_T5_T6_T7_T8_P12ihipStream_tbENKUlT_T0_E_clISt17integral_constantIbLb0EESZ_EEDaSU_SV_EUlSU_E_NS1_11comp_targetILNS1_3genE2ELNS1_11target_archE906ELNS1_3gpuE6ELNS1_3repE0EEENS1_30default_config_static_selectorELNS0_4arch9wavefront6targetE0EEEvT1_, .Lfunc_end653-_ZN7rocprim17ROCPRIM_400000_NS6detail17trampoline_kernelINS0_14default_configENS1_33run_length_encode_config_selectorIjjNS0_4plusIjEEEEZZNS1_33reduce_by_key_impl_wrapped_configILNS1_25lookback_scan_determinismE0ES3_S7_PKjNS0_17constant_iteratorIjlEEPjPlSF_S6_NS0_8equal_toIjEEEE10hipError_tPvRmT2_T3_mT4_T5_T6_T7_T8_P12ihipStream_tbENKUlT_T0_E_clISt17integral_constantIbLb0EESZ_EEDaSU_SV_EUlSU_E_NS1_11comp_targetILNS1_3genE2ELNS1_11target_archE906ELNS1_3gpuE6ELNS1_3repE0EEENS1_30default_config_static_selectorELNS0_4arch9wavefront6targetE0EEEvT1_
                                        ; -- End function
	.set _ZN7rocprim17ROCPRIM_400000_NS6detail17trampoline_kernelINS0_14default_configENS1_33run_length_encode_config_selectorIjjNS0_4plusIjEEEEZZNS1_33reduce_by_key_impl_wrapped_configILNS1_25lookback_scan_determinismE0ES3_S7_PKjNS0_17constant_iteratorIjlEEPjPlSF_S6_NS0_8equal_toIjEEEE10hipError_tPvRmT2_T3_mT4_T5_T6_T7_T8_P12ihipStream_tbENKUlT_T0_E_clISt17integral_constantIbLb0EESZ_EEDaSU_SV_EUlSU_E_NS1_11comp_targetILNS1_3genE2ELNS1_11target_archE906ELNS1_3gpuE6ELNS1_3repE0EEENS1_30default_config_static_selectorELNS0_4arch9wavefront6targetE0EEEvT1_.num_vgpr, 0
	.set _ZN7rocprim17ROCPRIM_400000_NS6detail17trampoline_kernelINS0_14default_configENS1_33run_length_encode_config_selectorIjjNS0_4plusIjEEEEZZNS1_33reduce_by_key_impl_wrapped_configILNS1_25lookback_scan_determinismE0ES3_S7_PKjNS0_17constant_iteratorIjlEEPjPlSF_S6_NS0_8equal_toIjEEEE10hipError_tPvRmT2_T3_mT4_T5_T6_T7_T8_P12ihipStream_tbENKUlT_T0_E_clISt17integral_constantIbLb0EESZ_EEDaSU_SV_EUlSU_E_NS1_11comp_targetILNS1_3genE2ELNS1_11target_archE906ELNS1_3gpuE6ELNS1_3repE0EEENS1_30default_config_static_selectorELNS0_4arch9wavefront6targetE0EEEvT1_.num_agpr, 0
	.set _ZN7rocprim17ROCPRIM_400000_NS6detail17trampoline_kernelINS0_14default_configENS1_33run_length_encode_config_selectorIjjNS0_4plusIjEEEEZZNS1_33reduce_by_key_impl_wrapped_configILNS1_25lookback_scan_determinismE0ES3_S7_PKjNS0_17constant_iteratorIjlEEPjPlSF_S6_NS0_8equal_toIjEEEE10hipError_tPvRmT2_T3_mT4_T5_T6_T7_T8_P12ihipStream_tbENKUlT_T0_E_clISt17integral_constantIbLb0EESZ_EEDaSU_SV_EUlSU_E_NS1_11comp_targetILNS1_3genE2ELNS1_11target_archE906ELNS1_3gpuE6ELNS1_3repE0EEENS1_30default_config_static_selectorELNS0_4arch9wavefront6targetE0EEEvT1_.numbered_sgpr, 0
	.set _ZN7rocprim17ROCPRIM_400000_NS6detail17trampoline_kernelINS0_14default_configENS1_33run_length_encode_config_selectorIjjNS0_4plusIjEEEEZZNS1_33reduce_by_key_impl_wrapped_configILNS1_25lookback_scan_determinismE0ES3_S7_PKjNS0_17constant_iteratorIjlEEPjPlSF_S6_NS0_8equal_toIjEEEE10hipError_tPvRmT2_T3_mT4_T5_T6_T7_T8_P12ihipStream_tbENKUlT_T0_E_clISt17integral_constantIbLb0EESZ_EEDaSU_SV_EUlSU_E_NS1_11comp_targetILNS1_3genE2ELNS1_11target_archE906ELNS1_3gpuE6ELNS1_3repE0EEENS1_30default_config_static_selectorELNS0_4arch9wavefront6targetE0EEEvT1_.num_named_barrier, 0
	.set _ZN7rocprim17ROCPRIM_400000_NS6detail17trampoline_kernelINS0_14default_configENS1_33run_length_encode_config_selectorIjjNS0_4plusIjEEEEZZNS1_33reduce_by_key_impl_wrapped_configILNS1_25lookback_scan_determinismE0ES3_S7_PKjNS0_17constant_iteratorIjlEEPjPlSF_S6_NS0_8equal_toIjEEEE10hipError_tPvRmT2_T3_mT4_T5_T6_T7_T8_P12ihipStream_tbENKUlT_T0_E_clISt17integral_constantIbLb0EESZ_EEDaSU_SV_EUlSU_E_NS1_11comp_targetILNS1_3genE2ELNS1_11target_archE906ELNS1_3gpuE6ELNS1_3repE0EEENS1_30default_config_static_selectorELNS0_4arch9wavefront6targetE0EEEvT1_.private_seg_size, 0
	.set _ZN7rocprim17ROCPRIM_400000_NS6detail17trampoline_kernelINS0_14default_configENS1_33run_length_encode_config_selectorIjjNS0_4plusIjEEEEZZNS1_33reduce_by_key_impl_wrapped_configILNS1_25lookback_scan_determinismE0ES3_S7_PKjNS0_17constant_iteratorIjlEEPjPlSF_S6_NS0_8equal_toIjEEEE10hipError_tPvRmT2_T3_mT4_T5_T6_T7_T8_P12ihipStream_tbENKUlT_T0_E_clISt17integral_constantIbLb0EESZ_EEDaSU_SV_EUlSU_E_NS1_11comp_targetILNS1_3genE2ELNS1_11target_archE906ELNS1_3gpuE6ELNS1_3repE0EEENS1_30default_config_static_selectorELNS0_4arch9wavefront6targetE0EEEvT1_.uses_vcc, 0
	.set _ZN7rocprim17ROCPRIM_400000_NS6detail17trampoline_kernelINS0_14default_configENS1_33run_length_encode_config_selectorIjjNS0_4plusIjEEEEZZNS1_33reduce_by_key_impl_wrapped_configILNS1_25lookback_scan_determinismE0ES3_S7_PKjNS0_17constant_iteratorIjlEEPjPlSF_S6_NS0_8equal_toIjEEEE10hipError_tPvRmT2_T3_mT4_T5_T6_T7_T8_P12ihipStream_tbENKUlT_T0_E_clISt17integral_constantIbLb0EESZ_EEDaSU_SV_EUlSU_E_NS1_11comp_targetILNS1_3genE2ELNS1_11target_archE906ELNS1_3gpuE6ELNS1_3repE0EEENS1_30default_config_static_selectorELNS0_4arch9wavefront6targetE0EEEvT1_.uses_flat_scratch, 0
	.set _ZN7rocprim17ROCPRIM_400000_NS6detail17trampoline_kernelINS0_14default_configENS1_33run_length_encode_config_selectorIjjNS0_4plusIjEEEEZZNS1_33reduce_by_key_impl_wrapped_configILNS1_25lookback_scan_determinismE0ES3_S7_PKjNS0_17constant_iteratorIjlEEPjPlSF_S6_NS0_8equal_toIjEEEE10hipError_tPvRmT2_T3_mT4_T5_T6_T7_T8_P12ihipStream_tbENKUlT_T0_E_clISt17integral_constantIbLb0EESZ_EEDaSU_SV_EUlSU_E_NS1_11comp_targetILNS1_3genE2ELNS1_11target_archE906ELNS1_3gpuE6ELNS1_3repE0EEENS1_30default_config_static_selectorELNS0_4arch9wavefront6targetE0EEEvT1_.has_dyn_sized_stack, 0
	.set _ZN7rocprim17ROCPRIM_400000_NS6detail17trampoline_kernelINS0_14default_configENS1_33run_length_encode_config_selectorIjjNS0_4plusIjEEEEZZNS1_33reduce_by_key_impl_wrapped_configILNS1_25lookback_scan_determinismE0ES3_S7_PKjNS0_17constant_iteratorIjlEEPjPlSF_S6_NS0_8equal_toIjEEEE10hipError_tPvRmT2_T3_mT4_T5_T6_T7_T8_P12ihipStream_tbENKUlT_T0_E_clISt17integral_constantIbLb0EESZ_EEDaSU_SV_EUlSU_E_NS1_11comp_targetILNS1_3genE2ELNS1_11target_archE906ELNS1_3gpuE6ELNS1_3repE0EEENS1_30default_config_static_selectorELNS0_4arch9wavefront6targetE0EEEvT1_.has_recursion, 0
	.set _ZN7rocprim17ROCPRIM_400000_NS6detail17trampoline_kernelINS0_14default_configENS1_33run_length_encode_config_selectorIjjNS0_4plusIjEEEEZZNS1_33reduce_by_key_impl_wrapped_configILNS1_25lookback_scan_determinismE0ES3_S7_PKjNS0_17constant_iteratorIjlEEPjPlSF_S6_NS0_8equal_toIjEEEE10hipError_tPvRmT2_T3_mT4_T5_T6_T7_T8_P12ihipStream_tbENKUlT_T0_E_clISt17integral_constantIbLb0EESZ_EEDaSU_SV_EUlSU_E_NS1_11comp_targetILNS1_3genE2ELNS1_11target_archE906ELNS1_3gpuE6ELNS1_3repE0EEENS1_30default_config_static_selectorELNS0_4arch9wavefront6targetE0EEEvT1_.has_indirect_call, 0
	.section	.AMDGPU.csdata,"",@progbits
; Kernel info:
; codeLenInByte = 0
; TotalNumSgprs: 0
; NumVgprs: 0
; ScratchSize: 0
; MemoryBound: 0
; FloatMode: 240
; IeeeMode: 1
; LDSByteSize: 0 bytes/workgroup (compile time only)
; SGPRBlocks: 0
; VGPRBlocks: 0
; NumSGPRsForWavesPerEU: 1
; NumVGPRsForWavesPerEU: 1
; NamedBarCnt: 0
; Occupancy: 16
; WaveLimiterHint : 0
; COMPUTE_PGM_RSRC2:SCRATCH_EN: 0
; COMPUTE_PGM_RSRC2:USER_SGPR: 2
; COMPUTE_PGM_RSRC2:TRAP_HANDLER: 0
; COMPUTE_PGM_RSRC2:TGID_X_EN: 1
; COMPUTE_PGM_RSRC2:TGID_Y_EN: 0
; COMPUTE_PGM_RSRC2:TGID_Z_EN: 0
; COMPUTE_PGM_RSRC2:TIDIG_COMP_CNT: 0
	.section	.text._ZN7rocprim17ROCPRIM_400000_NS6detail17trampoline_kernelINS0_14default_configENS1_33run_length_encode_config_selectorIjjNS0_4plusIjEEEEZZNS1_33reduce_by_key_impl_wrapped_configILNS1_25lookback_scan_determinismE0ES3_S7_PKjNS0_17constant_iteratorIjlEEPjPlSF_S6_NS0_8equal_toIjEEEE10hipError_tPvRmT2_T3_mT4_T5_T6_T7_T8_P12ihipStream_tbENKUlT_T0_E_clISt17integral_constantIbLb0EESZ_EEDaSU_SV_EUlSU_E_NS1_11comp_targetILNS1_3genE10ELNS1_11target_archE1201ELNS1_3gpuE5ELNS1_3repE0EEENS1_30default_config_static_selectorELNS0_4arch9wavefront6targetE0EEEvT1_,"axG",@progbits,_ZN7rocprim17ROCPRIM_400000_NS6detail17trampoline_kernelINS0_14default_configENS1_33run_length_encode_config_selectorIjjNS0_4plusIjEEEEZZNS1_33reduce_by_key_impl_wrapped_configILNS1_25lookback_scan_determinismE0ES3_S7_PKjNS0_17constant_iteratorIjlEEPjPlSF_S6_NS0_8equal_toIjEEEE10hipError_tPvRmT2_T3_mT4_T5_T6_T7_T8_P12ihipStream_tbENKUlT_T0_E_clISt17integral_constantIbLb0EESZ_EEDaSU_SV_EUlSU_E_NS1_11comp_targetILNS1_3genE10ELNS1_11target_archE1201ELNS1_3gpuE5ELNS1_3repE0EEENS1_30default_config_static_selectorELNS0_4arch9wavefront6targetE0EEEvT1_,comdat
	.protected	_ZN7rocprim17ROCPRIM_400000_NS6detail17trampoline_kernelINS0_14default_configENS1_33run_length_encode_config_selectorIjjNS0_4plusIjEEEEZZNS1_33reduce_by_key_impl_wrapped_configILNS1_25lookback_scan_determinismE0ES3_S7_PKjNS0_17constant_iteratorIjlEEPjPlSF_S6_NS0_8equal_toIjEEEE10hipError_tPvRmT2_T3_mT4_T5_T6_T7_T8_P12ihipStream_tbENKUlT_T0_E_clISt17integral_constantIbLb0EESZ_EEDaSU_SV_EUlSU_E_NS1_11comp_targetILNS1_3genE10ELNS1_11target_archE1201ELNS1_3gpuE5ELNS1_3repE0EEENS1_30default_config_static_selectorELNS0_4arch9wavefront6targetE0EEEvT1_ ; -- Begin function _ZN7rocprim17ROCPRIM_400000_NS6detail17trampoline_kernelINS0_14default_configENS1_33run_length_encode_config_selectorIjjNS0_4plusIjEEEEZZNS1_33reduce_by_key_impl_wrapped_configILNS1_25lookback_scan_determinismE0ES3_S7_PKjNS0_17constant_iteratorIjlEEPjPlSF_S6_NS0_8equal_toIjEEEE10hipError_tPvRmT2_T3_mT4_T5_T6_T7_T8_P12ihipStream_tbENKUlT_T0_E_clISt17integral_constantIbLb0EESZ_EEDaSU_SV_EUlSU_E_NS1_11comp_targetILNS1_3genE10ELNS1_11target_archE1201ELNS1_3gpuE5ELNS1_3repE0EEENS1_30default_config_static_selectorELNS0_4arch9wavefront6targetE0EEEvT1_
	.globl	_ZN7rocprim17ROCPRIM_400000_NS6detail17trampoline_kernelINS0_14default_configENS1_33run_length_encode_config_selectorIjjNS0_4plusIjEEEEZZNS1_33reduce_by_key_impl_wrapped_configILNS1_25lookback_scan_determinismE0ES3_S7_PKjNS0_17constant_iteratorIjlEEPjPlSF_S6_NS0_8equal_toIjEEEE10hipError_tPvRmT2_T3_mT4_T5_T6_T7_T8_P12ihipStream_tbENKUlT_T0_E_clISt17integral_constantIbLb0EESZ_EEDaSU_SV_EUlSU_E_NS1_11comp_targetILNS1_3genE10ELNS1_11target_archE1201ELNS1_3gpuE5ELNS1_3repE0EEENS1_30default_config_static_selectorELNS0_4arch9wavefront6targetE0EEEvT1_
	.p2align	8
	.type	_ZN7rocprim17ROCPRIM_400000_NS6detail17trampoline_kernelINS0_14default_configENS1_33run_length_encode_config_selectorIjjNS0_4plusIjEEEEZZNS1_33reduce_by_key_impl_wrapped_configILNS1_25lookback_scan_determinismE0ES3_S7_PKjNS0_17constant_iteratorIjlEEPjPlSF_S6_NS0_8equal_toIjEEEE10hipError_tPvRmT2_T3_mT4_T5_T6_T7_T8_P12ihipStream_tbENKUlT_T0_E_clISt17integral_constantIbLb0EESZ_EEDaSU_SV_EUlSU_E_NS1_11comp_targetILNS1_3genE10ELNS1_11target_archE1201ELNS1_3gpuE5ELNS1_3repE0EEENS1_30default_config_static_selectorELNS0_4arch9wavefront6targetE0EEEvT1_,@function
_ZN7rocprim17ROCPRIM_400000_NS6detail17trampoline_kernelINS0_14default_configENS1_33run_length_encode_config_selectorIjjNS0_4plusIjEEEEZZNS1_33reduce_by_key_impl_wrapped_configILNS1_25lookback_scan_determinismE0ES3_S7_PKjNS0_17constant_iteratorIjlEEPjPlSF_S6_NS0_8equal_toIjEEEE10hipError_tPvRmT2_T3_mT4_T5_T6_T7_T8_P12ihipStream_tbENKUlT_T0_E_clISt17integral_constantIbLb0EESZ_EEDaSU_SV_EUlSU_E_NS1_11comp_targetILNS1_3genE10ELNS1_11target_archE1201ELNS1_3gpuE5ELNS1_3repE0EEENS1_30default_config_static_selectorELNS0_4arch9wavefront6targetE0EEEvT1_: ; @_ZN7rocprim17ROCPRIM_400000_NS6detail17trampoline_kernelINS0_14default_configENS1_33run_length_encode_config_selectorIjjNS0_4plusIjEEEEZZNS1_33reduce_by_key_impl_wrapped_configILNS1_25lookback_scan_determinismE0ES3_S7_PKjNS0_17constant_iteratorIjlEEPjPlSF_S6_NS0_8equal_toIjEEEE10hipError_tPvRmT2_T3_mT4_T5_T6_T7_T8_P12ihipStream_tbENKUlT_T0_E_clISt17integral_constantIbLb0EESZ_EEDaSU_SV_EUlSU_E_NS1_11comp_targetILNS1_3genE10ELNS1_11target_archE1201ELNS1_3gpuE5ELNS1_3repE0EEENS1_30default_config_static_selectorELNS0_4arch9wavefront6targetE0EEEvT1_
; %bb.0:
	.section	.rodata,"a",@progbits
	.p2align	6, 0x0
	.amdhsa_kernel _ZN7rocprim17ROCPRIM_400000_NS6detail17trampoline_kernelINS0_14default_configENS1_33run_length_encode_config_selectorIjjNS0_4plusIjEEEEZZNS1_33reduce_by_key_impl_wrapped_configILNS1_25lookback_scan_determinismE0ES3_S7_PKjNS0_17constant_iteratorIjlEEPjPlSF_S6_NS0_8equal_toIjEEEE10hipError_tPvRmT2_T3_mT4_T5_T6_T7_T8_P12ihipStream_tbENKUlT_T0_E_clISt17integral_constantIbLb0EESZ_EEDaSU_SV_EUlSU_E_NS1_11comp_targetILNS1_3genE10ELNS1_11target_archE1201ELNS1_3gpuE5ELNS1_3repE0EEENS1_30default_config_static_selectorELNS0_4arch9wavefront6targetE0EEEvT1_
		.amdhsa_group_segment_fixed_size 0
		.amdhsa_private_segment_fixed_size 0
		.amdhsa_kernarg_size 128
		.amdhsa_user_sgpr_count 2
		.amdhsa_user_sgpr_dispatch_ptr 0
		.amdhsa_user_sgpr_queue_ptr 0
		.amdhsa_user_sgpr_kernarg_segment_ptr 1
		.amdhsa_user_sgpr_dispatch_id 0
		.amdhsa_user_sgpr_kernarg_preload_length 0
		.amdhsa_user_sgpr_kernarg_preload_offset 0
		.amdhsa_user_sgpr_private_segment_size 0
		.amdhsa_wavefront_size32 1
		.amdhsa_uses_dynamic_stack 0
		.amdhsa_enable_private_segment 0
		.amdhsa_system_sgpr_workgroup_id_x 1
		.amdhsa_system_sgpr_workgroup_id_y 0
		.amdhsa_system_sgpr_workgroup_id_z 0
		.amdhsa_system_sgpr_workgroup_info 0
		.amdhsa_system_vgpr_workitem_id 0
		.amdhsa_next_free_vgpr 1
		.amdhsa_next_free_sgpr 1
		.amdhsa_named_barrier_count 0
		.amdhsa_reserve_vcc 0
		.amdhsa_float_round_mode_32 0
		.amdhsa_float_round_mode_16_64 0
		.amdhsa_float_denorm_mode_32 3
		.amdhsa_float_denorm_mode_16_64 3
		.amdhsa_fp16_overflow 0
		.amdhsa_memory_ordered 1
		.amdhsa_forward_progress 1
		.amdhsa_inst_pref_size 0
		.amdhsa_round_robin_scheduling 0
		.amdhsa_exception_fp_ieee_invalid_op 0
		.amdhsa_exception_fp_denorm_src 0
		.amdhsa_exception_fp_ieee_div_zero 0
		.amdhsa_exception_fp_ieee_overflow 0
		.amdhsa_exception_fp_ieee_underflow 0
		.amdhsa_exception_fp_ieee_inexact 0
		.amdhsa_exception_int_div_zero 0
	.end_amdhsa_kernel
	.section	.text._ZN7rocprim17ROCPRIM_400000_NS6detail17trampoline_kernelINS0_14default_configENS1_33run_length_encode_config_selectorIjjNS0_4plusIjEEEEZZNS1_33reduce_by_key_impl_wrapped_configILNS1_25lookback_scan_determinismE0ES3_S7_PKjNS0_17constant_iteratorIjlEEPjPlSF_S6_NS0_8equal_toIjEEEE10hipError_tPvRmT2_T3_mT4_T5_T6_T7_T8_P12ihipStream_tbENKUlT_T0_E_clISt17integral_constantIbLb0EESZ_EEDaSU_SV_EUlSU_E_NS1_11comp_targetILNS1_3genE10ELNS1_11target_archE1201ELNS1_3gpuE5ELNS1_3repE0EEENS1_30default_config_static_selectorELNS0_4arch9wavefront6targetE0EEEvT1_,"axG",@progbits,_ZN7rocprim17ROCPRIM_400000_NS6detail17trampoline_kernelINS0_14default_configENS1_33run_length_encode_config_selectorIjjNS0_4plusIjEEEEZZNS1_33reduce_by_key_impl_wrapped_configILNS1_25lookback_scan_determinismE0ES3_S7_PKjNS0_17constant_iteratorIjlEEPjPlSF_S6_NS0_8equal_toIjEEEE10hipError_tPvRmT2_T3_mT4_T5_T6_T7_T8_P12ihipStream_tbENKUlT_T0_E_clISt17integral_constantIbLb0EESZ_EEDaSU_SV_EUlSU_E_NS1_11comp_targetILNS1_3genE10ELNS1_11target_archE1201ELNS1_3gpuE5ELNS1_3repE0EEENS1_30default_config_static_selectorELNS0_4arch9wavefront6targetE0EEEvT1_,comdat
.Lfunc_end654:
	.size	_ZN7rocprim17ROCPRIM_400000_NS6detail17trampoline_kernelINS0_14default_configENS1_33run_length_encode_config_selectorIjjNS0_4plusIjEEEEZZNS1_33reduce_by_key_impl_wrapped_configILNS1_25lookback_scan_determinismE0ES3_S7_PKjNS0_17constant_iteratorIjlEEPjPlSF_S6_NS0_8equal_toIjEEEE10hipError_tPvRmT2_T3_mT4_T5_T6_T7_T8_P12ihipStream_tbENKUlT_T0_E_clISt17integral_constantIbLb0EESZ_EEDaSU_SV_EUlSU_E_NS1_11comp_targetILNS1_3genE10ELNS1_11target_archE1201ELNS1_3gpuE5ELNS1_3repE0EEENS1_30default_config_static_selectorELNS0_4arch9wavefront6targetE0EEEvT1_, .Lfunc_end654-_ZN7rocprim17ROCPRIM_400000_NS6detail17trampoline_kernelINS0_14default_configENS1_33run_length_encode_config_selectorIjjNS0_4plusIjEEEEZZNS1_33reduce_by_key_impl_wrapped_configILNS1_25lookback_scan_determinismE0ES3_S7_PKjNS0_17constant_iteratorIjlEEPjPlSF_S6_NS0_8equal_toIjEEEE10hipError_tPvRmT2_T3_mT4_T5_T6_T7_T8_P12ihipStream_tbENKUlT_T0_E_clISt17integral_constantIbLb0EESZ_EEDaSU_SV_EUlSU_E_NS1_11comp_targetILNS1_3genE10ELNS1_11target_archE1201ELNS1_3gpuE5ELNS1_3repE0EEENS1_30default_config_static_selectorELNS0_4arch9wavefront6targetE0EEEvT1_
                                        ; -- End function
	.set _ZN7rocprim17ROCPRIM_400000_NS6detail17trampoline_kernelINS0_14default_configENS1_33run_length_encode_config_selectorIjjNS0_4plusIjEEEEZZNS1_33reduce_by_key_impl_wrapped_configILNS1_25lookback_scan_determinismE0ES3_S7_PKjNS0_17constant_iteratorIjlEEPjPlSF_S6_NS0_8equal_toIjEEEE10hipError_tPvRmT2_T3_mT4_T5_T6_T7_T8_P12ihipStream_tbENKUlT_T0_E_clISt17integral_constantIbLb0EESZ_EEDaSU_SV_EUlSU_E_NS1_11comp_targetILNS1_3genE10ELNS1_11target_archE1201ELNS1_3gpuE5ELNS1_3repE0EEENS1_30default_config_static_selectorELNS0_4arch9wavefront6targetE0EEEvT1_.num_vgpr, 0
	.set _ZN7rocprim17ROCPRIM_400000_NS6detail17trampoline_kernelINS0_14default_configENS1_33run_length_encode_config_selectorIjjNS0_4plusIjEEEEZZNS1_33reduce_by_key_impl_wrapped_configILNS1_25lookback_scan_determinismE0ES3_S7_PKjNS0_17constant_iteratorIjlEEPjPlSF_S6_NS0_8equal_toIjEEEE10hipError_tPvRmT2_T3_mT4_T5_T6_T7_T8_P12ihipStream_tbENKUlT_T0_E_clISt17integral_constantIbLb0EESZ_EEDaSU_SV_EUlSU_E_NS1_11comp_targetILNS1_3genE10ELNS1_11target_archE1201ELNS1_3gpuE5ELNS1_3repE0EEENS1_30default_config_static_selectorELNS0_4arch9wavefront6targetE0EEEvT1_.num_agpr, 0
	.set _ZN7rocprim17ROCPRIM_400000_NS6detail17trampoline_kernelINS0_14default_configENS1_33run_length_encode_config_selectorIjjNS0_4plusIjEEEEZZNS1_33reduce_by_key_impl_wrapped_configILNS1_25lookback_scan_determinismE0ES3_S7_PKjNS0_17constant_iteratorIjlEEPjPlSF_S6_NS0_8equal_toIjEEEE10hipError_tPvRmT2_T3_mT4_T5_T6_T7_T8_P12ihipStream_tbENKUlT_T0_E_clISt17integral_constantIbLb0EESZ_EEDaSU_SV_EUlSU_E_NS1_11comp_targetILNS1_3genE10ELNS1_11target_archE1201ELNS1_3gpuE5ELNS1_3repE0EEENS1_30default_config_static_selectorELNS0_4arch9wavefront6targetE0EEEvT1_.numbered_sgpr, 0
	.set _ZN7rocprim17ROCPRIM_400000_NS6detail17trampoline_kernelINS0_14default_configENS1_33run_length_encode_config_selectorIjjNS0_4plusIjEEEEZZNS1_33reduce_by_key_impl_wrapped_configILNS1_25lookback_scan_determinismE0ES3_S7_PKjNS0_17constant_iteratorIjlEEPjPlSF_S6_NS0_8equal_toIjEEEE10hipError_tPvRmT2_T3_mT4_T5_T6_T7_T8_P12ihipStream_tbENKUlT_T0_E_clISt17integral_constantIbLb0EESZ_EEDaSU_SV_EUlSU_E_NS1_11comp_targetILNS1_3genE10ELNS1_11target_archE1201ELNS1_3gpuE5ELNS1_3repE0EEENS1_30default_config_static_selectorELNS0_4arch9wavefront6targetE0EEEvT1_.num_named_barrier, 0
	.set _ZN7rocprim17ROCPRIM_400000_NS6detail17trampoline_kernelINS0_14default_configENS1_33run_length_encode_config_selectorIjjNS0_4plusIjEEEEZZNS1_33reduce_by_key_impl_wrapped_configILNS1_25lookback_scan_determinismE0ES3_S7_PKjNS0_17constant_iteratorIjlEEPjPlSF_S6_NS0_8equal_toIjEEEE10hipError_tPvRmT2_T3_mT4_T5_T6_T7_T8_P12ihipStream_tbENKUlT_T0_E_clISt17integral_constantIbLb0EESZ_EEDaSU_SV_EUlSU_E_NS1_11comp_targetILNS1_3genE10ELNS1_11target_archE1201ELNS1_3gpuE5ELNS1_3repE0EEENS1_30default_config_static_selectorELNS0_4arch9wavefront6targetE0EEEvT1_.private_seg_size, 0
	.set _ZN7rocprim17ROCPRIM_400000_NS6detail17trampoline_kernelINS0_14default_configENS1_33run_length_encode_config_selectorIjjNS0_4plusIjEEEEZZNS1_33reduce_by_key_impl_wrapped_configILNS1_25lookback_scan_determinismE0ES3_S7_PKjNS0_17constant_iteratorIjlEEPjPlSF_S6_NS0_8equal_toIjEEEE10hipError_tPvRmT2_T3_mT4_T5_T6_T7_T8_P12ihipStream_tbENKUlT_T0_E_clISt17integral_constantIbLb0EESZ_EEDaSU_SV_EUlSU_E_NS1_11comp_targetILNS1_3genE10ELNS1_11target_archE1201ELNS1_3gpuE5ELNS1_3repE0EEENS1_30default_config_static_selectorELNS0_4arch9wavefront6targetE0EEEvT1_.uses_vcc, 0
	.set _ZN7rocprim17ROCPRIM_400000_NS6detail17trampoline_kernelINS0_14default_configENS1_33run_length_encode_config_selectorIjjNS0_4plusIjEEEEZZNS1_33reduce_by_key_impl_wrapped_configILNS1_25lookback_scan_determinismE0ES3_S7_PKjNS0_17constant_iteratorIjlEEPjPlSF_S6_NS0_8equal_toIjEEEE10hipError_tPvRmT2_T3_mT4_T5_T6_T7_T8_P12ihipStream_tbENKUlT_T0_E_clISt17integral_constantIbLb0EESZ_EEDaSU_SV_EUlSU_E_NS1_11comp_targetILNS1_3genE10ELNS1_11target_archE1201ELNS1_3gpuE5ELNS1_3repE0EEENS1_30default_config_static_selectorELNS0_4arch9wavefront6targetE0EEEvT1_.uses_flat_scratch, 0
	.set _ZN7rocprim17ROCPRIM_400000_NS6detail17trampoline_kernelINS0_14default_configENS1_33run_length_encode_config_selectorIjjNS0_4plusIjEEEEZZNS1_33reduce_by_key_impl_wrapped_configILNS1_25lookback_scan_determinismE0ES3_S7_PKjNS0_17constant_iteratorIjlEEPjPlSF_S6_NS0_8equal_toIjEEEE10hipError_tPvRmT2_T3_mT4_T5_T6_T7_T8_P12ihipStream_tbENKUlT_T0_E_clISt17integral_constantIbLb0EESZ_EEDaSU_SV_EUlSU_E_NS1_11comp_targetILNS1_3genE10ELNS1_11target_archE1201ELNS1_3gpuE5ELNS1_3repE0EEENS1_30default_config_static_selectorELNS0_4arch9wavefront6targetE0EEEvT1_.has_dyn_sized_stack, 0
	.set _ZN7rocprim17ROCPRIM_400000_NS6detail17trampoline_kernelINS0_14default_configENS1_33run_length_encode_config_selectorIjjNS0_4plusIjEEEEZZNS1_33reduce_by_key_impl_wrapped_configILNS1_25lookback_scan_determinismE0ES3_S7_PKjNS0_17constant_iteratorIjlEEPjPlSF_S6_NS0_8equal_toIjEEEE10hipError_tPvRmT2_T3_mT4_T5_T6_T7_T8_P12ihipStream_tbENKUlT_T0_E_clISt17integral_constantIbLb0EESZ_EEDaSU_SV_EUlSU_E_NS1_11comp_targetILNS1_3genE10ELNS1_11target_archE1201ELNS1_3gpuE5ELNS1_3repE0EEENS1_30default_config_static_selectorELNS0_4arch9wavefront6targetE0EEEvT1_.has_recursion, 0
	.set _ZN7rocprim17ROCPRIM_400000_NS6detail17trampoline_kernelINS0_14default_configENS1_33run_length_encode_config_selectorIjjNS0_4plusIjEEEEZZNS1_33reduce_by_key_impl_wrapped_configILNS1_25lookback_scan_determinismE0ES3_S7_PKjNS0_17constant_iteratorIjlEEPjPlSF_S6_NS0_8equal_toIjEEEE10hipError_tPvRmT2_T3_mT4_T5_T6_T7_T8_P12ihipStream_tbENKUlT_T0_E_clISt17integral_constantIbLb0EESZ_EEDaSU_SV_EUlSU_E_NS1_11comp_targetILNS1_3genE10ELNS1_11target_archE1201ELNS1_3gpuE5ELNS1_3repE0EEENS1_30default_config_static_selectorELNS0_4arch9wavefront6targetE0EEEvT1_.has_indirect_call, 0
	.section	.AMDGPU.csdata,"",@progbits
; Kernel info:
; codeLenInByte = 0
; TotalNumSgprs: 0
; NumVgprs: 0
; ScratchSize: 0
; MemoryBound: 0
; FloatMode: 240
; IeeeMode: 1
; LDSByteSize: 0 bytes/workgroup (compile time only)
; SGPRBlocks: 0
; VGPRBlocks: 0
; NumSGPRsForWavesPerEU: 1
; NumVGPRsForWavesPerEU: 1
; NamedBarCnt: 0
; Occupancy: 16
; WaveLimiterHint : 0
; COMPUTE_PGM_RSRC2:SCRATCH_EN: 0
; COMPUTE_PGM_RSRC2:USER_SGPR: 2
; COMPUTE_PGM_RSRC2:TRAP_HANDLER: 0
; COMPUTE_PGM_RSRC2:TGID_X_EN: 1
; COMPUTE_PGM_RSRC2:TGID_Y_EN: 0
; COMPUTE_PGM_RSRC2:TGID_Z_EN: 0
; COMPUTE_PGM_RSRC2:TIDIG_COMP_CNT: 0
	.section	.text._ZN7rocprim17ROCPRIM_400000_NS6detail17trampoline_kernelINS0_14default_configENS1_33run_length_encode_config_selectorIjjNS0_4plusIjEEEEZZNS1_33reduce_by_key_impl_wrapped_configILNS1_25lookback_scan_determinismE0ES3_S7_PKjNS0_17constant_iteratorIjlEEPjPlSF_S6_NS0_8equal_toIjEEEE10hipError_tPvRmT2_T3_mT4_T5_T6_T7_T8_P12ihipStream_tbENKUlT_T0_E_clISt17integral_constantIbLb0EESZ_EEDaSU_SV_EUlSU_E_NS1_11comp_targetILNS1_3genE10ELNS1_11target_archE1200ELNS1_3gpuE4ELNS1_3repE0EEENS1_30default_config_static_selectorELNS0_4arch9wavefront6targetE0EEEvT1_,"axG",@progbits,_ZN7rocprim17ROCPRIM_400000_NS6detail17trampoline_kernelINS0_14default_configENS1_33run_length_encode_config_selectorIjjNS0_4plusIjEEEEZZNS1_33reduce_by_key_impl_wrapped_configILNS1_25lookback_scan_determinismE0ES3_S7_PKjNS0_17constant_iteratorIjlEEPjPlSF_S6_NS0_8equal_toIjEEEE10hipError_tPvRmT2_T3_mT4_T5_T6_T7_T8_P12ihipStream_tbENKUlT_T0_E_clISt17integral_constantIbLb0EESZ_EEDaSU_SV_EUlSU_E_NS1_11comp_targetILNS1_3genE10ELNS1_11target_archE1200ELNS1_3gpuE4ELNS1_3repE0EEENS1_30default_config_static_selectorELNS0_4arch9wavefront6targetE0EEEvT1_,comdat
	.protected	_ZN7rocprim17ROCPRIM_400000_NS6detail17trampoline_kernelINS0_14default_configENS1_33run_length_encode_config_selectorIjjNS0_4plusIjEEEEZZNS1_33reduce_by_key_impl_wrapped_configILNS1_25lookback_scan_determinismE0ES3_S7_PKjNS0_17constant_iteratorIjlEEPjPlSF_S6_NS0_8equal_toIjEEEE10hipError_tPvRmT2_T3_mT4_T5_T6_T7_T8_P12ihipStream_tbENKUlT_T0_E_clISt17integral_constantIbLb0EESZ_EEDaSU_SV_EUlSU_E_NS1_11comp_targetILNS1_3genE10ELNS1_11target_archE1200ELNS1_3gpuE4ELNS1_3repE0EEENS1_30default_config_static_selectorELNS0_4arch9wavefront6targetE0EEEvT1_ ; -- Begin function _ZN7rocprim17ROCPRIM_400000_NS6detail17trampoline_kernelINS0_14default_configENS1_33run_length_encode_config_selectorIjjNS0_4plusIjEEEEZZNS1_33reduce_by_key_impl_wrapped_configILNS1_25lookback_scan_determinismE0ES3_S7_PKjNS0_17constant_iteratorIjlEEPjPlSF_S6_NS0_8equal_toIjEEEE10hipError_tPvRmT2_T3_mT4_T5_T6_T7_T8_P12ihipStream_tbENKUlT_T0_E_clISt17integral_constantIbLb0EESZ_EEDaSU_SV_EUlSU_E_NS1_11comp_targetILNS1_3genE10ELNS1_11target_archE1200ELNS1_3gpuE4ELNS1_3repE0EEENS1_30default_config_static_selectorELNS0_4arch9wavefront6targetE0EEEvT1_
	.globl	_ZN7rocprim17ROCPRIM_400000_NS6detail17trampoline_kernelINS0_14default_configENS1_33run_length_encode_config_selectorIjjNS0_4plusIjEEEEZZNS1_33reduce_by_key_impl_wrapped_configILNS1_25lookback_scan_determinismE0ES3_S7_PKjNS0_17constant_iteratorIjlEEPjPlSF_S6_NS0_8equal_toIjEEEE10hipError_tPvRmT2_T3_mT4_T5_T6_T7_T8_P12ihipStream_tbENKUlT_T0_E_clISt17integral_constantIbLb0EESZ_EEDaSU_SV_EUlSU_E_NS1_11comp_targetILNS1_3genE10ELNS1_11target_archE1200ELNS1_3gpuE4ELNS1_3repE0EEENS1_30default_config_static_selectorELNS0_4arch9wavefront6targetE0EEEvT1_
	.p2align	8
	.type	_ZN7rocprim17ROCPRIM_400000_NS6detail17trampoline_kernelINS0_14default_configENS1_33run_length_encode_config_selectorIjjNS0_4plusIjEEEEZZNS1_33reduce_by_key_impl_wrapped_configILNS1_25lookback_scan_determinismE0ES3_S7_PKjNS0_17constant_iteratorIjlEEPjPlSF_S6_NS0_8equal_toIjEEEE10hipError_tPvRmT2_T3_mT4_T5_T6_T7_T8_P12ihipStream_tbENKUlT_T0_E_clISt17integral_constantIbLb0EESZ_EEDaSU_SV_EUlSU_E_NS1_11comp_targetILNS1_3genE10ELNS1_11target_archE1200ELNS1_3gpuE4ELNS1_3repE0EEENS1_30default_config_static_selectorELNS0_4arch9wavefront6targetE0EEEvT1_,@function
_ZN7rocprim17ROCPRIM_400000_NS6detail17trampoline_kernelINS0_14default_configENS1_33run_length_encode_config_selectorIjjNS0_4plusIjEEEEZZNS1_33reduce_by_key_impl_wrapped_configILNS1_25lookback_scan_determinismE0ES3_S7_PKjNS0_17constant_iteratorIjlEEPjPlSF_S6_NS0_8equal_toIjEEEE10hipError_tPvRmT2_T3_mT4_T5_T6_T7_T8_P12ihipStream_tbENKUlT_T0_E_clISt17integral_constantIbLb0EESZ_EEDaSU_SV_EUlSU_E_NS1_11comp_targetILNS1_3genE10ELNS1_11target_archE1200ELNS1_3gpuE4ELNS1_3repE0EEENS1_30default_config_static_selectorELNS0_4arch9wavefront6targetE0EEEvT1_: ; @_ZN7rocprim17ROCPRIM_400000_NS6detail17trampoline_kernelINS0_14default_configENS1_33run_length_encode_config_selectorIjjNS0_4plusIjEEEEZZNS1_33reduce_by_key_impl_wrapped_configILNS1_25lookback_scan_determinismE0ES3_S7_PKjNS0_17constant_iteratorIjlEEPjPlSF_S6_NS0_8equal_toIjEEEE10hipError_tPvRmT2_T3_mT4_T5_T6_T7_T8_P12ihipStream_tbENKUlT_T0_E_clISt17integral_constantIbLb0EESZ_EEDaSU_SV_EUlSU_E_NS1_11comp_targetILNS1_3genE10ELNS1_11target_archE1200ELNS1_3gpuE4ELNS1_3repE0EEENS1_30default_config_static_selectorELNS0_4arch9wavefront6targetE0EEEvT1_
; %bb.0:
	.section	.rodata,"a",@progbits
	.p2align	6, 0x0
	.amdhsa_kernel _ZN7rocprim17ROCPRIM_400000_NS6detail17trampoline_kernelINS0_14default_configENS1_33run_length_encode_config_selectorIjjNS0_4plusIjEEEEZZNS1_33reduce_by_key_impl_wrapped_configILNS1_25lookback_scan_determinismE0ES3_S7_PKjNS0_17constant_iteratorIjlEEPjPlSF_S6_NS0_8equal_toIjEEEE10hipError_tPvRmT2_T3_mT4_T5_T6_T7_T8_P12ihipStream_tbENKUlT_T0_E_clISt17integral_constantIbLb0EESZ_EEDaSU_SV_EUlSU_E_NS1_11comp_targetILNS1_3genE10ELNS1_11target_archE1200ELNS1_3gpuE4ELNS1_3repE0EEENS1_30default_config_static_selectorELNS0_4arch9wavefront6targetE0EEEvT1_
		.amdhsa_group_segment_fixed_size 0
		.amdhsa_private_segment_fixed_size 0
		.amdhsa_kernarg_size 128
		.amdhsa_user_sgpr_count 2
		.amdhsa_user_sgpr_dispatch_ptr 0
		.amdhsa_user_sgpr_queue_ptr 0
		.amdhsa_user_sgpr_kernarg_segment_ptr 1
		.amdhsa_user_sgpr_dispatch_id 0
		.amdhsa_user_sgpr_kernarg_preload_length 0
		.amdhsa_user_sgpr_kernarg_preload_offset 0
		.amdhsa_user_sgpr_private_segment_size 0
		.amdhsa_wavefront_size32 1
		.amdhsa_uses_dynamic_stack 0
		.amdhsa_enable_private_segment 0
		.amdhsa_system_sgpr_workgroup_id_x 1
		.amdhsa_system_sgpr_workgroup_id_y 0
		.amdhsa_system_sgpr_workgroup_id_z 0
		.amdhsa_system_sgpr_workgroup_info 0
		.amdhsa_system_vgpr_workitem_id 0
		.amdhsa_next_free_vgpr 1
		.amdhsa_next_free_sgpr 1
		.amdhsa_named_barrier_count 0
		.amdhsa_reserve_vcc 0
		.amdhsa_float_round_mode_32 0
		.amdhsa_float_round_mode_16_64 0
		.amdhsa_float_denorm_mode_32 3
		.amdhsa_float_denorm_mode_16_64 3
		.amdhsa_fp16_overflow 0
		.amdhsa_memory_ordered 1
		.amdhsa_forward_progress 1
		.amdhsa_inst_pref_size 0
		.amdhsa_round_robin_scheduling 0
		.amdhsa_exception_fp_ieee_invalid_op 0
		.amdhsa_exception_fp_denorm_src 0
		.amdhsa_exception_fp_ieee_div_zero 0
		.amdhsa_exception_fp_ieee_overflow 0
		.amdhsa_exception_fp_ieee_underflow 0
		.amdhsa_exception_fp_ieee_inexact 0
		.amdhsa_exception_int_div_zero 0
	.end_amdhsa_kernel
	.section	.text._ZN7rocprim17ROCPRIM_400000_NS6detail17trampoline_kernelINS0_14default_configENS1_33run_length_encode_config_selectorIjjNS0_4plusIjEEEEZZNS1_33reduce_by_key_impl_wrapped_configILNS1_25lookback_scan_determinismE0ES3_S7_PKjNS0_17constant_iteratorIjlEEPjPlSF_S6_NS0_8equal_toIjEEEE10hipError_tPvRmT2_T3_mT4_T5_T6_T7_T8_P12ihipStream_tbENKUlT_T0_E_clISt17integral_constantIbLb0EESZ_EEDaSU_SV_EUlSU_E_NS1_11comp_targetILNS1_3genE10ELNS1_11target_archE1200ELNS1_3gpuE4ELNS1_3repE0EEENS1_30default_config_static_selectorELNS0_4arch9wavefront6targetE0EEEvT1_,"axG",@progbits,_ZN7rocprim17ROCPRIM_400000_NS6detail17trampoline_kernelINS0_14default_configENS1_33run_length_encode_config_selectorIjjNS0_4plusIjEEEEZZNS1_33reduce_by_key_impl_wrapped_configILNS1_25lookback_scan_determinismE0ES3_S7_PKjNS0_17constant_iteratorIjlEEPjPlSF_S6_NS0_8equal_toIjEEEE10hipError_tPvRmT2_T3_mT4_T5_T6_T7_T8_P12ihipStream_tbENKUlT_T0_E_clISt17integral_constantIbLb0EESZ_EEDaSU_SV_EUlSU_E_NS1_11comp_targetILNS1_3genE10ELNS1_11target_archE1200ELNS1_3gpuE4ELNS1_3repE0EEENS1_30default_config_static_selectorELNS0_4arch9wavefront6targetE0EEEvT1_,comdat
.Lfunc_end655:
	.size	_ZN7rocprim17ROCPRIM_400000_NS6detail17trampoline_kernelINS0_14default_configENS1_33run_length_encode_config_selectorIjjNS0_4plusIjEEEEZZNS1_33reduce_by_key_impl_wrapped_configILNS1_25lookback_scan_determinismE0ES3_S7_PKjNS0_17constant_iteratorIjlEEPjPlSF_S6_NS0_8equal_toIjEEEE10hipError_tPvRmT2_T3_mT4_T5_T6_T7_T8_P12ihipStream_tbENKUlT_T0_E_clISt17integral_constantIbLb0EESZ_EEDaSU_SV_EUlSU_E_NS1_11comp_targetILNS1_3genE10ELNS1_11target_archE1200ELNS1_3gpuE4ELNS1_3repE0EEENS1_30default_config_static_selectorELNS0_4arch9wavefront6targetE0EEEvT1_, .Lfunc_end655-_ZN7rocprim17ROCPRIM_400000_NS6detail17trampoline_kernelINS0_14default_configENS1_33run_length_encode_config_selectorIjjNS0_4plusIjEEEEZZNS1_33reduce_by_key_impl_wrapped_configILNS1_25lookback_scan_determinismE0ES3_S7_PKjNS0_17constant_iteratorIjlEEPjPlSF_S6_NS0_8equal_toIjEEEE10hipError_tPvRmT2_T3_mT4_T5_T6_T7_T8_P12ihipStream_tbENKUlT_T0_E_clISt17integral_constantIbLb0EESZ_EEDaSU_SV_EUlSU_E_NS1_11comp_targetILNS1_3genE10ELNS1_11target_archE1200ELNS1_3gpuE4ELNS1_3repE0EEENS1_30default_config_static_selectorELNS0_4arch9wavefront6targetE0EEEvT1_
                                        ; -- End function
	.set _ZN7rocprim17ROCPRIM_400000_NS6detail17trampoline_kernelINS0_14default_configENS1_33run_length_encode_config_selectorIjjNS0_4plusIjEEEEZZNS1_33reduce_by_key_impl_wrapped_configILNS1_25lookback_scan_determinismE0ES3_S7_PKjNS0_17constant_iteratorIjlEEPjPlSF_S6_NS0_8equal_toIjEEEE10hipError_tPvRmT2_T3_mT4_T5_T6_T7_T8_P12ihipStream_tbENKUlT_T0_E_clISt17integral_constantIbLb0EESZ_EEDaSU_SV_EUlSU_E_NS1_11comp_targetILNS1_3genE10ELNS1_11target_archE1200ELNS1_3gpuE4ELNS1_3repE0EEENS1_30default_config_static_selectorELNS0_4arch9wavefront6targetE0EEEvT1_.num_vgpr, 0
	.set _ZN7rocprim17ROCPRIM_400000_NS6detail17trampoline_kernelINS0_14default_configENS1_33run_length_encode_config_selectorIjjNS0_4plusIjEEEEZZNS1_33reduce_by_key_impl_wrapped_configILNS1_25lookback_scan_determinismE0ES3_S7_PKjNS0_17constant_iteratorIjlEEPjPlSF_S6_NS0_8equal_toIjEEEE10hipError_tPvRmT2_T3_mT4_T5_T6_T7_T8_P12ihipStream_tbENKUlT_T0_E_clISt17integral_constantIbLb0EESZ_EEDaSU_SV_EUlSU_E_NS1_11comp_targetILNS1_3genE10ELNS1_11target_archE1200ELNS1_3gpuE4ELNS1_3repE0EEENS1_30default_config_static_selectorELNS0_4arch9wavefront6targetE0EEEvT1_.num_agpr, 0
	.set _ZN7rocprim17ROCPRIM_400000_NS6detail17trampoline_kernelINS0_14default_configENS1_33run_length_encode_config_selectorIjjNS0_4plusIjEEEEZZNS1_33reduce_by_key_impl_wrapped_configILNS1_25lookback_scan_determinismE0ES3_S7_PKjNS0_17constant_iteratorIjlEEPjPlSF_S6_NS0_8equal_toIjEEEE10hipError_tPvRmT2_T3_mT4_T5_T6_T7_T8_P12ihipStream_tbENKUlT_T0_E_clISt17integral_constantIbLb0EESZ_EEDaSU_SV_EUlSU_E_NS1_11comp_targetILNS1_3genE10ELNS1_11target_archE1200ELNS1_3gpuE4ELNS1_3repE0EEENS1_30default_config_static_selectorELNS0_4arch9wavefront6targetE0EEEvT1_.numbered_sgpr, 0
	.set _ZN7rocprim17ROCPRIM_400000_NS6detail17trampoline_kernelINS0_14default_configENS1_33run_length_encode_config_selectorIjjNS0_4plusIjEEEEZZNS1_33reduce_by_key_impl_wrapped_configILNS1_25lookback_scan_determinismE0ES3_S7_PKjNS0_17constant_iteratorIjlEEPjPlSF_S6_NS0_8equal_toIjEEEE10hipError_tPvRmT2_T3_mT4_T5_T6_T7_T8_P12ihipStream_tbENKUlT_T0_E_clISt17integral_constantIbLb0EESZ_EEDaSU_SV_EUlSU_E_NS1_11comp_targetILNS1_3genE10ELNS1_11target_archE1200ELNS1_3gpuE4ELNS1_3repE0EEENS1_30default_config_static_selectorELNS0_4arch9wavefront6targetE0EEEvT1_.num_named_barrier, 0
	.set _ZN7rocprim17ROCPRIM_400000_NS6detail17trampoline_kernelINS0_14default_configENS1_33run_length_encode_config_selectorIjjNS0_4plusIjEEEEZZNS1_33reduce_by_key_impl_wrapped_configILNS1_25lookback_scan_determinismE0ES3_S7_PKjNS0_17constant_iteratorIjlEEPjPlSF_S6_NS0_8equal_toIjEEEE10hipError_tPvRmT2_T3_mT4_T5_T6_T7_T8_P12ihipStream_tbENKUlT_T0_E_clISt17integral_constantIbLb0EESZ_EEDaSU_SV_EUlSU_E_NS1_11comp_targetILNS1_3genE10ELNS1_11target_archE1200ELNS1_3gpuE4ELNS1_3repE0EEENS1_30default_config_static_selectorELNS0_4arch9wavefront6targetE0EEEvT1_.private_seg_size, 0
	.set _ZN7rocprim17ROCPRIM_400000_NS6detail17trampoline_kernelINS0_14default_configENS1_33run_length_encode_config_selectorIjjNS0_4plusIjEEEEZZNS1_33reduce_by_key_impl_wrapped_configILNS1_25lookback_scan_determinismE0ES3_S7_PKjNS0_17constant_iteratorIjlEEPjPlSF_S6_NS0_8equal_toIjEEEE10hipError_tPvRmT2_T3_mT4_T5_T6_T7_T8_P12ihipStream_tbENKUlT_T0_E_clISt17integral_constantIbLb0EESZ_EEDaSU_SV_EUlSU_E_NS1_11comp_targetILNS1_3genE10ELNS1_11target_archE1200ELNS1_3gpuE4ELNS1_3repE0EEENS1_30default_config_static_selectorELNS0_4arch9wavefront6targetE0EEEvT1_.uses_vcc, 0
	.set _ZN7rocprim17ROCPRIM_400000_NS6detail17trampoline_kernelINS0_14default_configENS1_33run_length_encode_config_selectorIjjNS0_4plusIjEEEEZZNS1_33reduce_by_key_impl_wrapped_configILNS1_25lookback_scan_determinismE0ES3_S7_PKjNS0_17constant_iteratorIjlEEPjPlSF_S6_NS0_8equal_toIjEEEE10hipError_tPvRmT2_T3_mT4_T5_T6_T7_T8_P12ihipStream_tbENKUlT_T0_E_clISt17integral_constantIbLb0EESZ_EEDaSU_SV_EUlSU_E_NS1_11comp_targetILNS1_3genE10ELNS1_11target_archE1200ELNS1_3gpuE4ELNS1_3repE0EEENS1_30default_config_static_selectorELNS0_4arch9wavefront6targetE0EEEvT1_.uses_flat_scratch, 0
	.set _ZN7rocprim17ROCPRIM_400000_NS6detail17trampoline_kernelINS0_14default_configENS1_33run_length_encode_config_selectorIjjNS0_4plusIjEEEEZZNS1_33reduce_by_key_impl_wrapped_configILNS1_25lookback_scan_determinismE0ES3_S7_PKjNS0_17constant_iteratorIjlEEPjPlSF_S6_NS0_8equal_toIjEEEE10hipError_tPvRmT2_T3_mT4_T5_T6_T7_T8_P12ihipStream_tbENKUlT_T0_E_clISt17integral_constantIbLb0EESZ_EEDaSU_SV_EUlSU_E_NS1_11comp_targetILNS1_3genE10ELNS1_11target_archE1200ELNS1_3gpuE4ELNS1_3repE0EEENS1_30default_config_static_selectorELNS0_4arch9wavefront6targetE0EEEvT1_.has_dyn_sized_stack, 0
	.set _ZN7rocprim17ROCPRIM_400000_NS6detail17trampoline_kernelINS0_14default_configENS1_33run_length_encode_config_selectorIjjNS0_4plusIjEEEEZZNS1_33reduce_by_key_impl_wrapped_configILNS1_25lookback_scan_determinismE0ES3_S7_PKjNS0_17constant_iteratorIjlEEPjPlSF_S6_NS0_8equal_toIjEEEE10hipError_tPvRmT2_T3_mT4_T5_T6_T7_T8_P12ihipStream_tbENKUlT_T0_E_clISt17integral_constantIbLb0EESZ_EEDaSU_SV_EUlSU_E_NS1_11comp_targetILNS1_3genE10ELNS1_11target_archE1200ELNS1_3gpuE4ELNS1_3repE0EEENS1_30default_config_static_selectorELNS0_4arch9wavefront6targetE0EEEvT1_.has_recursion, 0
	.set _ZN7rocprim17ROCPRIM_400000_NS6detail17trampoline_kernelINS0_14default_configENS1_33run_length_encode_config_selectorIjjNS0_4plusIjEEEEZZNS1_33reduce_by_key_impl_wrapped_configILNS1_25lookback_scan_determinismE0ES3_S7_PKjNS0_17constant_iteratorIjlEEPjPlSF_S6_NS0_8equal_toIjEEEE10hipError_tPvRmT2_T3_mT4_T5_T6_T7_T8_P12ihipStream_tbENKUlT_T0_E_clISt17integral_constantIbLb0EESZ_EEDaSU_SV_EUlSU_E_NS1_11comp_targetILNS1_3genE10ELNS1_11target_archE1200ELNS1_3gpuE4ELNS1_3repE0EEENS1_30default_config_static_selectorELNS0_4arch9wavefront6targetE0EEEvT1_.has_indirect_call, 0
	.section	.AMDGPU.csdata,"",@progbits
; Kernel info:
; codeLenInByte = 0
; TotalNumSgprs: 0
; NumVgprs: 0
; ScratchSize: 0
; MemoryBound: 0
; FloatMode: 240
; IeeeMode: 1
; LDSByteSize: 0 bytes/workgroup (compile time only)
; SGPRBlocks: 0
; VGPRBlocks: 0
; NumSGPRsForWavesPerEU: 1
; NumVGPRsForWavesPerEU: 1
; NamedBarCnt: 0
; Occupancy: 16
; WaveLimiterHint : 0
; COMPUTE_PGM_RSRC2:SCRATCH_EN: 0
; COMPUTE_PGM_RSRC2:USER_SGPR: 2
; COMPUTE_PGM_RSRC2:TRAP_HANDLER: 0
; COMPUTE_PGM_RSRC2:TGID_X_EN: 1
; COMPUTE_PGM_RSRC2:TGID_Y_EN: 0
; COMPUTE_PGM_RSRC2:TGID_Z_EN: 0
; COMPUTE_PGM_RSRC2:TIDIG_COMP_CNT: 0
	.section	.text._ZN7rocprim17ROCPRIM_400000_NS6detail17trampoline_kernelINS0_14default_configENS1_33run_length_encode_config_selectorIjjNS0_4plusIjEEEEZZNS1_33reduce_by_key_impl_wrapped_configILNS1_25lookback_scan_determinismE0ES3_S7_PKjNS0_17constant_iteratorIjlEEPjPlSF_S6_NS0_8equal_toIjEEEE10hipError_tPvRmT2_T3_mT4_T5_T6_T7_T8_P12ihipStream_tbENKUlT_T0_E_clISt17integral_constantIbLb0EESZ_EEDaSU_SV_EUlSU_E_NS1_11comp_targetILNS1_3genE9ELNS1_11target_archE1100ELNS1_3gpuE3ELNS1_3repE0EEENS1_30default_config_static_selectorELNS0_4arch9wavefront6targetE0EEEvT1_,"axG",@progbits,_ZN7rocprim17ROCPRIM_400000_NS6detail17trampoline_kernelINS0_14default_configENS1_33run_length_encode_config_selectorIjjNS0_4plusIjEEEEZZNS1_33reduce_by_key_impl_wrapped_configILNS1_25lookback_scan_determinismE0ES3_S7_PKjNS0_17constant_iteratorIjlEEPjPlSF_S6_NS0_8equal_toIjEEEE10hipError_tPvRmT2_T3_mT4_T5_T6_T7_T8_P12ihipStream_tbENKUlT_T0_E_clISt17integral_constantIbLb0EESZ_EEDaSU_SV_EUlSU_E_NS1_11comp_targetILNS1_3genE9ELNS1_11target_archE1100ELNS1_3gpuE3ELNS1_3repE0EEENS1_30default_config_static_selectorELNS0_4arch9wavefront6targetE0EEEvT1_,comdat
	.protected	_ZN7rocprim17ROCPRIM_400000_NS6detail17trampoline_kernelINS0_14default_configENS1_33run_length_encode_config_selectorIjjNS0_4plusIjEEEEZZNS1_33reduce_by_key_impl_wrapped_configILNS1_25lookback_scan_determinismE0ES3_S7_PKjNS0_17constant_iteratorIjlEEPjPlSF_S6_NS0_8equal_toIjEEEE10hipError_tPvRmT2_T3_mT4_T5_T6_T7_T8_P12ihipStream_tbENKUlT_T0_E_clISt17integral_constantIbLb0EESZ_EEDaSU_SV_EUlSU_E_NS1_11comp_targetILNS1_3genE9ELNS1_11target_archE1100ELNS1_3gpuE3ELNS1_3repE0EEENS1_30default_config_static_selectorELNS0_4arch9wavefront6targetE0EEEvT1_ ; -- Begin function _ZN7rocprim17ROCPRIM_400000_NS6detail17trampoline_kernelINS0_14default_configENS1_33run_length_encode_config_selectorIjjNS0_4plusIjEEEEZZNS1_33reduce_by_key_impl_wrapped_configILNS1_25lookback_scan_determinismE0ES3_S7_PKjNS0_17constant_iteratorIjlEEPjPlSF_S6_NS0_8equal_toIjEEEE10hipError_tPvRmT2_T3_mT4_T5_T6_T7_T8_P12ihipStream_tbENKUlT_T0_E_clISt17integral_constantIbLb0EESZ_EEDaSU_SV_EUlSU_E_NS1_11comp_targetILNS1_3genE9ELNS1_11target_archE1100ELNS1_3gpuE3ELNS1_3repE0EEENS1_30default_config_static_selectorELNS0_4arch9wavefront6targetE0EEEvT1_
	.globl	_ZN7rocprim17ROCPRIM_400000_NS6detail17trampoline_kernelINS0_14default_configENS1_33run_length_encode_config_selectorIjjNS0_4plusIjEEEEZZNS1_33reduce_by_key_impl_wrapped_configILNS1_25lookback_scan_determinismE0ES3_S7_PKjNS0_17constant_iteratorIjlEEPjPlSF_S6_NS0_8equal_toIjEEEE10hipError_tPvRmT2_T3_mT4_T5_T6_T7_T8_P12ihipStream_tbENKUlT_T0_E_clISt17integral_constantIbLb0EESZ_EEDaSU_SV_EUlSU_E_NS1_11comp_targetILNS1_3genE9ELNS1_11target_archE1100ELNS1_3gpuE3ELNS1_3repE0EEENS1_30default_config_static_selectorELNS0_4arch9wavefront6targetE0EEEvT1_
	.p2align	8
	.type	_ZN7rocprim17ROCPRIM_400000_NS6detail17trampoline_kernelINS0_14default_configENS1_33run_length_encode_config_selectorIjjNS0_4plusIjEEEEZZNS1_33reduce_by_key_impl_wrapped_configILNS1_25lookback_scan_determinismE0ES3_S7_PKjNS0_17constant_iteratorIjlEEPjPlSF_S6_NS0_8equal_toIjEEEE10hipError_tPvRmT2_T3_mT4_T5_T6_T7_T8_P12ihipStream_tbENKUlT_T0_E_clISt17integral_constantIbLb0EESZ_EEDaSU_SV_EUlSU_E_NS1_11comp_targetILNS1_3genE9ELNS1_11target_archE1100ELNS1_3gpuE3ELNS1_3repE0EEENS1_30default_config_static_selectorELNS0_4arch9wavefront6targetE0EEEvT1_,@function
_ZN7rocprim17ROCPRIM_400000_NS6detail17trampoline_kernelINS0_14default_configENS1_33run_length_encode_config_selectorIjjNS0_4plusIjEEEEZZNS1_33reduce_by_key_impl_wrapped_configILNS1_25lookback_scan_determinismE0ES3_S7_PKjNS0_17constant_iteratorIjlEEPjPlSF_S6_NS0_8equal_toIjEEEE10hipError_tPvRmT2_T3_mT4_T5_T6_T7_T8_P12ihipStream_tbENKUlT_T0_E_clISt17integral_constantIbLb0EESZ_EEDaSU_SV_EUlSU_E_NS1_11comp_targetILNS1_3genE9ELNS1_11target_archE1100ELNS1_3gpuE3ELNS1_3repE0EEENS1_30default_config_static_selectorELNS0_4arch9wavefront6targetE0EEEvT1_: ; @_ZN7rocprim17ROCPRIM_400000_NS6detail17trampoline_kernelINS0_14default_configENS1_33run_length_encode_config_selectorIjjNS0_4plusIjEEEEZZNS1_33reduce_by_key_impl_wrapped_configILNS1_25lookback_scan_determinismE0ES3_S7_PKjNS0_17constant_iteratorIjlEEPjPlSF_S6_NS0_8equal_toIjEEEE10hipError_tPvRmT2_T3_mT4_T5_T6_T7_T8_P12ihipStream_tbENKUlT_T0_E_clISt17integral_constantIbLb0EESZ_EEDaSU_SV_EUlSU_E_NS1_11comp_targetILNS1_3genE9ELNS1_11target_archE1100ELNS1_3gpuE3ELNS1_3repE0EEENS1_30default_config_static_selectorELNS0_4arch9wavefront6targetE0EEEvT1_
; %bb.0:
	.section	.rodata,"a",@progbits
	.p2align	6, 0x0
	.amdhsa_kernel _ZN7rocprim17ROCPRIM_400000_NS6detail17trampoline_kernelINS0_14default_configENS1_33run_length_encode_config_selectorIjjNS0_4plusIjEEEEZZNS1_33reduce_by_key_impl_wrapped_configILNS1_25lookback_scan_determinismE0ES3_S7_PKjNS0_17constant_iteratorIjlEEPjPlSF_S6_NS0_8equal_toIjEEEE10hipError_tPvRmT2_T3_mT4_T5_T6_T7_T8_P12ihipStream_tbENKUlT_T0_E_clISt17integral_constantIbLb0EESZ_EEDaSU_SV_EUlSU_E_NS1_11comp_targetILNS1_3genE9ELNS1_11target_archE1100ELNS1_3gpuE3ELNS1_3repE0EEENS1_30default_config_static_selectorELNS0_4arch9wavefront6targetE0EEEvT1_
		.amdhsa_group_segment_fixed_size 0
		.amdhsa_private_segment_fixed_size 0
		.amdhsa_kernarg_size 128
		.amdhsa_user_sgpr_count 2
		.amdhsa_user_sgpr_dispatch_ptr 0
		.amdhsa_user_sgpr_queue_ptr 0
		.amdhsa_user_sgpr_kernarg_segment_ptr 1
		.amdhsa_user_sgpr_dispatch_id 0
		.amdhsa_user_sgpr_kernarg_preload_length 0
		.amdhsa_user_sgpr_kernarg_preload_offset 0
		.amdhsa_user_sgpr_private_segment_size 0
		.amdhsa_wavefront_size32 1
		.amdhsa_uses_dynamic_stack 0
		.amdhsa_enable_private_segment 0
		.amdhsa_system_sgpr_workgroup_id_x 1
		.amdhsa_system_sgpr_workgroup_id_y 0
		.amdhsa_system_sgpr_workgroup_id_z 0
		.amdhsa_system_sgpr_workgroup_info 0
		.amdhsa_system_vgpr_workitem_id 0
		.amdhsa_next_free_vgpr 1
		.amdhsa_next_free_sgpr 1
		.amdhsa_named_barrier_count 0
		.amdhsa_reserve_vcc 0
		.amdhsa_float_round_mode_32 0
		.amdhsa_float_round_mode_16_64 0
		.amdhsa_float_denorm_mode_32 3
		.amdhsa_float_denorm_mode_16_64 3
		.amdhsa_fp16_overflow 0
		.amdhsa_memory_ordered 1
		.amdhsa_forward_progress 1
		.amdhsa_inst_pref_size 0
		.amdhsa_round_robin_scheduling 0
		.amdhsa_exception_fp_ieee_invalid_op 0
		.amdhsa_exception_fp_denorm_src 0
		.amdhsa_exception_fp_ieee_div_zero 0
		.amdhsa_exception_fp_ieee_overflow 0
		.amdhsa_exception_fp_ieee_underflow 0
		.amdhsa_exception_fp_ieee_inexact 0
		.amdhsa_exception_int_div_zero 0
	.end_amdhsa_kernel
	.section	.text._ZN7rocprim17ROCPRIM_400000_NS6detail17trampoline_kernelINS0_14default_configENS1_33run_length_encode_config_selectorIjjNS0_4plusIjEEEEZZNS1_33reduce_by_key_impl_wrapped_configILNS1_25lookback_scan_determinismE0ES3_S7_PKjNS0_17constant_iteratorIjlEEPjPlSF_S6_NS0_8equal_toIjEEEE10hipError_tPvRmT2_T3_mT4_T5_T6_T7_T8_P12ihipStream_tbENKUlT_T0_E_clISt17integral_constantIbLb0EESZ_EEDaSU_SV_EUlSU_E_NS1_11comp_targetILNS1_3genE9ELNS1_11target_archE1100ELNS1_3gpuE3ELNS1_3repE0EEENS1_30default_config_static_selectorELNS0_4arch9wavefront6targetE0EEEvT1_,"axG",@progbits,_ZN7rocprim17ROCPRIM_400000_NS6detail17trampoline_kernelINS0_14default_configENS1_33run_length_encode_config_selectorIjjNS0_4plusIjEEEEZZNS1_33reduce_by_key_impl_wrapped_configILNS1_25lookback_scan_determinismE0ES3_S7_PKjNS0_17constant_iteratorIjlEEPjPlSF_S6_NS0_8equal_toIjEEEE10hipError_tPvRmT2_T3_mT4_T5_T6_T7_T8_P12ihipStream_tbENKUlT_T0_E_clISt17integral_constantIbLb0EESZ_EEDaSU_SV_EUlSU_E_NS1_11comp_targetILNS1_3genE9ELNS1_11target_archE1100ELNS1_3gpuE3ELNS1_3repE0EEENS1_30default_config_static_selectorELNS0_4arch9wavefront6targetE0EEEvT1_,comdat
.Lfunc_end656:
	.size	_ZN7rocprim17ROCPRIM_400000_NS6detail17trampoline_kernelINS0_14default_configENS1_33run_length_encode_config_selectorIjjNS0_4plusIjEEEEZZNS1_33reduce_by_key_impl_wrapped_configILNS1_25lookback_scan_determinismE0ES3_S7_PKjNS0_17constant_iteratorIjlEEPjPlSF_S6_NS0_8equal_toIjEEEE10hipError_tPvRmT2_T3_mT4_T5_T6_T7_T8_P12ihipStream_tbENKUlT_T0_E_clISt17integral_constantIbLb0EESZ_EEDaSU_SV_EUlSU_E_NS1_11comp_targetILNS1_3genE9ELNS1_11target_archE1100ELNS1_3gpuE3ELNS1_3repE0EEENS1_30default_config_static_selectorELNS0_4arch9wavefront6targetE0EEEvT1_, .Lfunc_end656-_ZN7rocprim17ROCPRIM_400000_NS6detail17trampoline_kernelINS0_14default_configENS1_33run_length_encode_config_selectorIjjNS0_4plusIjEEEEZZNS1_33reduce_by_key_impl_wrapped_configILNS1_25lookback_scan_determinismE0ES3_S7_PKjNS0_17constant_iteratorIjlEEPjPlSF_S6_NS0_8equal_toIjEEEE10hipError_tPvRmT2_T3_mT4_T5_T6_T7_T8_P12ihipStream_tbENKUlT_T0_E_clISt17integral_constantIbLb0EESZ_EEDaSU_SV_EUlSU_E_NS1_11comp_targetILNS1_3genE9ELNS1_11target_archE1100ELNS1_3gpuE3ELNS1_3repE0EEENS1_30default_config_static_selectorELNS0_4arch9wavefront6targetE0EEEvT1_
                                        ; -- End function
	.set _ZN7rocprim17ROCPRIM_400000_NS6detail17trampoline_kernelINS0_14default_configENS1_33run_length_encode_config_selectorIjjNS0_4plusIjEEEEZZNS1_33reduce_by_key_impl_wrapped_configILNS1_25lookback_scan_determinismE0ES3_S7_PKjNS0_17constant_iteratorIjlEEPjPlSF_S6_NS0_8equal_toIjEEEE10hipError_tPvRmT2_T3_mT4_T5_T6_T7_T8_P12ihipStream_tbENKUlT_T0_E_clISt17integral_constantIbLb0EESZ_EEDaSU_SV_EUlSU_E_NS1_11comp_targetILNS1_3genE9ELNS1_11target_archE1100ELNS1_3gpuE3ELNS1_3repE0EEENS1_30default_config_static_selectorELNS0_4arch9wavefront6targetE0EEEvT1_.num_vgpr, 0
	.set _ZN7rocprim17ROCPRIM_400000_NS6detail17trampoline_kernelINS0_14default_configENS1_33run_length_encode_config_selectorIjjNS0_4plusIjEEEEZZNS1_33reduce_by_key_impl_wrapped_configILNS1_25lookback_scan_determinismE0ES3_S7_PKjNS0_17constant_iteratorIjlEEPjPlSF_S6_NS0_8equal_toIjEEEE10hipError_tPvRmT2_T3_mT4_T5_T6_T7_T8_P12ihipStream_tbENKUlT_T0_E_clISt17integral_constantIbLb0EESZ_EEDaSU_SV_EUlSU_E_NS1_11comp_targetILNS1_3genE9ELNS1_11target_archE1100ELNS1_3gpuE3ELNS1_3repE0EEENS1_30default_config_static_selectorELNS0_4arch9wavefront6targetE0EEEvT1_.num_agpr, 0
	.set _ZN7rocprim17ROCPRIM_400000_NS6detail17trampoline_kernelINS0_14default_configENS1_33run_length_encode_config_selectorIjjNS0_4plusIjEEEEZZNS1_33reduce_by_key_impl_wrapped_configILNS1_25lookback_scan_determinismE0ES3_S7_PKjNS0_17constant_iteratorIjlEEPjPlSF_S6_NS0_8equal_toIjEEEE10hipError_tPvRmT2_T3_mT4_T5_T6_T7_T8_P12ihipStream_tbENKUlT_T0_E_clISt17integral_constantIbLb0EESZ_EEDaSU_SV_EUlSU_E_NS1_11comp_targetILNS1_3genE9ELNS1_11target_archE1100ELNS1_3gpuE3ELNS1_3repE0EEENS1_30default_config_static_selectorELNS0_4arch9wavefront6targetE0EEEvT1_.numbered_sgpr, 0
	.set _ZN7rocprim17ROCPRIM_400000_NS6detail17trampoline_kernelINS0_14default_configENS1_33run_length_encode_config_selectorIjjNS0_4plusIjEEEEZZNS1_33reduce_by_key_impl_wrapped_configILNS1_25lookback_scan_determinismE0ES3_S7_PKjNS0_17constant_iteratorIjlEEPjPlSF_S6_NS0_8equal_toIjEEEE10hipError_tPvRmT2_T3_mT4_T5_T6_T7_T8_P12ihipStream_tbENKUlT_T0_E_clISt17integral_constantIbLb0EESZ_EEDaSU_SV_EUlSU_E_NS1_11comp_targetILNS1_3genE9ELNS1_11target_archE1100ELNS1_3gpuE3ELNS1_3repE0EEENS1_30default_config_static_selectorELNS0_4arch9wavefront6targetE0EEEvT1_.num_named_barrier, 0
	.set _ZN7rocprim17ROCPRIM_400000_NS6detail17trampoline_kernelINS0_14default_configENS1_33run_length_encode_config_selectorIjjNS0_4plusIjEEEEZZNS1_33reduce_by_key_impl_wrapped_configILNS1_25lookback_scan_determinismE0ES3_S7_PKjNS0_17constant_iteratorIjlEEPjPlSF_S6_NS0_8equal_toIjEEEE10hipError_tPvRmT2_T3_mT4_T5_T6_T7_T8_P12ihipStream_tbENKUlT_T0_E_clISt17integral_constantIbLb0EESZ_EEDaSU_SV_EUlSU_E_NS1_11comp_targetILNS1_3genE9ELNS1_11target_archE1100ELNS1_3gpuE3ELNS1_3repE0EEENS1_30default_config_static_selectorELNS0_4arch9wavefront6targetE0EEEvT1_.private_seg_size, 0
	.set _ZN7rocprim17ROCPRIM_400000_NS6detail17trampoline_kernelINS0_14default_configENS1_33run_length_encode_config_selectorIjjNS0_4plusIjEEEEZZNS1_33reduce_by_key_impl_wrapped_configILNS1_25lookback_scan_determinismE0ES3_S7_PKjNS0_17constant_iteratorIjlEEPjPlSF_S6_NS0_8equal_toIjEEEE10hipError_tPvRmT2_T3_mT4_T5_T6_T7_T8_P12ihipStream_tbENKUlT_T0_E_clISt17integral_constantIbLb0EESZ_EEDaSU_SV_EUlSU_E_NS1_11comp_targetILNS1_3genE9ELNS1_11target_archE1100ELNS1_3gpuE3ELNS1_3repE0EEENS1_30default_config_static_selectorELNS0_4arch9wavefront6targetE0EEEvT1_.uses_vcc, 0
	.set _ZN7rocprim17ROCPRIM_400000_NS6detail17trampoline_kernelINS0_14default_configENS1_33run_length_encode_config_selectorIjjNS0_4plusIjEEEEZZNS1_33reduce_by_key_impl_wrapped_configILNS1_25lookback_scan_determinismE0ES3_S7_PKjNS0_17constant_iteratorIjlEEPjPlSF_S6_NS0_8equal_toIjEEEE10hipError_tPvRmT2_T3_mT4_T5_T6_T7_T8_P12ihipStream_tbENKUlT_T0_E_clISt17integral_constantIbLb0EESZ_EEDaSU_SV_EUlSU_E_NS1_11comp_targetILNS1_3genE9ELNS1_11target_archE1100ELNS1_3gpuE3ELNS1_3repE0EEENS1_30default_config_static_selectorELNS0_4arch9wavefront6targetE0EEEvT1_.uses_flat_scratch, 0
	.set _ZN7rocprim17ROCPRIM_400000_NS6detail17trampoline_kernelINS0_14default_configENS1_33run_length_encode_config_selectorIjjNS0_4plusIjEEEEZZNS1_33reduce_by_key_impl_wrapped_configILNS1_25lookback_scan_determinismE0ES3_S7_PKjNS0_17constant_iteratorIjlEEPjPlSF_S6_NS0_8equal_toIjEEEE10hipError_tPvRmT2_T3_mT4_T5_T6_T7_T8_P12ihipStream_tbENKUlT_T0_E_clISt17integral_constantIbLb0EESZ_EEDaSU_SV_EUlSU_E_NS1_11comp_targetILNS1_3genE9ELNS1_11target_archE1100ELNS1_3gpuE3ELNS1_3repE0EEENS1_30default_config_static_selectorELNS0_4arch9wavefront6targetE0EEEvT1_.has_dyn_sized_stack, 0
	.set _ZN7rocprim17ROCPRIM_400000_NS6detail17trampoline_kernelINS0_14default_configENS1_33run_length_encode_config_selectorIjjNS0_4plusIjEEEEZZNS1_33reduce_by_key_impl_wrapped_configILNS1_25lookback_scan_determinismE0ES3_S7_PKjNS0_17constant_iteratorIjlEEPjPlSF_S6_NS0_8equal_toIjEEEE10hipError_tPvRmT2_T3_mT4_T5_T6_T7_T8_P12ihipStream_tbENKUlT_T0_E_clISt17integral_constantIbLb0EESZ_EEDaSU_SV_EUlSU_E_NS1_11comp_targetILNS1_3genE9ELNS1_11target_archE1100ELNS1_3gpuE3ELNS1_3repE0EEENS1_30default_config_static_selectorELNS0_4arch9wavefront6targetE0EEEvT1_.has_recursion, 0
	.set _ZN7rocprim17ROCPRIM_400000_NS6detail17trampoline_kernelINS0_14default_configENS1_33run_length_encode_config_selectorIjjNS0_4plusIjEEEEZZNS1_33reduce_by_key_impl_wrapped_configILNS1_25lookback_scan_determinismE0ES3_S7_PKjNS0_17constant_iteratorIjlEEPjPlSF_S6_NS0_8equal_toIjEEEE10hipError_tPvRmT2_T3_mT4_T5_T6_T7_T8_P12ihipStream_tbENKUlT_T0_E_clISt17integral_constantIbLb0EESZ_EEDaSU_SV_EUlSU_E_NS1_11comp_targetILNS1_3genE9ELNS1_11target_archE1100ELNS1_3gpuE3ELNS1_3repE0EEENS1_30default_config_static_selectorELNS0_4arch9wavefront6targetE0EEEvT1_.has_indirect_call, 0
	.section	.AMDGPU.csdata,"",@progbits
; Kernel info:
; codeLenInByte = 0
; TotalNumSgprs: 0
; NumVgprs: 0
; ScratchSize: 0
; MemoryBound: 0
; FloatMode: 240
; IeeeMode: 1
; LDSByteSize: 0 bytes/workgroup (compile time only)
; SGPRBlocks: 0
; VGPRBlocks: 0
; NumSGPRsForWavesPerEU: 1
; NumVGPRsForWavesPerEU: 1
; NamedBarCnt: 0
; Occupancy: 16
; WaveLimiterHint : 0
; COMPUTE_PGM_RSRC2:SCRATCH_EN: 0
; COMPUTE_PGM_RSRC2:USER_SGPR: 2
; COMPUTE_PGM_RSRC2:TRAP_HANDLER: 0
; COMPUTE_PGM_RSRC2:TGID_X_EN: 1
; COMPUTE_PGM_RSRC2:TGID_Y_EN: 0
; COMPUTE_PGM_RSRC2:TGID_Z_EN: 0
; COMPUTE_PGM_RSRC2:TIDIG_COMP_CNT: 0
	.section	.text._ZN7rocprim17ROCPRIM_400000_NS6detail17trampoline_kernelINS0_14default_configENS1_33run_length_encode_config_selectorIjjNS0_4plusIjEEEEZZNS1_33reduce_by_key_impl_wrapped_configILNS1_25lookback_scan_determinismE0ES3_S7_PKjNS0_17constant_iteratorIjlEEPjPlSF_S6_NS0_8equal_toIjEEEE10hipError_tPvRmT2_T3_mT4_T5_T6_T7_T8_P12ihipStream_tbENKUlT_T0_E_clISt17integral_constantIbLb0EESZ_EEDaSU_SV_EUlSU_E_NS1_11comp_targetILNS1_3genE8ELNS1_11target_archE1030ELNS1_3gpuE2ELNS1_3repE0EEENS1_30default_config_static_selectorELNS0_4arch9wavefront6targetE0EEEvT1_,"axG",@progbits,_ZN7rocprim17ROCPRIM_400000_NS6detail17trampoline_kernelINS0_14default_configENS1_33run_length_encode_config_selectorIjjNS0_4plusIjEEEEZZNS1_33reduce_by_key_impl_wrapped_configILNS1_25lookback_scan_determinismE0ES3_S7_PKjNS0_17constant_iteratorIjlEEPjPlSF_S6_NS0_8equal_toIjEEEE10hipError_tPvRmT2_T3_mT4_T5_T6_T7_T8_P12ihipStream_tbENKUlT_T0_E_clISt17integral_constantIbLb0EESZ_EEDaSU_SV_EUlSU_E_NS1_11comp_targetILNS1_3genE8ELNS1_11target_archE1030ELNS1_3gpuE2ELNS1_3repE0EEENS1_30default_config_static_selectorELNS0_4arch9wavefront6targetE0EEEvT1_,comdat
	.protected	_ZN7rocprim17ROCPRIM_400000_NS6detail17trampoline_kernelINS0_14default_configENS1_33run_length_encode_config_selectorIjjNS0_4plusIjEEEEZZNS1_33reduce_by_key_impl_wrapped_configILNS1_25lookback_scan_determinismE0ES3_S7_PKjNS0_17constant_iteratorIjlEEPjPlSF_S6_NS0_8equal_toIjEEEE10hipError_tPvRmT2_T3_mT4_T5_T6_T7_T8_P12ihipStream_tbENKUlT_T0_E_clISt17integral_constantIbLb0EESZ_EEDaSU_SV_EUlSU_E_NS1_11comp_targetILNS1_3genE8ELNS1_11target_archE1030ELNS1_3gpuE2ELNS1_3repE0EEENS1_30default_config_static_selectorELNS0_4arch9wavefront6targetE0EEEvT1_ ; -- Begin function _ZN7rocprim17ROCPRIM_400000_NS6detail17trampoline_kernelINS0_14default_configENS1_33run_length_encode_config_selectorIjjNS0_4plusIjEEEEZZNS1_33reduce_by_key_impl_wrapped_configILNS1_25lookback_scan_determinismE0ES3_S7_PKjNS0_17constant_iteratorIjlEEPjPlSF_S6_NS0_8equal_toIjEEEE10hipError_tPvRmT2_T3_mT4_T5_T6_T7_T8_P12ihipStream_tbENKUlT_T0_E_clISt17integral_constantIbLb0EESZ_EEDaSU_SV_EUlSU_E_NS1_11comp_targetILNS1_3genE8ELNS1_11target_archE1030ELNS1_3gpuE2ELNS1_3repE0EEENS1_30default_config_static_selectorELNS0_4arch9wavefront6targetE0EEEvT1_
	.globl	_ZN7rocprim17ROCPRIM_400000_NS6detail17trampoline_kernelINS0_14default_configENS1_33run_length_encode_config_selectorIjjNS0_4plusIjEEEEZZNS1_33reduce_by_key_impl_wrapped_configILNS1_25lookback_scan_determinismE0ES3_S7_PKjNS0_17constant_iteratorIjlEEPjPlSF_S6_NS0_8equal_toIjEEEE10hipError_tPvRmT2_T3_mT4_T5_T6_T7_T8_P12ihipStream_tbENKUlT_T0_E_clISt17integral_constantIbLb0EESZ_EEDaSU_SV_EUlSU_E_NS1_11comp_targetILNS1_3genE8ELNS1_11target_archE1030ELNS1_3gpuE2ELNS1_3repE0EEENS1_30default_config_static_selectorELNS0_4arch9wavefront6targetE0EEEvT1_
	.p2align	8
	.type	_ZN7rocprim17ROCPRIM_400000_NS6detail17trampoline_kernelINS0_14default_configENS1_33run_length_encode_config_selectorIjjNS0_4plusIjEEEEZZNS1_33reduce_by_key_impl_wrapped_configILNS1_25lookback_scan_determinismE0ES3_S7_PKjNS0_17constant_iteratorIjlEEPjPlSF_S6_NS0_8equal_toIjEEEE10hipError_tPvRmT2_T3_mT4_T5_T6_T7_T8_P12ihipStream_tbENKUlT_T0_E_clISt17integral_constantIbLb0EESZ_EEDaSU_SV_EUlSU_E_NS1_11comp_targetILNS1_3genE8ELNS1_11target_archE1030ELNS1_3gpuE2ELNS1_3repE0EEENS1_30default_config_static_selectorELNS0_4arch9wavefront6targetE0EEEvT1_,@function
_ZN7rocprim17ROCPRIM_400000_NS6detail17trampoline_kernelINS0_14default_configENS1_33run_length_encode_config_selectorIjjNS0_4plusIjEEEEZZNS1_33reduce_by_key_impl_wrapped_configILNS1_25lookback_scan_determinismE0ES3_S7_PKjNS0_17constant_iteratorIjlEEPjPlSF_S6_NS0_8equal_toIjEEEE10hipError_tPvRmT2_T3_mT4_T5_T6_T7_T8_P12ihipStream_tbENKUlT_T0_E_clISt17integral_constantIbLb0EESZ_EEDaSU_SV_EUlSU_E_NS1_11comp_targetILNS1_3genE8ELNS1_11target_archE1030ELNS1_3gpuE2ELNS1_3repE0EEENS1_30default_config_static_selectorELNS0_4arch9wavefront6targetE0EEEvT1_: ; @_ZN7rocprim17ROCPRIM_400000_NS6detail17trampoline_kernelINS0_14default_configENS1_33run_length_encode_config_selectorIjjNS0_4plusIjEEEEZZNS1_33reduce_by_key_impl_wrapped_configILNS1_25lookback_scan_determinismE0ES3_S7_PKjNS0_17constant_iteratorIjlEEPjPlSF_S6_NS0_8equal_toIjEEEE10hipError_tPvRmT2_T3_mT4_T5_T6_T7_T8_P12ihipStream_tbENKUlT_T0_E_clISt17integral_constantIbLb0EESZ_EEDaSU_SV_EUlSU_E_NS1_11comp_targetILNS1_3genE8ELNS1_11target_archE1030ELNS1_3gpuE2ELNS1_3repE0EEENS1_30default_config_static_selectorELNS0_4arch9wavefront6targetE0EEEvT1_
; %bb.0:
	.section	.rodata,"a",@progbits
	.p2align	6, 0x0
	.amdhsa_kernel _ZN7rocprim17ROCPRIM_400000_NS6detail17trampoline_kernelINS0_14default_configENS1_33run_length_encode_config_selectorIjjNS0_4plusIjEEEEZZNS1_33reduce_by_key_impl_wrapped_configILNS1_25lookback_scan_determinismE0ES3_S7_PKjNS0_17constant_iteratorIjlEEPjPlSF_S6_NS0_8equal_toIjEEEE10hipError_tPvRmT2_T3_mT4_T5_T6_T7_T8_P12ihipStream_tbENKUlT_T0_E_clISt17integral_constantIbLb0EESZ_EEDaSU_SV_EUlSU_E_NS1_11comp_targetILNS1_3genE8ELNS1_11target_archE1030ELNS1_3gpuE2ELNS1_3repE0EEENS1_30default_config_static_selectorELNS0_4arch9wavefront6targetE0EEEvT1_
		.amdhsa_group_segment_fixed_size 0
		.amdhsa_private_segment_fixed_size 0
		.amdhsa_kernarg_size 128
		.amdhsa_user_sgpr_count 2
		.amdhsa_user_sgpr_dispatch_ptr 0
		.amdhsa_user_sgpr_queue_ptr 0
		.amdhsa_user_sgpr_kernarg_segment_ptr 1
		.amdhsa_user_sgpr_dispatch_id 0
		.amdhsa_user_sgpr_kernarg_preload_length 0
		.amdhsa_user_sgpr_kernarg_preload_offset 0
		.amdhsa_user_sgpr_private_segment_size 0
		.amdhsa_wavefront_size32 1
		.amdhsa_uses_dynamic_stack 0
		.amdhsa_enable_private_segment 0
		.amdhsa_system_sgpr_workgroup_id_x 1
		.amdhsa_system_sgpr_workgroup_id_y 0
		.amdhsa_system_sgpr_workgroup_id_z 0
		.amdhsa_system_sgpr_workgroup_info 0
		.amdhsa_system_vgpr_workitem_id 0
		.amdhsa_next_free_vgpr 1
		.amdhsa_next_free_sgpr 1
		.amdhsa_named_barrier_count 0
		.amdhsa_reserve_vcc 0
		.amdhsa_float_round_mode_32 0
		.amdhsa_float_round_mode_16_64 0
		.amdhsa_float_denorm_mode_32 3
		.amdhsa_float_denorm_mode_16_64 3
		.amdhsa_fp16_overflow 0
		.amdhsa_memory_ordered 1
		.amdhsa_forward_progress 1
		.amdhsa_inst_pref_size 0
		.amdhsa_round_robin_scheduling 0
		.amdhsa_exception_fp_ieee_invalid_op 0
		.amdhsa_exception_fp_denorm_src 0
		.amdhsa_exception_fp_ieee_div_zero 0
		.amdhsa_exception_fp_ieee_overflow 0
		.amdhsa_exception_fp_ieee_underflow 0
		.amdhsa_exception_fp_ieee_inexact 0
		.amdhsa_exception_int_div_zero 0
	.end_amdhsa_kernel
	.section	.text._ZN7rocprim17ROCPRIM_400000_NS6detail17trampoline_kernelINS0_14default_configENS1_33run_length_encode_config_selectorIjjNS0_4plusIjEEEEZZNS1_33reduce_by_key_impl_wrapped_configILNS1_25lookback_scan_determinismE0ES3_S7_PKjNS0_17constant_iteratorIjlEEPjPlSF_S6_NS0_8equal_toIjEEEE10hipError_tPvRmT2_T3_mT4_T5_T6_T7_T8_P12ihipStream_tbENKUlT_T0_E_clISt17integral_constantIbLb0EESZ_EEDaSU_SV_EUlSU_E_NS1_11comp_targetILNS1_3genE8ELNS1_11target_archE1030ELNS1_3gpuE2ELNS1_3repE0EEENS1_30default_config_static_selectorELNS0_4arch9wavefront6targetE0EEEvT1_,"axG",@progbits,_ZN7rocprim17ROCPRIM_400000_NS6detail17trampoline_kernelINS0_14default_configENS1_33run_length_encode_config_selectorIjjNS0_4plusIjEEEEZZNS1_33reduce_by_key_impl_wrapped_configILNS1_25lookback_scan_determinismE0ES3_S7_PKjNS0_17constant_iteratorIjlEEPjPlSF_S6_NS0_8equal_toIjEEEE10hipError_tPvRmT2_T3_mT4_T5_T6_T7_T8_P12ihipStream_tbENKUlT_T0_E_clISt17integral_constantIbLb0EESZ_EEDaSU_SV_EUlSU_E_NS1_11comp_targetILNS1_3genE8ELNS1_11target_archE1030ELNS1_3gpuE2ELNS1_3repE0EEENS1_30default_config_static_selectorELNS0_4arch9wavefront6targetE0EEEvT1_,comdat
.Lfunc_end657:
	.size	_ZN7rocprim17ROCPRIM_400000_NS6detail17trampoline_kernelINS0_14default_configENS1_33run_length_encode_config_selectorIjjNS0_4plusIjEEEEZZNS1_33reduce_by_key_impl_wrapped_configILNS1_25lookback_scan_determinismE0ES3_S7_PKjNS0_17constant_iteratorIjlEEPjPlSF_S6_NS0_8equal_toIjEEEE10hipError_tPvRmT2_T3_mT4_T5_T6_T7_T8_P12ihipStream_tbENKUlT_T0_E_clISt17integral_constantIbLb0EESZ_EEDaSU_SV_EUlSU_E_NS1_11comp_targetILNS1_3genE8ELNS1_11target_archE1030ELNS1_3gpuE2ELNS1_3repE0EEENS1_30default_config_static_selectorELNS0_4arch9wavefront6targetE0EEEvT1_, .Lfunc_end657-_ZN7rocprim17ROCPRIM_400000_NS6detail17trampoline_kernelINS0_14default_configENS1_33run_length_encode_config_selectorIjjNS0_4plusIjEEEEZZNS1_33reduce_by_key_impl_wrapped_configILNS1_25lookback_scan_determinismE0ES3_S7_PKjNS0_17constant_iteratorIjlEEPjPlSF_S6_NS0_8equal_toIjEEEE10hipError_tPvRmT2_T3_mT4_T5_T6_T7_T8_P12ihipStream_tbENKUlT_T0_E_clISt17integral_constantIbLb0EESZ_EEDaSU_SV_EUlSU_E_NS1_11comp_targetILNS1_3genE8ELNS1_11target_archE1030ELNS1_3gpuE2ELNS1_3repE0EEENS1_30default_config_static_selectorELNS0_4arch9wavefront6targetE0EEEvT1_
                                        ; -- End function
	.set _ZN7rocprim17ROCPRIM_400000_NS6detail17trampoline_kernelINS0_14default_configENS1_33run_length_encode_config_selectorIjjNS0_4plusIjEEEEZZNS1_33reduce_by_key_impl_wrapped_configILNS1_25lookback_scan_determinismE0ES3_S7_PKjNS0_17constant_iteratorIjlEEPjPlSF_S6_NS0_8equal_toIjEEEE10hipError_tPvRmT2_T3_mT4_T5_T6_T7_T8_P12ihipStream_tbENKUlT_T0_E_clISt17integral_constantIbLb0EESZ_EEDaSU_SV_EUlSU_E_NS1_11comp_targetILNS1_3genE8ELNS1_11target_archE1030ELNS1_3gpuE2ELNS1_3repE0EEENS1_30default_config_static_selectorELNS0_4arch9wavefront6targetE0EEEvT1_.num_vgpr, 0
	.set _ZN7rocprim17ROCPRIM_400000_NS6detail17trampoline_kernelINS0_14default_configENS1_33run_length_encode_config_selectorIjjNS0_4plusIjEEEEZZNS1_33reduce_by_key_impl_wrapped_configILNS1_25lookback_scan_determinismE0ES3_S7_PKjNS0_17constant_iteratorIjlEEPjPlSF_S6_NS0_8equal_toIjEEEE10hipError_tPvRmT2_T3_mT4_T5_T6_T7_T8_P12ihipStream_tbENKUlT_T0_E_clISt17integral_constantIbLb0EESZ_EEDaSU_SV_EUlSU_E_NS1_11comp_targetILNS1_3genE8ELNS1_11target_archE1030ELNS1_3gpuE2ELNS1_3repE0EEENS1_30default_config_static_selectorELNS0_4arch9wavefront6targetE0EEEvT1_.num_agpr, 0
	.set _ZN7rocprim17ROCPRIM_400000_NS6detail17trampoline_kernelINS0_14default_configENS1_33run_length_encode_config_selectorIjjNS0_4plusIjEEEEZZNS1_33reduce_by_key_impl_wrapped_configILNS1_25lookback_scan_determinismE0ES3_S7_PKjNS0_17constant_iteratorIjlEEPjPlSF_S6_NS0_8equal_toIjEEEE10hipError_tPvRmT2_T3_mT4_T5_T6_T7_T8_P12ihipStream_tbENKUlT_T0_E_clISt17integral_constantIbLb0EESZ_EEDaSU_SV_EUlSU_E_NS1_11comp_targetILNS1_3genE8ELNS1_11target_archE1030ELNS1_3gpuE2ELNS1_3repE0EEENS1_30default_config_static_selectorELNS0_4arch9wavefront6targetE0EEEvT1_.numbered_sgpr, 0
	.set _ZN7rocprim17ROCPRIM_400000_NS6detail17trampoline_kernelINS0_14default_configENS1_33run_length_encode_config_selectorIjjNS0_4plusIjEEEEZZNS1_33reduce_by_key_impl_wrapped_configILNS1_25lookback_scan_determinismE0ES3_S7_PKjNS0_17constant_iteratorIjlEEPjPlSF_S6_NS0_8equal_toIjEEEE10hipError_tPvRmT2_T3_mT4_T5_T6_T7_T8_P12ihipStream_tbENKUlT_T0_E_clISt17integral_constantIbLb0EESZ_EEDaSU_SV_EUlSU_E_NS1_11comp_targetILNS1_3genE8ELNS1_11target_archE1030ELNS1_3gpuE2ELNS1_3repE0EEENS1_30default_config_static_selectorELNS0_4arch9wavefront6targetE0EEEvT1_.num_named_barrier, 0
	.set _ZN7rocprim17ROCPRIM_400000_NS6detail17trampoline_kernelINS0_14default_configENS1_33run_length_encode_config_selectorIjjNS0_4plusIjEEEEZZNS1_33reduce_by_key_impl_wrapped_configILNS1_25lookback_scan_determinismE0ES3_S7_PKjNS0_17constant_iteratorIjlEEPjPlSF_S6_NS0_8equal_toIjEEEE10hipError_tPvRmT2_T3_mT4_T5_T6_T7_T8_P12ihipStream_tbENKUlT_T0_E_clISt17integral_constantIbLb0EESZ_EEDaSU_SV_EUlSU_E_NS1_11comp_targetILNS1_3genE8ELNS1_11target_archE1030ELNS1_3gpuE2ELNS1_3repE0EEENS1_30default_config_static_selectorELNS0_4arch9wavefront6targetE0EEEvT1_.private_seg_size, 0
	.set _ZN7rocprim17ROCPRIM_400000_NS6detail17trampoline_kernelINS0_14default_configENS1_33run_length_encode_config_selectorIjjNS0_4plusIjEEEEZZNS1_33reduce_by_key_impl_wrapped_configILNS1_25lookback_scan_determinismE0ES3_S7_PKjNS0_17constant_iteratorIjlEEPjPlSF_S6_NS0_8equal_toIjEEEE10hipError_tPvRmT2_T3_mT4_T5_T6_T7_T8_P12ihipStream_tbENKUlT_T0_E_clISt17integral_constantIbLb0EESZ_EEDaSU_SV_EUlSU_E_NS1_11comp_targetILNS1_3genE8ELNS1_11target_archE1030ELNS1_3gpuE2ELNS1_3repE0EEENS1_30default_config_static_selectorELNS0_4arch9wavefront6targetE0EEEvT1_.uses_vcc, 0
	.set _ZN7rocprim17ROCPRIM_400000_NS6detail17trampoline_kernelINS0_14default_configENS1_33run_length_encode_config_selectorIjjNS0_4plusIjEEEEZZNS1_33reduce_by_key_impl_wrapped_configILNS1_25lookback_scan_determinismE0ES3_S7_PKjNS0_17constant_iteratorIjlEEPjPlSF_S6_NS0_8equal_toIjEEEE10hipError_tPvRmT2_T3_mT4_T5_T6_T7_T8_P12ihipStream_tbENKUlT_T0_E_clISt17integral_constantIbLb0EESZ_EEDaSU_SV_EUlSU_E_NS1_11comp_targetILNS1_3genE8ELNS1_11target_archE1030ELNS1_3gpuE2ELNS1_3repE0EEENS1_30default_config_static_selectorELNS0_4arch9wavefront6targetE0EEEvT1_.uses_flat_scratch, 0
	.set _ZN7rocprim17ROCPRIM_400000_NS6detail17trampoline_kernelINS0_14default_configENS1_33run_length_encode_config_selectorIjjNS0_4plusIjEEEEZZNS1_33reduce_by_key_impl_wrapped_configILNS1_25lookback_scan_determinismE0ES3_S7_PKjNS0_17constant_iteratorIjlEEPjPlSF_S6_NS0_8equal_toIjEEEE10hipError_tPvRmT2_T3_mT4_T5_T6_T7_T8_P12ihipStream_tbENKUlT_T0_E_clISt17integral_constantIbLb0EESZ_EEDaSU_SV_EUlSU_E_NS1_11comp_targetILNS1_3genE8ELNS1_11target_archE1030ELNS1_3gpuE2ELNS1_3repE0EEENS1_30default_config_static_selectorELNS0_4arch9wavefront6targetE0EEEvT1_.has_dyn_sized_stack, 0
	.set _ZN7rocprim17ROCPRIM_400000_NS6detail17trampoline_kernelINS0_14default_configENS1_33run_length_encode_config_selectorIjjNS0_4plusIjEEEEZZNS1_33reduce_by_key_impl_wrapped_configILNS1_25lookback_scan_determinismE0ES3_S7_PKjNS0_17constant_iteratorIjlEEPjPlSF_S6_NS0_8equal_toIjEEEE10hipError_tPvRmT2_T3_mT4_T5_T6_T7_T8_P12ihipStream_tbENKUlT_T0_E_clISt17integral_constantIbLb0EESZ_EEDaSU_SV_EUlSU_E_NS1_11comp_targetILNS1_3genE8ELNS1_11target_archE1030ELNS1_3gpuE2ELNS1_3repE0EEENS1_30default_config_static_selectorELNS0_4arch9wavefront6targetE0EEEvT1_.has_recursion, 0
	.set _ZN7rocprim17ROCPRIM_400000_NS6detail17trampoline_kernelINS0_14default_configENS1_33run_length_encode_config_selectorIjjNS0_4plusIjEEEEZZNS1_33reduce_by_key_impl_wrapped_configILNS1_25lookback_scan_determinismE0ES3_S7_PKjNS0_17constant_iteratorIjlEEPjPlSF_S6_NS0_8equal_toIjEEEE10hipError_tPvRmT2_T3_mT4_T5_T6_T7_T8_P12ihipStream_tbENKUlT_T0_E_clISt17integral_constantIbLb0EESZ_EEDaSU_SV_EUlSU_E_NS1_11comp_targetILNS1_3genE8ELNS1_11target_archE1030ELNS1_3gpuE2ELNS1_3repE0EEENS1_30default_config_static_selectorELNS0_4arch9wavefront6targetE0EEEvT1_.has_indirect_call, 0
	.section	.AMDGPU.csdata,"",@progbits
; Kernel info:
; codeLenInByte = 0
; TotalNumSgprs: 0
; NumVgprs: 0
; ScratchSize: 0
; MemoryBound: 0
; FloatMode: 240
; IeeeMode: 1
; LDSByteSize: 0 bytes/workgroup (compile time only)
; SGPRBlocks: 0
; VGPRBlocks: 0
; NumSGPRsForWavesPerEU: 1
; NumVGPRsForWavesPerEU: 1
; NamedBarCnt: 0
; Occupancy: 16
; WaveLimiterHint : 0
; COMPUTE_PGM_RSRC2:SCRATCH_EN: 0
; COMPUTE_PGM_RSRC2:USER_SGPR: 2
; COMPUTE_PGM_RSRC2:TRAP_HANDLER: 0
; COMPUTE_PGM_RSRC2:TGID_X_EN: 1
; COMPUTE_PGM_RSRC2:TGID_Y_EN: 0
; COMPUTE_PGM_RSRC2:TGID_Z_EN: 0
; COMPUTE_PGM_RSRC2:TIDIG_COMP_CNT: 0
	.section	.text._ZN7rocprim17ROCPRIM_400000_NS6detail17trampoline_kernelINS0_14default_configENS1_33run_length_encode_config_selectorIjjNS0_4plusIjEEEEZZNS1_33reduce_by_key_impl_wrapped_configILNS1_25lookback_scan_determinismE0ES3_S7_PKjNS0_17constant_iteratorIjlEEPjPlSF_S6_NS0_8equal_toIjEEEE10hipError_tPvRmT2_T3_mT4_T5_T6_T7_T8_P12ihipStream_tbENKUlT_T0_E_clISt17integral_constantIbLb1EESZ_EEDaSU_SV_EUlSU_E_NS1_11comp_targetILNS1_3genE0ELNS1_11target_archE4294967295ELNS1_3gpuE0ELNS1_3repE0EEENS1_30default_config_static_selectorELNS0_4arch9wavefront6targetE0EEEvT1_,"axG",@progbits,_ZN7rocprim17ROCPRIM_400000_NS6detail17trampoline_kernelINS0_14default_configENS1_33run_length_encode_config_selectorIjjNS0_4plusIjEEEEZZNS1_33reduce_by_key_impl_wrapped_configILNS1_25lookback_scan_determinismE0ES3_S7_PKjNS0_17constant_iteratorIjlEEPjPlSF_S6_NS0_8equal_toIjEEEE10hipError_tPvRmT2_T3_mT4_T5_T6_T7_T8_P12ihipStream_tbENKUlT_T0_E_clISt17integral_constantIbLb1EESZ_EEDaSU_SV_EUlSU_E_NS1_11comp_targetILNS1_3genE0ELNS1_11target_archE4294967295ELNS1_3gpuE0ELNS1_3repE0EEENS1_30default_config_static_selectorELNS0_4arch9wavefront6targetE0EEEvT1_,comdat
	.protected	_ZN7rocprim17ROCPRIM_400000_NS6detail17trampoline_kernelINS0_14default_configENS1_33run_length_encode_config_selectorIjjNS0_4plusIjEEEEZZNS1_33reduce_by_key_impl_wrapped_configILNS1_25lookback_scan_determinismE0ES3_S7_PKjNS0_17constant_iteratorIjlEEPjPlSF_S6_NS0_8equal_toIjEEEE10hipError_tPvRmT2_T3_mT4_T5_T6_T7_T8_P12ihipStream_tbENKUlT_T0_E_clISt17integral_constantIbLb1EESZ_EEDaSU_SV_EUlSU_E_NS1_11comp_targetILNS1_3genE0ELNS1_11target_archE4294967295ELNS1_3gpuE0ELNS1_3repE0EEENS1_30default_config_static_selectorELNS0_4arch9wavefront6targetE0EEEvT1_ ; -- Begin function _ZN7rocprim17ROCPRIM_400000_NS6detail17trampoline_kernelINS0_14default_configENS1_33run_length_encode_config_selectorIjjNS0_4plusIjEEEEZZNS1_33reduce_by_key_impl_wrapped_configILNS1_25lookback_scan_determinismE0ES3_S7_PKjNS0_17constant_iteratorIjlEEPjPlSF_S6_NS0_8equal_toIjEEEE10hipError_tPvRmT2_T3_mT4_T5_T6_T7_T8_P12ihipStream_tbENKUlT_T0_E_clISt17integral_constantIbLb1EESZ_EEDaSU_SV_EUlSU_E_NS1_11comp_targetILNS1_3genE0ELNS1_11target_archE4294967295ELNS1_3gpuE0ELNS1_3repE0EEENS1_30default_config_static_selectorELNS0_4arch9wavefront6targetE0EEEvT1_
	.globl	_ZN7rocprim17ROCPRIM_400000_NS6detail17trampoline_kernelINS0_14default_configENS1_33run_length_encode_config_selectorIjjNS0_4plusIjEEEEZZNS1_33reduce_by_key_impl_wrapped_configILNS1_25lookback_scan_determinismE0ES3_S7_PKjNS0_17constant_iteratorIjlEEPjPlSF_S6_NS0_8equal_toIjEEEE10hipError_tPvRmT2_T3_mT4_T5_T6_T7_T8_P12ihipStream_tbENKUlT_T0_E_clISt17integral_constantIbLb1EESZ_EEDaSU_SV_EUlSU_E_NS1_11comp_targetILNS1_3genE0ELNS1_11target_archE4294967295ELNS1_3gpuE0ELNS1_3repE0EEENS1_30default_config_static_selectorELNS0_4arch9wavefront6targetE0EEEvT1_
	.p2align	8
	.type	_ZN7rocprim17ROCPRIM_400000_NS6detail17trampoline_kernelINS0_14default_configENS1_33run_length_encode_config_selectorIjjNS0_4plusIjEEEEZZNS1_33reduce_by_key_impl_wrapped_configILNS1_25lookback_scan_determinismE0ES3_S7_PKjNS0_17constant_iteratorIjlEEPjPlSF_S6_NS0_8equal_toIjEEEE10hipError_tPvRmT2_T3_mT4_T5_T6_T7_T8_P12ihipStream_tbENKUlT_T0_E_clISt17integral_constantIbLb1EESZ_EEDaSU_SV_EUlSU_E_NS1_11comp_targetILNS1_3genE0ELNS1_11target_archE4294967295ELNS1_3gpuE0ELNS1_3repE0EEENS1_30default_config_static_selectorELNS0_4arch9wavefront6targetE0EEEvT1_,@function
_ZN7rocprim17ROCPRIM_400000_NS6detail17trampoline_kernelINS0_14default_configENS1_33run_length_encode_config_selectorIjjNS0_4plusIjEEEEZZNS1_33reduce_by_key_impl_wrapped_configILNS1_25lookback_scan_determinismE0ES3_S7_PKjNS0_17constant_iteratorIjlEEPjPlSF_S6_NS0_8equal_toIjEEEE10hipError_tPvRmT2_T3_mT4_T5_T6_T7_T8_P12ihipStream_tbENKUlT_T0_E_clISt17integral_constantIbLb1EESZ_EEDaSU_SV_EUlSU_E_NS1_11comp_targetILNS1_3genE0ELNS1_11target_archE4294967295ELNS1_3gpuE0ELNS1_3repE0EEENS1_30default_config_static_selectorELNS0_4arch9wavefront6targetE0EEEvT1_: ; @_ZN7rocprim17ROCPRIM_400000_NS6detail17trampoline_kernelINS0_14default_configENS1_33run_length_encode_config_selectorIjjNS0_4plusIjEEEEZZNS1_33reduce_by_key_impl_wrapped_configILNS1_25lookback_scan_determinismE0ES3_S7_PKjNS0_17constant_iteratorIjlEEPjPlSF_S6_NS0_8equal_toIjEEEE10hipError_tPvRmT2_T3_mT4_T5_T6_T7_T8_P12ihipStream_tbENKUlT_T0_E_clISt17integral_constantIbLb1EESZ_EEDaSU_SV_EUlSU_E_NS1_11comp_targetILNS1_3genE0ELNS1_11target_archE4294967295ELNS1_3gpuE0ELNS1_3repE0EEENS1_30default_config_static_selectorELNS0_4arch9wavefront6targetE0EEEvT1_
; %bb.0:
	s_endpgm
	.section	.rodata,"a",@progbits
	.p2align	6, 0x0
	.amdhsa_kernel _ZN7rocprim17ROCPRIM_400000_NS6detail17trampoline_kernelINS0_14default_configENS1_33run_length_encode_config_selectorIjjNS0_4plusIjEEEEZZNS1_33reduce_by_key_impl_wrapped_configILNS1_25lookback_scan_determinismE0ES3_S7_PKjNS0_17constant_iteratorIjlEEPjPlSF_S6_NS0_8equal_toIjEEEE10hipError_tPvRmT2_T3_mT4_T5_T6_T7_T8_P12ihipStream_tbENKUlT_T0_E_clISt17integral_constantIbLb1EESZ_EEDaSU_SV_EUlSU_E_NS1_11comp_targetILNS1_3genE0ELNS1_11target_archE4294967295ELNS1_3gpuE0ELNS1_3repE0EEENS1_30default_config_static_selectorELNS0_4arch9wavefront6targetE0EEEvT1_
		.amdhsa_group_segment_fixed_size 0
		.amdhsa_private_segment_fixed_size 0
		.amdhsa_kernarg_size 128
		.amdhsa_user_sgpr_count 2
		.amdhsa_user_sgpr_dispatch_ptr 0
		.amdhsa_user_sgpr_queue_ptr 0
		.amdhsa_user_sgpr_kernarg_segment_ptr 1
		.amdhsa_user_sgpr_dispatch_id 0
		.amdhsa_user_sgpr_kernarg_preload_length 0
		.amdhsa_user_sgpr_kernarg_preload_offset 0
		.amdhsa_user_sgpr_private_segment_size 0
		.amdhsa_wavefront_size32 1
		.amdhsa_uses_dynamic_stack 0
		.amdhsa_enable_private_segment 0
		.amdhsa_system_sgpr_workgroup_id_x 1
		.amdhsa_system_sgpr_workgroup_id_y 0
		.amdhsa_system_sgpr_workgroup_id_z 0
		.amdhsa_system_sgpr_workgroup_info 0
		.amdhsa_system_vgpr_workitem_id 0
		.amdhsa_next_free_vgpr 1
		.amdhsa_next_free_sgpr 1
		.amdhsa_named_barrier_count 0
		.amdhsa_reserve_vcc 0
		.amdhsa_float_round_mode_32 0
		.amdhsa_float_round_mode_16_64 0
		.amdhsa_float_denorm_mode_32 3
		.amdhsa_float_denorm_mode_16_64 3
		.amdhsa_fp16_overflow 0
		.amdhsa_memory_ordered 1
		.amdhsa_forward_progress 1
		.amdhsa_inst_pref_size 1
		.amdhsa_round_robin_scheduling 0
		.amdhsa_exception_fp_ieee_invalid_op 0
		.amdhsa_exception_fp_denorm_src 0
		.amdhsa_exception_fp_ieee_div_zero 0
		.amdhsa_exception_fp_ieee_overflow 0
		.amdhsa_exception_fp_ieee_underflow 0
		.amdhsa_exception_fp_ieee_inexact 0
		.amdhsa_exception_int_div_zero 0
	.end_amdhsa_kernel
	.section	.text._ZN7rocprim17ROCPRIM_400000_NS6detail17trampoline_kernelINS0_14default_configENS1_33run_length_encode_config_selectorIjjNS0_4plusIjEEEEZZNS1_33reduce_by_key_impl_wrapped_configILNS1_25lookback_scan_determinismE0ES3_S7_PKjNS0_17constant_iteratorIjlEEPjPlSF_S6_NS0_8equal_toIjEEEE10hipError_tPvRmT2_T3_mT4_T5_T6_T7_T8_P12ihipStream_tbENKUlT_T0_E_clISt17integral_constantIbLb1EESZ_EEDaSU_SV_EUlSU_E_NS1_11comp_targetILNS1_3genE0ELNS1_11target_archE4294967295ELNS1_3gpuE0ELNS1_3repE0EEENS1_30default_config_static_selectorELNS0_4arch9wavefront6targetE0EEEvT1_,"axG",@progbits,_ZN7rocprim17ROCPRIM_400000_NS6detail17trampoline_kernelINS0_14default_configENS1_33run_length_encode_config_selectorIjjNS0_4plusIjEEEEZZNS1_33reduce_by_key_impl_wrapped_configILNS1_25lookback_scan_determinismE0ES3_S7_PKjNS0_17constant_iteratorIjlEEPjPlSF_S6_NS0_8equal_toIjEEEE10hipError_tPvRmT2_T3_mT4_T5_T6_T7_T8_P12ihipStream_tbENKUlT_T0_E_clISt17integral_constantIbLb1EESZ_EEDaSU_SV_EUlSU_E_NS1_11comp_targetILNS1_3genE0ELNS1_11target_archE4294967295ELNS1_3gpuE0ELNS1_3repE0EEENS1_30default_config_static_selectorELNS0_4arch9wavefront6targetE0EEEvT1_,comdat
.Lfunc_end658:
	.size	_ZN7rocprim17ROCPRIM_400000_NS6detail17trampoline_kernelINS0_14default_configENS1_33run_length_encode_config_selectorIjjNS0_4plusIjEEEEZZNS1_33reduce_by_key_impl_wrapped_configILNS1_25lookback_scan_determinismE0ES3_S7_PKjNS0_17constant_iteratorIjlEEPjPlSF_S6_NS0_8equal_toIjEEEE10hipError_tPvRmT2_T3_mT4_T5_T6_T7_T8_P12ihipStream_tbENKUlT_T0_E_clISt17integral_constantIbLb1EESZ_EEDaSU_SV_EUlSU_E_NS1_11comp_targetILNS1_3genE0ELNS1_11target_archE4294967295ELNS1_3gpuE0ELNS1_3repE0EEENS1_30default_config_static_selectorELNS0_4arch9wavefront6targetE0EEEvT1_, .Lfunc_end658-_ZN7rocprim17ROCPRIM_400000_NS6detail17trampoline_kernelINS0_14default_configENS1_33run_length_encode_config_selectorIjjNS0_4plusIjEEEEZZNS1_33reduce_by_key_impl_wrapped_configILNS1_25lookback_scan_determinismE0ES3_S7_PKjNS0_17constant_iteratorIjlEEPjPlSF_S6_NS0_8equal_toIjEEEE10hipError_tPvRmT2_T3_mT4_T5_T6_T7_T8_P12ihipStream_tbENKUlT_T0_E_clISt17integral_constantIbLb1EESZ_EEDaSU_SV_EUlSU_E_NS1_11comp_targetILNS1_3genE0ELNS1_11target_archE4294967295ELNS1_3gpuE0ELNS1_3repE0EEENS1_30default_config_static_selectorELNS0_4arch9wavefront6targetE0EEEvT1_
                                        ; -- End function
	.set _ZN7rocprim17ROCPRIM_400000_NS6detail17trampoline_kernelINS0_14default_configENS1_33run_length_encode_config_selectorIjjNS0_4plusIjEEEEZZNS1_33reduce_by_key_impl_wrapped_configILNS1_25lookback_scan_determinismE0ES3_S7_PKjNS0_17constant_iteratorIjlEEPjPlSF_S6_NS0_8equal_toIjEEEE10hipError_tPvRmT2_T3_mT4_T5_T6_T7_T8_P12ihipStream_tbENKUlT_T0_E_clISt17integral_constantIbLb1EESZ_EEDaSU_SV_EUlSU_E_NS1_11comp_targetILNS1_3genE0ELNS1_11target_archE4294967295ELNS1_3gpuE0ELNS1_3repE0EEENS1_30default_config_static_selectorELNS0_4arch9wavefront6targetE0EEEvT1_.num_vgpr, 0
	.set _ZN7rocprim17ROCPRIM_400000_NS6detail17trampoline_kernelINS0_14default_configENS1_33run_length_encode_config_selectorIjjNS0_4plusIjEEEEZZNS1_33reduce_by_key_impl_wrapped_configILNS1_25lookback_scan_determinismE0ES3_S7_PKjNS0_17constant_iteratorIjlEEPjPlSF_S6_NS0_8equal_toIjEEEE10hipError_tPvRmT2_T3_mT4_T5_T6_T7_T8_P12ihipStream_tbENKUlT_T0_E_clISt17integral_constantIbLb1EESZ_EEDaSU_SV_EUlSU_E_NS1_11comp_targetILNS1_3genE0ELNS1_11target_archE4294967295ELNS1_3gpuE0ELNS1_3repE0EEENS1_30default_config_static_selectorELNS0_4arch9wavefront6targetE0EEEvT1_.num_agpr, 0
	.set _ZN7rocprim17ROCPRIM_400000_NS6detail17trampoline_kernelINS0_14default_configENS1_33run_length_encode_config_selectorIjjNS0_4plusIjEEEEZZNS1_33reduce_by_key_impl_wrapped_configILNS1_25lookback_scan_determinismE0ES3_S7_PKjNS0_17constant_iteratorIjlEEPjPlSF_S6_NS0_8equal_toIjEEEE10hipError_tPvRmT2_T3_mT4_T5_T6_T7_T8_P12ihipStream_tbENKUlT_T0_E_clISt17integral_constantIbLb1EESZ_EEDaSU_SV_EUlSU_E_NS1_11comp_targetILNS1_3genE0ELNS1_11target_archE4294967295ELNS1_3gpuE0ELNS1_3repE0EEENS1_30default_config_static_selectorELNS0_4arch9wavefront6targetE0EEEvT1_.numbered_sgpr, 0
	.set _ZN7rocprim17ROCPRIM_400000_NS6detail17trampoline_kernelINS0_14default_configENS1_33run_length_encode_config_selectorIjjNS0_4plusIjEEEEZZNS1_33reduce_by_key_impl_wrapped_configILNS1_25lookback_scan_determinismE0ES3_S7_PKjNS0_17constant_iteratorIjlEEPjPlSF_S6_NS0_8equal_toIjEEEE10hipError_tPvRmT2_T3_mT4_T5_T6_T7_T8_P12ihipStream_tbENKUlT_T0_E_clISt17integral_constantIbLb1EESZ_EEDaSU_SV_EUlSU_E_NS1_11comp_targetILNS1_3genE0ELNS1_11target_archE4294967295ELNS1_3gpuE0ELNS1_3repE0EEENS1_30default_config_static_selectorELNS0_4arch9wavefront6targetE0EEEvT1_.num_named_barrier, 0
	.set _ZN7rocprim17ROCPRIM_400000_NS6detail17trampoline_kernelINS0_14default_configENS1_33run_length_encode_config_selectorIjjNS0_4plusIjEEEEZZNS1_33reduce_by_key_impl_wrapped_configILNS1_25lookback_scan_determinismE0ES3_S7_PKjNS0_17constant_iteratorIjlEEPjPlSF_S6_NS0_8equal_toIjEEEE10hipError_tPvRmT2_T3_mT4_T5_T6_T7_T8_P12ihipStream_tbENKUlT_T0_E_clISt17integral_constantIbLb1EESZ_EEDaSU_SV_EUlSU_E_NS1_11comp_targetILNS1_3genE0ELNS1_11target_archE4294967295ELNS1_3gpuE0ELNS1_3repE0EEENS1_30default_config_static_selectorELNS0_4arch9wavefront6targetE0EEEvT1_.private_seg_size, 0
	.set _ZN7rocprim17ROCPRIM_400000_NS6detail17trampoline_kernelINS0_14default_configENS1_33run_length_encode_config_selectorIjjNS0_4plusIjEEEEZZNS1_33reduce_by_key_impl_wrapped_configILNS1_25lookback_scan_determinismE0ES3_S7_PKjNS0_17constant_iteratorIjlEEPjPlSF_S6_NS0_8equal_toIjEEEE10hipError_tPvRmT2_T3_mT4_T5_T6_T7_T8_P12ihipStream_tbENKUlT_T0_E_clISt17integral_constantIbLb1EESZ_EEDaSU_SV_EUlSU_E_NS1_11comp_targetILNS1_3genE0ELNS1_11target_archE4294967295ELNS1_3gpuE0ELNS1_3repE0EEENS1_30default_config_static_selectorELNS0_4arch9wavefront6targetE0EEEvT1_.uses_vcc, 0
	.set _ZN7rocprim17ROCPRIM_400000_NS6detail17trampoline_kernelINS0_14default_configENS1_33run_length_encode_config_selectorIjjNS0_4plusIjEEEEZZNS1_33reduce_by_key_impl_wrapped_configILNS1_25lookback_scan_determinismE0ES3_S7_PKjNS0_17constant_iteratorIjlEEPjPlSF_S6_NS0_8equal_toIjEEEE10hipError_tPvRmT2_T3_mT4_T5_T6_T7_T8_P12ihipStream_tbENKUlT_T0_E_clISt17integral_constantIbLb1EESZ_EEDaSU_SV_EUlSU_E_NS1_11comp_targetILNS1_3genE0ELNS1_11target_archE4294967295ELNS1_3gpuE0ELNS1_3repE0EEENS1_30default_config_static_selectorELNS0_4arch9wavefront6targetE0EEEvT1_.uses_flat_scratch, 0
	.set _ZN7rocprim17ROCPRIM_400000_NS6detail17trampoline_kernelINS0_14default_configENS1_33run_length_encode_config_selectorIjjNS0_4plusIjEEEEZZNS1_33reduce_by_key_impl_wrapped_configILNS1_25lookback_scan_determinismE0ES3_S7_PKjNS0_17constant_iteratorIjlEEPjPlSF_S6_NS0_8equal_toIjEEEE10hipError_tPvRmT2_T3_mT4_T5_T6_T7_T8_P12ihipStream_tbENKUlT_T0_E_clISt17integral_constantIbLb1EESZ_EEDaSU_SV_EUlSU_E_NS1_11comp_targetILNS1_3genE0ELNS1_11target_archE4294967295ELNS1_3gpuE0ELNS1_3repE0EEENS1_30default_config_static_selectorELNS0_4arch9wavefront6targetE0EEEvT1_.has_dyn_sized_stack, 0
	.set _ZN7rocprim17ROCPRIM_400000_NS6detail17trampoline_kernelINS0_14default_configENS1_33run_length_encode_config_selectorIjjNS0_4plusIjEEEEZZNS1_33reduce_by_key_impl_wrapped_configILNS1_25lookback_scan_determinismE0ES3_S7_PKjNS0_17constant_iteratorIjlEEPjPlSF_S6_NS0_8equal_toIjEEEE10hipError_tPvRmT2_T3_mT4_T5_T6_T7_T8_P12ihipStream_tbENKUlT_T0_E_clISt17integral_constantIbLb1EESZ_EEDaSU_SV_EUlSU_E_NS1_11comp_targetILNS1_3genE0ELNS1_11target_archE4294967295ELNS1_3gpuE0ELNS1_3repE0EEENS1_30default_config_static_selectorELNS0_4arch9wavefront6targetE0EEEvT1_.has_recursion, 0
	.set _ZN7rocprim17ROCPRIM_400000_NS6detail17trampoline_kernelINS0_14default_configENS1_33run_length_encode_config_selectorIjjNS0_4plusIjEEEEZZNS1_33reduce_by_key_impl_wrapped_configILNS1_25lookback_scan_determinismE0ES3_S7_PKjNS0_17constant_iteratorIjlEEPjPlSF_S6_NS0_8equal_toIjEEEE10hipError_tPvRmT2_T3_mT4_T5_T6_T7_T8_P12ihipStream_tbENKUlT_T0_E_clISt17integral_constantIbLb1EESZ_EEDaSU_SV_EUlSU_E_NS1_11comp_targetILNS1_3genE0ELNS1_11target_archE4294967295ELNS1_3gpuE0ELNS1_3repE0EEENS1_30default_config_static_selectorELNS0_4arch9wavefront6targetE0EEEvT1_.has_indirect_call, 0
	.section	.AMDGPU.csdata,"",@progbits
; Kernel info:
; codeLenInByte = 4
; TotalNumSgprs: 0
; NumVgprs: 0
; ScratchSize: 0
; MemoryBound: 0
; FloatMode: 240
; IeeeMode: 1
; LDSByteSize: 0 bytes/workgroup (compile time only)
; SGPRBlocks: 0
; VGPRBlocks: 0
; NumSGPRsForWavesPerEU: 1
; NumVGPRsForWavesPerEU: 1
; NamedBarCnt: 0
; Occupancy: 16
; WaveLimiterHint : 0
; COMPUTE_PGM_RSRC2:SCRATCH_EN: 0
; COMPUTE_PGM_RSRC2:USER_SGPR: 2
; COMPUTE_PGM_RSRC2:TRAP_HANDLER: 0
; COMPUTE_PGM_RSRC2:TGID_X_EN: 1
; COMPUTE_PGM_RSRC2:TGID_Y_EN: 0
; COMPUTE_PGM_RSRC2:TGID_Z_EN: 0
; COMPUTE_PGM_RSRC2:TIDIG_COMP_CNT: 0
	.section	.text._ZN7rocprim17ROCPRIM_400000_NS6detail17trampoline_kernelINS0_14default_configENS1_33run_length_encode_config_selectorIjjNS0_4plusIjEEEEZZNS1_33reduce_by_key_impl_wrapped_configILNS1_25lookback_scan_determinismE0ES3_S7_PKjNS0_17constant_iteratorIjlEEPjPlSF_S6_NS0_8equal_toIjEEEE10hipError_tPvRmT2_T3_mT4_T5_T6_T7_T8_P12ihipStream_tbENKUlT_T0_E_clISt17integral_constantIbLb1EESZ_EEDaSU_SV_EUlSU_E_NS1_11comp_targetILNS1_3genE5ELNS1_11target_archE942ELNS1_3gpuE9ELNS1_3repE0EEENS1_30default_config_static_selectorELNS0_4arch9wavefront6targetE0EEEvT1_,"axG",@progbits,_ZN7rocprim17ROCPRIM_400000_NS6detail17trampoline_kernelINS0_14default_configENS1_33run_length_encode_config_selectorIjjNS0_4plusIjEEEEZZNS1_33reduce_by_key_impl_wrapped_configILNS1_25lookback_scan_determinismE0ES3_S7_PKjNS0_17constant_iteratorIjlEEPjPlSF_S6_NS0_8equal_toIjEEEE10hipError_tPvRmT2_T3_mT4_T5_T6_T7_T8_P12ihipStream_tbENKUlT_T0_E_clISt17integral_constantIbLb1EESZ_EEDaSU_SV_EUlSU_E_NS1_11comp_targetILNS1_3genE5ELNS1_11target_archE942ELNS1_3gpuE9ELNS1_3repE0EEENS1_30default_config_static_selectorELNS0_4arch9wavefront6targetE0EEEvT1_,comdat
	.protected	_ZN7rocprim17ROCPRIM_400000_NS6detail17trampoline_kernelINS0_14default_configENS1_33run_length_encode_config_selectorIjjNS0_4plusIjEEEEZZNS1_33reduce_by_key_impl_wrapped_configILNS1_25lookback_scan_determinismE0ES3_S7_PKjNS0_17constant_iteratorIjlEEPjPlSF_S6_NS0_8equal_toIjEEEE10hipError_tPvRmT2_T3_mT4_T5_T6_T7_T8_P12ihipStream_tbENKUlT_T0_E_clISt17integral_constantIbLb1EESZ_EEDaSU_SV_EUlSU_E_NS1_11comp_targetILNS1_3genE5ELNS1_11target_archE942ELNS1_3gpuE9ELNS1_3repE0EEENS1_30default_config_static_selectorELNS0_4arch9wavefront6targetE0EEEvT1_ ; -- Begin function _ZN7rocprim17ROCPRIM_400000_NS6detail17trampoline_kernelINS0_14default_configENS1_33run_length_encode_config_selectorIjjNS0_4plusIjEEEEZZNS1_33reduce_by_key_impl_wrapped_configILNS1_25lookback_scan_determinismE0ES3_S7_PKjNS0_17constant_iteratorIjlEEPjPlSF_S6_NS0_8equal_toIjEEEE10hipError_tPvRmT2_T3_mT4_T5_T6_T7_T8_P12ihipStream_tbENKUlT_T0_E_clISt17integral_constantIbLb1EESZ_EEDaSU_SV_EUlSU_E_NS1_11comp_targetILNS1_3genE5ELNS1_11target_archE942ELNS1_3gpuE9ELNS1_3repE0EEENS1_30default_config_static_selectorELNS0_4arch9wavefront6targetE0EEEvT1_
	.globl	_ZN7rocprim17ROCPRIM_400000_NS6detail17trampoline_kernelINS0_14default_configENS1_33run_length_encode_config_selectorIjjNS0_4plusIjEEEEZZNS1_33reduce_by_key_impl_wrapped_configILNS1_25lookback_scan_determinismE0ES3_S7_PKjNS0_17constant_iteratorIjlEEPjPlSF_S6_NS0_8equal_toIjEEEE10hipError_tPvRmT2_T3_mT4_T5_T6_T7_T8_P12ihipStream_tbENKUlT_T0_E_clISt17integral_constantIbLb1EESZ_EEDaSU_SV_EUlSU_E_NS1_11comp_targetILNS1_3genE5ELNS1_11target_archE942ELNS1_3gpuE9ELNS1_3repE0EEENS1_30default_config_static_selectorELNS0_4arch9wavefront6targetE0EEEvT1_
	.p2align	8
	.type	_ZN7rocprim17ROCPRIM_400000_NS6detail17trampoline_kernelINS0_14default_configENS1_33run_length_encode_config_selectorIjjNS0_4plusIjEEEEZZNS1_33reduce_by_key_impl_wrapped_configILNS1_25lookback_scan_determinismE0ES3_S7_PKjNS0_17constant_iteratorIjlEEPjPlSF_S6_NS0_8equal_toIjEEEE10hipError_tPvRmT2_T3_mT4_T5_T6_T7_T8_P12ihipStream_tbENKUlT_T0_E_clISt17integral_constantIbLb1EESZ_EEDaSU_SV_EUlSU_E_NS1_11comp_targetILNS1_3genE5ELNS1_11target_archE942ELNS1_3gpuE9ELNS1_3repE0EEENS1_30default_config_static_selectorELNS0_4arch9wavefront6targetE0EEEvT1_,@function
_ZN7rocprim17ROCPRIM_400000_NS6detail17trampoline_kernelINS0_14default_configENS1_33run_length_encode_config_selectorIjjNS0_4plusIjEEEEZZNS1_33reduce_by_key_impl_wrapped_configILNS1_25lookback_scan_determinismE0ES3_S7_PKjNS0_17constant_iteratorIjlEEPjPlSF_S6_NS0_8equal_toIjEEEE10hipError_tPvRmT2_T3_mT4_T5_T6_T7_T8_P12ihipStream_tbENKUlT_T0_E_clISt17integral_constantIbLb1EESZ_EEDaSU_SV_EUlSU_E_NS1_11comp_targetILNS1_3genE5ELNS1_11target_archE942ELNS1_3gpuE9ELNS1_3repE0EEENS1_30default_config_static_selectorELNS0_4arch9wavefront6targetE0EEEvT1_: ; @_ZN7rocprim17ROCPRIM_400000_NS6detail17trampoline_kernelINS0_14default_configENS1_33run_length_encode_config_selectorIjjNS0_4plusIjEEEEZZNS1_33reduce_by_key_impl_wrapped_configILNS1_25lookback_scan_determinismE0ES3_S7_PKjNS0_17constant_iteratorIjlEEPjPlSF_S6_NS0_8equal_toIjEEEE10hipError_tPvRmT2_T3_mT4_T5_T6_T7_T8_P12ihipStream_tbENKUlT_T0_E_clISt17integral_constantIbLb1EESZ_EEDaSU_SV_EUlSU_E_NS1_11comp_targetILNS1_3genE5ELNS1_11target_archE942ELNS1_3gpuE9ELNS1_3repE0EEENS1_30default_config_static_selectorELNS0_4arch9wavefront6targetE0EEEvT1_
; %bb.0:
	.section	.rodata,"a",@progbits
	.p2align	6, 0x0
	.amdhsa_kernel _ZN7rocprim17ROCPRIM_400000_NS6detail17trampoline_kernelINS0_14default_configENS1_33run_length_encode_config_selectorIjjNS0_4plusIjEEEEZZNS1_33reduce_by_key_impl_wrapped_configILNS1_25lookback_scan_determinismE0ES3_S7_PKjNS0_17constant_iteratorIjlEEPjPlSF_S6_NS0_8equal_toIjEEEE10hipError_tPvRmT2_T3_mT4_T5_T6_T7_T8_P12ihipStream_tbENKUlT_T0_E_clISt17integral_constantIbLb1EESZ_EEDaSU_SV_EUlSU_E_NS1_11comp_targetILNS1_3genE5ELNS1_11target_archE942ELNS1_3gpuE9ELNS1_3repE0EEENS1_30default_config_static_selectorELNS0_4arch9wavefront6targetE0EEEvT1_
		.amdhsa_group_segment_fixed_size 0
		.amdhsa_private_segment_fixed_size 0
		.amdhsa_kernarg_size 128
		.amdhsa_user_sgpr_count 2
		.amdhsa_user_sgpr_dispatch_ptr 0
		.amdhsa_user_sgpr_queue_ptr 0
		.amdhsa_user_sgpr_kernarg_segment_ptr 1
		.amdhsa_user_sgpr_dispatch_id 0
		.amdhsa_user_sgpr_kernarg_preload_length 0
		.amdhsa_user_sgpr_kernarg_preload_offset 0
		.amdhsa_user_sgpr_private_segment_size 0
		.amdhsa_wavefront_size32 1
		.amdhsa_uses_dynamic_stack 0
		.amdhsa_enable_private_segment 0
		.amdhsa_system_sgpr_workgroup_id_x 1
		.amdhsa_system_sgpr_workgroup_id_y 0
		.amdhsa_system_sgpr_workgroup_id_z 0
		.amdhsa_system_sgpr_workgroup_info 0
		.amdhsa_system_vgpr_workitem_id 0
		.amdhsa_next_free_vgpr 1
		.amdhsa_next_free_sgpr 1
		.amdhsa_named_barrier_count 0
		.amdhsa_reserve_vcc 0
		.amdhsa_float_round_mode_32 0
		.amdhsa_float_round_mode_16_64 0
		.amdhsa_float_denorm_mode_32 3
		.amdhsa_float_denorm_mode_16_64 3
		.amdhsa_fp16_overflow 0
		.amdhsa_memory_ordered 1
		.amdhsa_forward_progress 1
		.amdhsa_inst_pref_size 0
		.amdhsa_round_robin_scheduling 0
		.amdhsa_exception_fp_ieee_invalid_op 0
		.amdhsa_exception_fp_denorm_src 0
		.amdhsa_exception_fp_ieee_div_zero 0
		.amdhsa_exception_fp_ieee_overflow 0
		.amdhsa_exception_fp_ieee_underflow 0
		.amdhsa_exception_fp_ieee_inexact 0
		.amdhsa_exception_int_div_zero 0
	.end_amdhsa_kernel
	.section	.text._ZN7rocprim17ROCPRIM_400000_NS6detail17trampoline_kernelINS0_14default_configENS1_33run_length_encode_config_selectorIjjNS0_4plusIjEEEEZZNS1_33reduce_by_key_impl_wrapped_configILNS1_25lookback_scan_determinismE0ES3_S7_PKjNS0_17constant_iteratorIjlEEPjPlSF_S6_NS0_8equal_toIjEEEE10hipError_tPvRmT2_T3_mT4_T5_T6_T7_T8_P12ihipStream_tbENKUlT_T0_E_clISt17integral_constantIbLb1EESZ_EEDaSU_SV_EUlSU_E_NS1_11comp_targetILNS1_3genE5ELNS1_11target_archE942ELNS1_3gpuE9ELNS1_3repE0EEENS1_30default_config_static_selectorELNS0_4arch9wavefront6targetE0EEEvT1_,"axG",@progbits,_ZN7rocprim17ROCPRIM_400000_NS6detail17trampoline_kernelINS0_14default_configENS1_33run_length_encode_config_selectorIjjNS0_4plusIjEEEEZZNS1_33reduce_by_key_impl_wrapped_configILNS1_25lookback_scan_determinismE0ES3_S7_PKjNS0_17constant_iteratorIjlEEPjPlSF_S6_NS0_8equal_toIjEEEE10hipError_tPvRmT2_T3_mT4_T5_T6_T7_T8_P12ihipStream_tbENKUlT_T0_E_clISt17integral_constantIbLb1EESZ_EEDaSU_SV_EUlSU_E_NS1_11comp_targetILNS1_3genE5ELNS1_11target_archE942ELNS1_3gpuE9ELNS1_3repE0EEENS1_30default_config_static_selectorELNS0_4arch9wavefront6targetE0EEEvT1_,comdat
.Lfunc_end659:
	.size	_ZN7rocprim17ROCPRIM_400000_NS6detail17trampoline_kernelINS0_14default_configENS1_33run_length_encode_config_selectorIjjNS0_4plusIjEEEEZZNS1_33reduce_by_key_impl_wrapped_configILNS1_25lookback_scan_determinismE0ES3_S7_PKjNS0_17constant_iteratorIjlEEPjPlSF_S6_NS0_8equal_toIjEEEE10hipError_tPvRmT2_T3_mT4_T5_T6_T7_T8_P12ihipStream_tbENKUlT_T0_E_clISt17integral_constantIbLb1EESZ_EEDaSU_SV_EUlSU_E_NS1_11comp_targetILNS1_3genE5ELNS1_11target_archE942ELNS1_3gpuE9ELNS1_3repE0EEENS1_30default_config_static_selectorELNS0_4arch9wavefront6targetE0EEEvT1_, .Lfunc_end659-_ZN7rocprim17ROCPRIM_400000_NS6detail17trampoline_kernelINS0_14default_configENS1_33run_length_encode_config_selectorIjjNS0_4plusIjEEEEZZNS1_33reduce_by_key_impl_wrapped_configILNS1_25lookback_scan_determinismE0ES3_S7_PKjNS0_17constant_iteratorIjlEEPjPlSF_S6_NS0_8equal_toIjEEEE10hipError_tPvRmT2_T3_mT4_T5_T6_T7_T8_P12ihipStream_tbENKUlT_T0_E_clISt17integral_constantIbLb1EESZ_EEDaSU_SV_EUlSU_E_NS1_11comp_targetILNS1_3genE5ELNS1_11target_archE942ELNS1_3gpuE9ELNS1_3repE0EEENS1_30default_config_static_selectorELNS0_4arch9wavefront6targetE0EEEvT1_
                                        ; -- End function
	.set _ZN7rocprim17ROCPRIM_400000_NS6detail17trampoline_kernelINS0_14default_configENS1_33run_length_encode_config_selectorIjjNS0_4plusIjEEEEZZNS1_33reduce_by_key_impl_wrapped_configILNS1_25lookback_scan_determinismE0ES3_S7_PKjNS0_17constant_iteratorIjlEEPjPlSF_S6_NS0_8equal_toIjEEEE10hipError_tPvRmT2_T3_mT4_T5_T6_T7_T8_P12ihipStream_tbENKUlT_T0_E_clISt17integral_constantIbLb1EESZ_EEDaSU_SV_EUlSU_E_NS1_11comp_targetILNS1_3genE5ELNS1_11target_archE942ELNS1_3gpuE9ELNS1_3repE0EEENS1_30default_config_static_selectorELNS0_4arch9wavefront6targetE0EEEvT1_.num_vgpr, 0
	.set _ZN7rocprim17ROCPRIM_400000_NS6detail17trampoline_kernelINS0_14default_configENS1_33run_length_encode_config_selectorIjjNS0_4plusIjEEEEZZNS1_33reduce_by_key_impl_wrapped_configILNS1_25lookback_scan_determinismE0ES3_S7_PKjNS0_17constant_iteratorIjlEEPjPlSF_S6_NS0_8equal_toIjEEEE10hipError_tPvRmT2_T3_mT4_T5_T6_T7_T8_P12ihipStream_tbENKUlT_T0_E_clISt17integral_constantIbLb1EESZ_EEDaSU_SV_EUlSU_E_NS1_11comp_targetILNS1_3genE5ELNS1_11target_archE942ELNS1_3gpuE9ELNS1_3repE0EEENS1_30default_config_static_selectorELNS0_4arch9wavefront6targetE0EEEvT1_.num_agpr, 0
	.set _ZN7rocprim17ROCPRIM_400000_NS6detail17trampoline_kernelINS0_14default_configENS1_33run_length_encode_config_selectorIjjNS0_4plusIjEEEEZZNS1_33reduce_by_key_impl_wrapped_configILNS1_25lookback_scan_determinismE0ES3_S7_PKjNS0_17constant_iteratorIjlEEPjPlSF_S6_NS0_8equal_toIjEEEE10hipError_tPvRmT2_T3_mT4_T5_T6_T7_T8_P12ihipStream_tbENKUlT_T0_E_clISt17integral_constantIbLb1EESZ_EEDaSU_SV_EUlSU_E_NS1_11comp_targetILNS1_3genE5ELNS1_11target_archE942ELNS1_3gpuE9ELNS1_3repE0EEENS1_30default_config_static_selectorELNS0_4arch9wavefront6targetE0EEEvT1_.numbered_sgpr, 0
	.set _ZN7rocprim17ROCPRIM_400000_NS6detail17trampoline_kernelINS0_14default_configENS1_33run_length_encode_config_selectorIjjNS0_4plusIjEEEEZZNS1_33reduce_by_key_impl_wrapped_configILNS1_25lookback_scan_determinismE0ES3_S7_PKjNS0_17constant_iteratorIjlEEPjPlSF_S6_NS0_8equal_toIjEEEE10hipError_tPvRmT2_T3_mT4_T5_T6_T7_T8_P12ihipStream_tbENKUlT_T0_E_clISt17integral_constantIbLb1EESZ_EEDaSU_SV_EUlSU_E_NS1_11comp_targetILNS1_3genE5ELNS1_11target_archE942ELNS1_3gpuE9ELNS1_3repE0EEENS1_30default_config_static_selectorELNS0_4arch9wavefront6targetE0EEEvT1_.num_named_barrier, 0
	.set _ZN7rocprim17ROCPRIM_400000_NS6detail17trampoline_kernelINS0_14default_configENS1_33run_length_encode_config_selectorIjjNS0_4plusIjEEEEZZNS1_33reduce_by_key_impl_wrapped_configILNS1_25lookback_scan_determinismE0ES3_S7_PKjNS0_17constant_iteratorIjlEEPjPlSF_S6_NS0_8equal_toIjEEEE10hipError_tPvRmT2_T3_mT4_T5_T6_T7_T8_P12ihipStream_tbENKUlT_T0_E_clISt17integral_constantIbLb1EESZ_EEDaSU_SV_EUlSU_E_NS1_11comp_targetILNS1_3genE5ELNS1_11target_archE942ELNS1_3gpuE9ELNS1_3repE0EEENS1_30default_config_static_selectorELNS0_4arch9wavefront6targetE0EEEvT1_.private_seg_size, 0
	.set _ZN7rocprim17ROCPRIM_400000_NS6detail17trampoline_kernelINS0_14default_configENS1_33run_length_encode_config_selectorIjjNS0_4plusIjEEEEZZNS1_33reduce_by_key_impl_wrapped_configILNS1_25lookback_scan_determinismE0ES3_S7_PKjNS0_17constant_iteratorIjlEEPjPlSF_S6_NS0_8equal_toIjEEEE10hipError_tPvRmT2_T3_mT4_T5_T6_T7_T8_P12ihipStream_tbENKUlT_T0_E_clISt17integral_constantIbLb1EESZ_EEDaSU_SV_EUlSU_E_NS1_11comp_targetILNS1_3genE5ELNS1_11target_archE942ELNS1_3gpuE9ELNS1_3repE0EEENS1_30default_config_static_selectorELNS0_4arch9wavefront6targetE0EEEvT1_.uses_vcc, 0
	.set _ZN7rocprim17ROCPRIM_400000_NS6detail17trampoline_kernelINS0_14default_configENS1_33run_length_encode_config_selectorIjjNS0_4plusIjEEEEZZNS1_33reduce_by_key_impl_wrapped_configILNS1_25lookback_scan_determinismE0ES3_S7_PKjNS0_17constant_iteratorIjlEEPjPlSF_S6_NS0_8equal_toIjEEEE10hipError_tPvRmT2_T3_mT4_T5_T6_T7_T8_P12ihipStream_tbENKUlT_T0_E_clISt17integral_constantIbLb1EESZ_EEDaSU_SV_EUlSU_E_NS1_11comp_targetILNS1_3genE5ELNS1_11target_archE942ELNS1_3gpuE9ELNS1_3repE0EEENS1_30default_config_static_selectorELNS0_4arch9wavefront6targetE0EEEvT1_.uses_flat_scratch, 0
	.set _ZN7rocprim17ROCPRIM_400000_NS6detail17trampoline_kernelINS0_14default_configENS1_33run_length_encode_config_selectorIjjNS0_4plusIjEEEEZZNS1_33reduce_by_key_impl_wrapped_configILNS1_25lookback_scan_determinismE0ES3_S7_PKjNS0_17constant_iteratorIjlEEPjPlSF_S6_NS0_8equal_toIjEEEE10hipError_tPvRmT2_T3_mT4_T5_T6_T7_T8_P12ihipStream_tbENKUlT_T0_E_clISt17integral_constantIbLb1EESZ_EEDaSU_SV_EUlSU_E_NS1_11comp_targetILNS1_3genE5ELNS1_11target_archE942ELNS1_3gpuE9ELNS1_3repE0EEENS1_30default_config_static_selectorELNS0_4arch9wavefront6targetE0EEEvT1_.has_dyn_sized_stack, 0
	.set _ZN7rocprim17ROCPRIM_400000_NS6detail17trampoline_kernelINS0_14default_configENS1_33run_length_encode_config_selectorIjjNS0_4plusIjEEEEZZNS1_33reduce_by_key_impl_wrapped_configILNS1_25lookback_scan_determinismE0ES3_S7_PKjNS0_17constant_iteratorIjlEEPjPlSF_S6_NS0_8equal_toIjEEEE10hipError_tPvRmT2_T3_mT4_T5_T6_T7_T8_P12ihipStream_tbENKUlT_T0_E_clISt17integral_constantIbLb1EESZ_EEDaSU_SV_EUlSU_E_NS1_11comp_targetILNS1_3genE5ELNS1_11target_archE942ELNS1_3gpuE9ELNS1_3repE0EEENS1_30default_config_static_selectorELNS0_4arch9wavefront6targetE0EEEvT1_.has_recursion, 0
	.set _ZN7rocprim17ROCPRIM_400000_NS6detail17trampoline_kernelINS0_14default_configENS1_33run_length_encode_config_selectorIjjNS0_4plusIjEEEEZZNS1_33reduce_by_key_impl_wrapped_configILNS1_25lookback_scan_determinismE0ES3_S7_PKjNS0_17constant_iteratorIjlEEPjPlSF_S6_NS0_8equal_toIjEEEE10hipError_tPvRmT2_T3_mT4_T5_T6_T7_T8_P12ihipStream_tbENKUlT_T0_E_clISt17integral_constantIbLb1EESZ_EEDaSU_SV_EUlSU_E_NS1_11comp_targetILNS1_3genE5ELNS1_11target_archE942ELNS1_3gpuE9ELNS1_3repE0EEENS1_30default_config_static_selectorELNS0_4arch9wavefront6targetE0EEEvT1_.has_indirect_call, 0
	.section	.AMDGPU.csdata,"",@progbits
; Kernel info:
; codeLenInByte = 0
; TotalNumSgprs: 0
; NumVgprs: 0
; ScratchSize: 0
; MemoryBound: 0
; FloatMode: 240
; IeeeMode: 1
; LDSByteSize: 0 bytes/workgroup (compile time only)
; SGPRBlocks: 0
; VGPRBlocks: 0
; NumSGPRsForWavesPerEU: 1
; NumVGPRsForWavesPerEU: 1
; NamedBarCnt: 0
; Occupancy: 16
; WaveLimiterHint : 0
; COMPUTE_PGM_RSRC2:SCRATCH_EN: 0
; COMPUTE_PGM_RSRC2:USER_SGPR: 2
; COMPUTE_PGM_RSRC2:TRAP_HANDLER: 0
; COMPUTE_PGM_RSRC2:TGID_X_EN: 1
; COMPUTE_PGM_RSRC2:TGID_Y_EN: 0
; COMPUTE_PGM_RSRC2:TGID_Z_EN: 0
; COMPUTE_PGM_RSRC2:TIDIG_COMP_CNT: 0
	.section	.text._ZN7rocprim17ROCPRIM_400000_NS6detail17trampoline_kernelINS0_14default_configENS1_33run_length_encode_config_selectorIjjNS0_4plusIjEEEEZZNS1_33reduce_by_key_impl_wrapped_configILNS1_25lookback_scan_determinismE0ES3_S7_PKjNS0_17constant_iteratorIjlEEPjPlSF_S6_NS0_8equal_toIjEEEE10hipError_tPvRmT2_T3_mT4_T5_T6_T7_T8_P12ihipStream_tbENKUlT_T0_E_clISt17integral_constantIbLb1EESZ_EEDaSU_SV_EUlSU_E_NS1_11comp_targetILNS1_3genE4ELNS1_11target_archE910ELNS1_3gpuE8ELNS1_3repE0EEENS1_30default_config_static_selectorELNS0_4arch9wavefront6targetE0EEEvT1_,"axG",@progbits,_ZN7rocprim17ROCPRIM_400000_NS6detail17trampoline_kernelINS0_14default_configENS1_33run_length_encode_config_selectorIjjNS0_4plusIjEEEEZZNS1_33reduce_by_key_impl_wrapped_configILNS1_25lookback_scan_determinismE0ES3_S7_PKjNS0_17constant_iteratorIjlEEPjPlSF_S6_NS0_8equal_toIjEEEE10hipError_tPvRmT2_T3_mT4_T5_T6_T7_T8_P12ihipStream_tbENKUlT_T0_E_clISt17integral_constantIbLb1EESZ_EEDaSU_SV_EUlSU_E_NS1_11comp_targetILNS1_3genE4ELNS1_11target_archE910ELNS1_3gpuE8ELNS1_3repE0EEENS1_30default_config_static_selectorELNS0_4arch9wavefront6targetE0EEEvT1_,comdat
	.protected	_ZN7rocprim17ROCPRIM_400000_NS6detail17trampoline_kernelINS0_14default_configENS1_33run_length_encode_config_selectorIjjNS0_4plusIjEEEEZZNS1_33reduce_by_key_impl_wrapped_configILNS1_25lookback_scan_determinismE0ES3_S7_PKjNS0_17constant_iteratorIjlEEPjPlSF_S6_NS0_8equal_toIjEEEE10hipError_tPvRmT2_T3_mT4_T5_T6_T7_T8_P12ihipStream_tbENKUlT_T0_E_clISt17integral_constantIbLb1EESZ_EEDaSU_SV_EUlSU_E_NS1_11comp_targetILNS1_3genE4ELNS1_11target_archE910ELNS1_3gpuE8ELNS1_3repE0EEENS1_30default_config_static_selectorELNS0_4arch9wavefront6targetE0EEEvT1_ ; -- Begin function _ZN7rocprim17ROCPRIM_400000_NS6detail17trampoline_kernelINS0_14default_configENS1_33run_length_encode_config_selectorIjjNS0_4plusIjEEEEZZNS1_33reduce_by_key_impl_wrapped_configILNS1_25lookback_scan_determinismE0ES3_S7_PKjNS0_17constant_iteratorIjlEEPjPlSF_S6_NS0_8equal_toIjEEEE10hipError_tPvRmT2_T3_mT4_T5_T6_T7_T8_P12ihipStream_tbENKUlT_T0_E_clISt17integral_constantIbLb1EESZ_EEDaSU_SV_EUlSU_E_NS1_11comp_targetILNS1_3genE4ELNS1_11target_archE910ELNS1_3gpuE8ELNS1_3repE0EEENS1_30default_config_static_selectorELNS0_4arch9wavefront6targetE0EEEvT1_
	.globl	_ZN7rocprim17ROCPRIM_400000_NS6detail17trampoline_kernelINS0_14default_configENS1_33run_length_encode_config_selectorIjjNS0_4plusIjEEEEZZNS1_33reduce_by_key_impl_wrapped_configILNS1_25lookback_scan_determinismE0ES3_S7_PKjNS0_17constant_iteratorIjlEEPjPlSF_S6_NS0_8equal_toIjEEEE10hipError_tPvRmT2_T3_mT4_T5_T6_T7_T8_P12ihipStream_tbENKUlT_T0_E_clISt17integral_constantIbLb1EESZ_EEDaSU_SV_EUlSU_E_NS1_11comp_targetILNS1_3genE4ELNS1_11target_archE910ELNS1_3gpuE8ELNS1_3repE0EEENS1_30default_config_static_selectorELNS0_4arch9wavefront6targetE0EEEvT1_
	.p2align	8
	.type	_ZN7rocprim17ROCPRIM_400000_NS6detail17trampoline_kernelINS0_14default_configENS1_33run_length_encode_config_selectorIjjNS0_4plusIjEEEEZZNS1_33reduce_by_key_impl_wrapped_configILNS1_25lookback_scan_determinismE0ES3_S7_PKjNS0_17constant_iteratorIjlEEPjPlSF_S6_NS0_8equal_toIjEEEE10hipError_tPvRmT2_T3_mT4_T5_T6_T7_T8_P12ihipStream_tbENKUlT_T0_E_clISt17integral_constantIbLb1EESZ_EEDaSU_SV_EUlSU_E_NS1_11comp_targetILNS1_3genE4ELNS1_11target_archE910ELNS1_3gpuE8ELNS1_3repE0EEENS1_30default_config_static_selectorELNS0_4arch9wavefront6targetE0EEEvT1_,@function
_ZN7rocprim17ROCPRIM_400000_NS6detail17trampoline_kernelINS0_14default_configENS1_33run_length_encode_config_selectorIjjNS0_4plusIjEEEEZZNS1_33reduce_by_key_impl_wrapped_configILNS1_25lookback_scan_determinismE0ES3_S7_PKjNS0_17constant_iteratorIjlEEPjPlSF_S6_NS0_8equal_toIjEEEE10hipError_tPvRmT2_T3_mT4_T5_T6_T7_T8_P12ihipStream_tbENKUlT_T0_E_clISt17integral_constantIbLb1EESZ_EEDaSU_SV_EUlSU_E_NS1_11comp_targetILNS1_3genE4ELNS1_11target_archE910ELNS1_3gpuE8ELNS1_3repE0EEENS1_30default_config_static_selectorELNS0_4arch9wavefront6targetE0EEEvT1_: ; @_ZN7rocprim17ROCPRIM_400000_NS6detail17trampoline_kernelINS0_14default_configENS1_33run_length_encode_config_selectorIjjNS0_4plusIjEEEEZZNS1_33reduce_by_key_impl_wrapped_configILNS1_25lookback_scan_determinismE0ES3_S7_PKjNS0_17constant_iteratorIjlEEPjPlSF_S6_NS0_8equal_toIjEEEE10hipError_tPvRmT2_T3_mT4_T5_T6_T7_T8_P12ihipStream_tbENKUlT_T0_E_clISt17integral_constantIbLb1EESZ_EEDaSU_SV_EUlSU_E_NS1_11comp_targetILNS1_3genE4ELNS1_11target_archE910ELNS1_3gpuE8ELNS1_3repE0EEENS1_30default_config_static_selectorELNS0_4arch9wavefront6targetE0EEEvT1_
; %bb.0:
	.section	.rodata,"a",@progbits
	.p2align	6, 0x0
	.amdhsa_kernel _ZN7rocprim17ROCPRIM_400000_NS6detail17trampoline_kernelINS0_14default_configENS1_33run_length_encode_config_selectorIjjNS0_4plusIjEEEEZZNS1_33reduce_by_key_impl_wrapped_configILNS1_25lookback_scan_determinismE0ES3_S7_PKjNS0_17constant_iteratorIjlEEPjPlSF_S6_NS0_8equal_toIjEEEE10hipError_tPvRmT2_T3_mT4_T5_T6_T7_T8_P12ihipStream_tbENKUlT_T0_E_clISt17integral_constantIbLb1EESZ_EEDaSU_SV_EUlSU_E_NS1_11comp_targetILNS1_3genE4ELNS1_11target_archE910ELNS1_3gpuE8ELNS1_3repE0EEENS1_30default_config_static_selectorELNS0_4arch9wavefront6targetE0EEEvT1_
		.amdhsa_group_segment_fixed_size 0
		.amdhsa_private_segment_fixed_size 0
		.amdhsa_kernarg_size 128
		.amdhsa_user_sgpr_count 2
		.amdhsa_user_sgpr_dispatch_ptr 0
		.amdhsa_user_sgpr_queue_ptr 0
		.amdhsa_user_sgpr_kernarg_segment_ptr 1
		.amdhsa_user_sgpr_dispatch_id 0
		.amdhsa_user_sgpr_kernarg_preload_length 0
		.amdhsa_user_sgpr_kernarg_preload_offset 0
		.amdhsa_user_sgpr_private_segment_size 0
		.amdhsa_wavefront_size32 1
		.amdhsa_uses_dynamic_stack 0
		.amdhsa_enable_private_segment 0
		.amdhsa_system_sgpr_workgroup_id_x 1
		.amdhsa_system_sgpr_workgroup_id_y 0
		.amdhsa_system_sgpr_workgroup_id_z 0
		.amdhsa_system_sgpr_workgroup_info 0
		.amdhsa_system_vgpr_workitem_id 0
		.amdhsa_next_free_vgpr 1
		.amdhsa_next_free_sgpr 1
		.amdhsa_named_barrier_count 0
		.amdhsa_reserve_vcc 0
		.amdhsa_float_round_mode_32 0
		.amdhsa_float_round_mode_16_64 0
		.amdhsa_float_denorm_mode_32 3
		.amdhsa_float_denorm_mode_16_64 3
		.amdhsa_fp16_overflow 0
		.amdhsa_memory_ordered 1
		.amdhsa_forward_progress 1
		.amdhsa_inst_pref_size 0
		.amdhsa_round_robin_scheduling 0
		.amdhsa_exception_fp_ieee_invalid_op 0
		.amdhsa_exception_fp_denorm_src 0
		.amdhsa_exception_fp_ieee_div_zero 0
		.amdhsa_exception_fp_ieee_overflow 0
		.amdhsa_exception_fp_ieee_underflow 0
		.amdhsa_exception_fp_ieee_inexact 0
		.amdhsa_exception_int_div_zero 0
	.end_amdhsa_kernel
	.section	.text._ZN7rocprim17ROCPRIM_400000_NS6detail17trampoline_kernelINS0_14default_configENS1_33run_length_encode_config_selectorIjjNS0_4plusIjEEEEZZNS1_33reduce_by_key_impl_wrapped_configILNS1_25lookback_scan_determinismE0ES3_S7_PKjNS0_17constant_iteratorIjlEEPjPlSF_S6_NS0_8equal_toIjEEEE10hipError_tPvRmT2_T3_mT4_T5_T6_T7_T8_P12ihipStream_tbENKUlT_T0_E_clISt17integral_constantIbLb1EESZ_EEDaSU_SV_EUlSU_E_NS1_11comp_targetILNS1_3genE4ELNS1_11target_archE910ELNS1_3gpuE8ELNS1_3repE0EEENS1_30default_config_static_selectorELNS0_4arch9wavefront6targetE0EEEvT1_,"axG",@progbits,_ZN7rocprim17ROCPRIM_400000_NS6detail17trampoline_kernelINS0_14default_configENS1_33run_length_encode_config_selectorIjjNS0_4plusIjEEEEZZNS1_33reduce_by_key_impl_wrapped_configILNS1_25lookback_scan_determinismE0ES3_S7_PKjNS0_17constant_iteratorIjlEEPjPlSF_S6_NS0_8equal_toIjEEEE10hipError_tPvRmT2_T3_mT4_T5_T6_T7_T8_P12ihipStream_tbENKUlT_T0_E_clISt17integral_constantIbLb1EESZ_EEDaSU_SV_EUlSU_E_NS1_11comp_targetILNS1_3genE4ELNS1_11target_archE910ELNS1_3gpuE8ELNS1_3repE0EEENS1_30default_config_static_selectorELNS0_4arch9wavefront6targetE0EEEvT1_,comdat
.Lfunc_end660:
	.size	_ZN7rocprim17ROCPRIM_400000_NS6detail17trampoline_kernelINS0_14default_configENS1_33run_length_encode_config_selectorIjjNS0_4plusIjEEEEZZNS1_33reduce_by_key_impl_wrapped_configILNS1_25lookback_scan_determinismE0ES3_S7_PKjNS0_17constant_iteratorIjlEEPjPlSF_S6_NS0_8equal_toIjEEEE10hipError_tPvRmT2_T3_mT4_T5_T6_T7_T8_P12ihipStream_tbENKUlT_T0_E_clISt17integral_constantIbLb1EESZ_EEDaSU_SV_EUlSU_E_NS1_11comp_targetILNS1_3genE4ELNS1_11target_archE910ELNS1_3gpuE8ELNS1_3repE0EEENS1_30default_config_static_selectorELNS0_4arch9wavefront6targetE0EEEvT1_, .Lfunc_end660-_ZN7rocprim17ROCPRIM_400000_NS6detail17trampoline_kernelINS0_14default_configENS1_33run_length_encode_config_selectorIjjNS0_4plusIjEEEEZZNS1_33reduce_by_key_impl_wrapped_configILNS1_25lookback_scan_determinismE0ES3_S7_PKjNS0_17constant_iteratorIjlEEPjPlSF_S6_NS0_8equal_toIjEEEE10hipError_tPvRmT2_T3_mT4_T5_T6_T7_T8_P12ihipStream_tbENKUlT_T0_E_clISt17integral_constantIbLb1EESZ_EEDaSU_SV_EUlSU_E_NS1_11comp_targetILNS1_3genE4ELNS1_11target_archE910ELNS1_3gpuE8ELNS1_3repE0EEENS1_30default_config_static_selectorELNS0_4arch9wavefront6targetE0EEEvT1_
                                        ; -- End function
	.set _ZN7rocprim17ROCPRIM_400000_NS6detail17trampoline_kernelINS0_14default_configENS1_33run_length_encode_config_selectorIjjNS0_4plusIjEEEEZZNS1_33reduce_by_key_impl_wrapped_configILNS1_25lookback_scan_determinismE0ES3_S7_PKjNS0_17constant_iteratorIjlEEPjPlSF_S6_NS0_8equal_toIjEEEE10hipError_tPvRmT2_T3_mT4_T5_T6_T7_T8_P12ihipStream_tbENKUlT_T0_E_clISt17integral_constantIbLb1EESZ_EEDaSU_SV_EUlSU_E_NS1_11comp_targetILNS1_3genE4ELNS1_11target_archE910ELNS1_3gpuE8ELNS1_3repE0EEENS1_30default_config_static_selectorELNS0_4arch9wavefront6targetE0EEEvT1_.num_vgpr, 0
	.set _ZN7rocprim17ROCPRIM_400000_NS6detail17trampoline_kernelINS0_14default_configENS1_33run_length_encode_config_selectorIjjNS0_4plusIjEEEEZZNS1_33reduce_by_key_impl_wrapped_configILNS1_25lookback_scan_determinismE0ES3_S7_PKjNS0_17constant_iteratorIjlEEPjPlSF_S6_NS0_8equal_toIjEEEE10hipError_tPvRmT2_T3_mT4_T5_T6_T7_T8_P12ihipStream_tbENKUlT_T0_E_clISt17integral_constantIbLb1EESZ_EEDaSU_SV_EUlSU_E_NS1_11comp_targetILNS1_3genE4ELNS1_11target_archE910ELNS1_3gpuE8ELNS1_3repE0EEENS1_30default_config_static_selectorELNS0_4arch9wavefront6targetE0EEEvT1_.num_agpr, 0
	.set _ZN7rocprim17ROCPRIM_400000_NS6detail17trampoline_kernelINS0_14default_configENS1_33run_length_encode_config_selectorIjjNS0_4plusIjEEEEZZNS1_33reduce_by_key_impl_wrapped_configILNS1_25lookback_scan_determinismE0ES3_S7_PKjNS0_17constant_iteratorIjlEEPjPlSF_S6_NS0_8equal_toIjEEEE10hipError_tPvRmT2_T3_mT4_T5_T6_T7_T8_P12ihipStream_tbENKUlT_T0_E_clISt17integral_constantIbLb1EESZ_EEDaSU_SV_EUlSU_E_NS1_11comp_targetILNS1_3genE4ELNS1_11target_archE910ELNS1_3gpuE8ELNS1_3repE0EEENS1_30default_config_static_selectorELNS0_4arch9wavefront6targetE0EEEvT1_.numbered_sgpr, 0
	.set _ZN7rocprim17ROCPRIM_400000_NS6detail17trampoline_kernelINS0_14default_configENS1_33run_length_encode_config_selectorIjjNS0_4plusIjEEEEZZNS1_33reduce_by_key_impl_wrapped_configILNS1_25lookback_scan_determinismE0ES3_S7_PKjNS0_17constant_iteratorIjlEEPjPlSF_S6_NS0_8equal_toIjEEEE10hipError_tPvRmT2_T3_mT4_T5_T6_T7_T8_P12ihipStream_tbENKUlT_T0_E_clISt17integral_constantIbLb1EESZ_EEDaSU_SV_EUlSU_E_NS1_11comp_targetILNS1_3genE4ELNS1_11target_archE910ELNS1_3gpuE8ELNS1_3repE0EEENS1_30default_config_static_selectorELNS0_4arch9wavefront6targetE0EEEvT1_.num_named_barrier, 0
	.set _ZN7rocprim17ROCPRIM_400000_NS6detail17trampoline_kernelINS0_14default_configENS1_33run_length_encode_config_selectorIjjNS0_4plusIjEEEEZZNS1_33reduce_by_key_impl_wrapped_configILNS1_25lookback_scan_determinismE0ES3_S7_PKjNS0_17constant_iteratorIjlEEPjPlSF_S6_NS0_8equal_toIjEEEE10hipError_tPvRmT2_T3_mT4_T5_T6_T7_T8_P12ihipStream_tbENKUlT_T0_E_clISt17integral_constantIbLb1EESZ_EEDaSU_SV_EUlSU_E_NS1_11comp_targetILNS1_3genE4ELNS1_11target_archE910ELNS1_3gpuE8ELNS1_3repE0EEENS1_30default_config_static_selectorELNS0_4arch9wavefront6targetE0EEEvT1_.private_seg_size, 0
	.set _ZN7rocprim17ROCPRIM_400000_NS6detail17trampoline_kernelINS0_14default_configENS1_33run_length_encode_config_selectorIjjNS0_4plusIjEEEEZZNS1_33reduce_by_key_impl_wrapped_configILNS1_25lookback_scan_determinismE0ES3_S7_PKjNS0_17constant_iteratorIjlEEPjPlSF_S6_NS0_8equal_toIjEEEE10hipError_tPvRmT2_T3_mT4_T5_T6_T7_T8_P12ihipStream_tbENKUlT_T0_E_clISt17integral_constantIbLb1EESZ_EEDaSU_SV_EUlSU_E_NS1_11comp_targetILNS1_3genE4ELNS1_11target_archE910ELNS1_3gpuE8ELNS1_3repE0EEENS1_30default_config_static_selectorELNS0_4arch9wavefront6targetE0EEEvT1_.uses_vcc, 0
	.set _ZN7rocprim17ROCPRIM_400000_NS6detail17trampoline_kernelINS0_14default_configENS1_33run_length_encode_config_selectorIjjNS0_4plusIjEEEEZZNS1_33reduce_by_key_impl_wrapped_configILNS1_25lookback_scan_determinismE0ES3_S7_PKjNS0_17constant_iteratorIjlEEPjPlSF_S6_NS0_8equal_toIjEEEE10hipError_tPvRmT2_T3_mT4_T5_T6_T7_T8_P12ihipStream_tbENKUlT_T0_E_clISt17integral_constantIbLb1EESZ_EEDaSU_SV_EUlSU_E_NS1_11comp_targetILNS1_3genE4ELNS1_11target_archE910ELNS1_3gpuE8ELNS1_3repE0EEENS1_30default_config_static_selectorELNS0_4arch9wavefront6targetE0EEEvT1_.uses_flat_scratch, 0
	.set _ZN7rocprim17ROCPRIM_400000_NS6detail17trampoline_kernelINS0_14default_configENS1_33run_length_encode_config_selectorIjjNS0_4plusIjEEEEZZNS1_33reduce_by_key_impl_wrapped_configILNS1_25lookback_scan_determinismE0ES3_S7_PKjNS0_17constant_iteratorIjlEEPjPlSF_S6_NS0_8equal_toIjEEEE10hipError_tPvRmT2_T3_mT4_T5_T6_T7_T8_P12ihipStream_tbENKUlT_T0_E_clISt17integral_constantIbLb1EESZ_EEDaSU_SV_EUlSU_E_NS1_11comp_targetILNS1_3genE4ELNS1_11target_archE910ELNS1_3gpuE8ELNS1_3repE0EEENS1_30default_config_static_selectorELNS0_4arch9wavefront6targetE0EEEvT1_.has_dyn_sized_stack, 0
	.set _ZN7rocprim17ROCPRIM_400000_NS6detail17trampoline_kernelINS0_14default_configENS1_33run_length_encode_config_selectorIjjNS0_4plusIjEEEEZZNS1_33reduce_by_key_impl_wrapped_configILNS1_25lookback_scan_determinismE0ES3_S7_PKjNS0_17constant_iteratorIjlEEPjPlSF_S6_NS0_8equal_toIjEEEE10hipError_tPvRmT2_T3_mT4_T5_T6_T7_T8_P12ihipStream_tbENKUlT_T0_E_clISt17integral_constantIbLb1EESZ_EEDaSU_SV_EUlSU_E_NS1_11comp_targetILNS1_3genE4ELNS1_11target_archE910ELNS1_3gpuE8ELNS1_3repE0EEENS1_30default_config_static_selectorELNS0_4arch9wavefront6targetE0EEEvT1_.has_recursion, 0
	.set _ZN7rocprim17ROCPRIM_400000_NS6detail17trampoline_kernelINS0_14default_configENS1_33run_length_encode_config_selectorIjjNS0_4plusIjEEEEZZNS1_33reduce_by_key_impl_wrapped_configILNS1_25lookback_scan_determinismE0ES3_S7_PKjNS0_17constant_iteratorIjlEEPjPlSF_S6_NS0_8equal_toIjEEEE10hipError_tPvRmT2_T3_mT4_T5_T6_T7_T8_P12ihipStream_tbENKUlT_T0_E_clISt17integral_constantIbLb1EESZ_EEDaSU_SV_EUlSU_E_NS1_11comp_targetILNS1_3genE4ELNS1_11target_archE910ELNS1_3gpuE8ELNS1_3repE0EEENS1_30default_config_static_selectorELNS0_4arch9wavefront6targetE0EEEvT1_.has_indirect_call, 0
	.section	.AMDGPU.csdata,"",@progbits
; Kernel info:
; codeLenInByte = 0
; TotalNumSgprs: 0
; NumVgprs: 0
; ScratchSize: 0
; MemoryBound: 0
; FloatMode: 240
; IeeeMode: 1
; LDSByteSize: 0 bytes/workgroup (compile time only)
; SGPRBlocks: 0
; VGPRBlocks: 0
; NumSGPRsForWavesPerEU: 1
; NumVGPRsForWavesPerEU: 1
; NamedBarCnt: 0
; Occupancy: 16
; WaveLimiterHint : 0
; COMPUTE_PGM_RSRC2:SCRATCH_EN: 0
; COMPUTE_PGM_RSRC2:USER_SGPR: 2
; COMPUTE_PGM_RSRC2:TRAP_HANDLER: 0
; COMPUTE_PGM_RSRC2:TGID_X_EN: 1
; COMPUTE_PGM_RSRC2:TGID_Y_EN: 0
; COMPUTE_PGM_RSRC2:TGID_Z_EN: 0
; COMPUTE_PGM_RSRC2:TIDIG_COMP_CNT: 0
	.section	.text._ZN7rocprim17ROCPRIM_400000_NS6detail17trampoline_kernelINS0_14default_configENS1_33run_length_encode_config_selectorIjjNS0_4plusIjEEEEZZNS1_33reduce_by_key_impl_wrapped_configILNS1_25lookback_scan_determinismE0ES3_S7_PKjNS0_17constant_iteratorIjlEEPjPlSF_S6_NS0_8equal_toIjEEEE10hipError_tPvRmT2_T3_mT4_T5_T6_T7_T8_P12ihipStream_tbENKUlT_T0_E_clISt17integral_constantIbLb1EESZ_EEDaSU_SV_EUlSU_E_NS1_11comp_targetILNS1_3genE3ELNS1_11target_archE908ELNS1_3gpuE7ELNS1_3repE0EEENS1_30default_config_static_selectorELNS0_4arch9wavefront6targetE0EEEvT1_,"axG",@progbits,_ZN7rocprim17ROCPRIM_400000_NS6detail17trampoline_kernelINS0_14default_configENS1_33run_length_encode_config_selectorIjjNS0_4plusIjEEEEZZNS1_33reduce_by_key_impl_wrapped_configILNS1_25lookback_scan_determinismE0ES3_S7_PKjNS0_17constant_iteratorIjlEEPjPlSF_S6_NS0_8equal_toIjEEEE10hipError_tPvRmT2_T3_mT4_T5_T6_T7_T8_P12ihipStream_tbENKUlT_T0_E_clISt17integral_constantIbLb1EESZ_EEDaSU_SV_EUlSU_E_NS1_11comp_targetILNS1_3genE3ELNS1_11target_archE908ELNS1_3gpuE7ELNS1_3repE0EEENS1_30default_config_static_selectorELNS0_4arch9wavefront6targetE0EEEvT1_,comdat
	.protected	_ZN7rocprim17ROCPRIM_400000_NS6detail17trampoline_kernelINS0_14default_configENS1_33run_length_encode_config_selectorIjjNS0_4plusIjEEEEZZNS1_33reduce_by_key_impl_wrapped_configILNS1_25lookback_scan_determinismE0ES3_S7_PKjNS0_17constant_iteratorIjlEEPjPlSF_S6_NS0_8equal_toIjEEEE10hipError_tPvRmT2_T3_mT4_T5_T6_T7_T8_P12ihipStream_tbENKUlT_T0_E_clISt17integral_constantIbLb1EESZ_EEDaSU_SV_EUlSU_E_NS1_11comp_targetILNS1_3genE3ELNS1_11target_archE908ELNS1_3gpuE7ELNS1_3repE0EEENS1_30default_config_static_selectorELNS0_4arch9wavefront6targetE0EEEvT1_ ; -- Begin function _ZN7rocprim17ROCPRIM_400000_NS6detail17trampoline_kernelINS0_14default_configENS1_33run_length_encode_config_selectorIjjNS0_4plusIjEEEEZZNS1_33reduce_by_key_impl_wrapped_configILNS1_25lookback_scan_determinismE0ES3_S7_PKjNS0_17constant_iteratorIjlEEPjPlSF_S6_NS0_8equal_toIjEEEE10hipError_tPvRmT2_T3_mT4_T5_T6_T7_T8_P12ihipStream_tbENKUlT_T0_E_clISt17integral_constantIbLb1EESZ_EEDaSU_SV_EUlSU_E_NS1_11comp_targetILNS1_3genE3ELNS1_11target_archE908ELNS1_3gpuE7ELNS1_3repE0EEENS1_30default_config_static_selectorELNS0_4arch9wavefront6targetE0EEEvT1_
	.globl	_ZN7rocprim17ROCPRIM_400000_NS6detail17trampoline_kernelINS0_14default_configENS1_33run_length_encode_config_selectorIjjNS0_4plusIjEEEEZZNS1_33reduce_by_key_impl_wrapped_configILNS1_25lookback_scan_determinismE0ES3_S7_PKjNS0_17constant_iteratorIjlEEPjPlSF_S6_NS0_8equal_toIjEEEE10hipError_tPvRmT2_T3_mT4_T5_T6_T7_T8_P12ihipStream_tbENKUlT_T0_E_clISt17integral_constantIbLb1EESZ_EEDaSU_SV_EUlSU_E_NS1_11comp_targetILNS1_3genE3ELNS1_11target_archE908ELNS1_3gpuE7ELNS1_3repE0EEENS1_30default_config_static_selectorELNS0_4arch9wavefront6targetE0EEEvT1_
	.p2align	8
	.type	_ZN7rocprim17ROCPRIM_400000_NS6detail17trampoline_kernelINS0_14default_configENS1_33run_length_encode_config_selectorIjjNS0_4plusIjEEEEZZNS1_33reduce_by_key_impl_wrapped_configILNS1_25lookback_scan_determinismE0ES3_S7_PKjNS0_17constant_iteratorIjlEEPjPlSF_S6_NS0_8equal_toIjEEEE10hipError_tPvRmT2_T3_mT4_T5_T6_T7_T8_P12ihipStream_tbENKUlT_T0_E_clISt17integral_constantIbLb1EESZ_EEDaSU_SV_EUlSU_E_NS1_11comp_targetILNS1_3genE3ELNS1_11target_archE908ELNS1_3gpuE7ELNS1_3repE0EEENS1_30default_config_static_selectorELNS0_4arch9wavefront6targetE0EEEvT1_,@function
_ZN7rocprim17ROCPRIM_400000_NS6detail17trampoline_kernelINS0_14default_configENS1_33run_length_encode_config_selectorIjjNS0_4plusIjEEEEZZNS1_33reduce_by_key_impl_wrapped_configILNS1_25lookback_scan_determinismE0ES3_S7_PKjNS0_17constant_iteratorIjlEEPjPlSF_S6_NS0_8equal_toIjEEEE10hipError_tPvRmT2_T3_mT4_T5_T6_T7_T8_P12ihipStream_tbENKUlT_T0_E_clISt17integral_constantIbLb1EESZ_EEDaSU_SV_EUlSU_E_NS1_11comp_targetILNS1_3genE3ELNS1_11target_archE908ELNS1_3gpuE7ELNS1_3repE0EEENS1_30default_config_static_selectorELNS0_4arch9wavefront6targetE0EEEvT1_: ; @_ZN7rocprim17ROCPRIM_400000_NS6detail17trampoline_kernelINS0_14default_configENS1_33run_length_encode_config_selectorIjjNS0_4plusIjEEEEZZNS1_33reduce_by_key_impl_wrapped_configILNS1_25lookback_scan_determinismE0ES3_S7_PKjNS0_17constant_iteratorIjlEEPjPlSF_S6_NS0_8equal_toIjEEEE10hipError_tPvRmT2_T3_mT4_T5_T6_T7_T8_P12ihipStream_tbENKUlT_T0_E_clISt17integral_constantIbLb1EESZ_EEDaSU_SV_EUlSU_E_NS1_11comp_targetILNS1_3genE3ELNS1_11target_archE908ELNS1_3gpuE7ELNS1_3repE0EEENS1_30default_config_static_selectorELNS0_4arch9wavefront6targetE0EEEvT1_
; %bb.0:
	.section	.rodata,"a",@progbits
	.p2align	6, 0x0
	.amdhsa_kernel _ZN7rocprim17ROCPRIM_400000_NS6detail17trampoline_kernelINS0_14default_configENS1_33run_length_encode_config_selectorIjjNS0_4plusIjEEEEZZNS1_33reduce_by_key_impl_wrapped_configILNS1_25lookback_scan_determinismE0ES3_S7_PKjNS0_17constant_iteratorIjlEEPjPlSF_S6_NS0_8equal_toIjEEEE10hipError_tPvRmT2_T3_mT4_T5_T6_T7_T8_P12ihipStream_tbENKUlT_T0_E_clISt17integral_constantIbLb1EESZ_EEDaSU_SV_EUlSU_E_NS1_11comp_targetILNS1_3genE3ELNS1_11target_archE908ELNS1_3gpuE7ELNS1_3repE0EEENS1_30default_config_static_selectorELNS0_4arch9wavefront6targetE0EEEvT1_
		.amdhsa_group_segment_fixed_size 0
		.amdhsa_private_segment_fixed_size 0
		.amdhsa_kernarg_size 128
		.amdhsa_user_sgpr_count 2
		.amdhsa_user_sgpr_dispatch_ptr 0
		.amdhsa_user_sgpr_queue_ptr 0
		.amdhsa_user_sgpr_kernarg_segment_ptr 1
		.amdhsa_user_sgpr_dispatch_id 0
		.amdhsa_user_sgpr_kernarg_preload_length 0
		.amdhsa_user_sgpr_kernarg_preload_offset 0
		.amdhsa_user_sgpr_private_segment_size 0
		.amdhsa_wavefront_size32 1
		.amdhsa_uses_dynamic_stack 0
		.amdhsa_enable_private_segment 0
		.amdhsa_system_sgpr_workgroup_id_x 1
		.amdhsa_system_sgpr_workgroup_id_y 0
		.amdhsa_system_sgpr_workgroup_id_z 0
		.amdhsa_system_sgpr_workgroup_info 0
		.amdhsa_system_vgpr_workitem_id 0
		.amdhsa_next_free_vgpr 1
		.amdhsa_next_free_sgpr 1
		.amdhsa_named_barrier_count 0
		.amdhsa_reserve_vcc 0
		.amdhsa_float_round_mode_32 0
		.amdhsa_float_round_mode_16_64 0
		.amdhsa_float_denorm_mode_32 3
		.amdhsa_float_denorm_mode_16_64 3
		.amdhsa_fp16_overflow 0
		.amdhsa_memory_ordered 1
		.amdhsa_forward_progress 1
		.amdhsa_inst_pref_size 0
		.amdhsa_round_robin_scheduling 0
		.amdhsa_exception_fp_ieee_invalid_op 0
		.amdhsa_exception_fp_denorm_src 0
		.amdhsa_exception_fp_ieee_div_zero 0
		.amdhsa_exception_fp_ieee_overflow 0
		.amdhsa_exception_fp_ieee_underflow 0
		.amdhsa_exception_fp_ieee_inexact 0
		.amdhsa_exception_int_div_zero 0
	.end_amdhsa_kernel
	.section	.text._ZN7rocprim17ROCPRIM_400000_NS6detail17trampoline_kernelINS0_14default_configENS1_33run_length_encode_config_selectorIjjNS0_4plusIjEEEEZZNS1_33reduce_by_key_impl_wrapped_configILNS1_25lookback_scan_determinismE0ES3_S7_PKjNS0_17constant_iteratorIjlEEPjPlSF_S6_NS0_8equal_toIjEEEE10hipError_tPvRmT2_T3_mT4_T5_T6_T7_T8_P12ihipStream_tbENKUlT_T0_E_clISt17integral_constantIbLb1EESZ_EEDaSU_SV_EUlSU_E_NS1_11comp_targetILNS1_3genE3ELNS1_11target_archE908ELNS1_3gpuE7ELNS1_3repE0EEENS1_30default_config_static_selectorELNS0_4arch9wavefront6targetE0EEEvT1_,"axG",@progbits,_ZN7rocprim17ROCPRIM_400000_NS6detail17trampoline_kernelINS0_14default_configENS1_33run_length_encode_config_selectorIjjNS0_4plusIjEEEEZZNS1_33reduce_by_key_impl_wrapped_configILNS1_25lookback_scan_determinismE0ES3_S7_PKjNS0_17constant_iteratorIjlEEPjPlSF_S6_NS0_8equal_toIjEEEE10hipError_tPvRmT2_T3_mT4_T5_T6_T7_T8_P12ihipStream_tbENKUlT_T0_E_clISt17integral_constantIbLb1EESZ_EEDaSU_SV_EUlSU_E_NS1_11comp_targetILNS1_3genE3ELNS1_11target_archE908ELNS1_3gpuE7ELNS1_3repE0EEENS1_30default_config_static_selectorELNS0_4arch9wavefront6targetE0EEEvT1_,comdat
.Lfunc_end661:
	.size	_ZN7rocprim17ROCPRIM_400000_NS6detail17trampoline_kernelINS0_14default_configENS1_33run_length_encode_config_selectorIjjNS0_4plusIjEEEEZZNS1_33reduce_by_key_impl_wrapped_configILNS1_25lookback_scan_determinismE0ES3_S7_PKjNS0_17constant_iteratorIjlEEPjPlSF_S6_NS0_8equal_toIjEEEE10hipError_tPvRmT2_T3_mT4_T5_T6_T7_T8_P12ihipStream_tbENKUlT_T0_E_clISt17integral_constantIbLb1EESZ_EEDaSU_SV_EUlSU_E_NS1_11comp_targetILNS1_3genE3ELNS1_11target_archE908ELNS1_3gpuE7ELNS1_3repE0EEENS1_30default_config_static_selectorELNS0_4arch9wavefront6targetE0EEEvT1_, .Lfunc_end661-_ZN7rocprim17ROCPRIM_400000_NS6detail17trampoline_kernelINS0_14default_configENS1_33run_length_encode_config_selectorIjjNS0_4plusIjEEEEZZNS1_33reduce_by_key_impl_wrapped_configILNS1_25lookback_scan_determinismE0ES3_S7_PKjNS0_17constant_iteratorIjlEEPjPlSF_S6_NS0_8equal_toIjEEEE10hipError_tPvRmT2_T3_mT4_T5_T6_T7_T8_P12ihipStream_tbENKUlT_T0_E_clISt17integral_constantIbLb1EESZ_EEDaSU_SV_EUlSU_E_NS1_11comp_targetILNS1_3genE3ELNS1_11target_archE908ELNS1_3gpuE7ELNS1_3repE0EEENS1_30default_config_static_selectorELNS0_4arch9wavefront6targetE0EEEvT1_
                                        ; -- End function
	.set _ZN7rocprim17ROCPRIM_400000_NS6detail17trampoline_kernelINS0_14default_configENS1_33run_length_encode_config_selectorIjjNS0_4plusIjEEEEZZNS1_33reduce_by_key_impl_wrapped_configILNS1_25lookback_scan_determinismE0ES3_S7_PKjNS0_17constant_iteratorIjlEEPjPlSF_S6_NS0_8equal_toIjEEEE10hipError_tPvRmT2_T3_mT4_T5_T6_T7_T8_P12ihipStream_tbENKUlT_T0_E_clISt17integral_constantIbLb1EESZ_EEDaSU_SV_EUlSU_E_NS1_11comp_targetILNS1_3genE3ELNS1_11target_archE908ELNS1_3gpuE7ELNS1_3repE0EEENS1_30default_config_static_selectorELNS0_4arch9wavefront6targetE0EEEvT1_.num_vgpr, 0
	.set _ZN7rocprim17ROCPRIM_400000_NS6detail17trampoline_kernelINS0_14default_configENS1_33run_length_encode_config_selectorIjjNS0_4plusIjEEEEZZNS1_33reduce_by_key_impl_wrapped_configILNS1_25lookback_scan_determinismE0ES3_S7_PKjNS0_17constant_iteratorIjlEEPjPlSF_S6_NS0_8equal_toIjEEEE10hipError_tPvRmT2_T3_mT4_T5_T6_T7_T8_P12ihipStream_tbENKUlT_T0_E_clISt17integral_constantIbLb1EESZ_EEDaSU_SV_EUlSU_E_NS1_11comp_targetILNS1_3genE3ELNS1_11target_archE908ELNS1_3gpuE7ELNS1_3repE0EEENS1_30default_config_static_selectorELNS0_4arch9wavefront6targetE0EEEvT1_.num_agpr, 0
	.set _ZN7rocprim17ROCPRIM_400000_NS6detail17trampoline_kernelINS0_14default_configENS1_33run_length_encode_config_selectorIjjNS0_4plusIjEEEEZZNS1_33reduce_by_key_impl_wrapped_configILNS1_25lookback_scan_determinismE0ES3_S7_PKjNS0_17constant_iteratorIjlEEPjPlSF_S6_NS0_8equal_toIjEEEE10hipError_tPvRmT2_T3_mT4_T5_T6_T7_T8_P12ihipStream_tbENKUlT_T0_E_clISt17integral_constantIbLb1EESZ_EEDaSU_SV_EUlSU_E_NS1_11comp_targetILNS1_3genE3ELNS1_11target_archE908ELNS1_3gpuE7ELNS1_3repE0EEENS1_30default_config_static_selectorELNS0_4arch9wavefront6targetE0EEEvT1_.numbered_sgpr, 0
	.set _ZN7rocprim17ROCPRIM_400000_NS6detail17trampoline_kernelINS0_14default_configENS1_33run_length_encode_config_selectorIjjNS0_4plusIjEEEEZZNS1_33reduce_by_key_impl_wrapped_configILNS1_25lookback_scan_determinismE0ES3_S7_PKjNS0_17constant_iteratorIjlEEPjPlSF_S6_NS0_8equal_toIjEEEE10hipError_tPvRmT2_T3_mT4_T5_T6_T7_T8_P12ihipStream_tbENKUlT_T0_E_clISt17integral_constantIbLb1EESZ_EEDaSU_SV_EUlSU_E_NS1_11comp_targetILNS1_3genE3ELNS1_11target_archE908ELNS1_3gpuE7ELNS1_3repE0EEENS1_30default_config_static_selectorELNS0_4arch9wavefront6targetE0EEEvT1_.num_named_barrier, 0
	.set _ZN7rocprim17ROCPRIM_400000_NS6detail17trampoline_kernelINS0_14default_configENS1_33run_length_encode_config_selectorIjjNS0_4plusIjEEEEZZNS1_33reduce_by_key_impl_wrapped_configILNS1_25lookback_scan_determinismE0ES3_S7_PKjNS0_17constant_iteratorIjlEEPjPlSF_S6_NS0_8equal_toIjEEEE10hipError_tPvRmT2_T3_mT4_T5_T6_T7_T8_P12ihipStream_tbENKUlT_T0_E_clISt17integral_constantIbLb1EESZ_EEDaSU_SV_EUlSU_E_NS1_11comp_targetILNS1_3genE3ELNS1_11target_archE908ELNS1_3gpuE7ELNS1_3repE0EEENS1_30default_config_static_selectorELNS0_4arch9wavefront6targetE0EEEvT1_.private_seg_size, 0
	.set _ZN7rocprim17ROCPRIM_400000_NS6detail17trampoline_kernelINS0_14default_configENS1_33run_length_encode_config_selectorIjjNS0_4plusIjEEEEZZNS1_33reduce_by_key_impl_wrapped_configILNS1_25lookback_scan_determinismE0ES3_S7_PKjNS0_17constant_iteratorIjlEEPjPlSF_S6_NS0_8equal_toIjEEEE10hipError_tPvRmT2_T3_mT4_T5_T6_T7_T8_P12ihipStream_tbENKUlT_T0_E_clISt17integral_constantIbLb1EESZ_EEDaSU_SV_EUlSU_E_NS1_11comp_targetILNS1_3genE3ELNS1_11target_archE908ELNS1_3gpuE7ELNS1_3repE0EEENS1_30default_config_static_selectorELNS0_4arch9wavefront6targetE0EEEvT1_.uses_vcc, 0
	.set _ZN7rocprim17ROCPRIM_400000_NS6detail17trampoline_kernelINS0_14default_configENS1_33run_length_encode_config_selectorIjjNS0_4plusIjEEEEZZNS1_33reduce_by_key_impl_wrapped_configILNS1_25lookback_scan_determinismE0ES3_S7_PKjNS0_17constant_iteratorIjlEEPjPlSF_S6_NS0_8equal_toIjEEEE10hipError_tPvRmT2_T3_mT4_T5_T6_T7_T8_P12ihipStream_tbENKUlT_T0_E_clISt17integral_constantIbLb1EESZ_EEDaSU_SV_EUlSU_E_NS1_11comp_targetILNS1_3genE3ELNS1_11target_archE908ELNS1_3gpuE7ELNS1_3repE0EEENS1_30default_config_static_selectorELNS0_4arch9wavefront6targetE0EEEvT1_.uses_flat_scratch, 0
	.set _ZN7rocprim17ROCPRIM_400000_NS6detail17trampoline_kernelINS0_14default_configENS1_33run_length_encode_config_selectorIjjNS0_4plusIjEEEEZZNS1_33reduce_by_key_impl_wrapped_configILNS1_25lookback_scan_determinismE0ES3_S7_PKjNS0_17constant_iteratorIjlEEPjPlSF_S6_NS0_8equal_toIjEEEE10hipError_tPvRmT2_T3_mT4_T5_T6_T7_T8_P12ihipStream_tbENKUlT_T0_E_clISt17integral_constantIbLb1EESZ_EEDaSU_SV_EUlSU_E_NS1_11comp_targetILNS1_3genE3ELNS1_11target_archE908ELNS1_3gpuE7ELNS1_3repE0EEENS1_30default_config_static_selectorELNS0_4arch9wavefront6targetE0EEEvT1_.has_dyn_sized_stack, 0
	.set _ZN7rocprim17ROCPRIM_400000_NS6detail17trampoline_kernelINS0_14default_configENS1_33run_length_encode_config_selectorIjjNS0_4plusIjEEEEZZNS1_33reduce_by_key_impl_wrapped_configILNS1_25lookback_scan_determinismE0ES3_S7_PKjNS0_17constant_iteratorIjlEEPjPlSF_S6_NS0_8equal_toIjEEEE10hipError_tPvRmT2_T3_mT4_T5_T6_T7_T8_P12ihipStream_tbENKUlT_T0_E_clISt17integral_constantIbLb1EESZ_EEDaSU_SV_EUlSU_E_NS1_11comp_targetILNS1_3genE3ELNS1_11target_archE908ELNS1_3gpuE7ELNS1_3repE0EEENS1_30default_config_static_selectorELNS0_4arch9wavefront6targetE0EEEvT1_.has_recursion, 0
	.set _ZN7rocprim17ROCPRIM_400000_NS6detail17trampoline_kernelINS0_14default_configENS1_33run_length_encode_config_selectorIjjNS0_4plusIjEEEEZZNS1_33reduce_by_key_impl_wrapped_configILNS1_25lookback_scan_determinismE0ES3_S7_PKjNS0_17constant_iteratorIjlEEPjPlSF_S6_NS0_8equal_toIjEEEE10hipError_tPvRmT2_T3_mT4_T5_T6_T7_T8_P12ihipStream_tbENKUlT_T0_E_clISt17integral_constantIbLb1EESZ_EEDaSU_SV_EUlSU_E_NS1_11comp_targetILNS1_3genE3ELNS1_11target_archE908ELNS1_3gpuE7ELNS1_3repE0EEENS1_30default_config_static_selectorELNS0_4arch9wavefront6targetE0EEEvT1_.has_indirect_call, 0
	.section	.AMDGPU.csdata,"",@progbits
; Kernel info:
; codeLenInByte = 0
; TotalNumSgprs: 0
; NumVgprs: 0
; ScratchSize: 0
; MemoryBound: 0
; FloatMode: 240
; IeeeMode: 1
; LDSByteSize: 0 bytes/workgroup (compile time only)
; SGPRBlocks: 0
; VGPRBlocks: 0
; NumSGPRsForWavesPerEU: 1
; NumVGPRsForWavesPerEU: 1
; NamedBarCnt: 0
; Occupancy: 16
; WaveLimiterHint : 0
; COMPUTE_PGM_RSRC2:SCRATCH_EN: 0
; COMPUTE_PGM_RSRC2:USER_SGPR: 2
; COMPUTE_PGM_RSRC2:TRAP_HANDLER: 0
; COMPUTE_PGM_RSRC2:TGID_X_EN: 1
; COMPUTE_PGM_RSRC2:TGID_Y_EN: 0
; COMPUTE_PGM_RSRC2:TGID_Z_EN: 0
; COMPUTE_PGM_RSRC2:TIDIG_COMP_CNT: 0
	.section	.text._ZN7rocprim17ROCPRIM_400000_NS6detail17trampoline_kernelINS0_14default_configENS1_33run_length_encode_config_selectorIjjNS0_4plusIjEEEEZZNS1_33reduce_by_key_impl_wrapped_configILNS1_25lookback_scan_determinismE0ES3_S7_PKjNS0_17constant_iteratorIjlEEPjPlSF_S6_NS0_8equal_toIjEEEE10hipError_tPvRmT2_T3_mT4_T5_T6_T7_T8_P12ihipStream_tbENKUlT_T0_E_clISt17integral_constantIbLb1EESZ_EEDaSU_SV_EUlSU_E_NS1_11comp_targetILNS1_3genE2ELNS1_11target_archE906ELNS1_3gpuE6ELNS1_3repE0EEENS1_30default_config_static_selectorELNS0_4arch9wavefront6targetE0EEEvT1_,"axG",@progbits,_ZN7rocprim17ROCPRIM_400000_NS6detail17trampoline_kernelINS0_14default_configENS1_33run_length_encode_config_selectorIjjNS0_4plusIjEEEEZZNS1_33reduce_by_key_impl_wrapped_configILNS1_25lookback_scan_determinismE0ES3_S7_PKjNS0_17constant_iteratorIjlEEPjPlSF_S6_NS0_8equal_toIjEEEE10hipError_tPvRmT2_T3_mT4_T5_T6_T7_T8_P12ihipStream_tbENKUlT_T0_E_clISt17integral_constantIbLb1EESZ_EEDaSU_SV_EUlSU_E_NS1_11comp_targetILNS1_3genE2ELNS1_11target_archE906ELNS1_3gpuE6ELNS1_3repE0EEENS1_30default_config_static_selectorELNS0_4arch9wavefront6targetE0EEEvT1_,comdat
	.protected	_ZN7rocprim17ROCPRIM_400000_NS6detail17trampoline_kernelINS0_14default_configENS1_33run_length_encode_config_selectorIjjNS0_4plusIjEEEEZZNS1_33reduce_by_key_impl_wrapped_configILNS1_25lookback_scan_determinismE0ES3_S7_PKjNS0_17constant_iteratorIjlEEPjPlSF_S6_NS0_8equal_toIjEEEE10hipError_tPvRmT2_T3_mT4_T5_T6_T7_T8_P12ihipStream_tbENKUlT_T0_E_clISt17integral_constantIbLb1EESZ_EEDaSU_SV_EUlSU_E_NS1_11comp_targetILNS1_3genE2ELNS1_11target_archE906ELNS1_3gpuE6ELNS1_3repE0EEENS1_30default_config_static_selectorELNS0_4arch9wavefront6targetE0EEEvT1_ ; -- Begin function _ZN7rocprim17ROCPRIM_400000_NS6detail17trampoline_kernelINS0_14default_configENS1_33run_length_encode_config_selectorIjjNS0_4plusIjEEEEZZNS1_33reduce_by_key_impl_wrapped_configILNS1_25lookback_scan_determinismE0ES3_S7_PKjNS0_17constant_iteratorIjlEEPjPlSF_S6_NS0_8equal_toIjEEEE10hipError_tPvRmT2_T3_mT4_T5_T6_T7_T8_P12ihipStream_tbENKUlT_T0_E_clISt17integral_constantIbLb1EESZ_EEDaSU_SV_EUlSU_E_NS1_11comp_targetILNS1_3genE2ELNS1_11target_archE906ELNS1_3gpuE6ELNS1_3repE0EEENS1_30default_config_static_selectorELNS0_4arch9wavefront6targetE0EEEvT1_
	.globl	_ZN7rocprim17ROCPRIM_400000_NS6detail17trampoline_kernelINS0_14default_configENS1_33run_length_encode_config_selectorIjjNS0_4plusIjEEEEZZNS1_33reduce_by_key_impl_wrapped_configILNS1_25lookback_scan_determinismE0ES3_S7_PKjNS0_17constant_iteratorIjlEEPjPlSF_S6_NS0_8equal_toIjEEEE10hipError_tPvRmT2_T3_mT4_T5_T6_T7_T8_P12ihipStream_tbENKUlT_T0_E_clISt17integral_constantIbLb1EESZ_EEDaSU_SV_EUlSU_E_NS1_11comp_targetILNS1_3genE2ELNS1_11target_archE906ELNS1_3gpuE6ELNS1_3repE0EEENS1_30default_config_static_selectorELNS0_4arch9wavefront6targetE0EEEvT1_
	.p2align	8
	.type	_ZN7rocprim17ROCPRIM_400000_NS6detail17trampoline_kernelINS0_14default_configENS1_33run_length_encode_config_selectorIjjNS0_4plusIjEEEEZZNS1_33reduce_by_key_impl_wrapped_configILNS1_25lookback_scan_determinismE0ES3_S7_PKjNS0_17constant_iteratorIjlEEPjPlSF_S6_NS0_8equal_toIjEEEE10hipError_tPvRmT2_T3_mT4_T5_T6_T7_T8_P12ihipStream_tbENKUlT_T0_E_clISt17integral_constantIbLb1EESZ_EEDaSU_SV_EUlSU_E_NS1_11comp_targetILNS1_3genE2ELNS1_11target_archE906ELNS1_3gpuE6ELNS1_3repE0EEENS1_30default_config_static_selectorELNS0_4arch9wavefront6targetE0EEEvT1_,@function
_ZN7rocprim17ROCPRIM_400000_NS6detail17trampoline_kernelINS0_14default_configENS1_33run_length_encode_config_selectorIjjNS0_4plusIjEEEEZZNS1_33reduce_by_key_impl_wrapped_configILNS1_25lookback_scan_determinismE0ES3_S7_PKjNS0_17constant_iteratorIjlEEPjPlSF_S6_NS0_8equal_toIjEEEE10hipError_tPvRmT2_T3_mT4_T5_T6_T7_T8_P12ihipStream_tbENKUlT_T0_E_clISt17integral_constantIbLb1EESZ_EEDaSU_SV_EUlSU_E_NS1_11comp_targetILNS1_3genE2ELNS1_11target_archE906ELNS1_3gpuE6ELNS1_3repE0EEENS1_30default_config_static_selectorELNS0_4arch9wavefront6targetE0EEEvT1_: ; @_ZN7rocprim17ROCPRIM_400000_NS6detail17trampoline_kernelINS0_14default_configENS1_33run_length_encode_config_selectorIjjNS0_4plusIjEEEEZZNS1_33reduce_by_key_impl_wrapped_configILNS1_25lookback_scan_determinismE0ES3_S7_PKjNS0_17constant_iteratorIjlEEPjPlSF_S6_NS0_8equal_toIjEEEE10hipError_tPvRmT2_T3_mT4_T5_T6_T7_T8_P12ihipStream_tbENKUlT_T0_E_clISt17integral_constantIbLb1EESZ_EEDaSU_SV_EUlSU_E_NS1_11comp_targetILNS1_3genE2ELNS1_11target_archE906ELNS1_3gpuE6ELNS1_3repE0EEENS1_30default_config_static_selectorELNS0_4arch9wavefront6targetE0EEEvT1_
; %bb.0:
	.section	.rodata,"a",@progbits
	.p2align	6, 0x0
	.amdhsa_kernel _ZN7rocprim17ROCPRIM_400000_NS6detail17trampoline_kernelINS0_14default_configENS1_33run_length_encode_config_selectorIjjNS0_4plusIjEEEEZZNS1_33reduce_by_key_impl_wrapped_configILNS1_25lookback_scan_determinismE0ES3_S7_PKjNS0_17constant_iteratorIjlEEPjPlSF_S6_NS0_8equal_toIjEEEE10hipError_tPvRmT2_T3_mT4_T5_T6_T7_T8_P12ihipStream_tbENKUlT_T0_E_clISt17integral_constantIbLb1EESZ_EEDaSU_SV_EUlSU_E_NS1_11comp_targetILNS1_3genE2ELNS1_11target_archE906ELNS1_3gpuE6ELNS1_3repE0EEENS1_30default_config_static_selectorELNS0_4arch9wavefront6targetE0EEEvT1_
		.amdhsa_group_segment_fixed_size 0
		.amdhsa_private_segment_fixed_size 0
		.amdhsa_kernarg_size 128
		.amdhsa_user_sgpr_count 2
		.amdhsa_user_sgpr_dispatch_ptr 0
		.amdhsa_user_sgpr_queue_ptr 0
		.amdhsa_user_sgpr_kernarg_segment_ptr 1
		.amdhsa_user_sgpr_dispatch_id 0
		.amdhsa_user_sgpr_kernarg_preload_length 0
		.amdhsa_user_sgpr_kernarg_preload_offset 0
		.amdhsa_user_sgpr_private_segment_size 0
		.amdhsa_wavefront_size32 1
		.amdhsa_uses_dynamic_stack 0
		.amdhsa_enable_private_segment 0
		.amdhsa_system_sgpr_workgroup_id_x 1
		.amdhsa_system_sgpr_workgroup_id_y 0
		.amdhsa_system_sgpr_workgroup_id_z 0
		.amdhsa_system_sgpr_workgroup_info 0
		.amdhsa_system_vgpr_workitem_id 0
		.amdhsa_next_free_vgpr 1
		.amdhsa_next_free_sgpr 1
		.amdhsa_named_barrier_count 0
		.amdhsa_reserve_vcc 0
		.amdhsa_float_round_mode_32 0
		.amdhsa_float_round_mode_16_64 0
		.amdhsa_float_denorm_mode_32 3
		.amdhsa_float_denorm_mode_16_64 3
		.amdhsa_fp16_overflow 0
		.amdhsa_memory_ordered 1
		.amdhsa_forward_progress 1
		.amdhsa_inst_pref_size 0
		.amdhsa_round_robin_scheduling 0
		.amdhsa_exception_fp_ieee_invalid_op 0
		.amdhsa_exception_fp_denorm_src 0
		.amdhsa_exception_fp_ieee_div_zero 0
		.amdhsa_exception_fp_ieee_overflow 0
		.amdhsa_exception_fp_ieee_underflow 0
		.amdhsa_exception_fp_ieee_inexact 0
		.amdhsa_exception_int_div_zero 0
	.end_amdhsa_kernel
	.section	.text._ZN7rocprim17ROCPRIM_400000_NS6detail17trampoline_kernelINS0_14default_configENS1_33run_length_encode_config_selectorIjjNS0_4plusIjEEEEZZNS1_33reduce_by_key_impl_wrapped_configILNS1_25lookback_scan_determinismE0ES3_S7_PKjNS0_17constant_iteratorIjlEEPjPlSF_S6_NS0_8equal_toIjEEEE10hipError_tPvRmT2_T3_mT4_T5_T6_T7_T8_P12ihipStream_tbENKUlT_T0_E_clISt17integral_constantIbLb1EESZ_EEDaSU_SV_EUlSU_E_NS1_11comp_targetILNS1_3genE2ELNS1_11target_archE906ELNS1_3gpuE6ELNS1_3repE0EEENS1_30default_config_static_selectorELNS0_4arch9wavefront6targetE0EEEvT1_,"axG",@progbits,_ZN7rocprim17ROCPRIM_400000_NS6detail17trampoline_kernelINS0_14default_configENS1_33run_length_encode_config_selectorIjjNS0_4plusIjEEEEZZNS1_33reduce_by_key_impl_wrapped_configILNS1_25lookback_scan_determinismE0ES3_S7_PKjNS0_17constant_iteratorIjlEEPjPlSF_S6_NS0_8equal_toIjEEEE10hipError_tPvRmT2_T3_mT4_T5_T6_T7_T8_P12ihipStream_tbENKUlT_T0_E_clISt17integral_constantIbLb1EESZ_EEDaSU_SV_EUlSU_E_NS1_11comp_targetILNS1_3genE2ELNS1_11target_archE906ELNS1_3gpuE6ELNS1_3repE0EEENS1_30default_config_static_selectorELNS0_4arch9wavefront6targetE0EEEvT1_,comdat
.Lfunc_end662:
	.size	_ZN7rocprim17ROCPRIM_400000_NS6detail17trampoline_kernelINS0_14default_configENS1_33run_length_encode_config_selectorIjjNS0_4plusIjEEEEZZNS1_33reduce_by_key_impl_wrapped_configILNS1_25lookback_scan_determinismE0ES3_S7_PKjNS0_17constant_iteratorIjlEEPjPlSF_S6_NS0_8equal_toIjEEEE10hipError_tPvRmT2_T3_mT4_T5_T6_T7_T8_P12ihipStream_tbENKUlT_T0_E_clISt17integral_constantIbLb1EESZ_EEDaSU_SV_EUlSU_E_NS1_11comp_targetILNS1_3genE2ELNS1_11target_archE906ELNS1_3gpuE6ELNS1_3repE0EEENS1_30default_config_static_selectorELNS0_4arch9wavefront6targetE0EEEvT1_, .Lfunc_end662-_ZN7rocprim17ROCPRIM_400000_NS6detail17trampoline_kernelINS0_14default_configENS1_33run_length_encode_config_selectorIjjNS0_4plusIjEEEEZZNS1_33reduce_by_key_impl_wrapped_configILNS1_25lookback_scan_determinismE0ES3_S7_PKjNS0_17constant_iteratorIjlEEPjPlSF_S6_NS0_8equal_toIjEEEE10hipError_tPvRmT2_T3_mT4_T5_T6_T7_T8_P12ihipStream_tbENKUlT_T0_E_clISt17integral_constantIbLb1EESZ_EEDaSU_SV_EUlSU_E_NS1_11comp_targetILNS1_3genE2ELNS1_11target_archE906ELNS1_3gpuE6ELNS1_3repE0EEENS1_30default_config_static_selectorELNS0_4arch9wavefront6targetE0EEEvT1_
                                        ; -- End function
	.set _ZN7rocprim17ROCPRIM_400000_NS6detail17trampoline_kernelINS0_14default_configENS1_33run_length_encode_config_selectorIjjNS0_4plusIjEEEEZZNS1_33reduce_by_key_impl_wrapped_configILNS1_25lookback_scan_determinismE0ES3_S7_PKjNS0_17constant_iteratorIjlEEPjPlSF_S6_NS0_8equal_toIjEEEE10hipError_tPvRmT2_T3_mT4_T5_T6_T7_T8_P12ihipStream_tbENKUlT_T0_E_clISt17integral_constantIbLb1EESZ_EEDaSU_SV_EUlSU_E_NS1_11comp_targetILNS1_3genE2ELNS1_11target_archE906ELNS1_3gpuE6ELNS1_3repE0EEENS1_30default_config_static_selectorELNS0_4arch9wavefront6targetE0EEEvT1_.num_vgpr, 0
	.set _ZN7rocprim17ROCPRIM_400000_NS6detail17trampoline_kernelINS0_14default_configENS1_33run_length_encode_config_selectorIjjNS0_4plusIjEEEEZZNS1_33reduce_by_key_impl_wrapped_configILNS1_25lookback_scan_determinismE0ES3_S7_PKjNS0_17constant_iteratorIjlEEPjPlSF_S6_NS0_8equal_toIjEEEE10hipError_tPvRmT2_T3_mT4_T5_T6_T7_T8_P12ihipStream_tbENKUlT_T0_E_clISt17integral_constantIbLb1EESZ_EEDaSU_SV_EUlSU_E_NS1_11comp_targetILNS1_3genE2ELNS1_11target_archE906ELNS1_3gpuE6ELNS1_3repE0EEENS1_30default_config_static_selectorELNS0_4arch9wavefront6targetE0EEEvT1_.num_agpr, 0
	.set _ZN7rocprim17ROCPRIM_400000_NS6detail17trampoline_kernelINS0_14default_configENS1_33run_length_encode_config_selectorIjjNS0_4plusIjEEEEZZNS1_33reduce_by_key_impl_wrapped_configILNS1_25lookback_scan_determinismE0ES3_S7_PKjNS0_17constant_iteratorIjlEEPjPlSF_S6_NS0_8equal_toIjEEEE10hipError_tPvRmT2_T3_mT4_T5_T6_T7_T8_P12ihipStream_tbENKUlT_T0_E_clISt17integral_constantIbLb1EESZ_EEDaSU_SV_EUlSU_E_NS1_11comp_targetILNS1_3genE2ELNS1_11target_archE906ELNS1_3gpuE6ELNS1_3repE0EEENS1_30default_config_static_selectorELNS0_4arch9wavefront6targetE0EEEvT1_.numbered_sgpr, 0
	.set _ZN7rocprim17ROCPRIM_400000_NS6detail17trampoline_kernelINS0_14default_configENS1_33run_length_encode_config_selectorIjjNS0_4plusIjEEEEZZNS1_33reduce_by_key_impl_wrapped_configILNS1_25lookback_scan_determinismE0ES3_S7_PKjNS0_17constant_iteratorIjlEEPjPlSF_S6_NS0_8equal_toIjEEEE10hipError_tPvRmT2_T3_mT4_T5_T6_T7_T8_P12ihipStream_tbENKUlT_T0_E_clISt17integral_constantIbLb1EESZ_EEDaSU_SV_EUlSU_E_NS1_11comp_targetILNS1_3genE2ELNS1_11target_archE906ELNS1_3gpuE6ELNS1_3repE0EEENS1_30default_config_static_selectorELNS0_4arch9wavefront6targetE0EEEvT1_.num_named_barrier, 0
	.set _ZN7rocprim17ROCPRIM_400000_NS6detail17trampoline_kernelINS0_14default_configENS1_33run_length_encode_config_selectorIjjNS0_4plusIjEEEEZZNS1_33reduce_by_key_impl_wrapped_configILNS1_25lookback_scan_determinismE0ES3_S7_PKjNS0_17constant_iteratorIjlEEPjPlSF_S6_NS0_8equal_toIjEEEE10hipError_tPvRmT2_T3_mT4_T5_T6_T7_T8_P12ihipStream_tbENKUlT_T0_E_clISt17integral_constantIbLb1EESZ_EEDaSU_SV_EUlSU_E_NS1_11comp_targetILNS1_3genE2ELNS1_11target_archE906ELNS1_3gpuE6ELNS1_3repE0EEENS1_30default_config_static_selectorELNS0_4arch9wavefront6targetE0EEEvT1_.private_seg_size, 0
	.set _ZN7rocprim17ROCPRIM_400000_NS6detail17trampoline_kernelINS0_14default_configENS1_33run_length_encode_config_selectorIjjNS0_4plusIjEEEEZZNS1_33reduce_by_key_impl_wrapped_configILNS1_25lookback_scan_determinismE0ES3_S7_PKjNS0_17constant_iteratorIjlEEPjPlSF_S6_NS0_8equal_toIjEEEE10hipError_tPvRmT2_T3_mT4_T5_T6_T7_T8_P12ihipStream_tbENKUlT_T0_E_clISt17integral_constantIbLb1EESZ_EEDaSU_SV_EUlSU_E_NS1_11comp_targetILNS1_3genE2ELNS1_11target_archE906ELNS1_3gpuE6ELNS1_3repE0EEENS1_30default_config_static_selectorELNS0_4arch9wavefront6targetE0EEEvT1_.uses_vcc, 0
	.set _ZN7rocprim17ROCPRIM_400000_NS6detail17trampoline_kernelINS0_14default_configENS1_33run_length_encode_config_selectorIjjNS0_4plusIjEEEEZZNS1_33reduce_by_key_impl_wrapped_configILNS1_25lookback_scan_determinismE0ES3_S7_PKjNS0_17constant_iteratorIjlEEPjPlSF_S6_NS0_8equal_toIjEEEE10hipError_tPvRmT2_T3_mT4_T5_T6_T7_T8_P12ihipStream_tbENKUlT_T0_E_clISt17integral_constantIbLb1EESZ_EEDaSU_SV_EUlSU_E_NS1_11comp_targetILNS1_3genE2ELNS1_11target_archE906ELNS1_3gpuE6ELNS1_3repE0EEENS1_30default_config_static_selectorELNS0_4arch9wavefront6targetE0EEEvT1_.uses_flat_scratch, 0
	.set _ZN7rocprim17ROCPRIM_400000_NS6detail17trampoline_kernelINS0_14default_configENS1_33run_length_encode_config_selectorIjjNS0_4plusIjEEEEZZNS1_33reduce_by_key_impl_wrapped_configILNS1_25lookback_scan_determinismE0ES3_S7_PKjNS0_17constant_iteratorIjlEEPjPlSF_S6_NS0_8equal_toIjEEEE10hipError_tPvRmT2_T3_mT4_T5_T6_T7_T8_P12ihipStream_tbENKUlT_T0_E_clISt17integral_constantIbLb1EESZ_EEDaSU_SV_EUlSU_E_NS1_11comp_targetILNS1_3genE2ELNS1_11target_archE906ELNS1_3gpuE6ELNS1_3repE0EEENS1_30default_config_static_selectorELNS0_4arch9wavefront6targetE0EEEvT1_.has_dyn_sized_stack, 0
	.set _ZN7rocprim17ROCPRIM_400000_NS6detail17trampoline_kernelINS0_14default_configENS1_33run_length_encode_config_selectorIjjNS0_4plusIjEEEEZZNS1_33reduce_by_key_impl_wrapped_configILNS1_25lookback_scan_determinismE0ES3_S7_PKjNS0_17constant_iteratorIjlEEPjPlSF_S6_NS0_8equal_toIjEEEE10hipError_tPvRmT2_T3_mT4_T5_T6_T7_T8_P12ihipStream_tbENKUlT_T0_E_clISt17integral_constantIbLb1EESZ_EEDaSU_SV_EUlSU_E_NS1_11comp_targetILNS1_3genE2ELNS1_11target_archE906ELNS1_3gpuE6ELNS1_3repE0EEENS1_30default_config_static_selectorELNS0_4arch9wavefront6targetE0EEEvT1_.has_recursion, 0
	.set _ZN7rocprim17ROCPRIM_400000_NS6detail17trampoline_kernelINS0_14default_configENS1_33run_length_encode_config_selectorIjjNS0_4plusIjEEEEZZNS1_33reduce_by_key_impl_wrapped_configILNS1_25lookback_scan_determinismE0ES3_S7_PKjNS0_17constant_iteratorIjlEEPjPlSF_S6_NS0_8equal_toIjEEEE10hipError_tPvRmT2_T3_mT4_T5_T6_T7_T8_P12ihipStream_tbENKUlT_T0_E_clISt17integral_constantIbLb1EESZ_EEDaSU_SV_EUlSU_E_NS1_11comp_targetILNS1_3genE2ELNS1_11target_archE906ELNS1_3gpuE6ELNS1_3repE0EEENS1_30default_config_static_selectorELNS0_4arch9wavefront6targetE0EEEvT1_.has_indirect_call, 0
	.section	.AMDGPU.csdata,"",@progbits
; Kernel info:
; codeLenInByte = 0
; TotalNumSgprs: 0
; NumVgprs: 0
; ScratchSize: 0
; MemoryBound: 0
; FloatMode: 240
; IeeeMode: 1
; LDSByteSize: 0 bytes/workgroup (compile time only)
; SGPRBlocks: 0
; VGPRBlocks: 0
; NumSGPRsForWavesPerEU: 1
; NumVGPRsForWavesPerEU: 1
; NamedBarCnt: 0
; Occupancy: 16
; WaveLimiterHint : 0
; COMPUTE_PGM_RSRC2:SCRATCH_EN: 0
; COMPUTE_PGM_RSRC2:USER_SGPR: 2
; COMPUTE_PGM_RSRC2:TRAP_HANDLER: 0
; COMPUTE_PGM_RSRC2:TGID_X_EN: 1
; COMPUTE_PGM_RSRC2:TGID_Y_EN: 0
; COMPUTE_PGM_RSRC2:TGID_Z_EN: 0
; COMPUTE_PGM_RSRC2:TIDIG_COMP_CNT: 0
	.section	.text._ZN7rocprim17ROCPRIM_400000_NS6detail17trampoline_kernelINS0_14default_configENS1_33run_length_encode_config_selectorIjjNS0_4plusIjEEEEZZNS1_33reduce_by_key_impl_wrapped_configILNS1_25lookback_scan_determinismE0ES3_S7_PKjNS0_17constant_iteratorIjlEEPjPlSF_S6_NS0_8equal_toIjEEEE10hipError_tPvRmT2_T3_mT4_T5_T6_T7_T8_P12ihipStream_tbENKUlT_T0_E_clISt17integral_constantIbLb1EESZ_EEDaSU_SV_EUlSU_E_NS1_11comp_targetILNS1_3genE10ELNS1_11target_archE1201ELNS1_3gpuE5ELNS1_3repE0EEENS1_30default_config_static_selectorELNS0_4arch9wavefront6targetE0EEEvT1_,"axG",@progbits,_ZN7rocprim17ROCPRIM_400000_NS6detail17trampoline_kernelINS0_14default_configENS1_33run_length_encode_config_selectorIjjNS0_4plusIjEEEEZZNS1_33reduce_by_key_impl_wrapped_configILNS1_25lookback_scan_determinismE0ES3_S7_PKjNS0_17constant_iteratorIjlEEPjPlSF_S6_NS0_8equal_toIjEEEE10hipError_tPvRmT2_T3_mT4_T5_T6_T7_T8_P12ihipStream_tbENKUlT_T0_E_clISt17integral_constantIbLb1EESZ_EEDaSU_SV_EUlSU_E_NS1_11comp_targetILNS1_3genE10ELNS1_11target_archE1201ELNS1_3gpuE5ELNS1_3repE0EEENS1_30default_config_static_selectorELNS0_4arch9wavefront6targetE0EEEvT1_,comdat
	.protected	_ZN7rocprim17ROCPRIM_400000_NS6detail17trampoline_kernelINS0_14default_configENS1_33run_length_encode_config_selectorIjjNS0_4plusIjEEEEZZNS1_33reduce_by_key_impl_wrapped_configILNS1_25lookback_scan_determinismE0ES3_S7_PKjNS0_17constant_iteratorIjlEEPjPlSF_S6_NS0_8equal_toIjEEEE10hipError_tPvRmT2_T3_mT4_T5_T6_T7_T8_P12ihipStream_tbENKUlT_T0_E_clISt17integral_constantIbLb1EESZ_EEDaSU_SV_EUlSU_E_NS1_11comp_targetILNS1_3genE10ELNS1_11target_archE1201ELNS1_3gpuE5ELNS1_3repE0EEENS1_30default_config_static_selectorELNS0_4arch9wavefront6targetE0EEEvT1_ ; -- Begin function _ZN7rocprim17ROCPRIM_400000_NS6detail17trampoline_kernelINS0_14default_configENS1_33run_length_encode_config_selectorIjjNS0_4plusIjEEEEZZNS1_33reduce_by_key_impl_wrapped_configILNS1_25lookback_scan_determinismE0ES3_S7_PKjNS0_17constant_iteratorIjlEEPjPlSF_S6_NS0_8equal_toIjEEEE10hipError_tPvRmT2_T3_mT4_T5_T6_T7_T8_P12ihipStream_tbENKUlT_T0_E_clISt17integral_constantIbLb1EESZ_EEDaSU_SV_EUlSU_E_NS1_11comp_targetILNS1_3genE10ELNS1_11target_archE1201ELNS1_3gpuE5ELNS1_3repE0EEENS1_30default_config_static_selectorELNS0_4arch9wavefront6targetE0EEEvT1_
	.globl	_ZN7rocprim17ROCPRIM_400000_NS6detail17trampoline_kernelINS0_14default_configENS1_33run_length_encode_config_selectorIjjNS0_4plusIjEEEEZZNS1_33reduce_by_key_impl_wrapped_configILNS1_25lookback_scan_determinismE0ES3_S7_PKjNS0_17constant_iteratorIjlEEPjPlSF_S6_NS0_8equal_toIjEEEE10hipError_tPvRmT2_T3_mT4_T5_T6_T7_T8_P12ihipStream_tbENKUlT_T0_E_clISt17integral_constantIbLb1EESZ_EEDaSU_SV_EUlSU_E_NS1_11comp_targetILNS1_3genE10ELNS1_11target_archE1201ELNS1_3gpuE5ELNS1_3repE0EEENS1_30default_config_static_selectorELNS0_4arch9wavefront6targetE0EEEvT1_
	.p2align	8
	.type	_ZN7rocprim17ROCPRIM_400000_NS6detail17trampoline_kernelINS0_14default_configENS1_33run_length_encode_config_selectorIjjNS0_4plusIjEEEEZZNS1_33reduce_by_key_impl_wrapped_configILNS1_25lookback_scan_determinismE0ES3_S7_PKjNS0_17constant_iteratorIjlEEPjPlSF_S6_NS0_8equal_toIjEEEE10hipError_tPvRmT2_T3_mT4_T5_T6_T7_T8_P12ihipStream_tbENKUlT_T0_E_clISt17integral_constantIbLb1EESZ_EEDaSU_SV_EUlSU_E_NS1_11comp_targetILNS1_3genE10ELNS1_11target_archE1201ELNS1_3gpuE5ELNS1_3repE0EEENS1_30default_config_static_selectorELNS0_4arch9wavefront6targetE0EEEvT1_,@function
_ZN7rocprim17ROCPRIM_400000_NS6detail17trampoline_kernelINS0_14default_configENS1_33run_length_encode_config_selectorIjjNS0_4plusIjEEEEZZNS1_33reduce_by_key_impl_wrapped_configILNS1_25lookback_scan_determinismE0ES3_S7_PKjNS0_17constant_iteratorIjlEEPjPlSF_S6_NS0_8equal_toIjEEEE10hipError_tPvRmT2_T3_mT4_T5_T6_T7_T8_P12ihipStream_tbENKUlT_T0_E_clISt17integral_constantIbLb1EESZ_EEDaSU_SV_EUlSU_E_NS1_11comp_targetILNS1_3genE10ELNS1_11target_archE1201ELNS1_3gpuE5ELNS1_3repE0EEENS1_30default_config_static_selectorELNS0_4arch9wavefront6targetE0EEEvT1_: ; @_ZN7rocprim17ROCPRIM_400000_NS6detail17trampoline_kernelINS0_14default_configENS1_33run_length_encode_config_selectorIjjNS0_4plusIjEEEEZZNS1_33reduce_by_key_impl_wrapped_configILNS1_25lookback_scan_determinismE0ES3_S7_PKjNS0_17constant_iteratorIjlEEPjPlSF_S6_NS0_8equal_toIjEEEE10hipError_tPvRmT2_T3_mT4_T5_T6_T7_T8_P12ihipStream_tbENKUlT_T0_E_clISt17integral_constantIbLb1EESZ_EEDaSU_SV_EUlSU_E_NS1_11comp_targetILNS1_3genE10ELNS1_11target_archE1201ELNS1_3gpuE5ELNS1_3repE0EEENS1_30default_config_static_selectorELNS0_4arch9wavefront6targetE0EEEvT1_
; %bb.0:
	.section	.rodata,"a",@progbits
	.p2align	6, 0x0
	.amdhsa_kernel _ZN7rocprim17ROCPRIM_400000_NS6detail17trampoline_kernelINS0_14default_configENS1_33run_length_encode_config_selectorIjjNS0_4plusIjEEEEZZNS1_33reduce_by_key_impl_wrapped_configILNS1_25lookback_scan_determinismE0ES3_S7_PKjNS0_17constant_iteratorIjlEEPjPlSF_S6_NS0_8equal_toIjEEEE10hipError_tPvRmT2_T3_mT4_T5_T6_T7_T8_P12ihipStream_tbENKUlT_T0_E_clISt17integral_constantIbLb1EESZ_EEDaSU_SV_EUlSU_E_NS1_11comp_targetILNS1_3genE10ELNS1_11target_archE1201ELNS1_3gpuE5ELNS1_3repE0EEENS1_30default_config_static_selectorELNS0_4arch9wavefront6targetE0EEEvT1_
		.amdhsa_group_segment_fixed_size 0
		.amdhsa_private_segment_fixed_size 0
		.amdhsa_kernarg_size 128
		.amdhsa_user_sgpr_count 2
		.amdhsa_user_sgpr_dispatch_ptr 0
		.amdhsa_user_sgpr_queue_ptr 0
		.amdhsa_user_sgpr_kernarg_segment_ptr 1
		.amdhsa_user_sgpr_dispatch_id 0
		.amdhsa_user_sgpr_kernarg_preload_length 0
		.amdhsa_user_sgpr_kernarg_preload_offset 0
		.amdhsa_user_sgpr_private_segment_size 0
		.amdhsa_wavefront_size32 1
		.amdhsa_uses_dynamic_stack 0
		.amdhsa_enable_private_segment 0
		.amdhsa_system_sgpr_workgroup_id_x 1
		.amdhsa_system_sgpr_workgroup_id_y 0
		.amdhsa_system_sgpr_workgroup_id_z 0
		.amdhsa_system_sgpr_workgroup_info 0
		.amdhsa_system_vgpr_workitem_id 0
		.amdhsa_next_free_vgpr 1
		.amdhsa_next_free_sgpr 1
		.amdhsa_named_barrier_count 0
		.amdhsa_reserve_vcc 0
		.amdhsa_float_round_mode_32 0
		.amdhsa_float_round_mode_16_64 0
		.amdhsa_float_denorm_mode_32 3
		.amdhsa_float_denorm_mode_16_64 3
		.amdhsa_fp16_overflow 0
		.amdhsa_memory_ordered 1
		.amdhsa_forward_progress 1
		.amdhsa_inst_pref_size 0
		.amdhsa_round_robin_scheduling 0
		.amdhsa_exception_fp_ieee_invalid_op 0
		.amdhsa_exception_fp_denorm_src 0
		.amdhsa_exception_fp_ieee_div_zero 0
		.amdhsa_exception_fp_ieee_overflow 0
		.amdhsa_exception_fp_ieee_underflow 0
		.amdhsa_exception_fp_ieee_inexact 0
		.amdhsa_exception_int_div_zero 0
	.end_amdhsa_kernel
	.section	.text._ZN7rocprim17ROCPRIM_400000_NS6detail17trampoline_kernelINS0_14default_configENS1_33run_length_encode_config_selectorIjjNS0_4plusIjEEEEZZNS1_33reduce_by_key_impl_wrapped_configILNS1_25lookback_scan_determinismE0ES3_S7_PKjNS0_17constant_iteratorIjlEEPjPlSF_S6_NS0_8equal_toIjEEEE10hipError_tPvRmT2_T3_mT4_T5_T6_T7_T8_P12ihipStream_tbENKUlT_T0_E_clISt17integral_constantIbLb1EESZ_EEDaSU_SV_EUlSU_E_NS1_11comp_targetILNS1_3genE10ELNS1_11target_archE1201ELNS1_3gpuE5ELNS1_3repE0EEENS1_30default_config_static_selectorELNS0_4arch9wavefront6targetE0EEEvT1_,"axG",@progbits,_ZN7rocprim17ROCPRIM_400000_NS6detail17trampoline_kernelINS0_14default_configENS1_33run_length_encode_config_selectorIjjNS0_4plusIjEEEEZZNS1_33reduce_by_key_impl_wrapped_configILNS1_25lookback_scan_determinismE0ES3_S7_PKjNS0_17constant_iteratorIjlEEPjPlSF_S6_NS0_8equal_toIjEEEE10hipError_tPvRmT2_T3_mT4_T5_T6_T7_T8_P12ihipStream_tbENKUlT_T0_E_clISt17integral_constantIbLb1EESZ_EEDaSU_SV_EUlSU_E_NS1_11comp_targetILNS1_3genE10ELNS1_11target_archE1201ELNS1_3gpuE5ELNS1_3repE0EEENS1_30default_config_static_selectorELNS0_4arch9wavefront6targetE0EEEvT1_,comdat
.Lfunc_end663:
	.size	_ZN7rocprim17ROCPRIM_400000_NS6detail17trampoline_kernelINS0_14default_configENS1_33run_length_encode_config_selectorIjjNS0_4plusIjEEEEZZNS1_33reduce_by_key_impl_wrapped_configILNS1_25lookback_scan_determinismE0ES3_S7_PKjNS0_17constant_iteratorIjlEEPjPlSF_S6_NS0_8equal_toIjEEEE10hipError_tPvRmT2_T3_mT4_T5_T6_T7_T8_P12ihipStream_tbENKUlT_T0_E_clISt17integral_constantIbLb1EESZ_EEDaSU_SV_EUlSU_E_NS1_11comp_targetILNS1_3genE10ELNS1_11target_archE1201ELNS1_3gpuE5ELNS1_3repE0EEENS1_30default_config_static_selectorELNS0_4arch9wavefront6targetE0EEEvT1_, .Lfunc_end663-_ZN7rocprim17ROCPRIM_400000_NS6detail17trampoline_kernelINS0_14default_configENS1_33run_length_encode_config_selectorIjjNS0_4plusIjEEEEZZNS1_33reduce_by_key_impl_wrapped_configILNS1_25lookback_scan_determinismE0ES3_S7_PKjNS0_17constant_iteratorIjlEEPjPlSF_S6_NS0_8equal_toIjEEEE10hipError_tPvRmT2_T3_mT4_T5_T6_T7_T8_P12ihipStream_tbENKUlT_T0_E_clISt17integral_constantIbLb1EESZ_EEDaSU_SV_EUlSU_E_NS1_11comp_targetILNS1_3genE10ELNS1_11target_archE1201ELNS1_3gpuE5ELNS1_3repE0EEENS1_30default_config_static_selectorELNS0_4arch9wavefront6targetE0EEEvT1_
                                        ; -- End function
	.set _ZN7rocprim17ROCPRIM_400000_NS6detail17trampoline_kernelINS0_14default_configENS1_33run_length_encode_config_selectorIjjNS0_4plusIjEEEEZZNS1_33reduce_by_key_impl_wrapped_configILNS1_25lookback_scan_determinismE0ES3_S7_PKjNS0_17constant_iteratorIjlEEPjPlSF_S6_NS0_8equal_toIjEEEE10hipError_tPvRmT2_T3_mT4_T5_T6_T7_T8_P12ihipStream_tbENKUlT_T0_E_clISt17integral_constantIbLb1EESZ_EEDaSU_SV_EUlSU_E_NS1_11comp_targetILNS1_3genE10ELNS1_11target_archE1201ELNS1_3gpuE5ELNS1_3repE0EEENS1_30default_config_static_selectorELNS0_4arch9wavefront6targetE0EEEvT1_.num_vgpr, 0
	.set _ZN7rocprim17ROCPRIM_400000_NS6detail17trampoline_kernelINS0_14default_configENS1_33run_length_encode_config_selectorIjjNS0_4plusIjEEEEZZNS1_33reduce_by_key_impl_wrapped_configILNS1_25lookback_scan_determinismE0ES3_S7_PKjNS0_17constant_iteratorIjlEEPjPlSF_S6_NS0_8equal_toIjEEEE10hipError_tPvRmT2_T3_mT4_T5_T6_T7_T8_P12ihipStream_tbENKUlT_T0_E_clISt17integral_constantIbLb1EESZ_EEDaSU_SV_EUlSU_E_NS1_11comp_targetILNS1_3genE10ELNS1_11target_archE1201ELNS1_3gpuE5ELNS1_3repE0EEENS1_30default_config_static_selectorELNS0_4arch9wavefront6targetE0EEEvT1_.num_agpr, 0
	.set _ZN7rocprim17ROCPRIM_400000_NS6detail17trampoline_kernelINS0_14default_configENS1_33run_length_encode_config_selectorIjjNS0_4plusIjEEEEZZNS1_33reduce_by_key_impl_wrapped_configILNS1_25lookback_scan_determinismE0ES3_S7_PKjNS0_17constant_iteratorIjlEEPjPlSF_S6_NS0_8equal_toIjEEEE10hipError_tPvRmT2_T3_mT4_T5_T6_T7_T8_P12ihipStream_tbENKUlT_T0_E_clISt17integral_constantIbLb1EESZ_EEDaSU_SV_EUlSU_E_NS1_11comp_targetILNS1_3genE10ELNS1_11target_archE1201ELNS1_3gpuE5ELNS1_3repE0EEENS1_30default_config_static_selectorELNS0_4arch9wavefront6targetE0EEEvT1_.numbered_sgpr, 0
	.set _ZN7rocprim17ROCPRIM_400000_NS6detail17trampoline_kernelINS0_14default_configENS1_33run_length_encode_config_selectorIjjNS0_4plusIjEEEEZZNS1_33reduce_by_key_impl_wrapped_configILNS1_25lookback_scan_determinismE0ES3_S7_PKjNS0_17constant_iteratorIjlEEPjPlSF_S6_NS0_8equal_toIjEEEE10hipError_tPvRmT2_T3_mT4_T5_T6_T7_T8_P12ihipStream_tbENKUlT_T0_E_clISt17integral_constantIbLb1EESZ_EEDaSU_SV_EUlSU_E_NS1_11comp_targetILNS1_3genE10ELNS1_11target_archE1201ELNS1_3gpuE5ELNS1_3repE0EEENS1_30default_config_static_selectorELNS0_4arch9wavefront6targetE0EEEvT1_.num_named_barrier, 0
	.set _ZN7rocprim17ROCPRIM_400000_NS6detail17trampoline_kernelINS0_14default_configENS1_33run_length_encode_config_selectorIjjNS0_4plusIjEEEEZZNS1_33reduce_by_key_impl_wrapped_configILNS1_25lookback_scan_determinismE0ES3_S7_PKjNS0_17constant_iteratorIjlEEPjPlSF_S6_NS0_8equal_toIjEEEE10hipError_tPvRmT2_T3_mT4_T5_T6_T7_T8_P12ihipStream_tbENKUlT_T0_E_clISt17integral_constantIbLb1EESZ_EEDaSU_SV_EUlSU_E_NS1_11comp_targetILNS1_3genE10ELNS1_11target_archE1201ELNS1_3gpuE5ELNS1_3repE0EEENS1_30default_config_static_selectorELNS0_4arch9wavefront6targetE0EEEvT1_.private_seg_size, 0
	.set _ZN7rocprim17ROCPRIM_400000_NS6detail17trampoline_kernelINS0_14default_configENS1_33run_length_encode_config_selectorIjjNS0_4plusIjEEEEZZNS1_33reduce_by_key_impl_wrapped_configILNS1_25lookback_scan_determinismE0ES3_S7_PKjNS0_17constant_iteratorIjlEEPjPlSF_S6_NS0_8equal_toIjEEEE10hipError_tPvRmT2_T3_mT4_T5_T6_T7_T8_P12ihipStream_tbENKUlT_T0_E_clISt17integral_constantIbLb1EESZ_EEDaSU_SV_EUlSU_E_NS1_11comp_targetILNS1_3genE10ELNS1_11target_archE1201ELNS1_3gpuE5ELNS1_3repE0EEENS1_30default_config_static_selectorELNS0_4arch9wavefront6targetE0EEEvT1_.uses_vcc, 0
	.set _ZN7rocprim17ROCPRIM_400000_NS6detail17trampoline_kernelINS0_14default_configENS1_33run_length_encode_config_selectorIjjNS0_4plusIjEEEEZZNS1_33reduce_by_key_impl_wrapped_configILNS1_25lookback_scan_determinismE0ES3_S7_PKjNS0_17constant_iteratorIjlEEPjPlSF_S6_NS0_8equal_toIjEEEE10hipError_tPvRmT2_T3_mT4_T5_T6_T7_T8_P12ihipStream_tbENKUlT_T0_E_clISt17integral_constantIbLb1EESZ_EEDaSU_SV_EUlSU_E_NS1_11comp_targetILNS1_3genE10ELNS1_11target_archE1201ELNS1_3gpuE5ELNS1_3repE0EEENS1_30default_config_static_selectorELNS0_4arch9wavefront6targetE0EEEvT1_.uses_flat_scratch, 0
	.set _ZN7rocprim17ROCPRIM_400000_NS6detail17trampoline_kernelINS0_14default_configENS1_33run_length_encode_config_selectorIjjNS0_4plusIjEEEEZZNS1_33reduce_by_key_impl_wrapped_configILNS1_25lookback_scan_determinismE0ES3_S7_PKjNS0_17constant_iteratorIjlEEPjPlSF_S6_NS0_8equal_toIjEEEE10hipError_tPvRmT2_T3_mT4_T5_T6_T7_T8_P12ihipStream_tbENKUlT_T0_E_clISt17integral_constantIbLb1EESZ_EEDaSU_SV_EUlSU_E_NS1_11comp_targetILNS1_3genE10ELNS1_11target_archE1201ELNS1_3gpuE5ELNS1_3repE0EEENS1_30default_config_static_selectorELNS0_4arch9wavefront6targetE0EEEvT1_.has_dyn_sized_stack, 0
	.set _ZN7rocprim17ROCPRIM_400000_NS6detail17trampoline_kernelINS0_14default_configENS1_33run_length_encode_config_selectorIjjNS0_4plusIjEEEEZZNS1_33reduce_by_key_impl_wrapped_configILNS1_25lookback_scan_determinismE0ES3_S7_PKjNS0_17constant_iteratorIjlEEPjPlSF_S6_NS0_8equal_toIjEEEE10hipError_tPvRmT2_T3_mT4_T5_T6_T7_T8_P12ihipStream_tbENKUlT_T0_E_clISt17integral_constantIbLb1EESZ_EEDaSU_SV_EUlSU_E_NS1_11comp_targetILNS1_3genE10ELNS1_11target_archE1201ELNS1_3gpuE5ELNS1_3repE0EEENS1_30default_config_static_selectorELNS0_4arch9wavefront6targetE0EEEvT1_.has_recursion, 0
	.set _ZN7rocprim17ROCPRIM_400000_NS6detail17trampoline_kernelINS0_14default_configENS1_33run_length_encode_config_selectorIjjNS0_4plusIjEEEEZZNS1_33reduce_by_key_impl_wrapped_configILNS1_25lookback_scan_determinismE0ES3_S7_PKjNS0_17constant_iteratorIjlEEPjPlSF_S6_NS0_8equal_toIjEEEE10hipError_tPvRmT2_T3_mT4_T5_T6_T7_T8_P12ihipStream_tbENKUlT_T0_E_clISt17integral_constantIbLb1EESZ_EEDaSU_SV_EUlSU_E_NS1_11comp_targetILNS1_3genE10ELNS1_11target_archE1201ELNS1_3gpuE5ELNS1_3repE0EEENS1_30default_config_static_selectorELNS0_4arch9wavefront6targetE0EEEvT1_.has_indirect_call, 0
	.section	.AMDGPU.csdata,"",@progbits
; Kernel info:
; codeLenInByte = 0
; TotalNumSgprs: 0
; NumVgprs: 0
; ScratchSize: 0
; MemoryBound: 0
; FloatMode: 240
; IeeeMode: 1
; LDSByteSize: 0 bytes/workgroup (compile time only)
; SGPRBlocks: 0
; VGPRBlocks: 0
; NumSGPRsForWavesPerEU: 1
; NumVGPRsForWavesPerEU: 1
; NamedBarCnt: 0
; Occupancy: 16
; WaveLimiterHint : 0
; COMPUTE_PGM_RSRC2:SCRATCH_EN: 0
; COMPUTE_PGM_RSRC2:USER_SGPR: 2
; COMPUTE_PGM_RSRC2:TRAP_HANDLER: 0
; COMPUTE_PGM_RSRC2:TGID_X_EN: 1
; COMPUTE_PGM_RSRC2:TGID_Y_EN: 0
; COMPUTE_PGM_RSRC2:TGID_Z_EN: 0
; COMPUTE_PGM_RSRC2:TIDIG_COMP_CNT: 0
	.section	.text._ZN7rocprim17ROCPRIM_400000_NS6detail17trampoline_kernelINS0_14default_configENS1_33run_length_encode_config_selectorIjjNS0_4plusIjEEEEZZNS1_33reduce_by_key_impl_wrapped_configILNS1_25lookback_scan_determinismE0ES3_S7_PKjNS0_17constant_iteratorIjlEEPjPlSF_S6_NS0_8equal_toIjEEEE10hipError_tPvRmT2_T3_mT4_T5_T6_T7_T8_P12ihipStream_tbENKUlT_T0_E_clISt17integral_constantIbLb1EESZ_EEDaSU_SV_EUlSU_E_NS1_11comp_targetILNS1_3genE10ELNS1_11target_archE1200ELNS1_3gpuE4ELNS1_3repE0EEENS1_30default_config_static_selectorELNS0_4arch9wavefront6targetE0EEEvT1_,"axG",@progbits,_ZN7rocprim17ROCPRIM_400000_NS6detail17trampoline_kernelINS0_14default_configENS1_33run_length_encode_config_selectorIjjNS0_4plusIjEEEEZZNS1_33reduce_by_key_impl_wrapped_configILNS1_25lookback_scan_determinismE0ES3_S7_PKjNS0_17constant_iteratorIjlEEPjPlSF_S6_NS0_8equal_toIjEEEE10hipError_tPvRmT2_T3_mT4_T5_T6_T7_T8_P12ihipStream_tbENKUlT_T0_E_clISt17integral_constantIbLb1EESZ_EEDaSU_SV_EUlSU_E_NS1_11comp_targetILNS1_3genE10ELNS1_11target_archE1200ELNS1_3gpuE4ELNS1_3repE0EEENS1_30default_config_static_selectorELNS0_4arch9wavefront6targetE0EEEvT1_,comdat
	.protected	_ZN7rocprim17ROCPRIM_400000_NS6detail17trampoline_kernelINS0_14default_configENS1_33run_length_encode_config_selectorIjjNS0_4plusIjEEEEZZNS1_33reduce_by_key_impl_wrapped_configILNS1_25lookback_scan_determinismE0ES3_S7_PKjNS0_17constant_iteratorIjlEEPjPlSF_S6_NS0_8equal_toIjEEEE10hipError_tPvRmT2_T3_mT4_T5_T6_T7_T8_P12ihipStream_tbENKUlT_T0_E_clISt17integral_constantIbLb1EESZ_EEDaSU_SV_EUlSU_E_NS1_11comp_targetILNS1_3genE10ELNS1_11target_archE1200ELNS1_3gpuE4ELNS1_3repE0EEENS1_30default_config_static_selectorELNS0_4arch9wavefront6targetE0EEEvT1_ ; -- Begin function _ZN7rocprim17ROCPRIM_400000_NS6detail17trampoline_kernelINS0_14default_configENS1_33run_length_encode_config_selectorIjjNS0_4plusIjEEEEZZNS1_33reduce_by_key_impl_wrapped_configILNS1_25lookback_scan_determinismE0ES3_S7_PKjNS0_17constant_iteratorIjlEEPjPlSF_S6_NS0_8equal_toIjEEEE10hipError_tPvRmT2_T3_mT4_T5_T6_T7_T8_P12ihipStream_tbENKUlT_T0_E_clISt17integral_constantIbLb1EESZ_EEDaSU_SV_EUlSU_E_NS1_11comp_targetILNS1_3genE10ELNS1_11target_archE1200ELNS1_3gpuE4ELNS1_3repE0EEENS1_30default_config_static_selectorELNS0_4arch9wavefront6targetE0EEEvT1_
	.globl	_ZN7rocprim17ROCPRIM_400000_NS6detail17trampoline_kernelINS0_14default_configENS1_33run_length_encode_config_selectorIjjNS0_4plusIjEEEEZZNS1_33reduce_by_key_impl_wrapped_configILNS1_25lookback_scan_determinismE0ES3_S7_PKjNS0_17constant_iteratorIjlEEPjPlSF_S6_NS0_8equal_toIjEEEE10hipError_tPvRmT2_T3_mT4_T5_T6_T7_T8_P12ihipStream_tbENKUlT_T0_E_clISt17integral_constantIbLb1EESZ_EEDaSU_SV_EUlSU_E_NS1_11comp_targetILNS1_3genE10ELNS1_11target_archE1200ELNS1_3gpuE4ELNS1_3repE0EEENS1_30default_config_static_selectorELNS0_4arch9wavefront6targetE0EEEvT1_
	.p2align	8
	.type	_ZN7rocprim17ROCPRIM_400000_NS6detail17trampoline_kernelINS0_14default_configENS1_33run_length_encode_config_selectorIjjNS0_4plusIjEEEEZZNS1_33reduce_by_key_impl_wrapped_configILNS1_25lookback_scan_determinismE0ES3_S7_PKjNS0_17constant_iteratorIjlEEPjPlSF_S6_NS0_8equal_toIjEEEE10hipError_tPvRmT2_T3_mT4_T5_T6_T7_T8_P12ihipStream_tbENKUlT_T0_E_clISt17integral_constantIbLb1EESZ_EEDaSU_SV_EUlSU_E_NS1_11comp_targetILNS1_3genE10ELNS1_11target_archE1200ELNS1_3gpuE4ELNS1_3repE0EEENS1_30default_config_static_selectorELNS0_4arch9wavefront6targetE0EEEvT1_,@function
_ZN7rocprim17ROCPRIM_400000_NS6detail17trampoline_kernelINS0_14default_configENS1_33run_length_encode_config_selectorIjjNS0_4plusIjEEEEZZNS1_33reduce_by_key_impl_wrapped_configILNS1_25lookback_scan_determinismE0ES3_S7_PKjNS0_17constant_iteratorIjlEEPjPlSF_S6_NS0_8equal_toIjEEEE10hipError_tPvRmT2_T3_mT4_T5_T6_T7_T8_P12ihipStream_tbENKUlT_T0_E_clISt17integral_constantIbLb1EESZ_EEDaSU_SV_EUlSU_E_NS1_11comp_targetILNS1_3genE10ELNS1_11target_archE1200ELNS1_3gpuE4ELNS1_3repE0EEENS1_30default_config_static_selectorELNS0_4arch9wavefront6targetE0EEEvT1_: ; @_ZN7rocprim17ROCPRIM_400000_NS6detail17trampoline_kernelINS0_14default_configENS1_33run_length_encode_config_selectorIjjNS0_4plusIjEEEEZZNS1_33reduce_by_key_impl_wrapped_configILNS1_25lookback_scan_determinismE0ES3_S7_PKjNS0_17constant_iteratorIjlEEPjPlSF_S6_NS0_8equal_toIjEEEE10hipError_tPvRmT2_T3_mT4_T5_T6_T7_T8_P12ihipStream_tbENKUlT_T0_E_clISt17integral_constantIbLb1EESZ_EEDaSU_SV_EUlSU_E_NS1_11comp_targetILNS1_3genE10ELNS1_11target_archE1200ELNS1_3gpuE4ELNS1_3repE0EEENS1_30default_config_static_selectorELNS0_4arch9wavefront6targetE0EEEvT1_
; %bb.0:
	.section	.rodata,"a",@progbits
	.p2align	6, 0x0
	.amdhsa_kernel _ZN7rocprim17ROCPRIM_400000_NS6detail17trampoline_kernelINS0_14default_configENS1_33run_length_encode_config_selectorIjjNS0_4plusIjEEEEZZNS1_33reduce_by_key_impl_wrapped_configILNS1_25lookback_scan_determinismE0ES3_S7_PKjNS0_17constant_iteratorIjlEEPjPlSF_S6_NS0_8equal_toIjEEEE10hipError_tPvRmT2_T3_mT4_T5_T6_T7_T8_P12ihipStream_tbENKUlT_T0_E_clISt17integral_constantIbLb1EESZ_EEDaSU_SV_EUlSU_E_NS1_11comp_targetILNS1_3genE10ELNS1_11target_archE1200ELNS1_3gpuE4ELNS1_3repE0EEENS1_30default_config_static_selectorELNS0_4arch9wavefront6targetE0EEEvT1_
		.amdhsa_group_segment_fixed_size 0
		.amdhsa_private_segment_fixed_size 0
		.amdhsa_kernarg_size 128
		.amdhsa_user_sgpr_count 2
		.amdhsa_user_sgpr_dispatch_ptr 0
		.amdhsa_user_sgpr_queue_ptr 0
		.amdhsa_user_sgpr_kernarg_segment_ptr 1
		.amdhsa_user_sgpr_dispatch_id 0
		.amdhsa_user_sgpr_kernarg_preload_length 0
		.amdhsa_user_sgpr_kernarg_preload_offset 0
		.amdhsa_user_sgpr_private_segment_size 0
		.amdhsa_wavefront_size32 1
		.amdhsa_uses_dynamic_stack 0
		.amdhsa_enable_private_segment 0
		.amdhsa_system_sgpr_workgroup_id_x 1
		.amdhsa_system_sgpr_workgroup_id_y 0
		.amdhsa_system_sgpr_workgroup_id_z 0
		.amdhsa_system_sgpr_workgroup_info 0
		.amdhsa_system_vgpr_workitem_id 0
		.amdhsa_next_free_vgpr 1
		.amdhsa_next_free_sgpr 1
		.amdhsa_named_barrier_count 0
		.amdhsa_reserve_vcc 0
		.amdhsa_float_round_mode_32 0
		.amdhsa_float_round_mode_16_64 0
		.amdhsa_float_denorm_mode_32 3
		.amdhsa_float_denorm_mode_16_64 3
		.amdhsa_fp16_overflow 0
		.amdhsa_memory_ordered 1
		.amdhsa_forward_progress 1
		.amdhsa_inst_pref_size 0
		.amdhsa_round_robin_scheduling 0
		.amdhsa_exception_fp_ieee_invalid_op 0
		.amdhsa_exception_fp_denorm_src 0
		.amdhsa_exception_fp_ieee_div_zero 0
		.amdhsa_exception_fp_ieee_overflow 0
		.amdhsa_exception_fp_ieee_underflow 0
		.amdhsa_exception_fp_ieee_inexact 0
		.amdhsa_exception_int_div_zero 0
	.end_amdhsa_kernel
	.section	.text._ZN7rocprim17ROCPRIM_400000_NS6detail17trampoline_kernelINS0_14default_configENS1_33run_length_encode_config_selectorIjjNS0_4plusIjEEEEZZNS1_33reduce_by_key_impl_wrapped_configILNS1_25lookback_scan_determinismE0ES3_S7_PKjNS0_17constant_iteratorIjlEEPjPlSF_S6_NS0_8equal_toIjEEEE10hipError_tPvRmT2_T3_mT4_T5_T6_T7_T8_P12ihipStream_tbENKUlT_T0_E_clISt17integral_constantIbLb1EESZ_EEDaSU_SV_EUlSU_E_NS1_11comp_targetILNS1_3genE10ELNS1_11target_archE1200ELNS1_3gpuE4ELNS1_3repE0EEENS1_30default_config_static_selectorELNS0_4arch9wavefront6targetE0EEEvT1_,"axG",@progbits,_ZN7rocprim17ROCPRIM_400000_NS6detail17trampoline_kernelINS0_14default_configENS1_33run_length_encode_config_selectorIjjNS0_4plusIjEEEEZZNS1_33reduce_by_key_impl_wrapped_configILNS1_25lookback_scan_determinismE0ES3_S7_PKjNS0_17constant_iteratorIjlEEPjPlSF_S6_NS0_8equal_toIjEEEE10hipError_tPvRmT2_T3_mT4_T5_T6_T7_T8_P12ihipStream_tbENKUlT_T0_E_clISt17integral_constantIbLb1EESZ_EEDaSU_SV_EUlSU_E_NS1_11comp_targetILNS1_3genE10ELNS1_11target_archE1200ELNS1_3gpuE4ELNS1_3repE0EEENS1_30default_config_static_selectorELNS0_4arch9wavefront6targetE0EEEvT1_,comdat
.Lfunc_end664:
	.size	_ZN7rocprim17ROCPRIM_400000_NS6detail17trampoline_kernelINS0_14default_configENS1_33run_length_encode_config_selectorIjjNS0_4plusIjEEEEZZNS1_33reduce_by_key_impl_wrapped_configILNS1_25lookback_scan_determinismE0ES3_S7_PKjNS0_17constant_iteratorIjlEEPjPlSF_S6_NS0_8equal_toIjEEEE10hipError_tPvRmT2_T3_mT4_T5_T6_T7_T8_P12ihipStream_tbENKUlT_T0_E_clISt17integral_constantIbLb1EESZ_EEDaSU_SV_EUlSU_E_NS1_11comp_targetILNS1_3genE10ELNS1_11target_archE1200ELNS1_3gpuE4ELNS1_3repE0EEENS1_30default_config_static_selectorELNS0_4arch9wavefront6targetE0EEEvT1_, .Lfunc_end664-_ZN7rocprim17ROCPRIM_400000_NS6detail17trampoline_kernelINS0_14default_configENS1_33run_length_encode_config_selectorIjjNS0_4plusIjEEEEZZNS1_33reduce_by_key_impl_wrapped_configILNS1_25lookback_scan_determinismE0ES3_S7_PKjNS0_17constant_iteratorIjlEEPjPlSF_S6_NS0_8equal_toIjEEEE10hipError_tPvRmT2_T3_mT4_T5_T6_T7_T8_P12ihipStream_tbENKUlT_T0_E_clISt17integral_constantIbLb1EESZ_EEDaSU_SV_EUlSU_E_NS1_11comp_targetILNS1_3genE10ELNS1_11target_archE1200ELNS1_3gpuE4ELNS1_3repE0EEENS1_30default_config_static_selectorELNS0_4arch9wavefront6targetE0EEEvT1_
                                        ; -- End function
	.set _ZN7rocprim17ROCPRIM_400000_NS6detail17trampoline_kernelINS0_14default_configENS1_33run_length_encode_config_selectorIjjNS0_4plusIjEEEEZZNS1_33reduce_by_key_impl_wrapped_configILNS1_25lookback_scan_determinismE0ES3_S7_PKjNS0_17constant_iteratorIjlEEPjPlSF_S6_NS0_8equal_toIjEEEE10hipError_tPvRmT2_T3_mT4_T5_T6_T7_T8_P12ihipStream_tbENKUlT_T0_E_clISt17integral_constantIbLb1EESZ_EEDaSU_SV_EUlSU_E_NS1_11comp_targetILNS1_3genE10ELNS1_11target_archE1200ELNS1_3gpuE4ELNS1_3repE0EEENS1_30default_config_static_selectorELNS0_4arch9wavefront6targetE0EEEvT1_.num_vgpr, 0
	.set _ZN7rocprim17ROCPRIM_400000_NS6detail17trampoline_kernelINS0_14default_configENS1_33run_length_encode_config_selectorIjjNS0_4plusIjEEEEZZNS1_33reduce_by_key_impl_wrapped_configILNS1_25lookback_scan_determinismE0ES3_S7_PKjNS0_17constant_iteratorIjlEEPjPlSF_S6_NS0_8equal_toIjEEEE10hipError_tPvRmT2_T3_mT4_T5_T6_T7_T8_P12ihipStream_tbENKUlT_T0_E_clISt17integral_constantIbLb1EESZ_EEDaSU_SV_EUlSU_E_NS1_11comp_targetILNS1_3genE10ELNS1_11target_archE1200ELNS1_3gpuE4ELNS1_3repE0EEENS1_30default_config_static_selectorELNS0_4arch9wavefront6targetE0EEEvT1_.num_agpr, 0
	.set _ZN7rocprim17ROCPRIM_400000_NS6detail17trampoline_kernelINS0_14default_configENS1_33run_length_encode_config_selectorIjjNS0_4plusIjEEEEZZNS1_33reduce_by_key_impl_wrapped_configILNS1_25lookback_scan_determinismE0ES3_S7_PKjNS0_17constant_iteratorIjlEEPjPlSF_S6_NS0_8equal_toIjEEEE10hipError_tPvRmT2_T3_mT4_T5_T6_T7_T8_P12ihipStream_tbENKUlT_T0_E_clISt17integral_constantIbLb1EESZ_EEDaSU_SV_EUlSU_E_NS1_11comp_targetILNS1_3genE10ELNS1_11target_archE1200ELNS1_3gpuE4ELNS1_3repE0EEENS1_30default_config_static_selectorELNS0_4arch9wavefront6targetE0EEEvT1_.numbered_sgpr, 0
	.set _ZN7rocprim17ROCPRIM_400000_NS6detail17trampoline_kernelINS0_14default_configENS1_33run_length_encode_config_selectorIjjNS0_4plusIjEEEEZZNS1_33reduce_by_key_impl_wrapped_configILNS1_25lookback_scan_determinismE0ES3_S7_PKjNS0_17constant_iteratorIjlEEPjPlSF_S6_NS0_8equal_toIjEEEE10hipError_tPvRmT2_T3_mT4_T5_T6_T7_T8_P12ihipStream_tbENKUlT_T0_E_clISt17integral_constantIbLb1EESZ_EEDaSU_SV_EUlSU_E_NS1_11comp_targetILNS1_3genE10ELNS1_11target_archE1200ELNS1_3gpuE4ELNS1_3repE0EEENS1_30default_config_static_selectorELNS0_4arch9wavefront6targetE0EEEvT1_.num_named_barrier, 0
	.set _ZN7rocprim17ROCPRIM_400000_NS6detail17trampoline_kernelINS0_14default_configENS1_33run_length_encode_config_selectorIjjNS0_4plusIjEEEEZZNS1_33reduce_by_key_impl_wrapped_configILNS1_25lookback_scan_determinismE0ES3_S7_PKjNS0_17constant_iteratorIjlEEPjPlSF_S6_NS0_8equal_toIjEEEE10hipError_tPvRmT2_T3_mT4_T5_T6_T7_T8_P12ihipStream_tbENKUlT_T0_E_clISt17integral_constantIbLb1EESZ_EEDaSU_SV_EUlSU_E_NS1_11comp_targetILNS1_3genE10ELNS1_11target_archE1200ELNS1_3gpuE4ELNS1_3repE0EEENS1_30default_config_static_selectorELNS0_4arch9wavefront6targetE0EEEvT1_.private_seg_size, 0
	.set _ZN7rocprim17ROCPRIM_400000_NS6detail17trampoline_kernelINS0_14default_configENS1_33run_length_encode_config_selectorIjjNS0_4plusIjEEEEZZNS1_33reduce_by_key_impl_wrapped_configILNS1_25lookback_scan_determinismE0ES3_S7_PKjNS0_17constant_iteratorIjlEEPjPlSF_S6_NS0_8equal_toIjEEEE10hipError_tPvRmT2_T3_mT4_T5_T6_T7_T8_P12ihipStream_tbENKUlT_T0_E_clISt17integral_constantIbLb1EESZ_EEDaSU_SV_EUlSU_E_NS1_11comp_targetILNS1_3genE10ELNS1_11target_archE1200ELNS1_3gpuE4ELNS1_3repE0EEENS1_30default_config_static_selectorELNS0_4arch9wavefront6targetE0EEEvT1_.uses_vcc, 0
	.set _ZN7rocprim17ROCPRIM_400000_NS6detail17trampoline_kernelINS0_14default_configENS1_33run_length_encode_config_selectorIjjNS0_4plusIjEEEEZZNS1_33reduce_by_key_impl_wrapped_configILNS1_25lookback_scan_determinismE0ES3_S7_PKjNS0_17constant_iteratorIjlEEPjPlSF_S6_NS0_8equal_toIjEEEE10hipError_tPvRmT2_T3_mT4_T5_T6_T7_T8_P12ihipStream_tbENKUlT_T0_E_clISt17integral_constantIbLb1EESZ_EEDaSU_SV_EUlSU_E_NS1_11comp_targetILNS1_3genE10ELNS1_11target_archE1200ELNS1_3gpuE4ELNS1_3repE0EEENS1_30default_config_static_selectorELNS0_4arch9wavefront6targetE0EEEvT1_.uses_flat_scratch, 0
	.set _ZN7rocprim17ROCPRIM_400000_NS6detail17trampoline_kernelINS0_14default_configENS1_33run_length_encode_config_selectorIjjNS0_4plusIjEEEEZZNS1_33reduce_by_key_impl_wrapped_configILNS1_25lookback_scan_determinismE0ES3_S7_PKjNS0_17constant_iteratorIjlEEPjPlSF_S6_NS0_8equal_toIjEEEE10hipError_tPvRmT2_T3_mT4_T5_T6_T7_T8_P12ihipStream_tbENKUlT_T0_E_clISt17integral_constantIbLb1EESZ_EEDaSU_SV_EUlSU_E_NS1_11comp_targetILNS1_3genE10ELNS1_11target_archE1200ELNS1_3gpuE4ELNS1_3repE0EEENS1_30default_config_static_selectorELNS0_4arch9wavefront6targetE0EEEvT1_.has_dyn_sized_stack, 0
	.set _ZN7rocprim17ROCPRIM_400000_NS6detail17trampoline_kernelINS0_14default_configENS1_33run_length_encode_config_selectorIjjNS0_4plusIjEEEEZZNS1_33reduce_by_key_impl_wrapped_configILNS1_25lookback_scan_determinismE0ES3_S7_PKjNS0_17constant_iteratorIjlEEPjPlSF_S6_NS0_8equal_toIjEEEE10hipError_tPvRmT2_T3_mT4_T5_T6_T7_T8_P12ihipStream_tbENKUlT_T0_E_clISt17integral_constantIbLb1EESZ_EEDaSU_SV_EUlSU_E_NS1_11comp_targetILNS1_3genE10ELNS1_11target_archE1200ELNS1_3gpuE4ELNS1_3repE0EEENS1_30default_config_static_selectorELNS0_4arch9wavefront6targetE0EEEvT1_.has_recursion, 0
	.set _ZN7rocprim17ROCPRIM_400000_NS6detail17trampoline_kernelINS0_14default_configENS1_33run_length_encode_config_selectorIjjNS0_4plusIjEEEEZZNS1_33reduce_by_key_impl_wrapped_configILNS1_25lookback_scan_determinismE0ES3_S7_PKjNS0_17constant_iteratorIjlEEPjPlSF_S6_NS0_8equal_toIjEEEE10hipError_tPvRmT2_T3_mT4_T5_T6_T7_T8_P12ihipStream_tbENKUlT_T0_E_clISt17integral_constantIbLb1EESZ_EEDaSU_SV_EUlSU_E_NS1_11comp_targetILNS1_3genE10ELNS1_11target_archE1200ELNS1_3gpuE4ELNS1_3repE0EEENS1_30default_config_static_selectorELNS0_4arch9wavefront6targetE0EEEvT1_.has_indirect_call, 0
	.section	.AMDGPU.csdata,"",@progbits
; Kernel info:
; codeLenInByte = 0
; TotalNumSgprs: 0
; NumVgprs: 0
; ScratchSize: 0
; MemoryBound: 0
; FloatMode: 240
; IeeeMode: 1
; LDSByteSize: 0 bytes/workgroup (compile time only)
; SGPRBlocks: 0
; VGPRBlocks: 0
; NumSGPRsForWavesPerEU: 1
; NumVGPRsForWavesPerEU: 1
; NamedBarCnt: 0
; Occupancy: 16
; WaveLimiterHint : 0
; COMPUTE_PGM_RSRC2:SCRATCH_EN: 0
; COMPUTE_PGM_RSRC2:USER_SGPR: 2
; COMPUTE_PGM_RSRC2:TRAP_HANDLER: 0
; COMPUTE_PGM_RSRC2:TGID_X_EN: 1
; COMPUTE_PGM_RSRC2:TGID_Y_EN: 0
; COMPUTE_PGM_RSRC2:TGID_Z_EN: 0
; COMPUTE_PGM_RSRC2:TIDIG_COMP_CNT: 0
	.section	.text._ZN7rocprim17ROCPRIM_400000_NS6detail17trampoline_kernelINS0_14default_configENS1_33run_length_encode_config_selectorIjjNS0_4plusIjEEEEZZNS1_33reduce_by_key_impl_wrapped_configILNS1_25lookback_scan_determinismE0ES3_S7_PKjNS0_17constant_iteratorIjlEEPjPlSF_S6_NS0_8equal_toIjEEEE10hipError_tPvRmT2_T3_mT4_T5_T6_T7_T8_P12ihipStream_tbENKUlT_T0_E_clISt17integral_constantIbLb1EESZ_EEDaSU_SV_EUlSU_E_NS1_11comp_targetILNS1_3genE9ELNS1_11target_archE1100ELNS1_3gpuE3ELNS1_3repE0EEENS1_30default_config_static_selectorELNS0_4arch9wavefront6targetE0EEEvT1_,"axG",@progbits,_ZN7rocprim17ROCPRIM_400000_NS6detail17trampoline_kernelINS0_14default_configENS1_33run_length_encode_config_selectorIjjNS0_4plusIjEEEEZZNS1_33reduce_by_key_impl_wrapped_configILNS1_25lookback_scan_determinismE0ES3_S7_PKjNS0_17constant_iteratorIjlEEPjPlSF_S6_NS0_8equal_toIjEEEE10hipError_tPvRmT2_T3_mT4_T5_T6_T7_T8_P12ihipStream_tbENKUlT_T0_E_clISt17integral_constantIbLb1EESZ_EEDaSU_SV_EUlSU_E_NS1_11comp_targetILNS1_3genE9ELNS1_11target_archE1100ELNS1_3gpuE3ELNS1_3repE0EEENS1_30default_config_static_selectorELNS0_4arch9wavefront6targetE0EEEvT1_,comdat
	.protected	_ZN7rocprim17ROCPRIM_400000_NS6detail17trampoline_kernelINS0_14default_configENS1_33run_length_encode_config_selectorIjjNS0_4plusIjEEEEZZNS1_33reduce_by_key_impl_wrapped_configILNS1_25lookback_scan_determinismE0ES3_S7_PKjNS0_17constant_iteratorIjlEEPjPlSF_S6_NS0_8equal_toIjEEEE10hipError_tPvRmT2_T3_mT4_T5_T6_T7_T8_P12ihipStream_tbENKUlT_T0_E_clISt17integral_constantIbLb1EESZ_EEDaSU_SV_EUlSU_E_NS1_11comp_targetILNS1_3genE9ELNS1_11target_archE1100ELNS1_3gpuE3ELNS1_3repE0EEENS1_30default_config_static_selectorELNS0_4arch9wavefront6targetE0EEEvT1_ ; -- Begin function _ZN7rocprim17ROCPRIM_400000_NS6detail17trampoline_kernelINS0_14default_configENS1_33run_length_encode_config_selectorIjjNS0_4plusIjEEEEZZNS1_33reduce_by_key_impl_wrapped_configILNS1_25lookback_scan_determinismE0ES3_S7_PKjNS0_17constant_iteratorIjlEEPjPlSF_S6_NS0_8equal_toIjEEEE10hipError_tPvRmT2_T3_mT4_T5_T6_T7_T8_P12ihipStream_tbENKUlT_T0_E_clISt17integral_constantIbLb1EESZ_EEDaSU_SV_EUlSU_E_NS1_11comp_targetILNS1_3genE9ELNS1_11target_archE1100ELNS1_3gpuE3ELNS1_3repE0EEENS1_30default_config_static_selectorELNS0_4arch9wavefront6targetE0EEEvT1_
	.globl	_ZN7rocprim17ROCPRIM_400000_NS6detail17trampoline_kernelINS0_14default_configENS1_33run_length_encode_config_selectorIjjNS0_4plusIjEEEEZZNS1_33reduce_by_key_impl_wrapped_configILNS1_25lookback_scan_determinismE0ES3_S7_PKjNS0_17constant_iteratorIjlEEPjPlSF_S6_NS0_8equal_toIjEEEE10hipError_tPvRmT2_T3_mT4_T5_T6_T7_T8_P12ihipStream_tbENKUlT_T0_E_clISt17integral_constantIbLb1EESZ_EEDaSU_SV_EUlSU_E_NS1_11comp_targetILNS1_3genE9ELNS1_11target_archE1100ELNS1_3gpuE3ELNS1_3repE0EEENS1_30default_config_static_selectorELNS0_4arch9wavefront6targetE0EEEvT1_
	.p2align	8
	.type	_ZN7rocprim17ROCPRIM_400000_NS6detail17trampoline_kernelINS0_14default_configENS1_33run_length_encode_config_selectorIjjNS0_4plusIjEEEEZZNS1_33reduce_by_key_impl_wrapped_configILNS1_25lookback_scan_determinismE0ES3_S7_PKjNS0_17constant_iteratorIjlEEPjPlSF_S6_NS0_8equal_toIjEEEE10hipError_tPvRmT2_T3_mT4_T5_T6_T7_T8_P12ihipStream_tbENKUlT_T0_E_clISt17integral_constantIbLb1EESZ_EEDaSU_SV_EUlSU_E_NS1_11comp_targetILNS1_3genE9ELNS1_11target_archE1100ELNS1_3gpuE3ELNS1_3repE0EEENS1_30default_config_static_selectorELNS0_4arch9wavefront6targetE0EEEvT1_,@function
_ZN7rocprim17ROCPRIM_400000_NS6detail17trampoline_kernelINS0_14default_configENS1_33run_length_encode_config_selectorIjjNS0_4plusIjEEEEZZNS1_33reduce_by_key_impl_wrapped_configILNS1_25lookback_scan_determinismE0ES3_S7_PKjNS0_17constant_iteratorIjlEEPjPlSF_S6_NS0_8equal_toIjEEEE10hipError_tPvRmT2_T3_mT4_T5_T6_T7_T8_P12ihipStream_tbENKUlT_T0_E_clISt17integral_constantIbLb1EESZ_EEDaSU_SV_EUlSU_E_NS1_11comp_targetILNS1_3genE9ELNS1_11target_archE1100ELNS1_3gpuE3ELNS1_3repE0EEENS1_30default_config_static_selectorELNS0_4arch9wavefront6targetE0EEEvT1_: ; @_ZN7rocprim17ROCPRIM_400000_NS6detail17trampoline_kernelINS0_14default_configENS1_33run_length_encode_config_selectorIjjNS0_4plusIjEEEEZZNS1_33reduce_by_key_impl_wrapped_configILNS1_25lookback_scan_determinismE0ES3_S7_PKjNS0_17constant_iteratorIjlEEPjPlSF_S6_NS0_8equal_toIjEEEE10hipError_tPvRmT2_T3_mT4_T5_T6_T7_T8_P12ihipStream_tbENKUlT_T0_E_clISt17integral_constantIbLb1EESZ_EEDaSU_SV_EUlSU_E_NS1_11comp_targetILNS1_3genE9ELNS1_11target_archE1100ELNS1_3gpuE3ELNS1_3repE0EEENS1_30default_config_static_selectorELNS0_4arch9wavefront6targetE0EEEvT1_
; %bb.0:
	.section	.rodata,"a",@progbits
	.p2align	6, 0x0
	.amdhsa_kernel _ZN7rocprim17ROCPRIM_400000_NS6detail17trampoline_kernelINS0_14default_configENS1_33run_length_encode_config_selectorIjjNS0_4plusIjEEEEZZNS1_33reduce_by_key_impl_wrapped_configILNS1_25lookback_scan_determinismE0ES3_S7_PKjNS0_17constant_iteratorIjlEEPjPlSF_S6_NS0_8equal_toIjEEEE10hipError_tPvRmT2_T3_mT4_T5_T6_T7_T8_P12ihipStream_tbENKUlT_T0_E_clISt17integral_constantIbLb1EESZ_EEDaSU_SV_EUlSU_E_NS1_11comp_targetILNS1_3genE9ELNS1_11target_archE1100ELNS1_3gpuE3ELNS1_3repE0EEENS1_30default_config_static_selectorELNS0_4arch9wavefront6targetE0EEEvT1_
		.amdhsa_group_segment_fixed_size 0
		.amdhsa_private_segment_fixed_size 0
		.amdhsa_kernarg_size 128
		.amdhsa_user_sgpr_count 2
		.amdhsa_user_sgpr_dispatch_ptr 0
		.amdhsa_user_sgpr_queue_ptr 0
		.amdhsa_user_sgpr_kernarg_segment_ptr 1
		.amdhsa_user_sgpr_dispatch_id 0
		.amdhsa_user_sgpr_kernarg_preload_length 0
		.amdhsa_user_sgpr_kernarg_preload_offset 0
		.amdhsa_user_sgpr_private_segment_size 0
		.amdhsa_wavefront_size32 1
		.amdhsa_uses_dynamic_stack 0
		.amdhsa_enable_private_segment 0
		.amdhsa_system_sgpr_workgroup_id_x 1
		.amdhsa_system_sgpr_workgroup_id_y 0
		.amdhsa_system_sgpr_workgroup_id_z 0
		.amdhsa_system_sgpr_workgroup_info 0
		.amdhsa_system_vgpr_workitem_id 0
		.amdhsa_next_free_vgpr 1
		.amdhsa_next_free_sgpr 1
		.amdhsa_named_barrier_count 0
		.amdhsa_reserve_vcc 0
		.amdhsa_float_round_mode_32 0
		.amdhsa_float_round_mode_16_64 0
		.amdhsa_float_denorm_mode_32 3
		.amdhsa_float_denorm_mode_16_64 3
		.amdhsa_fp16_overflow 0
		.amdhsa_memory_ordered 1
		.amdhsa_forward_progress 1
		.amdhsa_inst_pref_size 0
		.amdhsa_round_robin_scheduling 0
		.amdhsa_exception_fp_ieee_invalid_op 0
		.amdhsa_exception_fp_denorm_src 0
		.amdhsa_exception_fp_ieee_div_zero 0
		.amdhsa_exception_fp_ieee_overflow 0
		.amdhsa_exception_fp_ieee_underflow 0
		.amdhsa_exception_fp_ieee_inexact 0
		.amdhsa_exception_int_div_zero 0
	.end_amdhsa_kernel
	.section	.text._ZN7rocprim17ROCPRIM_400000_NS6detail17trampoline_kernelINS0_14default_configENS1_33run_length_encode_config_selectorIjjNS0_4plusIjEEEEZZNS1_33reduce_by_key_impl_wrapped_configILNS1_25lookback_scan_determinismE0ES3_S7_PKjNS0_17constant_iteratorIjlEEPjPlSF_S6_NS0_8equal_toIjEEEE10hipError_tPvRmT2_T3_mT4_T5_T6_T7_T8_P12ihipStream_tbENKUlT_T0_E_clISt17integral_constantIbLb1EESZ_EEDaSU_SV_EUlSU_E_NS1_11comp_targetILNS1_3genE9ELNS1_11target_archE1100ELNS1_3gpuE3ELNS1_3repE0EEENS1_30default_config_static_selectorELNS0_4arch9wavefront6targetE0EEEvT1_,"axG",@progbits,_ZN7rocprim17ROCPRIM_400000_NS6detail17trampoline_kernelINS0_14default_configENS1_33run_length_encode_config_selectorIjjNS0_4plusIjEEEEZZNS1_33reduce_by_key_impl_wrapped_configILNS1_25lookback_scan_determinismE0ES3_S7_PKjNS0_17constant_iteratorIjlEEPjPlSF_S6_NS0_8equal_toIjEEEE10hipError_tPvRmT2_T3_mT4_T5_T6_T7_T8_P12ihipStream_tbENKUlT_T0_E_clISt17integral_constantIbLb1EESZ_EEDaSU_SV_EUlSU_E_NS1_11comp_targetILNS1_3genE9ELNS1_11target_archE1100ELNS1_3gpuE3ELNS1_3repE0EEENS1_30default_config_static_selectorELNS0_4arch9wavefront6targetE0EEEvT1_,comdat
.Lfunc_end665:
	.size	_ZN7rocprim17ROCPRIM_400000_NS6detail17trampoline_kernelINS0_14default_configENS1_33run_length_encode_config_selectorIjjNS0_4plusIjEEEEZZNS1_33reduce_by_key_impl_wrapped_configILNS1_25lookback_scan_determinismE0ES3_S7_PKjNS0_17constant_iteratorIjlEEPjPlSF_S6_NS0_8equal_toIjEEEE10hipError_tPvRmT2_T3_mT4_T5_T6_T7_T8_P12ihipStream_tbENKUlT_T0_E_clISt17integral_constantIbLb1EESZ_EEDaSU_SV_EUlSU_E_NS1_11comp_targetILNS1_3genE9ELNS1_11target_archE1100ELNS1_3gpuE3ELNS1_3repE0EEENS1_30default_config_static_selectorELNS0_4arch9wavefront6targetE0EEEvT1_, .Lfunc_end665-_ZN7rocprim17ROCPRIM_400000_NS6detail17trampoline_kernelINS0_14default_configENS1_33run_length_encode_config_selectorIjjNS0_4plusIjEEEEZZNS1_33reduce_by_key_impl_wrapped_configILNS1_25lookback_scan_determinismE0ES3_S7_PKjNS0_17constant_iteratorIjlEEPjPlSF_S6_NS0_8equal_toIjEEEE10hipError_tPvRmT2_T3_mT4_T5_T6_T7_T8_P12ihipStream_tbENKUlT_T0_E_clISt17integral_constantIbLb1EESZ_EEDaSU_SV_EUlSU_E_NS1_11comp_targetILNS1_3genE9ELNS1_11target_archE1100ELNS1_3gpuE3ELNS1_3repE0EEENS1_30default_config_static_selectorELNS0_4arch9wavefront6targetE0EEEvT1_
                                        ; -- End function
	.set _ZN7rocprim17ROCPRIM_400000_NS6detail17trampoline_kernelINS0_14default_configENS1_33run_length_encode_config_selectorIjjNS0_4plusIjEEEEZZNS1_33reduce_by_key_impl_wrapped_configILNS1_25lookback_scan_determinismE0ES3_S7_PKjNS0_17constant_iteratorIjlEEPjPlSF_S6_NS0_8equal_toIjEEEE10hipError_tPvRmT2_T3_mT4_T5_T6_T7_T8_P12ihipStream_tbENKUlT_T0_E_clISt17integral_constantIbLb1EESZ_EEDaSU_SV_EUlSU_E_NS1_11comp_targetILNS1_3genE9ELNS1_11target_archE1100ELNS1_3gpuE3ELNS1_3repE0EEENS1_30default_config_static_selectorELNS0_4arch9wavefront6targetE0EEEvT1_.num_vgpr, 0
	.set _ZN7rocprim17ROCPRIM_400000_NS6detail17trampoline_kernelINS0_14default_configENS1_33run_length_encode_config_selectorIjjNS0_4plusIjEEEEZZNS1_33reduce_by_key_impl_wrapped_configILNS1_25lookback_scan_determinismE0ES3_S7_PKjNS0_17constant_iteratorIjlEEPjPlSF_S6_NS0_8equal_toIjEEEE10hipError_tPvRmT2_T3_mT4_T5_T6_T7_T8_P12ihipStream_tbENKUlT_T0_E_clISt17integral_constantIbLb1EESZ_EEDaSU_SV_EUlSU_E_NS1_11comp_targetILNS1_3genE9ELNS1_11target_archE1100ELNS1_3gpuE3ELNS1_3repE0EEENS1_30default_config_static_selectorELNS0_4arch9wavefront6targetE0EEEvT1_.num_agpr, 0
	.set _ZN7rocprim17ROCPRIM_400000_NS6detail17trampoline_kernelINS0_14default_configENS1_33run_length_encode_config_selectorIjjNS0_4plusIjEEEEZZNS1_33reduce_by_key_impl_wrapped_configILNS1_25lookback_scan_determinismE0ES3_S7_PKjNS0_17constant_iteratorIjlEEPjPlSF_S6_NS0_8equal_toIjEEEE10hipError_tPvRmT2_T3_mT4_T5_T6_T7_T8_P12ihipStream_tbENKUlT_T0_E_clISt17integral_constantIbLb1EESZ_EEDaSU_SV_EUlSU_E_NS1_11comp_targetILNS1_3genE9ELNS1_11target_archE1100ELNS1_3gpuE3ELNS1_3repE0EEENS1_30default_config_static_selectorELNS0_4arch9wavefront6targetE0EEEvT1_.numbered_sgpr, 0
	.set _ZN7rocprim17ROCPRIM_400000_NS6detail17trampoline_kernelINS0_14default_configENS1_33run_length_encode_config_selectorIjjNS0_4plusIjEEEEZZNS1_33reduce_by_key_impl_wrapped_configILNS1_25lookback_scan_determinismE0ES3_S7_PKjNS0_17constant_iteratorIjlEEPjPlSF_S6_NS0_8equal_toIjEEEE10hipError_tPvRmT2_T3_mT4_T5_T6_T7_T8_P12ihipStream_tbENKUlT_T0_E_clISt17integral_constantIbLb1EESZ_EEDaSU_SV_EUlSU_E_NS1_11comp_targetILNS1_3genE9ELNS1_11target_archE1100ELNS1_3gpuE3ELNS1_3repE0EEENS1_30default_config_static_selectorELNS0_4arch9wavefront6targetE0EEEvT1_.num_named_barrier, 0
	.set _ZN7rocprim17ROCPRIM_400000_NS6detail17trampoline_kernelINS0_14default_configENS1_33run_length_encode_config_selectorIjjNS0_4plusIjEEEEZZNS1_33reduce_by_key_impl_wrapped_configILNS1_25lookback_scan_determinismE0ES3_S7_PKjNS0_17constant_iteratorIjlEEPjPlSF_S6_NS0_8equal_toIjEEEE10hipError_tPvRmT2_T3_mT4_T5_T6_T7_T8_P12ihipStream_tbENKUlT_T0_E_clISt17integral_constantIbLb1EESZ_EEDaSU_SV_EUlSU_E_NS1_11comp_targetILNS1_3genE9ELNS1_11target_archE1100ELNS1_3gpuE3ELNS1_3repE0EEENS1_30default_config_static_selectorELNS0_4arch9wavefront6targetE0EEEvT1_.private_seg_size, 0
	.set _ZN7rocprim17ROCPRIM_400000_NS6detail17trampoline_kernelINS0_14default_configENS1_33run_length_encode_config_selectorIjjNS0_4plusIjEEEEZZNS1_33reduce_by_key_impl_wrapped_configILNS1_25lookback_scan_determinismE0ES3_S7_PKjNS0_17constant_iteratorIjlEEPjPlSF_S6_NS0_8equal_toIjEEEE10hipError_tPvRmT2_T3_mT4_T5_T6_T7_T8_P12ihipStream_tbENKUlT_T0_E_clISt17integral_constantIbLb1EESZ_EEDaSU_SV_EUlSU_E_NS1_11comp_targetILNS1_3genE9ELNS1_11target_archE1100ELNS1_3gpuE3ELNS1_3repE0EEENS1_30default_config_static_selectorELNS0_4arch9wavefront6targetE0EEEvT1_.uses_vcc, 0
	.set _ZN7rocprim17ROCPRIM_400000_NS6detail17trampoline_kernelINS0_14default_configENS1_33run_length_encode_config_selectorIjjNS0_4plusIjEEEEZZNS1_33reduce_by_key_impl_wrapped_configILNS1_25lookback_scan_determinismE0ES3_S7_PKjNS0_17constant_iteratorIjlEEPjPlSF_S6_NS0_8equal_toIjEEEE10hipError_tPvRmT2_T3_mT4_T5_T6_T7_T8_P12ihipStream_tbENKUlT_T0_E_clISt17integral_constantIbLb1EESZ_EEDaSU_SV_EUlSU_E_NS1_11comp_targetILNS1_3genE9ELNS1_11target_archE1100ELNS1_3gpuE3ELNS1_3repE0EEENS1_30default_config_static_selectorELNS0_4arch9wavefront6targetE0EEEvT1_.uses_flat_scratch, 0
	.set _ZN7rocprim17ROCPRIM_400000_NS6detail17trampoline_kernelINS0_14default_configENS1_33run_length_encode_config_selectorIjjNS0_4plusIjEEEEZZNS1_33reduce_by_key_impl_wrapped_configILNS1_25lookback_scan_determinismE0ES3_S7_PKjNS0_17constant_iteratorIjlEEPjPlSF_S6_NS0_8equal_toIjEEEE10hipError_tPvRmT2_T3_mT4_T5_T6_T7_T8_P12ihipStream_tbENKUlT_T0_E_clISt17integral_constantIbLb1EESZ_EEDaSU_SV_EUlSU_E_NS1_11comp_targetILNS1_3genE9ELNS1_11target_archE1100ELNS1_3gpuE3ELNS1_3repE0EEENS1_30default_config_static_selectorELNS0_4arch9wavefront6targetE0EEEvT1_.has_dyn_sized_stack, 0
	.set _ZN7rocprim17ROCPRIM_400000_NS6detail17trampoline_kernelINS0_14default_configENS1_33run_length_encode_config_selectorIjjNS0_4plusIjEEEEZZNS1_33reduce_by_key_impl_wrapped_configILNS1_25lookback_scan_determinismE0ES3_S7_PKjNS0_17constant_iteratorIjlEEPjPlSF_S6_NS0_8equal_toIjEEEE10hipError_tPvRmT2_T3_mT4_T5_T6_T7_T8_P12ihipStream_tbENKUlT_T0_E_clISt17integral_constantIbLb1EESZ_EEDaSU_SV_EUlSU_E_NS1_11comp_targetILNS1_3genE9ELNS1_11target_archE1100ELNS1_3gpuE3ELNS1_3repE0EEENS1_30default_config_static_selectorELNS0_4arch9wavefront6targetE0EEEvT1_.has_recursion, 0
	.set _ZN7rocprim17ROCPRIM_400000_NS6detail17trampoline_kernelINS0_14default_configENS1_33run_length_encode_config_selectorIjjNS0_4plusIjEEEEZZNS1_33reduce_by_key_impl_wrapped_configILNS1_25lookback_scan_determinismE0ES3_S7_PKjNS0_17constant_iteratorIjlEEPjPlSF_S6_NS0_8equal_toIjEEEE10hipError_tPvRmT2_T3_mT4_T5_T6_T7_T8_P12ihipStream_tbENKUlT_T0_E_clISt17integral_constantIbLb1EESZ_EEDaSU_SV_EUlSU_E_NS1_11comp_targetILNS1_3genE9ELNS1_11target_archE1100ELNS1_3gpuE3ELNS1_3repE0EEENS1_30default_config_static_selectorELNS0_4arch9wavefront6targetE0EEEvT1_.has_indirect_call, 0
	.section	.AMDGPU.csdata,"",@progbits
; Kernel info:
; codeLenInByte = 0
; TotalNumSgprs: 0
; NumVgprs: 0
; ScratchSize: 0
; MemoryBound: 0
; FloatMode: 240
; IeeeMode: 1
; LDSByteSize: 0 bytes/workgroup (compile time only)
; SGPRBlocks: 0
; VGPRBlocks: 0
; NumSGPRsForWavesPerEU: 1
; NumVGPRsForWavesPerEU: 1
; NamedBarCnt: 0
; Occupancy: 16
; WaveLimiterHint : 0
; COMPUTE_PGM_RSRC2:SCRATCH_EN: 0
; COMPUTE_PGM_RSRC2:USER_SGPR: 2
; COMPUTE_PGM_RSRC2:TRAP_HANDLER: 0
; COMPUTE_PGM_RSRC2:TGID_X_EN: 1
; COMPUTE_PGM_RSRC2:TGID_Y_EN: 0
; COMPUTE_PGM_RSRC2:TGID_Z_EN: 0
; COMPUTE_PGM_RSRC2:TIDIG_COMP_CNT: 0
	.section	.text._ZN7rocprim17ROCPRIM_400000_NS6detail17trampoline_kernelINS0_14default_configENS1_33run_length_encode_config_selectorIjjNS0_4plusIjEEEEZZNS1_33reduce_by_key_impl_wrapped_configILNS1_25lookback_scan_determinismE0ES3_S7_PKjNS0_17constant_iteratorIjlEEPjPlSF_S6_NS0_8equal_toIjEEEE10hipError_tPvRmT2_T3_mT4_T5_T6_T7_T8_P12ihipStream_tbENKUlT_T0_E_clISt17integral_constantIbLb1EESZ_EEDaSU_SV_EUlSU_E_NS1_11comp_targetILNS1_3genE8ELNS1_11target_archE1030ELNS1_3gpuE2ELNS1_3repE0EEENS1_30default_config_static_selectorELNS0_4arch9wavefront6targetE0EEEvT1_,"axG",@progbits,_ZN7rocprim17ROCPRIM_400000_NS6detail17trampoline_kernelINS0_14default_configENS1_33run_length_encode_config_selectorIjjNS0_4plusIjEEEEZZNS1_33reduce_by_key_impl_wrapped_configILNS1_25lookback_scan_determinismE0ES3_S7_PKjNS0_17constant_iteratorIjlEEPjPlSF_S6_NS0_8equal_toIjEEEE10hipError_tPvRmT2_T3_mT4_T5_T6_T7_T8_P12ihipStream_tbENKUlT_T0_E_clISt17integral_constantIbLb1EESZ_EEDaSU_SV_EUlSU_E_NS1_11comp_targetILNS1_3genE8ELNS1_11target_archE1030ELNS1_3gpuE2ELNS1_3repE0EEENS1_30default_config_static_selectorELNS0_4arch9wavefront6targetE0EEEvT1_,comdat
	.protected	_ZN7rocprim17ROCPRIM_400000_NS6detail17trampoline_kernelINS0_14default_configENS1_33run_length_encode_config_selectorIjjNS0_4plusIjEEEEZZNS1_33reduce_by_key_impl_wrapped_configILNS1_25lookback_scan_determinismE0ES3_S7_PKjNS0_17constant_iteratorIjlEEPjPlSF_S6_NS0_8equal_toIjEEEE10hipError_tPvRmT2_T3_mT4_T5_T6_T7_T8_P12ihipStream_tbENKUlT_T0_E_clISt17integral_constantIbLb1EESZ_EEDaSU_SV_EUlSU_E_NS1_11comp_targetILNS1_3genE8ELNS1_11target_archE1030ELNS1_3gpuE2ELNS1_3repE0EEENS1_30default_config_static_selectorELNS0_4arch9wavefront6targetE0EEEvT1_ ; -- Begin function _ZN7rocprim17ROCPRIM_400000_NS6detail17trampoline_kernelINS0_14default_configENS1_33run_length_encode_config_selectorIjjNS0_4plusIjEEEEZZNS1_33reduce_by_key_impl_wrapped_configILNS1_25lookback_scan_determinismE0ES3_S7_PKjNS0_17constant_iteratorIjlEEPjPlSF_S6_NS0_8equal_toIjEEEE10hipError_tPvRmT2_T3_mT4_T5_T6_T7_T8_P12ihipStream_tbENKUlT_T0_E_clISt17integral_constantIbLb1EESZ_EEDaSU_SV_EUlSU_E_NS1_11comp_targetILNS1_3genE8ELNS1_11target_archE1030ELNS1_3gpuE2ELNS1_3repE0EEENS1_30default_config_static_selectorELNS0_4arch9wavefront6targetE0EEEvT1_
	.globl	_ZN7rocprim17ROCPRIM_400000_NS6detail17trampoline_kernelINS0_14default_configENS1_33run_length_encode_config_selectorIjjNS0_4plusIjEEEEZZNS1_33reduce_by_key_impl_wrapped_configILNS1_25lookback_scan_determinismE0ES3_S7_PKjNS0_17constant_iteratorIjlEEPjPlSF_S6_NS0_8equal_toIjEEEE10hipError_tPvRmT2_T3_mT4_T5_T6_T7_T8_P12ihipStream_tbENKUlT_T0_E_clISt17integral_constantIbLb1EESZ_EEDaSU_SV_EUlSU_E_NS1_11comp_targetILNS1_3genE8ELNS1_11target_archE1030ELNS1_3gpuE2ELNS1_3repE0EEENS1_30default_config_static_selectorELNS0_4arch9wavefront6targetE0EEEvT1_
	.p2align	8
	.type	_ZN7rocprim17ROCPRIM_400000_NS6detail17trampoline_kernelINS0_14default_configENS1_33run_length_encode_config_selectorIjjNS0_4plusIjEEEEZZNS1_33reduce_by_key_impl_wrapped_configILNS1_25lookback_scan_determinismE0ES3_S7_PKjNS0_17constant_iteratorIjlEEPjPlSF_S6_NS0_8equal_toIjEEEE10hipError_tPvRmT2_T3_mT4_T5_T6_T7_T8_P12ihipStream_tbENKUlT_T0_E_clISt17integral_constantIbLb1EESZ_EEDaSU_SV_EUlSU_E_NS1_11comp_targetILNS1_3genE8ELNS1_11target_archE1030ELNS1_3gpuE2ELNS1_3repE0EEENS1_30default_config_static_selectorELNS0_4arch9wavefront6targetE0EEEvT1_,@function
_ZN7rocprim17ROCPRIM_400000_NS6detail17trampoline_kernelINS0_14default_configENS1_33run_length_encode_config_selectorIjjNS0_4plusIjEEEEZZNS1_33reduce_by_key_impl_wrapped_configILNS1_25lookback_scan_determinismE0ES3_S7_PKjNS0_17constant_iteratorIjlEEPjPlSF_S6_NS0_8equal_toIjEEEE10hipError_tPvRmT2_T3_mT4_T5_T6_T7_T8_P12ihipStream_tbENKUlT_T0_E_clISt17integral_constantIbLb1EESZ_EEDaSU_SV_EUlSU_E_NS1_11comp_targetILNS1_3genE8ELNS1_11target_archE1030ELNS1_3gpuE2ELNS1_3repE0EEENS1_30default_config_static_selectorELNS0_4arch9wavefront6targetE0EEEvT1_: ; @_ZN7rocprim17ROCPRIM_400000_NS6detail17trampoline_kernelINS0_14default_configENS1_33run_length_encode_config_selectorIjjNS0_4plusIjEEEEZZNS1_33reduce_by_key_impl_wrapped_configILNS1_25lookback_scan_determinismE0ES3_S7_PKjNS0_17constant_iteratorIjlEEPjPlSF_S6_NS0_8equal_toIjEEEE10hipError_tPvRmT2_T3_mT4_T5_T6_T7_T8_P12ihipStream_tbENKUlT_T0_E_clISt17integral_constantIbLb1EESZ_EEDaSU_SV_EUlSU_E_NS1_11comp_targetILNS1_3genE8ELNS1_11target_archE1030ELNS1_3gpuE2ELNS1_3repE0EEENS1_30default_config_static_selectorELNS0_4arch9wavefront6targetE0EEEvT1_
; %bb.0:
	.section	.rodata,"a",@progbits
	.p2align	6, 0x0
	.amdhsa_kernel _ZN7rocprim17ROCPRIM_400000_NS6detail17trampoline_kernelINS0_14default_configENS1_33run_length_encode_config_selectorIjjNS0_4plusIjEEEEZZNS1_33reduce_by_key_impl_wrapped_configILNS1_25lookback_scan_determinismE0ES3_S7_PKjNS0_17constant_iteratorIjlEEPjPlSF_S6_NS0_8equal_toIjEEEE10hipError_tPvRmT2_T3_mT4_T5_T6_T7_T8_P12ihipStream_tbENKUlT_T0_E_clISt17integral_constantIbLb1EESZ_EEDaSU_SV_EUlSU_E_NS1_11comp_targetILNS1_3genE8ELNS1_11target_archE1030ELNS1_3gpuE2ELNS1_3repE0EEENS1_30default_config_static_selectorELNS0_4arch9wavefront6targetE0EEEvT1_
		.amdhsa_group_segment_fixed_size 0
		.amdhsa_private_segment_fixed_size 0
		.amdhsa_kernarg_size 128
		.amdhsa_user_sgpr_count 2
		.amdhsa_user_sgpr_dispatch_ptr 0
		.amdhsa_user_sgpr_queue_ptr 0
		.amdhsa_user_sgpr_kernarg_segment_ptr 1
		.amdhsa_user_sgpr_dispatch_id 0
		.amdhsa_user_sgpr_kernarg_preload_length 0
		.amdhsa_user_sgpr_kernarg_preload_offset 0
		.amdhsa_user_sgpr_private_segment_size 0
		.amdhsa_wavefront_size32 1
		.amdhsa_uses_dynamic_stack 0
		.amdhsa_enable_private_segment 0
		.amdhsa_system_sgpr_workgroup_id_x 1
		.amdhsa_system_sgpr_workgroup_id_y 0
		.amdhsa_system_sgpr_workgroup_id_z 0
		.amdhsa_system_sgpr_workgroup_info 0
		.amdhsa_system_vgpr_workitem_id 0
		.amdhsa_next_free_vgpr 1
		.amdhsa_next_free_sgpr 1
		.amdhsa_named_barrier_count 0
		.amdhsa_reserve_vcc 0
		.amdhsa_float_round_mode_32 0
		.amdhsa_float_round_mode_16_64 0
		.amdhsa_float_denorm_mode_32 3
		.amdhsa_float_denorm_mode_16_64 3
		.amdhsa_fp16_overflow 0
		.amdhsa_memory_ordered 1
		.amdhsa_forward_progress 1
		.amdhsa_inst_pref_size 0
		.amdhsa_round_robin_scheduling 0
		.amdhsa_exception_fp_ieee_invalid_op 0
		.amdhsa_exception_fp_denorm_src 0
		.amdhsa_exception_fp_ieee_div_zero 0
		.amdhsa_exception_fp_ieee_overflow 0
		.amdhsa_exception_fp_ieee_underflow 0
		.amdhsa_exception_fp_ieee_inexact 0
		.amdhsa_exception_int_div_zero 0
	.end_amdhsa_kernel
	.section	.text._ZN7rocprim17ROCPRIM_400000_NS6detail17trampoline_kernelINS0_14default_configENS1_33run_length_encode_config_selectorIjjNS0_4plusIjEEEEZZNS1_33reduce_by_key_impl_wrapped_configILNS1_25lookback_scan_determinismE0ES3_S7_PKjNS0_17constant_iteratorIjlEEPjPlSF_S6_NS0_8equal_toIjEEEE10hipError_tPvRmT2_T3_mT4_T5_T6_T7_T8_P12ihipStream_tbENKUlT_T0_E_clISt17integral_constantIbLb1EESZ_EEDaSU_SV_EUlSU_E_NS1_11comp_targetILNS1_3genE8ELNS1_11target_archE1030ELNS1_3gpuE2ELNS1_3repE0EEENS1_30default_config_static_selectorELNS0_4arch9wavefront6targetE0EEEvT1_,"axG",@progbits,_ZN7rocprim17ROCPRIM_400000_NS6detail17trampoline_kernelINS0_14default_configENS1_33run_length_encode_config_selectorIjjNS0_4plusIjEEEEZZNS1_33reduce_by_key_impl_wrapped_configILNS1_25lookback_scan_determinismE0ES3_S7_PKjNS0_17constant_iteratorIjlEEPjPlSF_S6_NS0_8equal_toIjEEEE10hipError_tPvRmT2_T3_mT4_T5_T6_T7_T8_P12ihipStream_tbENKUlT_T0_E_clISt17integral_constantIbLb1EESZ_EEDaSU_SV_EUlSU_E_NS1_11comp_targetILNS1_3genE8ELNS1_11target_archE1030ELNS1_3gpuE2ELNS1_3repE0EEENS1_30default_config_static_selectorELNS0_4arch9wavefront6targetE0EEEvT1_,comdat
.Lfunc_end666:
	.size	_ZN7rocprim17ROCPRIM_400000_NS6detail17trampoline_kernelINS0_14default_configENS1_33run_length_encode_config_selectorIjjNS0_4plusIjEEEEZZNS1_33reduce_by_key_impl_wrapped_configILNS1_25lookback_scan_determinismE0ES3_S7_PKjNS0_17constant_iteratorIjlEEPjPlSF_S6_NS0_8equal_toIjEEEE10hipError_tPvRmT2_T3_mT4_T5_T6_T7_T8_P12ihipStream_tbENKUlT_T0_E_clISt17integral_constantIbLb1EESZ_EEDaSU_SV_EUlSU_E_NS1_11comp_targetILNS1_3genE8ELNS1_11target_archE1030ELNS1_3gpuE2ELNS1_3repE0EEENS1_30default_config_static_selectorELNS0_4arch9wavefront6targetE0EEEvT1_, .Lfunc_end666-_ZN7rocprim17ROCPRIM_400000_NS6detail17trampoline_kernelINS0_14default_configENS1_33run_length_encode_config_selectorIjjNS0_4plusIjEEEEZZNS1_33reduce_by_key_impl_wrapped_configILNS1_25lookback_scan_determinismE0ES3_S7_PKjNS0_17constant_iteratorIjlEEPjPlSF_S6_NS0_8equal_toIjEEEE10hipError_tPvRmT2_T3_mT4_T5_T6_T7_T8_P12ihipStream_tbENKUlT_T0_E_clISt17integral_constantIbLb1EESZ_EEDaSU_SV_EUlSU_E_NS1_11comp_targetILNS1_3genE8ELNS1_11target_archE1030ELNS1_3gpuE2ELNS1_3repE0EEENS1_30default_config_static_selectorELNS0_4arch9wavefront6targetE0EEEvT1_
                                        ; -- End function
	.set _ZN7rocprim17ROCPRIM_400000_NS6detail17trampoline_kernelINS0_14default_configENS1_33run_length_encode_config_selectorIjjNS0_4plusIjEEEEZZNS1_33reduce_by_key_impl_wrapped_configILNS1_25lookback_scan_determinismE0ES3_S7_PKjNS0_17constant_iteratorIjlEEPjPlSF_S6_NS0_8equal_toIjEEEE10hipError_tPvRmT2_T3_mT4_T5_T6_T7_T8_P12ihipStream_tbENKUlT_T0_E_clISt17integral_constantIbLb1EESZ_EEDaSU_SV_EUlSU_E_NS1_11comp_targetILNS1_3genE8ELNS1_11target_archE1030ELNS1_3gpuE2ELNS1_3repE0EEENS1_30default_config_static_selectorELNS0_4arch9wavefront6targetE0EEEvT1_.num_vgpr, 0
	.set _ZN7rocprim17ROCPRIM_400000_NS6detail17trampoline_kernelINS0_14default_configENS1_33run_length_encode_config_selectorIjjNS0_4plusIjEEEEZZNS1_33reduce_by_key_impl_wrapped_configILNS1_25lookback_scan_determinismE0ES3_S7_PKjNS0_17constant_iteratorIjlEEPjPlSF_S6_NS0_8equal_toIjEEEE10hipError_tPvRmT2_T3_mT4_T5_T6_T7_T8_P12ihipStream_tbENKUlT_T0_E_clISt17integral_constantIbLb1EESZ_EEDaSU_SV_EUlSU_E_NS1_11comp_targetILNS1_3genE8ELNS1_11target_archE1030ELNS1_3gpuE2ELNS1_3repE0EEENS1_30default_config_static_selectorELNS0_4arch9wavefront6targetE0EEEvT1_.num_agpr, 0
	.set _ZN7rocprim17ROCPRIM_400000_NS6detail17trampoline_kernelINS0_14default_configENS1_33run_length_encode_config_selectorIjjNS0_4plusIjEEEEZZNS1_33reduce_by_key_impl_wrapped_configILNS1_25lookback_scan_determinismE0ES3_S7_PKjNS0_17constant_iteratorIjlEEPjPlSF_S6_NS0_8equal_toIjEEEE10hipError_tPvRmT2_T3_mT4_T5_T6_T7_T8_P12ihipStream_tbENKUlT_T0_E_clISt17integral_constantIbLb1EESZ_EEDaSU_SV_EUlSU_E_NS1_11comp_targetILNS1_3genE8ELNS1_11target_archE1030ELNS1_3gpuE2ELNS1_3repE0EEENS1_30default_config_static_selectorELNS0_4arch9wavefront6targetE0EEEvT1_.numbered_sgpr, 0
	.set _ZN7rocprim17ROCPRIM_400000_NS6detail17trampoline_kernelINS0_14default_configENS1_33run_length_encode_config_selectorIjjNS0_4plusIjEEEEZZNS1_33reduce_by_key_impl_wrapped_configILNS1_25lookback_scan_determinismE0ES3_S7_PKjNS0_17constant_iteratorIjlEEPjPlSF_S6_NS0_8equal_toIjEEEE10hipError_tPvRmT2_T3_mT4_T5_T6_T7_T8_P12ihipStream_tbENKUlT_T0_E_clISt17integral_constantIbLb1EESZ_EEDaSU_SV_EUlSU_E_NS1_11comp_targetILNS1_3genE8ELNS1_11target_archE1030ELNS1_3gpuE2ELNS1_3repE0EEENS1_30default_config_static_selectorELNS0_4arch9wavefront6targetE0EEEvT1_.num_named_barrier, 0
	.set _ZN7rocprim17ROCPRIM_400000_NS6detail17trampoline_kernelINS0_14default_configENS1_33run_length_encode_config_selectorIjjNS0_4plusIjEEEEZZNS1_33reduce_by_key_impl_wrapped_configILNS1_25lookback_scan_determinismE0ES3_S7_PKjNS0_17constant_iteratorIjlEEPjPlSF_S6_NS0_8equal_toIjEEEE10hipError_tPvRmT2_T3_mT4_T5_T6_T7_T8_P12ihipStream_tbENKUlT_T0_E_clISt17integral_constantIbLb1EESZ_EEDaSU_SV_EUlSU_E_NS1_11comp_targetILNS1_3genE8ELNS1_11target_archE1030ELNS1_3gpuE2ELNS1_3repE0EEENS1_30default_config_static_selectorELNS0_4arch9wavefront6targetE0EEEvT1_.private_seg_size, 0
	.set _ZN7rocprim17ROCPRIM_400000_NS6detail17trampoline_kernelINS0_14default_configENS1_33run_length_encode_config_selectorIjjNS0_4plusIjEEEEZZNS1_33reduce_by_key_impl_wrapped_configILNS1_25lookback_scan_determinismE0ES3_S7_PKjNS0_17constant_iteratorIjlEEPjPlSF_S6_NS0_8equal_toIjEEEE10hipError_tPvRmT2_T3_mT4_T5_T6_T7_T8_P12ihipStream_tbENKUlT_T0_E_clISt17integral_constantIbLb1EESZ_EEDaSU_SV_EUlSU_E_NS1_11comp_targetILNS1_3genE8ELNS1_11target_archE1030ELNS1_3gpuE2ELNS1_3repE0EEENS1_30default_config_static_selectorELNS0_4arch9wavefront6targetE0EEEvT1_.uses_vcc, 0
	.set _ZN7rocprim17ROCPRIM_400000_NS6detail17trampoline_kernelINS0_14default_configENS1_33run_length_encode_config_selectorIjjNS0_4plusIjEEEEZZNS1_33reduce_by_key_impl_wrapped_configILNS1_25lookback_scan_determinismE0ES3_S7_PKjNS0_17constant_iteratorIjlEEPjPlSF_S6_NS0_8equal_toIjEEEE10hipError_tPvRmT2_T3_mT4_T5_T6_T7_T8_P12ihipStream_tbENKUlT_T0_E_clISt17integral_constantIbLb1EESZ_EEDaSU_SV_EUlSU_E_NS1_11comp_targetILNS1_3genE8ELNS1_11target_archE1030ELNS1_3gpuE2ELNS1_3repE0EEENS1_30default_config_static_selectorELNS0_4arch9wavefront6targetE0EEEvT1_.uses_flat_scratch, 0
	.set _ZN7rocprim17ROCPRIM_400000_NS6detail17trampoline_kernelINS0_14default_configENS1_33run_length_encode_config_selectorIjjNS0_4plusIjEEEEZZNS1_33reduce_by_key_impl_wrapped_configILNS1_25lookback_scan_determinismE0ES3_S7_PKjNS0_17constant_iteratorIjlEEPjPlSF_S6_NS0_8equal_toIjEEEE10hipError_tPvRmT2_T3_mT4_T5_T6_T7_T8_P12ihipStream_tbENKUlT_T0_E_clISt17integral_constantIbLb1EESZ_EEDaSU_SV_EUlSU_E_NS1_11comp_targetILNS1_3genE8ELNS1_11target_archE1030ELNS1_3gpuE2ELNS1_3repE0EEENS1_30default_config_static_selectorELNS0_4arch9wavefront6targetE0EEEvT1_.has_dyn_sized_stack, 0
	.set _ZN7rocprim17ROCPRIM_400000_NS6detail17trampoline_kernelINS0_14default_configENS1_33run_length_encode_config_selectorIjjNS0_4plusIjEEEEZZNS1_33reduce_by_key_impl_wrapped_configILNS1_25lookback_scan_determinismE0ES3_S7_PKjNS0_17constant_iteratorIjlEEPjPlSF_S6_NS0_8equal_toIjEEEE10hipError_tPvRmT2_T3_mT4_T5_T6_T7_T8_P12ihipStream_tbENKUlT_T0_E_clISt17integral_constantIbLb1EESZ_EEDaSU_SV_EUlSU_E_NS1_11comp_targetILNS1_3genE8ELNS1_11target_archE1030ELNS1_3gpuE2ELNS1_3repE0EEENS1_30default_config_static_selectorELNS0_4arch9wavefront6targetE0EEEvT1_.has_recursion, 0
	.set _ZN7rocprim17ROCPRIM_400000_NS6detail17trampoline_kernelINS0_14default_configENS1_33run_length_encode_config_selectorIjjNS0_4plusIjEEEEZZNS1_33reduce_by_key_impl_wrapped_configILNS1_25lookback_scan_determinismE0ES3_S7_PKjNS0_17constant_iteratorIjlEEPjPlSF_S6_NS0_8equal_toIjEEEE10hipError_tPvRmT2_T3_mT4_T5_T6_T7_T8_P12ihipStream_tbENKUlT_T0_E_clISt17integral_constantIbLb1EESZ_EEDaSU_SV_EUlSU_E_NS1_11comp_targetILNS1_3genE8ELNS1_11target_archE1030ELNS1_3gpuE2ELNS1_3repE0EEENS1_30default_config_static_selectorELNS0_4arch9wavefront6targetE0EEEvT1_.has_indirect_call, 0
	.section	.AMDGPU.csdata,"",@progbits
; Kernel info:
; codeLenInByte = 0
; TotalNumSgprs: 0
; NumVgprs: 0
; ScratchSize: 0
; MemoryBound: 0
; FloatMode: 240
; IeeeMode: 1
; LDSByteSize: 0 bytes/workgroup (compile time only)
; SGPRBlocks: 0
; VGPRBlocks: 0
; NumSGPRsForWavesPerEU: 1
; NumVGPRsForWavesPerEU: 1
; NamedBarCnt: 0
; Occupancy: 16
; WaveLimiterHint : 0
; COMPUTE_PGM_RSRC2:SCRATCH_EN: 0
; COMPUTE_PGM_RSRC2:USER_SGPR: 2
; COMPUTE_PGM_RSRC2:TRAP_HANDLER: 0
; COMPUTE_PGM_RSRC2:TGID_X_EN: 1
; COMPUTE_PGM_RSRC2:TGID_Y_EN: 0
; COMPUTE_PGM_RSRC2:TGID_Z_EN: 0
; COMPUTE_PGM_RSRC2:TIDIG_COMP_CNT: 0
	.section	.text._ZN7rocprim17ROCPRIM_400000_NS6detail17trampoline_kernelINS0_14default_configENS1_33run_length_encode_config_selectorIjjNS0_4plusIjEEEEZZNS1_33reduce_by_key_impl_wrapped_configILNS1_25lookback_scan_determinismE0ES3_S7_PKjNS0_17constant_iteratorIjlEEPjPlSF_S6_NS0_8equal_toIjEEEE10hipError_tPvRmT2_T3_mT4_T5_T6_T7_T8_P12ihipStream_tbENKUlT_T0_E_clISt17integral_constantIbLb1EESY_IbLb0EEEEDaSU_SV_EUlSU_E_NS1_11comp_targetILNS1_3genE0ELNS1_11target_archE4294967295ELNS1_3gpuE0ELNS1_3repE0EEENS1_30default_config_static_selectorELNS0_4arch9wavefront6targetE0EEEvT1_,"axG",@progbits,_ZN7rocprim17ROCPRIM_400000_NS6detail17trampoline_kernelINS0_14default_configENS1_33run_length_encode_config_selectorIjjNS0_4plusIjEEEEZZNS1_33reduce_by_key_impl_wrapped_configILNS1_25lookback_scan_determinismE0ES3_S7_PKjNS0_17constant_iteratorIjlEEPjPlSF_S6_NS0_8equal_toIjEEEE10hipError_tPvRmT2_T3_mT4_T5_T6_T7_T8_P12ihipStream_tbENKUlT_T0_E_clISt17integral_constantIbLb1EESY_IbLb0EEEEDaSU_SV_EUlSU_E_NS1_11comp_targetILNS1_3genE0ELNS1_11target_archE4294967295ELNS1_3gpuE0ELNS1_3repE0EEENS1_30default_config_static_selectorELNS0_4arch9wavefront6targetE0EEEvT1_,comdat
	.protected	_ZN7rocprim17ROCPRIM_400000_NS6detail17trampoline_kernelINS0_14default_configENS1_33run_length_encode_config_selectorIjjNS0_4plusIjEEEEZZNS1_33reduce_by_key_impl_wrapped_configILNS1_25lookback_scan_determinismE0ES3_S7_PKjNS0_17constant_iteratorIjlEEPjPlSF_S6_NS0_8equal_toIjEEEE10hipError_tPvRmT2_T3_mT4_T5_T6_T7_T8_P12ihipStream_tbENKUlT_T0_E_clISt17integral_constantIbLb1EESY_IbLb0EEEEDaSU_SV_EUlSU_E_NS1_11comp_targetILNS1_3genE0ELNS1_11target_archE4294967295ELNS1_3gpuE0ELNS1_3repE0EEENS1_30default_config_static_selectorELNS0_4arch9wavefront6targetE0EEEvT1_ ; -- Begin function _ZN7rocprim17ROCPRIM_400000_NS6detail17trampoline_kernelINS0_14default_configENS1_33run_length_encode_config_selectorIjjNS0_4plusIjEEEEZZNS1_33reduce_by_key_impl_wrapped_configILNS1_25lookback_scan_determinismE0ES3_S7_PKjNS0_17constant_iteratorIjlEEPjPlSF_S6_NS0_8equal_toIjEEEE10hipError_tPvRmT2_T3_mT4_T5_T6_T7_T8_P12ihipStream_tbENKUlT_T0_E_clISt17integral_constantIbLb1EESY_IbLb0EEEEDaSU_SV_EUlSU_E_NS1_11comp_targetILNS1_3genE0ELNS1_11target_archE4294967295ELNS1_3gpuE0ELNS1_3repE0EEENS1_30default_config_static_selectorELNS0_4arch9wavefront6targetE0EEEvT1_
	.globl	_ZN7rocprim17ROCPRIM_400000_NS6detail17trampoline_kernelINS0_14default_configENS1_33run_length_encode_config_selectorIjjNS0_4plusIjEEEEZZNS1_33reduce_by_key_impl_wrapped_configILNS1_25lookback_scan_determinismE0ES3_S7_PKjNS0_17constant_iteratorIjlEEPjPlSF_S6_NS0_8equal_toIjEEEE10hipError_tPvRmT2_T3_mT4_T5_T6_T7_T8_P12ihipStream_tbENKUlT_T0_E_clISt17integral_constantIbLb1EESY_IbLb0EEEEDaSU_SV_EUlSU_E_NS1_11comp_targetILNS1_3genE0ELNS1_11target_archE4294967295ELNS1_3gpuE0ELNS1_3repE0EEENS1_30default_config_static_selectorELNS0_4arch9wavefront6targetE0EEEvT1_
	.p2align	8
	.type	_ZN7rocprim17ROCPRIM_400000_NS6detail17trampoline_kernelINS0_14default_configENS1_33run_length_encode_config_selectorIjjNS0_4plusIjEEEEZZNS1_33reduce_by_key_impl_wrapped_configILNS1_25lookback_scan_determinismE0ES3_S7_PKjNS0_17constant_iteratorIjlEEPjPlSF_S6_NS0_8equal_toIjEEEE10hipError_tPvRmT2_T3_mT4_T5_T6_T7_T8_P12ihipStream_tbENKUlT_T0_E_clISt17integral_constantIbLb1EESY_IbLb0EEEEDaSU_SV_EUlSU_E_NS1_11comp_targetILNS1_3genE0ELNS1_11target_archE4294967295ELNS1_3gpuE0ELNS1_3repE0EEENS1_30default_config_static_selectorELNS0_4arch9wavefront6targetE0EEEvT1_,@function
_ZN7rocprim17ROCPRIM_400000_NS6detail17trampoline_kernelINS0_14default_configENS1_33run_length_encode_config_selectorIjjNS0_4plusIjEEEEZZNS1_33reduce_by_key_impl_wrapped_configILNS1_25lookback_scan_determinismE0ES3_S7_PKjNS0_17constant_iteratorIjlEEPjPlSF_S6_NS0_8equal_toIjEEEE10hipError_tPvRmT2_T3_mT4_T5_T6_T7_T8_P12ihipStream_tbENKUlT_T0_E_clISt17integral_constantIbLb1EESY_IbLb0EEEEDaSU_SV_EUlSU_E_NS1_11comp_targetILNS1_3genE0ELNS1_11target_archE4294967295ELNS1_3gpuE0ELNS1_3repE0EEENS1_30default_config_static_selectorELNS0_4arch9wavefront6targetE0EEEvT1_: ; @_ZN7rocprim17ROCPRIM_400000_NS6detail17trampoline_kernelINS0_14default_configENS1_33run_length_encode_config_selectorIjjNS0_4plusIjEEEEZZNS1_33reduce_by_key_impl_wrapped_configILNS1_25lookback_scan_determinismE0ES3_S7_PKjNS0_17constant_iteratorIjlEEPjPlSF_S6_NS0_8equal_toIjEEEE10hipError_tPvRmT2_T3_mT4_T5_T6_T7_T8_P12ihipStream_tbENKUlT_T0_E_clISt17integral_constantIbLb1EESY_IbLb0EEEEDaSU_SV_EUlSU_E_NS1_11comp_targetILNS1_3genE0ELNS1_11target_archE4294967295ELNS1_3gpuE0ELNS1_3repE0EEENS1_30default_config_static_selectorELNS0_4arch9wavefront6targetE0EEEvT1_
; %bb.0:
	s_endpgm
	.section	.rodata,"a",@progbits
	.p2align	6, 0x0
	.amdhsa_kernel _ZN7rocprim17ROCPRIM_400000_NS6detail17trampoline_kernelINS0_14default_configENS1_33run_length_encode_config_selectorIjjNS0_4plusIjEEEEZZNS1_33reduce_by_key_impl_wrapped_configILNS1_25lookback_scan_determinismE0ES3_S7_PKjNS0_17constant_iteratorIjlEEPjPlSF_S6_NS0_8equal_toIjEEEE10hipError_tPvRmT2_T3_mT4_T5_T6_T7_T8_P12ihipStream_tbENKUlT_T0_E_clISt17integral_constantIbLb1EESY_IbLb0EEEEDaSU_SV_EUlSU_E_NS1_11comp_targetILNS1_3genE0ELNS1_11target_archE4294967295ELNS1_3gpuE0ELNS1_3repE0EEENS1_30default_config_static_selectorELNS0_4arch9wavefront6targetE0EEEvT1_
		.amdhsa_group_segment_fixed_size 0
		.amdhsa_private_segment_fixed_size 0
		.amdhsa_kernarg_size 128
		.amdhsa_user_sgpr_count 2
		.amdhsa_user_sgpr_dispatch_ptr 0
		.amdhsa_user_sgpr_queue_ptr 0
		.amdhsa_user_sgpr_kernarg_segment_ptr 1
		.amdhsa_user_sgpr_dispatch_id 0
		.amdhsa_user_sgpr_kernarg_preload_length 0
		.amdhsa_user_sgpr_kernarg_preload_offset 0
		.amdhsa_user_sgpr_private_segment_size 0
		.amdhsa_wavefront_size32 1
		.amdhsa_uses_dynamic_stack 0
		.amdhsa_enable_private_segment 0
		.amdhsa_system_sgpr_workgroup_id_x 1
		.amdhsa_system_sgpr_workgroup_id_y 0
		.amdhsa_system_sgpr_workgroup_id_z 0
		.amdhsa_system_sgpr_workgroup_info 0
		.amdhsa_system_vgpr_workitem_id 0
		.amdhsa_next_free_vgpr 1
		.amdhsa_next_free_sgpr 1
		.amdhsa_named_barrier_count 0
		.amdhsa_reserve_vcc 0
		.amdhsa_float_round_mode_32 0
		.amdhsa_float_round_mode_16_64 0
		.amdhsa_float_denorm_mode_32 3
		.amdhsa_float_denorm_mode_16_64 3
		.amdhsa_fp16_overflow 0
		.amdhsa_memory_ordered 1
		.amdhsa_forward_progress 1
		.amdhsa_inst_pref_size 1
		.amdhsa_round_robin_scheduling 0
		.amdhsa_exception_fp_ieee_invalid_op 0
		.amdhsa_exception_fp_denorm_src 0
		.amdhsa_exception_fp_ieee_div_zero 0
		.amdhsa_exception_fp_ieee_overflow 0
		.amdhsa_exception_fp_ieee_underflow 0
		.amdhsa_exception_fp_ieee_inexact 0
		.amdhsa_exception_int_div_zero 0
	.end_amdhsa_kernel
	.section	.text._ZN7rocprim17ROCPRIM_400000_NS6detail17trampoline_kernelINS0_14default_configENS1_33run_length_encode_config_selectorIjjNS0_4plusIjEEEEZZNS1_33reduce_by_key_impl_wrapped_configILNS1_25lookback_scan_determinismE0ES3_S7_PKjNS0_17constant_iteratorIjlEEPjPlSF_S6_NS0_8equal_toIjEEEE10hipError_tPvRmT2_T3_mT4_T5_T6_T7_T8_P12ihipStream_tbENKUlT_T0_E_clISt17integral_constantIbLb1EESY_IbLb0EEEEDaSU_SV_EUlSU_E_NS1_11comp_targetILNS1_3genE0ELNS1_11target_archE4294967295ELNS1_3gpuE0ELNS1_3repE0EEENS1_30default_config_static_selectorELNS0_4arch9wavefront6targetE0EEEvT1_,"axG",@progbits,_ZN7rocprim17ROCPRIM_400000_NS6detail17trampoline_kernelINS0_14default_configENS1_33run_length_encode_config_selectorIjjNS0_4plusIjEEEEZZNS1_33reduce_by_key_impl_wrapped_configILNS1_25lookback_scan_determinismE0ES3_S7_PKjNS0_17constant_iteratorIjlEEPjPlSF_S6_NS0_8equal_toIjEEEE10hipError_tPvRmT2_T3_mT4_T5_T6_T7_T8_P12ihipStream_tbENKUlT_T0_E_clISt17integral_constantIbLb1EESY_IbLb0EEEEDaSU_SV_EUlSU_E_NS1_11comp_targetILNS1_3genE0ELNS1_11target_archE4294967295ELNS1_3gpuE0ELNS1_3repE0EEENS1_30default_config_static_selectorELNS0_4arch9wavefront6targetE0EEEvT1_,comdat
.Lfunc_end667:
	.size	_ZN7rocprim17ROCPRIM_400000_NS6detail17trampoline_kernelINS0_14default_configENS1_33run_length_encode_config_selectorIjjNS0_4plusIjEEEEZZNS1_33reduce_by_key_impl_wrapped_configILNS1_25lookback_scan_determinismE0ES3_S7_PKjNS0_17constant_iteratorIjlEEPjPlSF_S6_NS0_8equal_toIjEEEE10hipError_tPvRmT2_T3_mT4_T5_T6_T7_T8_P12ihipStream_tbENKUlT_T0_E_clISt17integral_constantIbLb1EESY_IbLb0EEEEDaSU_SV_EUlSU_E_NS1_11comp_targetILNS1_3genE0ELNS1_11target_archE4294967295ELNS1_3gpuE0ELNS1_3repE0EEENS1_30default_config_static_selectorELNS0_4arch9wavefront6targetE0EEEvT1_, .Lfunc_end667-_ZN7rocprim17ROCPRIM_400000_NS6detail17trampoline_kernelINS0_14default_configENS1_33run_length_encode_config_selectorIjjNS0_4plusIjEEEEZZNS1_33reduce_by_key_impl_wrapped_configILNS1_25lookback_scan_determinismE0ES3_S7_PKjNS0_17constant_iteratorIjlEEPjPlSF_S6_NS0_8equal_toIjEEEE10hipError_tPvRmT2_T3_mT4_T5_T6_T7_T8_P12ihipStream_tbENKUlT_T0_E_clISt17integral_constantIbLb1EESY_IbLb0EEEEDaSU_SV_EUlSU_E_NS1_11comp_targetILNS1_3genE0ELNS1_11target_archE4294967295ELNS1_3gpuE0ELNS1_3repE0EEENS1_30default_config_static_selectorELNS0_4arch9wavefront6targetE0EEEvT1_
                                        ; -- End function
	.set _ZN7rocprim17ROCPRIM_400000_NS6detail17trampoline_kernelINS0_14default_configENS1_33run_length_encode_config_selectorIjjNS0_4plusIjEEEEZZNS1_33reduce_by_key_impl_wrapped_configILNS1_25lookback_scan_determinismE0ES3_S7_PKjNS0_17constant_iteratorIjlEEPjPlSF_S6_NS0_8equal_toIjEEEE10hipError_tPvRmT2_T3_mT4_T5_T6_T7_T8_P12ihipStream_tbENKUlT_T0_E_clISt17integral_constantIbLb1EESY_IbLb0EEEEDaSU_SV_EUlSU_E_NS1_11comp_targetILNS1_3genE0ELNS1_11target_archE4294967295ELNS1_3gpuE0ELNS1_3repE0EEENS1_30default_config_static_selectorELNS0_4arch9wavefront6targetE0EEEvT1_.num_vgpr, 0
	.set _ZN7rocprim17ROCPRIM_400000_NS6detail17trampoline_kernelINS0_14default_configENS1_33run_length_encode_config_selectorIjjNS0_4plusIjEEEEZZNS1_33reduce_by_key_impl_wrapped_configILNS1_25lookback_scan_determinismE0ES3_S7_PKjNS0_17constant_iteratorIjlEEPjPlSF_S6_NS0_8equal_toIjEEEE10hipError_tPvRmT2_T3_mT4_T5_T6_T7_T8_P12ihipStream_tbENKUlT_T0_E_clISt17integral_constantIbLb1EESY_IbLb0EEEEDaSU_SV_EUlSU_E_NS1_11comp_targetILNS1_3genE0ELNS1_11target_archE4294967295ELNS1_3gpuE0ELNS1_3repE0EEENS1_30default_config_static_selectorELNS0_4arch9wavefront6targetE0EEEvT1_.num_agpr, 0
	.set _ZN7rocprim17ROCPRIM_400000_NS6detail17trampoline_kernelINS0_14default_configENS1_33run_length_encode_config_selectorIjjNS0_4plusIjEEEEZZNS1_33reduce_by_key_impl_wrapped_configILNS1_25lookback_scan_determinismE0ES3_S7_PKjNS0_17constant_iteratorIjlEEPjPlSF_S6_NS0_8equal_toIjEEEE10hipError_tPvRmT2_T3_mT4_T5_T6_T7_T8_P12ihipStream_tbENKUlT_T0_E_clISt17integral_constantIbLb1EESY_IbLb0EEEEDaSU_SV_EUlSU_E_NS1_11comp_targetILNS1_3genE0ELNS1_11target_archE4294967295ELNS1_3gpuE0ELNS1_3repE0EEENS1_30default_config_static_selectorELNS0_4arch9wavefront6targetE0EEEvT1_.numbered_sgpr, 0
	.set _ZN7rocprim17ROCPRIM_400000_NS6detail17trampoline_kernelINS0_14default_configENS1_33run_length_encode_config_selectorIjjNS0_4plusIjEEEEZZNS1_33reduce_by_key_impl_wrapped_configILNS1_25lookback_scan_determinismE0ES3_S7_PKjNS0_17constant_iteratorIjlEEPjPlSF_S6_NS0_8equal_toIjEEEE10hipError_tPvRmT2_T3_mT4_T5_T6_T7_T8_P12ihipStream_tbENKUlT_T0_E_clISt17integral_constantIbLb1EESY_IbLb0EEEEDaSU_SV_EUlSU_E_NS1_11comp_targetILNS1_3genE0ELNS1_11target_archE4294967295ELNS1_3gpuE0ELNS1_3repE0EEENS1_30default_config_static_selectorELNS0_4arch9wavefront6targetE0EEEvT1_.num_named_barrier, 0
	.set _ZN7rocprim17ROCPRIM_400000_NS6detail17trampoline_kernelINS0_14default_configENS1_33run_length_encode_config_selectorIjjNS0_4plusIjEEEEZZNS1_33reduce_by_key_impl_wrapped_configILNS1_25lookback_scan_determinismE0ES3_S7_PKjNS0_17constant_iteratorIjlEEPjPlSF_S6_NS0_8equal_toIjEEEE10hipError_tPvRmT2_T3_mT4_T5_T6_T7_T8_P12ihipStream_tbENKUlT_T0_E_clISt17integral_constantIbLb1EESY_IbLb0EEEEDaSU_SV_EUlSU_E_NS1_11comp_targetILNS1_3genE0ELNS1_11target_archE4294967295ELNS1_3gpuE0ELNS1_3repE0EEENS1_30default_config_static_selectorELNS0_4arch9wavefront6targetE0EEEvT1_.private_seg_size, 0
	.set _ZN7rocprim17ROCPRIM_400000_NS6detail17trampoline_kernelINS0_14default_configENS1_33run_length_encode_config_selectorIjjNS0_4plusIjEEEEZZNS1_33reduce_by_key_impl_wrapped_configILNS1_25lookback_scan_determinismE0ES3_S7_PKjNS0_17constant_iteratorIjlEEPjPlSF_S6_NS0_8equal_toIjEEEE10hipError_tPvRmT2_T3_mT4_T5_T6_T7_T8_P12ihipStream_tbENKUlT_T0_E_clISt17integral_constantIbLb1EESY_IbLb0EEEEDaSU_SV_EUlSU_E_NS1_11comp_targetILNS1_3genE0ELNS1_11target_archE4294967295ELNS1_3gpuE0ELNS1_3repE0EEENS1_30default_config_static_selectorELNS0_4arch9wavefront6targetE0EEEvT1_.uses_vcc, 0
	.set _ZN7rocprim17ROCPRIM_400000_NS6detail17trampoline_kernelINS0_14default_configENS1_33run_length_encode_config_selectorIjjNS0_4plusIjEEEEZZNS1_33reduce_by_key_impl_wrapped_configILNS1_25lookback_scan_determinismE0ES3_S7_PKjNS0_17constant_iteratorIjlEEPjPlSF_S6_NS0_8equal_toIjEEEE10hipError_tPvRmT2_T3_mT4_T5_T6_T7_T8_P12ihipStream_tbENKUlT_T0_E_clISt17integral_constantIbLb1EESY_IbLb0EEEEDaSU_SV_EUlSU_E_NS1_11comp_targetILNS1_3genE0ELNS1_11target_archE4294967295ELNS1_3gpuE0ELNS1_3repE0EEENS1_30default_config_static_selectorELNS0_4arch9wavefront6targetE0EEEvT1_.uses_flat_scratch, 0
	.set _ZN7rocprim17ROCPRIM_400000_NS6detail17trampoline_kernelINS0_14default_configENS1_33run_length_encode_config_selectorIjjNS0_4plusIjEEEEZZNS1_33reduce_by_key_impl_wrapped_configILNS1_25lookback_scan_determinismE0ES3_S7_PKjNS0_17constant_iteratorIjlEEPjPlSF_S6_NS0_8equal_toIjEEEE10hipError_tPvRmT2_T3_mT4_T5_T6_T7_T8_P12ihipStream_tbENKUlT_T0_E_clISt17integral_constantIbLb1EESY_IbLb0EEEEDaSU_SV_EUlSU_E_NS1_11comp_targetILNS1_3genE0ELNS1_11target_archE4294967295ELNS1_3gpuE0ELNS1_3repE0EEENS1_30default_config_static_selectorELNS0_4arch9wavefront6targetE0EEEvT1_.has_dyn_sized_stack, 0
	.set _ZN7rocprim17ROCPRIM_400000_NS6detail17trampoline_kernelINS0_14default_configENS1_33run_length_encode_config_selectorIjjNS0_4plusIjEEEEZZNS1_33reduce_by_key_impl_wrapped_configILNS1_25lookback_scan_determinismE0ES3_S7_PKjNS0_17constant_iteratorIjlEEPjPlSF_S6_NS0_8equal_toIjEEEE10hipError_tPvRmT2_T3_mT4_T5_T6_T7_T8_P12ihipStream_tbENKUlT_T0_E_clISt17integral_constantIbLb1EESY_IbLb0EEEEDaSU_SV_EUlSU_E_NS1_11comp_targetILNS1_3genE0ELNS1_11target_archE4294967295ELNS1_3gpuE0ELNS1_3repE0EEENS1_30default_config_static_selectorELNS0_4arch9wavefront6targetE0EEEvT1_.has_recursion, 0
	.set _ZN7rocprim17ROCPRIM_400000_NS6detail17trampoline_kernelINS0_14default_configENS1_33run_length_encode_config_selectorIjjNS0_4plusIjEEEEZZNS1_33reduce_by_key_impl_wrapped_configILNS1_25lookback_scan_determinismE0ES3_S7_PKjNS0_17constant_iteratorIjlEEPjPlSF_S6_NS0_8equal_toIjEEEE10hipError_tPvRmT2_T3_mT4_T5_T6_T7_T8_P12ihipStream_tbENKUlT_T0_E_clISt17integral_constantIbLb1EESY_IbLb0EEEEDaSU_SV_EUlSU_E_NS1_11comp_targetILNS1_3genE0ELNS1_11target_archE4294967295ELNS1_3gpuE0ELNS1_3repE0EEENS1_30default_config_static_selectorELNS0_4arch9wavefront6targetE0EEEvT1_.has_indirect_call, 0
	.section	.AMDGPU.csdata,"",@progbits
; Kernel info:
; codeLenInByte = 4
; TotalNumSgprs: 0
; NumVgprs: 0
; ScratchSize: 0
; MemoryBound: 0
; FloatMode: 240
; IeeeMode: 1
; LDSByteSize: 0 bytes/workgroup (compile time only)
; SGPRBlocks: 0
; VGPRBlocks: 0
; NumSGPRsForWavesPerEU: 1
; NumVGPRsForWavesPerEU: 1
; NamedBarCnt: 0
; Occupancy: 16
; WaveLimiterHint : 0
; COMPUTE_PGM_RSRC2:SCRATCH_EN: 0
; COMPUTE_PGM_RSRC2:USER_SGPR: 2
; COMPUTE_PGM_RSRC2:TRAP_HANDLER: 0
; COMPUTE_PGM_RSRC2:TGID_X_EN: 1
; COMPUTE_PGM_RSRC2:TGID_Y_EN: 0
; COMPUTE_PGM_RSRC2:TGID_Z_EN: 0
; COMPUTE_PGM_RSRC2:TIDIG_COMP_CNT: 0
	.section	.text._ZN7rocprim17ROCPRIM_400000_NS6detail17trampoline_kernelINS0_14default_configENS1_33run_length_encode_config_selectorIjjNS0_4plusIjEEEEZZNS1_33reduce_by_key_impl_wrapped_configILNS1_25lookback_scan_determinismE0ES3_S7_PKjNS0_17constant_iteratorIjlEEPjPlSF_S6_NS0_8equal_toIjEEEE10hipError_tPvRmT2_T3_mT4_T5_T6_T7_T8_P12ihipStream_tbENKUlT_T0_E_clISt17integral_constantIbLb1EESY_IbLb0EEEEDaSU_SV_EUlSU_E_NS1_11comp_targetILNS1_3genE5ELNS1_11target_archE942ELNS1_3gpuE9ELNS1_3repE0EEENS1_30default_config_static_selectorELNS0_4arch9wavefront6targetE0EEEvT1_,"axG",@progbits,_ZN7rocprim17ROCPRIM_400000_NS6detail17trampoline_kernelINS0_14default_configENS1_33run_length_encode_config_selectorIjjNS0_4plusIjEEEEZZNS1_33reduce_by_key_impl_wrapped_configILNS1_25lookback_scan_determinismE0ES3_S7_PKjNS0_17constant_iteratorIjlEEPjPlSF_S6_NS0_8equal_toIjEEEE10hipError_tPvRmT2_T3_mT4_T5_T6_T7_T8_P12ihipStream_tbENKUlT_T0_E_clISt17integral_constantIbLb1EESY_IbLb0EEEEDaSU_SV_EUlSU_E_NS1_11comp_targetILNS1_3genE5ELNS1_11target_archE942ELNS1_3gpuE9ELNS1_3repE0EEENS1_30default_config_static_selectorELNS0_4arch9wavefront6targetE0EEEvT1_,comdat
	.protected	_ZN7rocprim17ROCPRIM_400000_NS6detail17trampoline_kernelINS0_14default_configENS1_33run_length_encode_config_selectorIjjNS0_4plusIjEEEEZZNS1_33reduce_by_key_impl_wrapped_configILNS1_25lookback_scan_determinismE0ES3_S7_PKjNS0_17constant_iteratorIjlEEPjPlSF_S6_NS0_8equal_toIjEEEE10hipError_tPvRmT2_T3_mT4_T5_T6_T7_T8_P12ihipStream_tbENKUlT_T0_E_clISt17integral_constantIbLb1EESY_IbLb0EEEEDaSU_SV_EUlSU_E_NS1_11comp_targetILNS1_3genE5ELNS1_11target_archE942ELNS1_3gpuE9ELNS1_3repE0EEENS1_30default_config_static_selectorELNS0_4arch9wavefront6targetE0EEEvT1_ ; -- Begin function _ZN7rocprim17ROCPRIM_400000_NS6detail17trampoline_kernelINS0_14default_configENS1_33run_length_encode_config_selectorIjjNS0_4plusIjEEEEZZNS1_33reduce_by_key_impl_wrapped_configILNS1_25lookback_scan_determinismE0ES3_S7_PKjNS0_17constant_iteratorIjlEEPjPlSF_S6_NS0_8equal_toIjEEEE10hipError_tPvRmT2_T3_mT4_T5_T6_T7_T8_P12ihipStream_tbENKUlT_T0_E_clISt17integral_constantIbLb1EESY_IbLb0EEEEDaSU_SV_EUlSU_E_NS1_11comp_targetILNS1_3genE5ELNS1_11target_archE942ELNS1_3gpuE9ELNS1_3repE0EEENS1_30default_config_static_selectorELNS0_4arch9wavefront6targetE0EEEvT1_
	.globl	_ZN7rocprim17ROCPRIM_400000_NS6detail17trampoline_kernelINS0_14default_configENS1_33run_length_encode_config_selectorIjjNS0_4plusIjEEEEZZNS1_33reduce_by_key_impl_wrapped_configILNS1_25lookback_scan_determinismE0ES3_S7_PKjNS0_17constant_iteratorIjlEEPjPlSF_S6_NS0_8equal_toIjEEEE10hipError_tPvRmT2_T3_mT4_T5_T6_T7_T8_P12ihipStream_tbENKUlT_T0_E_clISt17integral_constantIbLb1EESY_IbLb0EEEEDaSU_SV_EUlSU_E_NS1_11comp_targetILNS1_3genE5ELNS1_11target_archE942ELNS1_3gpuE9ELNS1_3repE0EEENS1_30default_config_static_selectorELNS0_4arch9wavefront6targetE0EEEvT1_
	.p2align	8
	.type	_ZN7rocprim17ROCPRIM_400000_NS6detail17trampoline_kernelINS0_14default_configENS1_33run_length_encode_config_selectorIjjNS0_4plusIjEEEEZZNS1_33reduce_by_key_impl_wrapped_configILNS1_25lookback_scan_determinismE0ES3_S7_PKjNS0_17constant_iteratorIjlEEPjPlSF_S6_NS0_8equal_toIjEEEE10hipError_tPvRmT2_T3_mT4_T5_T6_T7_T8_P12ihipStream_tbENKUlT_T0_E_clISt17integral_constantIbLb1EESY_IbLb0EEEEDaSU_SV_EUlSU_E_NS1_11comp_targetILNS1_3genE5ELNS1_11target_archE942ELNS1_3gpuE9ELNS1_3repE0EEENS1_30default_config_static_selectorELNS0_4arch9wavefront6targetE0EEEvT1_,@function
_ZN7rocprim17ROCPRIM_400000_NS6detail17trampoline_kernelINS0_14default_configENS1_33run_length_encode_config_selectorIjjNS0_4plusIjEEEEZZNS1_33reduce_by_key_impl_wrapped_configILNS1_25lookback_scan_determinismE0ES3_S7_PKjNS0_17constant_iteratorIjlEEPjPlSF_S6_NS0_8equal_toIjEEEE10hipError_tPvRmT2_T3_mT4_T5_T6_T7_T8_P12ihipStream_tbENKUlT_T0_E_clISt17integral_constantIbLb1EESY_IbLb0EEEEDaSU_SV_EUlSU_E_NS1_11comp_targetILNS1_3genE5ELNS1_11target_archE942ELNS1_3gpuE9ELNS1_3repE0EEENS1_30default_config_static_selectorELNS0_4arch9wavefront6targetE0EEEvT1_: ; @_ZN7rocprim17ROCPRIM_400000_NS6detail17trampoline_kernelINS0_14default_configENS1_33run_length_encode_config_selectorIjjNS0_4plusIjEEEEZZNS1_33reduce_by_key_impl_wrapped_configILNS1_25lookback_scan_determinismE0ES3_S7_PKjNS0_17constant_iteratorIjlEEPjPlSF_S6_NS0_8equal_toIjEEEE10hipError_tPvRmT2_T3_mT4_T5_T6_T7_T8_P12ihipStream_tbENKUlT_T0_E_clISt17integral_constantIbLb1EESY_IbLb0EEEEDaSU_SV_EUlSU_E_NS1_11comp_targetILNS1_3genE5ELNS1_11target_archE942ELNS1_3gpuE9ELNS1_3repE0EEENS1_30default_config_static_selectorELNS0_4arch9wavefront6targetE0EEEvT1_
; %bb.0:
	.section	.rodata,"a",@progbits
	.p2align	6, 0x0
	.amdhsa_kernel _ZN7rocprim17ROCPRIM_400000_NS6detail17trampoline_kernelINS0_14default_configENS1_33run_length_encode_config_selectorIjjNS0_4plusIjEEEEZZNS1_33reduce_by_key_impl_wrapped_configILNS1_25lookback_scan_determinismE0ES3_S7_PKjNS0_17constant_iteratorIjlEEPjPlSF_S6_NS0_8equal_toIjEEEE10hipError_tPvRmT2_T3_mT4_T5_T6_T7_T8_P12ihipStream_tbENKUlT_T0_E_clISt17integral_constantIbLb1EESY_IbLb0EEEEDaSU_SV_EUlSU_E_NS1_11comp_targetILNS1_3genE5ELNS1_11target_archE942ELNS1_3gpuE9ELNS1_3repE0EEENS1_30default_config_static_selectorELNS0_4arch9wavefront6targetE0EEEvT1_
		.amdhsa_group_segment_fixed_size 0
		.amdhsa_private_segment_fixed_size 0
		.amdhsa_kernarg_size 128
		.amdhsa_user_sgpr_count 2
		.amdhsa_user_sgpr_dispatch_ptr 0
		.amdhsa_user_sgpr_queue_ptr 0
		.amdhsa_user_sgpr_kernarg_segment_ptr 1
		.amdhsa_user_sgpr_dispatch_id 0
		.amdhsa_user_sgpr_kernarg_preload_length 0
		.amdhsa_user_sgpr_kernarg_preload_offset 0
		.amdhsa_user_sgpr_private_segment_size 0
		.amdhsa_wavefront_size32 1
		.amdhsa_uses_dynamic_stack 0
		.amdhsa_enable_private_segment 0
		.amdhsa_system_sgpr_workgroup_id_x 1
		.amdhsa_system_sgpr_workgroup_id_y 0
		.amdhsa_system_sgpr_workgroup_id_z 0
		.amdhsa_system_sgpr_workgroup_info 0
		.amdhsa_system_vgpr_workitem_id 0
		.amdhsa_next_free_vgpr 1
		.amdhsa_next_free_sgpr 1
		.amdhsa_named_barrier_count 0
		.amdhsa_reserve_vcc 0
		.amdhsa_float_round_mode_32 0
		.amdhsa_float_round_mode_16_64 0
		.amdhsa_float_denorm_mode_32 3
		.amdhsa_float_denorm_mode_16_64 3
		.amdhsa_fp16_overflow 0
		.amdhsa_memory_ordered 1
		.amdhsa_forward_progress 1
		.amdhsa_inst_pref_size 0
		.amdhsa_round_robin_scheduling 0
		.amdhsa_exception_fp_ieee_invalid_op 0
		.amdhsa_exception_fp_denorm_src 0
		.amdhsa_exception_fp_ieee_div_zero 0
		.amdhsa_exception_fp_ieee_overflow 0
		.amdhsa_exception_fp_ieee_underflow 0
		.amdhsa_exception_fp_ieee_inexact 0
		.amdhsa_exception_int_div_zero 0
	.end_amdhsa_kernel
	.section	.text._ZN7rocprim17ROCPRIM_400000_NS6detail17trampoline_kernelINS0_14default_configENS1_33run_length_encode_config_selectorIjjNS0_4plusIjEEEEZZNS1_33reduce_by_key_impl_wrapped_configILNS1_25lookback_scan_determinismE0ES3_S7_PKjNS0_17constant_iteratorIjlEEPjPlSF_S6_NS0_8equal_toIjEEEE10hipError_tPvRmT2_T3_mT4_T5_T6_T7_T8_P12ihipStream_tbENKUlT_T0_E_clISt17integral_constantIbLb1EESY_IbLb0EEEEDaSU_SV_EUlSU_E_NS1_11comp_targetILNS1_3genE5ELNS1_11target_archE942ELNS1_3gpuE9ELNS1_3repE0EEENS1_30default_config_static_selectorELNS0_4arch9wavefront6targetE0EEEvT1_,"axG",@progbits,_ZN7rocprim17ROCPRIM_400000_NS6detail17trampoline_kernelINS0_14default_configENS1_33run_length_encode_config_selectorIjjNS0_4plusIjEEEEZZNS1_33reduce_by_key_impl_wrapped_configILNS1_25lookback_scan_determinismE0ES3_S7_PKjNS0_17constant_iteratorIjlEEPjPlSF_S6_NS0_8equal_toIjEEEE10hipError_tPvRmT2_T3_mT4_T5_T6_T7_T8_P12ihipStream_tbENKUlT_T0_E_clISt17integral_constantIbLb1EESY_IbLb0EEEEDaSU_SV_EUlSU_E_NS1_11comp_targetILNS1_3genE5ELNS1_11target_archE942ELNS1_3gpuE9ELNS1_3repE0EEENS1_30default_config_static_selectorELNS0_4arch9wavefront6targetE0EEEvT1_,comdat
.Lfunc_end668:
	.size	_ZN7rocprim17ROCPRIM_400000_NS6detail17trampoline_kernelINS0_14default_configENS1_33run_length_encode_config_selectorIjjNS0_4plusIjEEEEZZNS1_33reduce_by_key_impl_wrapped_configILNS1_25lookback_scan_determinismE0ES3_S7_PKjNS0_17constant_iteratorIjlEEPjPlSF_S6_NS0_8equal_toIjEEEE10hipError_tPvRmT2_T3_mT4_T5_T6_T7_T8_P12ihipStream_tbENKUlT_T0_E_clISt17integral_constantIbLb1EESY_IbLb0EEEEDaSU_SV_EUlSU_E_NS1_11comp_targetILNS1_3genE5ELNS1_11target_archE942ELNS1_3gpuE9ELNS1_3repE0EEENS1_30default_config_static_selectorELNS0_4arch9wavefront6targetE0EEEvT1_, .Lfunc_end668-_ZN7rocprim17ROCPRIM_400000_NS6detail17trampoline_kernelINS0_14default_configENS1_33run_length_encode_config_selectorIjjNS0_4plusIjEEEEZZNS1_33reduce_by_key_impl_wrapped_configILNS1_25lookback_scan_determinismE0ES3_S7_PKjNS0_17constant_iteratorIjlEEPjPlSF_S6_NS0_8equal_toIjEEEE10hipError_tPvRmT2_T3_mT4_T5_T6_T7_T8_P12ihipStream_tbENKUlT_T0_E_clISt17integral_constantIbLb1EESY_IbLb0EEEEDaSU_SV_EUlSU_E_NS1_11comp_targetILNS1_3genE5ELNS1_11target_archE942ELNS1_3gpuE9ELNS1_3repE0EEENS1_30default_config_static_selectorELNS0_4arch9wavefront6targetE0EEEvT1_
                                        ; -- End function
	.set _ZN7rocprim17ROCPRIM_400000_NS6detail17trampoline_kernelINS0_14default_configENS1_33run_length_encode_config_selectorIjjNS0_4plusIjEEEEZZNS1_33reduce_by_key_impl_wrapped_configILNS1_25lookback_scan_determinismE0ES3_S7_PKjNS0_17constant_iteratorIjlEEPjPlSF_S6_NS0_8equal_toIjEEEE10hipError_tPvRmT2_T3_mT4_T5_T6_T7_T8_P12ihipStream_tbENKUlT_T0_E_clISt17integral_constantIbLb1EESY_IbLb0EEEEDaSU_SV_EUlSU_E_NS1_11comp_targetILNS1_3genE5ELNS1_11target_archE942ELNS1_3gpuE9ELNS1_3repE0EEENS1_30default_config_static_selectorELNS0_4arch9wavefront6targetE0EEEvT1_.num_vgpr, 0
	.set _ZN7rocprim17ROCPRIM_400000_NS6detail17trampoline_kernelINS0_14default_configENS1_33run_length_encode_config_selectorIjjNS0_4plusIjEEEEZZNS1_33reduce_by_key_impl_wrapped_configILNS1_25lookback_scan_determinismE0ES3_S7_PKjNS0_17constant_iteratorIjlEEPjPlSF_S6_NS0_8equal_toIjEEEE10hipError_tPvRmT2_T3_mT4_T5_T6_T7_T8_P12ihipStream_tbENKUlT_T0_E_clISt17integral_constantIbLb1EESY_IbLb0EEEEDaSU_SV_EUlSU_E_NS1_11comp_targetILNS1_3genE5ELNS1_11target_archE942ELNS1_3gpuE9ELNS1_3repE0EEENS1_30default_config_static_selectorELNS0_4arch9wavefront6targetE0EEEvT1_.num_agpr, 0
	.set _ZN7rocprim17ROCPRIM_400000_NS6detail17trampoline_kernelINS0_14default_configENS1_33run_length_encode_config_selectorIjjNS0_4plusIjEEEEZZNS1_33reduce_by_key_impl_wrapped_configILNS1_25lookback_scan_determinismE0ES3_S7_PKjNS0_17constant_iteratorIjlEEPjPlSF_S6_NS0_8equal_toIjEEEE10hipError_tPvRmT2_T3_mT4_T5_T6_T7_T8_P12ihipStream_tbENKUlT_T0_E_clISt17integral_constantIbLb1EESY_IbLb0EEEEDaSU_SV_EUlSU_E_NS1_11comp_targetILNS1_3genE5ELNS1_11target_archE942ELNS1_3gpuE9ELNS1_3repE0EEENS1_30default_config_static_selectorELNS0_4arch9wavefront6targetE0EEEvT1_.numbered_sgpr, 0
	.set _ZN7rocprim17ROCPRIM_400000_NS6detail17trampoline_kernelINS0_14default_configENS1_33run_length_encode_config_selectorIjjNS0_4plusIjEEEEZZNS1_33reduce_by_key_impl_wrapped_configILNS1_25lookback_scan_determinismE0ES3_S7_PKjNS0_17constant_iteratorIjlEEPjPlSF_S6_NS0_8equal_toIjEEEE10hipError_tPvRmT2_T3_mT4_T5_T6_T7_T8_P12ihipStream_tbENKUlT_T0_E_clISt17integral_constantIbLb1EESY_IbLb0EEEEDaSU_SV_EUlSU_E_NS1_11comp_targetILNS1_3genE5ELNS1_11target_archE942ELNS1_3gpuE9ELNS1_3repE0EEENS1_30default_config_static_selectorELNS0_4arch9wavefront6targetE0EEEvT1_.num_named_barrier, 0
	.set _ZN7rocprim17ROCPRIM_400000_NS6detail17trampoline_kernelINS0_14default_configENS1_33run_length_encode_config_selectorIjjNS0_4plusIjEEEEZZNS1_33reduce_by_key_impl_wrapped_configILNS1_25lookback_scan_determinismE0ES3_S7_PKjNS0_17constant_iteratorIjlEEPjPlSF_S6_NS0_8equal_toIjEEEE10hipError_tPvRmT2_T3_mT4_T5_T6_T7_T8_P12ihipStream_tbENKUlT_T0_E_clISt17integral_constantIbLb1EESY_IbLb0EEEEDaSU_SV_EUlSU_E_NS1_11comp_targetILNS1_3genE5ELNS1_11target_archE942ELNS1_3gpuE9ELNS1_3repE0EEENS1_30default_config_static_selectorELNS0_4arch9wavefront6targetE0EEEvT1_.private_seg_size, 0
	.set _ZN7rocprim17ROCPRIM_400000_NS6detail17trampoline_kernelINS0_14default_configENS1_33run_length_encode_config_selectorIjjNS0_4plusIjEEEEZZNS1_33reduce_by_key_impl_wrapped_configILNS1_25lookback_scan_determinismE0ES3_S7_PKjNS0_17constant_iteratorIjlEEPjPlSF_S6_NS0_8equal_toIjEEEE10hipError_tPvRmT2_T3_mT4_T5_T6_T7_T8_P12ihipStream_tbENKUlT_T0_E_clISt17integral_constantIbLb1EESY_IbLb0EEEEDaSU_SV_EUlSU_E_NS1_11comp_targetILNS1_3genE5ELNS1_11target_archE942ELNS1_3gpuE9ELNS1_3repE0EEENS1_30default_config_static_selectorELNS0_4arch9wavefront6targetE0EEEvT1_.uses_vcc, 0
	.set _ZN7rocprim17ROCPRIM_400000_NS6detail17trampoline_kernelINS0_14default_configENS1_33run_length_encode_config_selectorIjjNS0_4plusIjEEEEZZNS1_33reduce_by_key_impl_wrapped_configILNS1_25lookback_scan_determinismE0ES3_S7_PKjNS0_17constant_iteratorIjlEEPjPlSF_S6_NS0_8equal_toIjEEEE10hipError_tPvRmT2_T3_mT4_T5_T6_T7_T8_P12ihipStream_tbENKUlT_T0_E_clISt17integral_constantIbLb1EESY_IbLb0EEEEDaSU_SV_EUlSU_E_NS1_11comp_targetILNS1_3genE5ELNS1_11target_archE942ELNS1_3gpuE9ELNS1_3repE0EEENS1_30default_config_static_selectorELNS0_4arch9wavefront6targetE0EEEvT1_.uses_flat_scratch, 0
	.set _ZN7rocprim17ROCPRIM_400000_NS6detail17trampoline_kernelINS0_14default_configENS1_33run_length_encode_config_selectorIjjNS0_4plusIjEEEEZZNS1_33reduce_by_key_impl_wrapped_configILNS1_25lookback_scan_determinismE0ES3_S7_PKjNS0_17constant_iteratorIjlEEPjPlSF_S6_NS0_8equal_toIjEEEE10hipError_tPvRmT2_T3_mT4_T5_T6_T7_T8_P12ihipStream_tbENKUlT_T0_E_clISt17integral_constantIbLb1EESY_IbLb0EEEEDaSU_SV_EUlSU_E_NS1_11comp_targetILNS1_3genE5ELNS1_11target_archE942ELNS1_3gpuE9ELNS1_3repE0EEENS1_30default_config_static_selectorELNS0_4arch9wavefront6targetE0EEEvT1_.has_dyn_sized_stack, 0
	.set _ZN7rocprim17ROCPRIM_400000_NS6detail17trampoline_kernelINS0_14default_configENS1_33run_length_encode_config_selectorIjjNS0_4plusIjEEEEZZNS1_33reduce_by_key_impl_wrapped_configILNS1_25lookback_scan_determinismE0ES3_S7_PKjNS0_17constant_iteratorIjlEEPjPlSF_S6_NS0_8equal_toIjEEEE10hipError_tPvRmT2_T3_mT4_T5_T6_T7_T8_P12ihipStream_tbENKUlT_T0_E_clISt17integral_constantIbLb1EESY_IbLb0EEEEDaSU_SV_EUlSU_E_NS1_11comp_targetILNS1_3genE5ELNS1_11target_archE942ELNS1_3gpuE9ELNS1_3repE0EEENS1_30default_config_static_selectorELNS0_4arch9wavefront6targetE0EEEvT1_.has_recursion, 0
	.set _ZN7rocprim17ROCPRIM_400000_NS6detail17trampoline_kernelINS0_14default_configENS1_33run_length_encode_config_selectorIjjNS0_4plusIjEEEEZZNS1_33reduce_by_key_impl_wrapped_configILNS1_25lookback_scan_determinismE0ES3_S7_PKjNS0_17constant_iteratorIjlEEPjPlSF_S6_NS0_8equal_toIjEEEE10hipError_tPvRmT2_T3_mT4_T5_T6_T7_T8_P12ihipStream_tbENKUlT_T0_E_clISt17integral_constantIbLb1EESY_IbLb0EEEEDaSU_SV_EUlSU_E_NS1_11comp_targetILNS1_3genE5ELNS1_11target_archE942ELNS1_3gpuE9ELNS1_3repE0EEENS1_30default_config_static_selectorELNS0_4arch9wavefront6targetE0EEEvT1_.has_indirect_call, 0
	.section	.AMDGPU.csdata,"",@progbits
; Kernel info:
; codeLenInByte = 0
; TotalNumSgprs: 0
; NumVgprs: 0
; ScratchSize: 0
; MemoryBound: 0
; FloatMode: 240
; IeeeMode: 1
; LDSByteSize: 0 bytes/workgroup (compile time only)
; SGPRBlocks: 0
; VGPRBlocks: 0
; NumSGPRsForWavesPerEU: 1
; NumVGPRsForWavesPerEU: 1
; NamedBarCnt: 0
; Occupancy: 16
; WaveLimiterHint : 0
; COMPUTE_PGM_RSRC2:SCRATCH_EN: 0
; COMPUTE_PGM_RSRC2:USER_SGPR: 2
; COMPUTE_PGM_RSRC2:TRAP_HANDLER: 0
; COMPUTE_PGM_RSRC2:TGID_X_EN: 1
; COMPUTE_PGM_RSRC2:TGID_Y_EN: 0
; COMPUTE_PGM_RSRC2:TGID_Z_EN: 0
; COMPUTE_PGM_RSRC2:TIDIG_COMP_CNT: 0
	.section	.text._ZN7rocprim17ROCPRIM_400000_NS6detail17trampoline_kernelINS0_14default_configENS1_33run_length_encode_config_selectorIjjNS0_4plusIjEEEEZZNS1_33reduce_by_key_impl_wrapped_configILNS1_25lookback_scan_determinismE0ES3_S7_PKjNS0_17constant_iteratorIjlEEPjPlSF_S6_NS0_8equal_toIjEEEE10hipError_tPvRmT2_T3_mT4_T5_T6_T7_T8_P12ihipStream_tbENKUlT_T0_E_clISt17integral_constantIbLb1EESY_IbLb0EEEEDaSU_SV_EUlSU_E_NS1_11comp_targetILNS1_3genE4ELNS1_11target_archE910ELNS1_3gpuE8ELNS1_3repE0EEENS1_30default_config_static_selectorELNS0_4arch9wavefront6targetE0EEEvT1_,"axG",@progbits,_ZN7rocprim17ROCPRIM_400000_NS6detail17trampoline_kernelINS0_14default_configENS1_33run_length_encode_config_selectorIjjNS0_4plusIjEEEEZZNS1_33reduce_by_key_impl_wrapped_configILNS1_25lookback_scan_determinismE0ES3_S7_PKjNS0_17constant_iteratorIjlEEPjPlSF_S6_NS0_8equal_toIjEEEE10hipError_tPvRmT2_T3_mT4_T5_T6_T7_T8_P12ihipStream_tbENKUlT_T0_E_clISt17integral_constantIbLb1EESY_IbLb0EEEEDaSU_SV_EUlSU_E_NS1_11comp_targetILNS1_3genE4ELNS1_11target_archE910ELNS1_3gpuE8ELNS1_3repE0EEENS1_30default_config_static_selectorELNS0_4arch9wavefront6targetE0EEEvT1_,comdat
	.protected	_ZN7rocprim17ROCPRIM_400000_NS6detail17trampoline_kernelINS0_14default_configENS1_33run_length_encode_config_selectorIjjNS0_4plusIjEEEEZZNS1_33reduce_by_key_impl_wrapped_configILNS1_25lookback_scan_determinismE0ES3_S7_PKjNS0_17constant_iteratorIjlEEPjPlSF_S6_NS0_8equal_toIjEEEE10hipError_tPvRmT2_T3_mT4_T5_T6_T7_T8_P12ihipStream_tbENKUlT_T0_E_clISt17integral_constantIbLb1EESY_IbLb0EEEEDaSU_SV_EUlSU_E_NS1_11comp_targetILNS1_3genE4ELNS1_11target_archE910ELNS1_3gpuE8ELNS1_3repE0EEENS1_30default_config_static_selectorELNS0_4arch9wavefront6targetE0EEEvT1_ ; -- Begin function _ZN7rocprim17ROCPRIM_400000_NS6detail17trampoline_kernelINS0_14default_configENS1_33run_length_encode_config_selectorIjjNS0_4plusIjEEEEZZNS1_33reduce_by_key_impl_wrapped_configILNS1_25lookback_scan_determinismE0ES3_S7_PKjNS0_17constant_iteratorIjlEEPjPlSF_S6_NS0_8equal_toIjEEEE10hipError_tPvRmT2_T3_mT4_T5_T6_T7_T8_P12ihipStream_tbENKUlT_T0_E_clISt17integral_constantIbLb1EESY_IbLb0EEEEDaSU_SV_EUlSU_E_NS1_11comp_targetILNS1_3genE4ELNS1_11target_archE910ELNS1_3gpuE8ELNS1_3repE0EEENS1_30default_config_static_selectorELNS0_4arch9wavefront6targetE0EEEvT1_
	.globl	_ZN7rocprim17ROCPRIM_400000_NS6detail17trampoline_kernelINS0_14default_configENS1_33run_length_encode_config_selectorIjjNS0_4plusIjEEEEZZNS1_33reduce_by_key_impl_wrapped_configILNS1_25lookback_scan_determinismE0ES3_S7_PKjNS0_17constant_iteratorIjlEEPjPlSF_S6_NS0_8equal_toIjEEEE10hipError_tPvRmT2_T3_mT4_T5_T6_T7_T8_P12ihipStream_tbENKUlT_T0_E_clISt17integral_constantIbLb1EESY_IbLb0EEEEDaSU_SV_EUlSU_E_NS1_11comp_targetILNS1_3genE4ELNS1_11target_archE910ELNS1_3gpuE8ELNS1_3repE0EEENS1_30default_config_static_selectorELNS0_4arch9wavefront6targetE0EEEvT1_
	.p2align	8
	.type	_ZN7rocprim17ROCPRIM_400000_NS6detail17trampoline_kernelINS0_14default_configENS1_33run_length_encode_config_selectorIjjNS0_4plusIjEEEEZZNS1_33reduce_by_key_impl_wrapped_configILNS1_25lookback_scan_determinismE0ES3_S7_PKjNS0_17constant_iteratorIjlEEPjPlSF_S6_NS0_8equal_toIjEEEE10hipError_tPvRmT2_T3_mT4_T5_T6_T7_T8_P12ihipStream_tbENKUlT_T0_E_clISt17integral_constantIbLb1EESY_IbLb0EEEEDaSU_SV_EUlSU_E_NS1_11comp_targetILNS1_3genE4ELNS1_11target_archE910ELNS1_3gpuE8ELNS1_3repE0EEENS1_30default_config_static_selectorELNS0_4arch9wavefront6targetE0EEEvT1_,@function
_ZN7rocprim17ROCPRIM_400000_NS6detail17trampoline_kernelINS0_14default_configENS1_33run_length_encode_config_selectorIjjNS0_4plusIjEEEEZZNS1_33reduce_by_key_impl_wrapped_configILNS1_25lookback_scan_determinismE0ES3_S7_PKjNS0_17constant_iteratorIjlEEPjPlSF_S6_NS0_8equal_toIjEEEE10hipError_tPvRmT2_T3_mT4_T5_T6_T7_T8_P12ihipStream_tbENKUlT_T0_E_clISt17integral_constantIbLb1EESY_IbLb0EEEEDaSU_SV_EUlSU_E_NS1_11comp_targetILNS1_3genE4ELNS1_11target_archE910ELNS1_3gpuE8ELNS1_3repE0EEENS1_30default_config_static_selectorELNS0_4arch9wavefront6targetE0EEEvT1_: ; @_ZN7rocprim17ROCPRIM_400000_NS6detail17trampoline_kernelINS0_14default_configENS1_33run_length_encode_config_selectorIjjNS0_4plusIjEEEEZZNS1_33reduce_by_key_impl_wrapped_configILNS1_25lookback_scan_determinismE0ES3_S7_PKjNS0_17constant_iteratorIjlEEPjPlSF_S6_NS0_8equal_toIjEEEE10hipError_tPvRmT2_T3_mT4_T5_T6_T7_T8_P12ihipStream_tbENKUlT_T0_E_clISt17integral_constantIbLb1EESY_IbLb0EEEEDaSU_SV_EUlSU_E_NS1_11comp_targetILNS1_3genE4ELNS1_11target_archE910ELNS1_3gpuE8ELNS1_3repE0EEENS1_30default_config_static_selectorELNS0_4arch9wavefront6targetE0EEEvT1_
; %bb.0:
	.section	.rodata,"a",@progbits
	.p2align	6, 0x0
	.amdhsa_kernel _ZN7rocprim17ROCPRIM_400000_NS6detail17trampoline_kernelINS0_14default_configENS1_33run_length_encode_config_selectorIjjNS0_4plusIjEEEEZZNS1_33reduce_by_key_impl_wrapped_configILNS1_25lookback_scan_determinismE0ES3_S7_PKjNS0_17constant_iteratorIjlEEPjPlSF_S6_NS0_8equal_toIjEEEE10hipError_tPvRmT2_T3_mT4_T5_T6_T7_T8_P12ihipStream_tbENKUlT_T0_E_clISt17integral_constantIbLb1EESY_IbLb0EEEEDaSU_SV_EUlSU_E_NS1_11comp_targetILNS1_3genE4ELNS1_11target_archE910ELNS1_3gpuE8ELNS1_3repE0EEENS1_30default_config_static_selectorELNS0_4arch9wavefront6targetE0EEEvT1_
		.amdhsa_group_segment_fixed_size 0
		.amdhsa_private_segment_fixed_size 0
		.amdhsa_kernarg_size 128
		.amdhsa_user_sgpr_count 2
		.amdhsa_user_sgpr_dispatch_ptr 0
		.amdhsa_user_sgpr_queue_ptr 0
		.amdhsa_user_sgpr_kernarg_segment_ptr 1
		.amdhsa_user_sgpr_dispatch_id 0
		.amdhsa_user_sgpr_kernarg_preload_length 0
		.amdhsa_user_sgpr_kernarg_preload_offset 0
		.amdhsa_user_sgpr_private_segment_size 0
		.amdhsa_wavefront_size32 1
		.amdhsa_uses_dynamic_stack 0
		.amdhsa_enable_private_segment 0
		.amdhsa_system_sgpr_workgroup_id_x 1
		.amdhsa_system_sgpr_workgroup_id_y 0
		.amdhsa_system_sgpr_workgroup_id_z 0
		.amdhsa_system_sgpr_workgroup_info 0
		.amdhsa_system_vgpr_workitem_id 0
		.amdhsa_next_free_vgpr 1
		.amdhsa_next_free_sgpr 1
		.amdhsa_named_barrier_count 0
		.amdhsa_reserve_vcc 0
		.amdhsa_float_round_mode_32 0
		.amdhsa_float_round_mode_16_64 0
		.amdhsa_float_denorm_mode_32 3
		.amdhsa_float_denorm_mode_16_64 3
		.amdhsa_fp16_overflow 0
		.amdhsa_memory_ordered 1
		.amdhsa_forward_progress 1
		.amdhsa_inst_pref_size 0
		.amdhsa_round_robin_scheduling 0
		.amdhsa_exception_fp_ieee_invalid_op 0
		.amdhsa_exception_fp_denorm_src 0
		.amdhsa_exception_fp_ieee_div_zero 0
		.amdhsa_exception_fp_ieee_overflow 0
		.amdhsa_exception_fp_ieee_underflow 0
		.amdhsa_exception_fp_ieee_inexact 0
		.amdhsa_exception_int_div_zero 0
	.end_amdhsa_kernel
	.section	.text._ZN7rocprim17ROCPRIM_400000_NS6detail17trampoline_kernelINS0_14default_configENS1_33run_length_encode_config_selectorIjjNS0_4plusIjEEEEZZNS1_33reduce_by_key_impl_wrapped_configILNS1_25lookback_scan_determinismE0ES3_S7_PKjNS0_17constant_iteratorIjlEEPjPlSF_S6_NS0_8equal_toIjEEEE10hipError_tPvRmT2_T3_mT4_T5_T6_T7_T8_P12ihipStream_tbENKUlT_T0_E_clISt17integral_constantIbLb1EESY_IbLb0EEEEDaSU_SV_EUlSU_E_NS1_11comp_targetILNS1_3genE4ELNS1_11target_archE910ELNS1_3gpuE8ELNS1_3repE0EEENS1_30default_config_static_selectorELNS0_4arch9wavefront6targetE0EEEvT1_,"axG",@progbits,_ZN7rocprim17ROCPRIM_400000_NS6detail17trampoline_kernelINS0_14default_configENS1_33run_length_encode_config_selectorIjjNS0_4plusIjEEEEZZNS1_33reduce_by_key_impl_wrapped_configILNS1_25lookback_scan_determinismE0ES3_S7_PKjNS0_17constant_iteratorIjlEEPjPlSF_S6_NS0_8equal_toIjEEEE10hipError_tPvRmT2_T3_mT4_T5_T6_T7_T8_P12ihipStream_tbENKUlT_T0_E_clISt17integral_constantIbLb1EESY_IbLb0EEEEDaSU_SV_EUlSU_E_NS1_11comp_targetILNS1_3genE4ELNS1_11target_archE910ELNS1_3gpuE8ELNS1_3repE0EEENS1_30default_config_static_selectorELNS0_4arch9wavefront6targetE0EEEvT1_,comdat
.Lfunc_end669:
	.size	_ZN7rocprim17ROCPRIM_400000_NS6detail17trampoline_kernelINS0_14default_configENS1_33run_length_encode_config_selectorIjjNS0_4plusIjEEEEZZNS1_33reduce_by_key_impl_wrapped_configILNS1_25lookback_scan_determinismE0ES3_S7_PKjNS0_17constant_iteratorIjlEEPjPlSF_S6_NS0_8equal_toIjEEEE10hipError_tPvRmT2_T3_mT4_T5_T6_T7_T8_P12ihipStream_tbENKUlT_T0_E_clISt17integral_constantIbLb1EESY_IbLb0EEEEDaSU_SV_EUlSU_E_NS1_11comp_targetILNS1_3genE4ELNS1_11target_archE910ELNS1_3gpuE8ELNS1_3repE0EEENS1_30default_config_static_selectorELNS0_4arch9wavefront6targetE0EEEvT1_, .Lfunc_end669-_ZN7rocprim17ROCPRIM_400000_NS6detail17trampoline_kernelINS0_14default_configENS1_33run_length_encode_config_selectorIjjNS0_4plusIjEEEEZZNS1_33reduce_by_key_impl_wrapped_configILNS1_25lookback_scan_determinismE0ES3_S7_PKjNS0_17constant_iteratorIjlEEPjPlSF_S6_NS0_8equal_toIjEEEE10hipError_tPvRmT2_T3_mT4_T5_T6_T7_T8_P12ihipStream_tbENKUlT_T0_E_clISt17integral_constantIbLb1EESY_IbLb0EEEEDaSU_SV_EUlSU_E_NS1_11comp_targetILNS1_3genE4ELNS1_11target_archE910ELNS1_3gpuE8ELNS1_3repE0EEENS1_30default_config_static_selectorELNS0_4arch9wavefront6targetE0EEEvT1_
                                        ; -- End function
	.set _ZN7rocprim17ROCPRIM_400000_NS6detail17trampoline_kernelINS0_14default_configENS1_33run_length_encode_config_selectorIjjNS0_4plusIjEEEEZZNS1_33reduce_by_key_impl_wrapped_configILNS1_25lookback_scan_determinismE0ES3_S7_PKjNS0_17constant_iteratorIjlEEPjPlSF_S6_NS0_8equal_toIjEEEE10hipError_tPvRmT2_T3_mT4_T5_T6_T7_T8_P12ihipStream_tbENKUlT_T0_E_clISt17integral_constantIbLb1EESY_IbLb0EEEEDaSU_SV_EUlSU_E_NS1_11comp_targetILNS1_3genE4ELNS1_11target_archE910ELNS1_3gpuE8ELNS1_3repE0EEENS1_30default_config_static_selectorELNS0_4arch9wavefront6targetE0EEEvT1_.num_vgpr, 0
	.set _ZN7rocprim17ROCPRIM_400000_NS6detail17trampoline_kernelINS0_14default_configENS1_33run_length_encode_config_selectorIjjNS0_4plusIjEEEEZZNS1_33reduce_by_key_impl_wrapped_configILNS1_25lookback_scan_determinismE0ES3_S7_PKjNS0_17constant_iteratorIjlEEPjPlSF_S6_NS0_8equal_toIjEEEE10hipError_tPvRmT2_T3_mT4_T5_T6_T7_T8_P12ihipStream_tbENKUlT_T0_E_clISt17integral_constantIbLb1EESY_IbLb0EEEEDaSU_SV_EUlSU_E_NS1_11comp_targetILNS1_3genE4ELNS1_11target_archE910ELNS1_3gpuE8ELNS1_3repE0EEENS1_30default_config_static_selectorELNS0_4arch9wavefront6targetE0EEEvT1_.num_agpr, 0
	.set _ZN7rocprim17ROCPRIM_400000_NS6detail17trampoline_kernelINS0_14default_configENS1_33run_length_encode_config_selectorIjjNS0_4plusIjEEEEZZNS1_33reduce_by_key_impl_wrapped_configILNS1_25lookback_scan_determinismE0ES3_S7_PKjNS0_17constant_iteratorIjlEEPjPlSF_S6_NS0_8equal_toIjEEEE10hipError_tPvRmT2_T3_mT4_T5_T6_T7_T8_P12ihipStream_tbENKUlT_T0_E_clISt17integral_constantIbLb1EESY_IbLb0EEEEDaSU_SV_EUlSU_E_NS1_11comp_targetILNS1_3genE4ELNS1_11target_archE910ELNS1_3gpuE8ELNS1_3repE0EEENS1_30default_config_static_selectorELNS0_4arch9wavefront6targetE0EEEvT1_.numbered_sgpr, 0
	.set _ZN7rocprim17ROCPRIM_400000_NS6detail17trampoline_kernelINS0_14default_configENS1_33run_length_encode_config_selectorIjjNS0_4plusIjEEEEZZNS1_33reduce_by_key_impl_wrapped_configILNS1_25lookback_scan_determinismE0ES3_S7_PKjNS0_17constant_iteratorIjlEEPjPlSF_S6_NS0_8equal_toIjEEEE10hipError_tPvRmT2_T3_mT4_T5_T6_T7_T8_P12ihipStream_tbENKUlT_T0_E_clISt17integral_constantIbLb1EESY_IbLb0EEEEDaSU_SV_EUlSU_E_NS1_11comp_targetILNS1_3genE4ELNS1_11target_archE910ELNS1_3gpuE8ELNS1_3repE0EEENS1_30default_config_static_selectorELNS0_4arch9wavefront6targetE0EEEvT1_.num_named_barrier, 0
	.set _ZN7rocprim17ROCPRIM_400000_NS6detail17trampoline_kernelINS0_14default_configENS1_33run_length_encode_config_selectorIjjNS0_4plusIjEEEEZZNS1_33reduce_by_key_impl_wrapped_configILNS1_25lookback_scan_determinismE0ES3_S7_PKjNS0_17constant_iteratorIjlEEPjPlSF_S6_NS0_8equal_toIjEEEE10hipError_tPvRmT2_T3_mT4_T5_T6_T7_T8_P12ihipStream_tbENKUlT_T0_E_clISt17integral_constantIbLb1EESY_IbLb0EEEEDaSU_SV_EUlSU_E_NS1_11comp_targetILNS1_3genE4ELNS1_11target_archE910ELNS1_3gpuE8ELNS1_3repE0EEENS1_30default_config_static_selectorELNS0_4arch9wavefront6targetE0EEEvT1_.private_seg_size, 0
	.set _ZN7rocprim17ROCPRIM_400000_NS6detail17trampoline_kernelINS0_14default_configENS1_33run_length_encode_config_selectorIjjNS0_4plusIjEEEEZZNS1_33reduce_by_key_impl_wrapped_configILNS1_25lookback_scan_determinismE0ES3_S7_PKjNS0_17constant_iteratorIjlEEPjPlSF_S6_NS0_8equal_toIjEEEE10hipError_tPvRmT2_T3_mT4_T5_T6_T7_T8_P12ihipStream_tbENKUlT_T0_E_clISt17integral_constantIbLb1EESY_IbLb0EEEEDaSU_SV_EUlSU_E_NS1_11comp_targetILNS1_3genE4ELNS1_11target_archE910ELNS1_3gpuE8ELNS1_3repE0EEENS1_30default_config_static_selectorELNS0_4arch9wavefront6targetE0EEEvT1_.uses_vcc, 0
	.set _ZN7rocprim17ROCPRIM_400000_NS6detail17trampoline_kernelINS0_14default_configENS1_33run_length_encode_config_selectorIjjNS0_4plusIjEEEEZZNS1_33reduce_by_key_impl_wrapped_configILNS1_25lookback_scan_determinismE0ES3_S7_PKjNS0_17constant_iteratorIjlEEPjPlSF_S6_NS0_8equal_toIjEEEE10hipError_tPvRmT2_T3_mT4_T5_T6_T7_T8_P12ihipStream_tbENKUlT_T0_E_clISt17integral_constantIbLb1EESY_IbLb0EEEEDaSU_SV_EUlSU_E_NS1_11comp_targetILNS1_3genE4ELNS1_11target_archE910ELNS1_3gpuE8ELNS1_3repE0EEENS1_30default_config_static_selectorELNS0_4arch9wavefront6targetE0EEEvT1_.uses_flat_scratch, 0
	.set _ZN7rocprim17ROCPRIM_400000_NS6detail17trampoline_kernelINS0_14default_configENS1_33run_length_encode_config_selectorIjjNS0_4plusIjEEEEZZNS1_33reduce_by_key_impl_wrapped_configILNS1_25lookback_scan_determinismE0ES3_S7_PKjNS0_17constant_iteratorIjlEEPjPlSF_S6_NS0_8equal_toIjEEEE10hipError_tPvRmT2_T3_mT4_T5_T6_T7_T8_P12ihipStream_tbENKUlT_T0_E_clISt17integral_constantIbLb1EESY_IbLb0EEEEDaSU_SV_EUlSU_E_NS1_11comp_targetILNS1_3genE4ELNS1_11target_archE910ELNS1_3gpuE8ELNS1_3repE0EEENS1_30default_config_static_selectorELNS0_4arch9wavefront6targetE0EEEvT1_.has_dyn_sized_stack, 0
	.set _ZN7rocprim17ROCPRIM_400000_NS6detail17trampoline_kernelINS0_14default_configENS1_33run_length_encode_config_selectorIjjNS0_4plusIjEEEEZZNS1_33reduce_by_key_impl_wrapped_configILNS1_25lookback_scan_determinismE0ES3_S7_PKjNS0_17constant_iteratorIjlEEPjPlSF_S6_NS0_8equal_toIjEEEE10hipError_tPvRmT2_T3_mT4_T5_T6_T7_T8_P12ihipStream_tbENKUlT_T0_E_clISt17integral_constantIbLb1EESY_IbLb0EEEEDaSU_SV_EUlSU_E_NS1_11comp_targetILNS1_3genE4ELNS1_11target_archE910ELNS1_3gpuE8ELNS1_3repE0EEENS1_30default_config_static_selectorELNS0_4arch9wavefront6targetE0EEEvT1_.has_recursion, 0
	.set _ZN7rocprim17ROCPRIM_400000_NS6detail17trampoline_kernelINS0_14default_configENS1_33run_length_encode_config_selectorIjjNS0_4plusIjEEEEZZNS1_33reduce_by_key_impl_wrapped_configILNS1_25lookback_scan_determinismE0ES3_S7_PKjNS0_17constant_iteratorIjlEEPjPlSF_S6_NS0_8equal_toIjEEEE10hipError_tPvRmT2_T3_mT4_T5_T6_T7_T8_P12ihipStream_tbENKUlT_T0_E_clISt17integral_constantIbLb1EESY_IbLb0EEEEDaSU_SV_EUlSU_E_NS1_11comp_targetILNS1_3genE4ELNS1_11target_archE910ELNS1_3gpuE8ELNS1_3repE0EEENS1_30default_config_static_selectorELNS0_4arch9wavefront6targetE0EEEvT1_.has_indirect_call, 0
	.section	.AMDGPU.csdata,"",@progbits
; Kernel info:
; codeLenInByte = 0
; TotalNumSgprs: 0
; NumVgprs: 0
; ScratchSize: 0
; MemoryBound: 0
; FloatMode: 240
; IeeeMode: 1
; LDSByteSize: 0 bytes/workgroup (compile time only)
; SGPRBlocks: 0
; VGPRBlocks: 0
; NumSGPRsForWavesPerEU: 1
; NumVGPRsForWavesPerEU: 1
; NamedBarCnt: 0
; Occupancy: 16
; WaveLimiterHint : 0
; COMPUTE_PGM_RSRC2:SCRATCH_EN: 0
; COMPUTE_PGM_RSRC2:USER_SGPR: 2
; COMPUTE_PGM_RSRC2:TRAP_HANDLER: 0
; COMPUTE_PGM_RSRC2:TGID_X_EN: 1
; COMPUTE_PGM_RSRC2:TGID_Y_EN: 0
; COMPUTE_PGM_RSRC2:TGID_Z_EN: 0
; COMPUTE_PGM_RSRC2:TIDIG_COMP_CNT: 0
	.section	.text._ZN7rocprim17ROCPRIM_400000_NS6detail17trampoline_kernelINS0_14default_configENS1_33run_length_encode_config_selectorIjjNS0_4plusIjEEEEZZNS1_33reduce_by_key_impl_wrapped_configILNS1_25lookback_scan_determinismE0ES3_S7_PKjNS0_17constant_iteratorIjlEEPjPlSF_S6_NS0_8equal_toIjEEEE10hipError_tPvRmT2_T3_mT4_T5_T6_T7_T8_P12ihipStream_tbENKUlT_T0_E_clISt17integral_constantIbLb1EESY_IbLb0EEEEDaSU_SV_EUlSU_E_NS1_11comp_targetILNS1_3genE3ELNS1_11target_archE908ELNS1_3gpuE7ELNS1_3repE0EEENS1_30default_config_static_selectorELNS0_4arch9wavefront6targetE0EEEvT1_,"axG",@progbits,_ZN7rocprim17ROCPRIM_400000_NS6detail17trampoline_kernelINS0_14default_configENS1_33run_length_encode_config_selectorIjjNS0_4plusIjEEEEZZNS1_33reduce_by_key_impl_wrapped_configILNS1_25lookback_scan_determinismE0ES3_S7_PKjNS0_17constant_iteratorIjlEEPjPlSF_S6_NS0_8equal_toIjEEEE10hipError_tPvRmT2_T3_mT4_T5_T6_T7_T8_P12ihipStream_tbENKUlT_T0_E_clISt17integral_constantIbLb1EESY_IbLb0EEEEDaSU_SV_EUlSU_E_NS1_11comp_targetILNS1_3genE3ELNS1_11target_archE908ELNS1_3gpuE7ELNS1_3repE0EEENS1_30default_config_static_selectorELNS0_4arch9wavefront6targetE0EEEvT1_,comdat
	.protected	_ZN7rocprim17ROCPRIM_400000_NS6detail17trampoline_kernelINS0_14default_configENS1_33run_length_encode_config_selectorIjjNS0_4plusIjEEEEZZNS1_33reduce_by_key_impl_wrapped_configILNS1_25lookback_scan_determinismE0ES3_S7_PKjNS0_17constant_iteratorIjlEEPjPlSF_S6_NS0_8equal_toIjEEEE10hipError_tPvRmT2_T3_mT4_T5_T6_T7_T8_P12ihipStream_tbENKUlT_T0_E_clISt17integral_constantIbLb1EESY_IbLb0EEEEDaSU_SV_EUlSU_E_NS1_11comp_targetILNS1_3genE3ELNS1_11target_archE908ELNS1_3gpuE7ELNS1_3repE0EEENS1_30default_config_static_selectorELNS0_4arch9wavefront6targetE0EEEvT1_ ; -- Begin function _ZN7rocprim17ROCPRIM_400000_NS6detail17trampoline_kernelINS0_14default_configENS1_33run_length_encode_config_selectorIjjNS0_4plusIjEEEEZZNS1_33reduce_by_key_impl_wrapped_configILNS1_25lookback_scan_determinismE0ES3_S7_PKjNS0_17constant_iteratorIjlEEPjPlSF_S6_NS0_8equal_toIjEEEE10hipError_tPvRmT2_T3_mT4_T5_T6_T7_T8_P12ihipStream_tbENKUlT_T0_E_clISt17integral_constantIbLb1EESY_IbLb0EEEEDaSU_SV_EUlSU_E_NS1_11comp_targetILNS1_3genE3ELNS1_11target_archE908ELNS1_3gpuE7ELNS1_3repE0EEENS1_30default_config_static_selectorELNS0_4arch9wavefront6targetE0EEEvT1_
	.globl	_ZN7rocprim17ROCPRIM_400000_NS6detail17trampoline_kernelINS0_14default_configENS1_33run_length_encode_config_selectorIjjNS0_4plusIjEEEEZZNS1_33reduce_by_key_impl_wrapped_configILNS1_25lookback_scan_determinismE0ES3_S7_PKjNS0_17constant_iteratorIjlEEPjPlSF_S6_NS0_8equal_toIjEEEE10hipError_tPvRmT2_T3_mT4_T5_T6_T7_T8_P12ihipStream_tbENKUlT_T0_E_clISt17integral_constantIbLb1EESY_IbLb0EEEEDaSU_SV_EUlSU_E_NS1_11comp_targetILNS1_3genE3ELNS1_11target_archE908ELNS1_3gpuE7ELNS1_3repE0EEENS1_30default_config_static_selectorELNS0_4arch9wavefront6targetE0EEEvT1_
	.p2align	8
	.type	_ZN7rocprim17ROCPRIM_400000_NS6detail17trampoline_kernelINS0_14default_configENS1_33run_length_encode_config_selectorIjjNS0_4plusIjEEEEZZNS1_33reduce_by_key_impl_wrapped_configILNS1_25lookback_scan_determinismE0ES3_S7_PKjNS0_17constant_iteratorIjlEEPjPlSF_S6_NS0_8equal_toIjEEEE10hipError_tPvRmT2_T3_mT4_T5_T6_T7_T8_P12ihipStream_tbENKUlT_T0_E_clISt17integral_constantIbLb1EESY_IbLb0EEEEDaSU_SV_EUlSU_E_NS1_11comp_targetILNS1_3genE3ELNS1_11target_archE908ELNS1_3gpuE7ELNS1_3repE0EEENS1_30default_config_static_selectorELNS0_4arch9wavefront6targetE0EEEvT1_,@function
_ZN7rocprim17ROCPRIM_400000_NS6detail17trampoline_kernelINS0_14default_configENS1_33run_length_encode_config_selectorIjjNS0_4plusIjEEEEZZNS1_33reduce_by_key_impl_wrapped_configILNS1_25lookback_scan_determinismE0ES3_S7_PKjNS0_17constant_iteratorIjlEEPjPlSF_S6_NS0_8equal_toIjEEEE10hipError_tPvRmT2_T3_mT4_T5_T6_T7_T8_P12ihipStream_tbENKUlT_T0_E_clISt17integral_constantIbLb1EESY_IbLb0EEEEDaSU_SV_EUlSU_E_NS1_11comp_targetILNS1_3genE3ELNS1_11target_archE908ELNS1_3gpuE7ELNS1_3repE0EEENS1_30default_config_static_selectorELNS0_4arch9wavefront6targetE0EEEvT1_: ; @_ZN7rocprim17ROCPRIM_400000_NS6detail17trampoline_kernelINS0_14default_configENS1_33run_length_encode_config_selectorIjjNS0_4plusIjEEEEZZNS1_33reduce_by_key_impl_wrapped_configILNS1_25lookback_scan_determinismE0ES3_S7_PKjNS0_17constant_iteratorIjlEEPjPlSF_S6_NS0_8equal_toIjEEEE10hipError_tPvRmT2_T3_mT4_T5_T6_T7_T8_P12ihipStream_tbENKUlT_T0_E_clISt17integral_constantIbLb1EESY_IbLb0EEEEDaSU_SV_EUlSU_E_NS1_11comp_targetILNS1_3genE3ELNS1_11target_archE908ELNS1_3gpuE7ELNS1_3repE0EEENS1_30default_config_static_selectorELNS0_4arch9wavefront6targetE0EEEvT1_
; %bb.0:
	.section	.rodata,"a",@progbits
	.p2align	6, 0x0
	.amdhsa_kernel _ZN7rocprim17ROCPRIM_400000_NS6detail17trampoline_kernelINS0_14default_configENS1_33run_length_encode_config_selectorIjjNS0_4plusIjEEEEZZNS1_33reduce_by_key_impl_wrapped_configILNS1_25lookback_scan_determinismE0ES3_S7_PKjNS0_17constant_iteratorIjlEEPjPlSF_S6_NS0_8equal_toIjEEEE10hipError_tPvRmT2_T3_mT4_T5_T6_T7_T8_P12ihipStream_tbENKUlT_T0_E_clISt17integral_constantIbLb1EESY_IbLb0EEEEDaSU_SV_EUlSU_E_NS1_11comp_targetILNS1_3genE3ELNS1_11target_archE908ELNS1_3gpuE7ELNS1_3repE0EEENS1_30default_config_static_selectorELNS0_4arch9wavefront6targetE0EEEvT1_
		.amdhsa_group_segment_fixed_size 0
		.amdhsa_private_segment_fixed_size 0
		.amdhsa_kernarg_size 128
		.amdhsa_user_sgpr_count 2
		.amdhsa_user_sgpr_dispatch_ptr 0
		.amdhsa_user_sgpr_queue_ptr 0
		.amdhsa_user_sgpr_kernarg_segment_ptr 1
		.amdhsa_user_sgpr_dispatch_id 0
		.amdhsa_user_sgpr_kernarg_preload_length 0
		.amdhsa_user_sgpr_kernarg_preload_offset 0
		.amdhsa_user_sgpr_private_segment_size 0
		.amdhsa_wavefront_size32 1
		.amdhsa_uses_dynamic_stack 0
		.amdhsa_enable_private_segment 0
		.amdhsa_system_sgpr_workgroup_id_x 1
		.amdhsa_system_sgpr_workgroup_id_y 0
		.amdhsa_system_sgpr_workgroup_id_z 0
		.amdhsa_system_sgpr_workgroup_info 0
		.amdhsa_system_vgpr_workitem_id 0
		.amdhsa_next_free_vgpr 1
		.amdhsa_next_free_sgpr 1
		.amdhsa_named_barrier_count 0
		.amdhsa_reserve_vcc 0
		.amdhsa_float_round_mode_32 0
		.amdhsa_float_round_mode_16_64 0
		.amdhsa_float_denorm_mode_32 3
		.amdhsa_float_denorm_mode_16_64 3
		.amdhsa_fp16_overflow 0
		.amdhsa_memory_ordered 1
		.amdhsa_forward_progress 1
		.amdhsa_inst_pref_size 0
		.amdhsa_round_robin_scheduling 0
		.amdhsa_exception_fp_ieee_invalid_op 0
		.amdhsa_exception_fp_denorm_src 0
		.amdhsa_exception_fp_ieee_div_zero 0
		.amdhsa_exception_fp_ieee_overflow 0
		.amdhsa_exception_fp_ieee_underflow 0
		.amdhsa_exception_fp_ieee_inexact 0
		.amdhsa_exception_int_div_zero 0
	.end_amdhsa_kernel
	.section	.text._ZN7rocprim17ROCPRIM_400000_NS6detail17trampoline_kernelINS0_14default_configENS1_33run_length_encode_config_selectorIjjNS0_4plusIjEEEEZZNS1_33reduce_by_key_impl_wrapped_configILNS1_25lookback_scan_determinismE0ES3_S7_PKjNS0_17constant_iteratorIjlEEPjPlSF_S6_NS0_8equal_toIjEEEE10hipError_tPvRmT2_T3_mT4_T5_T6_T7_T8_P12ihipStream_tbENKUlT_T0_E_clISt17integral_constantIbLb1EESY_IbLb0EEEEDaSU_SV_EUlSU_E_NS1_11comp_targetILNS1_3genE3ELNS1_11target_archE908ELNS1_3gpuE7ELNS1_3repE0EEENS1_30default_config_static_selectorELNS0_4arch9wavefront6targetE0EEEvT1_,"axG",@progbits,_ZN7rocprim17ROCPRIM_400000_NS6detail17trampoline_kernelINS0_14default_configENS1_33run_length_encode_config_selectorIjjNS0_4plusIjEEEEZZNS1_33reduce_by_key_impl_wrapped_configILNS1_25lookback_scan_determinismE0ES3_S7_PKjNS0_17constant_iteratorIjlEEPjPlSF_S6_NS0_8equal_toIjEEEE10hipError_tPvRmT2_T3_mT4_T5_T6_T7_T8_P12ihipStream_tbENKUlT_T0_E_clISt17integral_constantIbLb1EESY_IbLb0EEEEDaSU_SV_EUlSU_E_NS1_11comp_targetILNS1_3genE3ELNS1_11target_archE908ELNS1_3gpuE7ELNS1_3repE0EEENS1_30default_config_static_selectorELNS0_4arch9wavefront6targetE0EEEvT1_,comdat
.Lfunc_end670:
	.size	_ZN7rocprim17ROCPRIM_400000_NS6detail17trampoline_kernelINS0_14default_configENS1_33run_length_encode_config_selectorIjjNS0_4plusIjEEEEZZNS1_33reduce_by_key_impl_wrapped_configILNS1_25lookback_scan_determinismE0ES3_S7_PKjNS0_17constant_iteratorIjlEEPjPlSF_S6_NS0_8equal_toIjEEEE10hipError_tPvRmT2_T3_mT4_T5_T6_T7_T8_P12ihipStream_tbENKUlT_T0_E_clISt17integral_constantIbLb1EESY_IbLb0EEEEDaSU_SV_EUlSU_E_NS1_11comp_targetILNS1_3genE3ELNS1_11target_archE908ELNS1_3gpuE7ELNS1_3repE0EEENS1_30default_config_static_selectorELNS0_4arch9wavefront6targetE0EEEvT1_, .Lfunc_end670-_ZN7rocprim17ROCPRIM_400000_NS6detail17trampoline_kernelINS0_14default_configENS1_33run_length_encode_config_selectorIjjNS0_4plusIjEEEEZZNS1_33reduce_by_key_impl_wrapped_configILNS1_25lookback_scan_determinismE0ES3_S7_PKjNS0_17constant_iteratorIjlEEPjPlSF_S6_NS0_8equal_toIjEEEE10hipError_tPvRmT2_T3_mT4_T5_T6_T7_T8_P12ihipStream_tbENKUlT_T0_E_clISt17integral_constantIbLb1EESY_IbLb0EEEEDaSU_SV_EUlSU_E_NS1_11comp_targetILNS1_3genE3ELNS1_11target_archE908ELNS1_3gpuE7ELNS1_3repE0EEENS1_30default_config_static_selectorELNS0_4arch9wavefront6targetE0EEEvT1_
                                        ; -- End function
	.set _ZN7rocprim17ROCPRIM_400000_NS6detail17trampoline_kernelINS0_14default_configENS1_33run_length_encode_config_selectorIjjNS0_4plusIjEEEEZZNS1_33reduce_by_key_impl_wrapped_configILNS1_25lookback_scan_determinismE0ES3_S7_PKjNS0_17constant_iteratorIjlEEPjPlSF_S6_NS0_8equal_toIjEEEE10hipError_tPvRmT2_T3_mT4_T5_T6_T7_T8_P12ihipStream_tbENKUlT_T0_E_clISt17integral_constantIbLb1EESY_IbLb0EEEEDaSU_SV_EUlSU_E_NS1_11comp_targetILNS1_3genE3ELNS1_11target_archE908ELNS1_3gpuE7ELNS1_3repE0EEENS1_30default_config_static_selectorELNS0_4arch9wavefront6targetE0EEEvT1_.num_vgpr, 0
	.set _ZN7rocprim17ROCPRIM_400000_NS6detail17trampoline_kernelINS0_14default_configENS1_33run_length_encode_config_selectorIjjNS0_4plusIjEEEEZZNS1_33reduce_by_key_impl_wrapped_configILNS1_25lookback_scan_determinismE0ES3_S7_PKjNS0_17constant_iteratorIjlEEPjPlSF_S6_NS0_8equal_toIjEEEE10hipError_tPvRmT2_T3_mT4_T5_T6_T7_T8_P12ihipStream_tbENKUlT_T0_E_clISt17integral_constantIbLb1EESY_IbLb0EEEEDaSU_SV_EUlSU_E_NS1_11comp_targetILNS1_3genE3ELNS1_11target_archE908ELNS1_3gpuE7ELNS1_3repE0EEENS1_30default_config_static_selectorELNS0_4arch9wavefront6targetE0EEEvT1_.num_agpr, 0
	.set _ZN7rocprim17ROCPRIM_400000_NS6detail17trampoline_kernelINS0_14default_configENS1_33run_length_encode_config_selectorIjjNS0_4plusIjEEEEZZNS1_33reduce_by_key_impl_wrapped_configILNS1_25lookback_scan_determinismE0ES3_S7_PKjNS0_17constant_iteratorIjlEEPjPlSF_S6_NS0_8equal_toIjEEEE10hipError_tPvRmT2_T3_mT4_T5_T6_T7_T8_P12ihipStream_tbENKUlT_T0_E_clISt17integral_constantIbLb1EESY_IbLb0EEEEDaSU_SV_EUlSU_E_NS1_11comp_targetILNS1_3genE3ELNS1_11target_archE908ELNS1_3gpuE7ELNS1_3repE0EEENS1_30default_config_static_selectorELNS0_4arch9wavefront6targetE0EEEvT1_.numbered_sgpr, 0
	.set _ZN7rocprim17ROCPRIM_400000_NS6detail17trampoline_kernelINS0_14default_configENS1_33run_length_encode_config_selectorIjjNS0_4plusIjEEEEZZNS1_33reduce_by_key_impl_wrapped_configILNS1_25lookback_scan_determinismE0ES3_S7_PKjNS0_17constant_iteratorIjlEEPjPlSF_S6_NS0_8equal_toIjEEEE10hipError_tPvRmT2_T3_mT4_T5_T6_T7_T8_P12ihipStream_tbENKUlT_T0_E_clISt17integral_constantIbLb1EESY_IbLb0EEEEDaSU_SV_EUlSU_E_NS1_11comp_targetILNS1_3genE3ELNS1_11target_archE908ELNS1_3gpuE7ELNS1_3repE0EEENS1_30default_config_static_selectorELNS0_4arch9wavefront6targetE0EEEvT1_.num_named_barrier, 0
	.set _ZN7rocprim17ROCPRIM_400000_NS6detail17trampoline_kernelINS0_14default_configENS1_33run_length_encode_config_selectorIjjNS0_4plusIjEEEEZZNS1_33reduce_by_key_impl_wrapped_configILNS1_25lookback_scan_determinismE0ES3_S7_PKjNS0_17constant_iteratorIjlEEPjPlSF_S6_NS0_8equal_toIjEEEE10hipError_tPvRmT2_T3_mT4_T5_T6_T7_T8_P12ihipStream_tbENKUlT_T0_E_clISt17integral_constantIbLb1EESY_IbLb0EEEEDaSU_SV_EUlSU_E_NS1_11comp_targetILNS1_3genE3ELNS1_11target_archE908ELNS1_3gpuE7ELNS1_3repE0EEENS1_30default_config_static_selectorELNS0_4arch9wavefront6targetE0EEEvT1_.private_seg_size, 0
	.set _ZN7rocprim17ROCPRIM_400000_NS6detail17trampoline_kernelINS0_14default_configENS1_33run_length_encode_config_selectorIjjNS0_4plusIjEEEEZZNS1_33reduce_by_key_impl_wrapped_configILNS1_25lookback_scan_determinismE0ES3_S7_PKjNS0_17constant_iteratorIjlEEPjPlSF_S6_NS0_8equal_toIjEEEE10hipError_tPvRmT2_T3_mT4_T5_T6_T7_T8_P12ihipStream_tbENKUlT_T0_E_clISt17integral_constantIbLb1EESY_IbLb0EEEEDaSU_SV_EUlSU_E_NS1_11comp_targetILNS1_3genE3ELNS1_11target_archE908ELNS1_3gpuE7ELNS1_3repE0EEENS1_30default_config_static_selectorELNS0_4arch9wavefront6targetE0EEEvT1_.uses_vcc, 0
	.set _ZN7rocprim17ROCPRIM_400000_NS6detail17trampoline_kernelINS0_14default_configENS1_33run_length_encode_config_selectorIjjNS0_4plusIjEEEEZZNS1_33reduce_by_key_impl_wrapped_configILNS1_25lookback_scan_determinismE0ES3_S7_PKjNS0_17constant_iteratorIjlEEPjPlSF_S6_NS0_8equal_toIjEEEE10hipError_tPvRmT2_T3_mT4_T5_T6_T7_T8_P12ihipStream_tbENKUlT_T0_E_clISt17integral_constantIbLb1EESY_IbLb0EEEEDaSU_SV_EUlSU_E_NS1_11comp_targetILNS1_3genE3ELNS1_11target_archE908ELNS1_3gpuE7ELNS1_3repE0EEENS1_30default_config_static_selectorELNS0_4arch9wavefront6targetE0EEEvT1_.uses_flat_scratch, 0
	.set _ZN7rocprim17ROCPRIM_400000_NS6detail17trampoline_kernelINS0_14default_configENS1_33run_length_encode_config_selectorIjjNS0_4plusIjEEEEZZNS1_33reduce_by_key_impl_wrapped_configILNS1_25lookback_scan_determinismE0ES3_S7_PKjNS0_17constant_iteratorIjlEEPjPlSF_S6_NS0_8equal_toIjEEEE10hipError_tPvRmT2_T3_mT4_T5_T6_T7_T8_P12ihipStream_tbENKUlT_T0_E_clISt17integral_constantIbLb1EESY_IbLb0EEEEDaSU_SV_EUlSU_E_NS1_11comp_targetILNS1_3genE3ELNS1_11target_archE908ELNS1_3gpuE7ELNS1_3repE0EEENS1_30default_config_static_selectorELNS0_4arch9wavefront6targetE0EEEvT1_.has_dyn_sized_stack, 0
	.set _ZN7rocprim17ROCPRIM_400000_NS6detail17trampoline_kernelINS0_14default_configENS1_33run_length_encode_config_selectorIjjNS0_4plusIjEEEEZZNS1_33reduce_by_key_impl_wrapped_configILNS1_25lookback_scan_determinismE0ES3_S7_PKjNS0_17constant_iteratorIjlEEPjPlSF_S6_NS0_8equal_toIjEEEE10hipError_tPvRmT2_T3_mT4_T5_T6_T7_T8_P12ihipStream_tbENKUlT_T0_E_clISt17integral_constantIbLb1EESY_IbLb0EEEEDaSU_SV_EUlSU_E_NS1_11comp_targetILNS1_3genE3ELNS1_11target_archE908ELNS1_3gpuE7ELNS1_3repE0EEENS1_30default_config_static_selectorELNS0_4arch9wavefront6targetE0EEEvT1_.has_recursion, 0
	.set _ZN7rocprim17ROCPRIM_400000_NS6detail17trampoline_kernelINS0_14default_configENS1_33run_length_encode_config_selectorIjjNS0_4plusIjEEEEZZNS1_33reduce_by_key_impl_wrapped_configILNS1_25lookback_scan_determinismE0ES3_S7_PKjNS0_17constant_iteratorIjlEEPjPlSF_S6_NS0_8equal_toIjEEEE10hipError_tPvRmT2_T3_mT4_T5_T6_T7_T8_P12ihipStream_tbENKUlT_T0_E_clISt17integral_constantIbLb1EESY_IbLb0EEEEDaSU_SV_EUlSU_E_NS1_11comp_targetILNS1_3genE3ELNS1_11target_archE908ELNS1_3gpuE7ELNS1_3repE0EEENS1_30default_config_static_selectorELNS0_4arch9wavefront6targetE0EEEvT1_.has_indirect_call, 0
	.section	.AMDGPU.csdata,"",@progbits
; Kernel info:
; codeLenInByte = 0
; TotalNumSgprs: 0
; NumVgprs: 0
; ScratchSize: 0
; MemoryBound: 0
; FloatMode: 240
; IeeeMode: 1
; LDSByteSize: 0 bytes/workgroup (compile time only)
; SGPRBlocks: 0
; VGPRBlocks: 0
; NumSGPRsForWavesPerEU: 1
; NumVGPRsForWavesPerEU: 1
; NamedBarCnt: 0
; Occupancy: 16
; WaveLimiterHint : 0
; COMPUTE_PGM_RSRC2:SCRATCH_EN: 0
; COMPUTE_PGM_RSRC2:USER_SGPR: 2
; COMPUTE_PGM_RSRC2:TRAP_HANDLER: 0
; COMPUTE_PGM_RSRC2:TGID_X_EN: 1
; COMPUTE_PGM_RSRC2:TGID_Y_EN: 0
; COMPUTE_PGM_RSRC2:TGID_Z_EN: 0
; COMPUTE_PGM_RSRC2:TIDIG_COMP_CNT: 0
	.section	.text._ZN7rocprim17ROCPRIM_400000_NS6detail17trampoline_kernelINS0_14default_configENS1_33run_length_encode_config_selectorIjjNS0_4plusIjEEEEZZNS1_33reduce_by_key_impl_wrapped_configILNS1_25lookback_scan_determinismE0ES3_S7_PKjNS0_17constant_iteratorIjlEEPjPlSF_S6_NS0_8equal_toIjEEEE10hipError_tPvRmT2_T3_mT4_T5_T6_T7_T8_P12ihipStream_tbENKUlT_T0_E_clISt17integral_constantIbLb1EESY_IbLb0EEEEDaSU_SV_EUlSU_E_NS1_11comp_targetILNS1_3genE2ELNS1_11target_archE906ELNS1_3gpuE6ELNS1_3repE0EEENS1_30default_config_static_selectorELNS0_4arch9wavefront6targetE0EEEvT1_,"axG",@progbits,_ZN7rocprim17ROCPRIM_400000_NS6detail17trampoline_kernelINS0_14default_configENS1_33run_length_encode_config_selectorIjjNS0_4plusIjEEEEZZNS1_33reduce_by_key_impl_wrapped_configILNS1_25lookback_scan_determinismE0ES3_S7_PKjNS0_17constant_iteratorIjlEEPjPlSF_S6_NS0_8equal_toIjEEEE10hipError_tPvRmT2_T3_mT4_T5_T6_T7_T8_P12ihipStream_tbENKUlT_T0_E_clISt17integral_constantIbLb1EESY_IbLb0EEEEDaSU_SV_EUlSU_E_NS1_11comp_targetILNS1_3genE2ELNS1_11target_archE906ELNS1_3gpuE6ELNS1_3repE0EEENS1_30default_config_static_selectorELNS0_4arch9wavefront6targetE0EEEvT1_,comdat
	.protected	_ZN7rocprim17ROCPRIM_400000_NS6detail17trampoline_kernelINS0_14default_configENS1_33run_length_encode_config_selectorIjjNS0_4plusIjEEEEZZNS1_33reduce_by_key_impl_wrapped_configILNS1_25lookback_scan_determinismE0ES3_S7_PKjNS0_17constant_iteratorIjlEEPjPlSF_S6_NS0_8equal_toIjEEEE10hipError_tPvRmT2_T3_mT4_T5_T6_T7_T8_P12ihipStream_tbENKUlT_T0_E_clISt17integral_constantIbLb1EESY_IbLb0EEEEDaSU_SV_EUlSU_E_NS1_11comp_targetILNS1_3genE2ELNS1_11target_archE906ELNS1_3gpuE6ELNS1_3repE0EEENS1_30default_config_static_selectorELNS0_4arch9wavefront6targetE0EEEvT1_ ; -- Begin function _ZN7rocprim17ROCPRIM_400000_NS6detail17trampoline_kernelINS0_14default_configENS1_33run_length_encode_config_selectorIjjNS0_4plusIjEEEEZZNS1_33reduce_by_key_impl_wrapped_configILNS1_25lookback_scan_determinismE0ES3_S7_PKjNS0_17constant_iteratorIjlEEPjPlSF_S6_NS0_8equal_toIjEEEE10hipError_tPvRmT2_T3_mT4_T5_T6_T7_T8_P12ihipStream_tbENKUlT_T0_E_clISt17integral_constantIbLb1EESY_IbLb0EEEEDaSU_SV_EUlSU_E_NS1_11comp_targetILNS1_3genE2ELNS1_11target_archE906ELNS1_3gpuE6ELNS1_3repE0EEENS1_30default_config_static_selectorELNS0_4arch9wavefront6targetE0EEEvT1_
	.globl	_ZN7rocprim17ROCPRIM_400000_NS6detail17trampoline_kernelINS0_14default_configENS1_33run_length_encode_config_selectorIjjNS0_4plusIjEEEEZZNS1_33reduce_by_key_impl_wrapped_configILNS1_25lookback_scan_determinismE0ES3_S7_PKjNS0_17constant_iteratorIjlEEPjPlSF_S6_NS0_8equal_toIjEEEE10hipError_tPvRmT2_T3_mT4_T5_T6_T7_T8_P12ihipStream_tbENKUlT_T0_E_clISt17integral_constantIbLb1EESY_IbLb0EEEEDaSU_SV_EUlSU_E_NS1_11comp_targetILNS1_3genE2ELNS1_11target_archE906ELNS1_3gpuE6ELNS1_3repE0EEENS1_30default_config_static_selectorELNS0_4arch9wavefront6targetE0EEEvT1_
	.p2align	8
	.type	_ZN7rocprim17ROCPRIM_400000_NS6detail17trampoline_kernelINS0_14default_configENS1_33run_length_encode_config_selectorIjjNS0_4plusIjEEEEZZNS1_33reduce_by_key_impl_wrapped_configILNS1_25lookback_scan_determinismE0ES3_S7_PKjNS0_17constant_iteratorIjlEEPjPlSF_S6_NS0_8equal_toIjEEEE10hipError_tPvRmT2_T3_mT4_T5_T6_T7_T8_P12ihipStream_tbENKUlT_T0_E_clISt17integral_constantIbLb1EESY_IbLb0EEEEDaSU_SV_EUlSU_E_NS1_11comp_targetILNS1_3genE2ELNS1_11target_archE906ELNS1_3gpuE6ELNS1_3repE0EEENS1_30default_config_static_selectorELNS0_4arch9wavefront6targetE0EEEvT1_,@function
_ZN7rocprim17ROCPRIM_400000_NS6detail17trampoline_kernelINS0_14default_configENS1_33run_length_encode_config_selectorIjjNS0_4plusIjEEEEZZNS1_33reduce_by_key_impl_wrapped_configILNS1_25lookback_scan_determinismE0ES3_S7_PKjNS0_17constant_iteratorIjlEEPjPlSF_S6_NS0_8equal_toIjEEEE10hipError_tPvRmT2_T3_mT4_T5_T6_T7_T8_P12ihipStream_tbENKUlT_T0_E_clISt17integral_constantIbLb1EESY_IbLb0EEEEDaSU_SV_EUlSU_E_NS1_11comp_targetILNS1_3genE2ELNS1_11target_archE906ELNS1_3gpuE6ELNS1_3repE0EEENS1_30default_config_static_selectorELNS0_4arch9wavefront6targetE0EEEvT1_: ; @_ZN7rocprim17ROCPRIM_400000_NS6detail17trampoline_kernelINS0_14default_configENS1_33run_length_encode_config_selectorIjjNS0_4plusIjEEEEZZNS1_33reduce_by_key_impl_wrapped_configILNS1_25lookback_scan_determinismE0ES3_S7_PKjNS0_17constant_iteratorIjlEEPjPlSF_S6_NS0_8equal_toIjEEEE10hipError_tPvRmT2_T3_mT4_T5_T6_T7_T8_P12ihipStream_tbENKUlT_T0_E_clISt17integral_constantIbLb1EESY_IbLb0EEEEDaSU_SV_EUlSU_E_NS1_11comp_targetILNS1_3genE2ELNS1_11target_archE906ELNS1_3gpuE6ELNS1_3repE0EEENS1_30default_config_static_selectorELNS0_4arch9wavefront6targetE0EEEvT1_
; %bb.0:
	.section	.rodata,"a",@progbits
	.p2align	6, 0x0
	.amdhsa_kernel _ZN7rocprim17ROCPRIM_400000_NS6detail17trampoline_kernelINS0_14default_configENS1_33run_length_encode_config_selectorIjjNS0_4plusIjEEEEZZNS1_33reduce_by_key_impl_wrapped_configILNS1_25lookback_scan_determinismE0ES3_S7_PKjNS0_17constant_iteratorIjlEEPjPlSF_S6_NS0_8equal_toIjEEEE10hipError_tPvRmT2_T3_mT4_T5_T6_T7_T8_P12ihipStream_tbENKUlT_T0_E_clISt17integral_constantIbLb1EESY_IbLb0EEEEDaSU_SV_EUlSU_E_NS1_11comp_targetILNS1_3genE2ELNS1_11target_archE906ELNS1_3gpuE6ELNS1_3repE0EEENS1_30default_config_static_selectorELNS0_4arch9wavefront6targetE0EEEvT1_
		.amdhsa_group_segment_fixed_size 0
		.amdhsa_private_segment_fixed_size 0
		.amdhsa_kernarg_size 128
		.amdhsa_user_sgpr_count 2
		.amdhsa_user_sgpr_dispatch_ptr 0
		.amdhsa_user_sgpr_queue_ptr 0
		.amdhsa_user_sgpr_kernarg_segment_ptr 1
		.amdhsa_user_sgpr_dispatch_id 0
		.amdhsa_user_sgpr_kernarg_preload_length 0
		.amdhsa_user_sgpr_kernarg_preload_offset 0
		.amdhsa_user_sgpr_private_segment_size 0
		.amdhsa_wavefront_size32 1
		.amdhsa_uses_dynamic_stack 0
		.amdhsa_enable_private_segment 0
		.amdhsa_system_sgpr_workgroup_id_x 1
		.amdhsa_system_sgpr_workgroup_id_y 0
		.amdhsa_system_sgpr_workgroup_id_z 0
		.amdhsa_system_sgpr_workgroup_info 0
		.amdhsa_system_vgpr_workitem_id 0
		.amdhsa_next_free_vgpr 1
		.amdhsa_next_free_sgpr 1
		.amdhsa_named_barrier_count 0
		.amdhsa_reserve_vcc 0
		.amdhsa_float_round_mode_32 0
		.amdhsa_float_round_mode_16_64 0
		.amdhsa_float_denorm_mode_32 3
		.amdhsa_float_denorm_mode_16_64 3
		.amdhsa_fp16_overflow 0
		.amdhsa_memory_ordered 1
		.amdhsa_forward_progress 1
		.amdhsa_inst_pref_size 0
		.amdhsa_round_robin_scheduling 0
		.amdhsa_exception_fp_ieee_invalid_op 0
		.amdhsa_exception_fp_denorm_src 0
		.amdhsa_exception_fp_ieee_div_zero 0
		.amdhsa_exception_fp_ieee_overflow 0
		.amdhsa_exception_fp_ieee_underflow 0
		.amdhsa_exception_fp_ieee_inexact 0
		.amdhsa_exception_int_div_zero 0
	.end_amdhsa_kernel
	.section	.text._ZN7rocprim17ROCPRIM_400000_NS6detail17trampoline_kernelINS0_14default_configENS1_33run_length_encode_config_selectorIjjNS0_4plusIjEEEEZZNS1_33reduce_by_key_impl_wrapped_configILNS1_25lookback_scan_determinismE0ES3_S7_PKjNS0_17constant_iteratorIjlEEPjPlSF_S6_NS0_8equal_toIjEEEE10hipError_tPvRmT2_T3_mT4_T5_T6_T7_T8_P12ihipStream_tbENKUlT_T0_E_clISt17integral_constantIbLb1EESY_IbLb0EEEEDaSU_SV_EUlSU_E_NS1_11comp_targetILNS1_3genE2ELNS1_11target_archE906ELNS1_3gpuE6ELNS1_3repE0EEENS1_30default_config_static_selectorELNS0_4arch9wavefront6targetE0EEEvT1_,"axG",@progbits,_ZN7rocprim17ROCPRIM_400000_NS6detail17trampoline_kernelINS0_14default_configENS1_33run_length_encode_config_selectorIjjNS0_4plusIjEEEEZZNS1_33reduce_by_key_impl_wrapped_configILNS1_25lookback_scan_determinismE0ES3_S7_PKjNS0_17constant_iteratorIjlEEPjPlSF_S6_NS0_8equal_toIjEEEE10hipError_tPvRmT2_T3_mT4_T5_T6_T7_T8_P12ihipStream_tbENKUlT_T0_E_clISt17integral_constantIbLb1EESY_IbLb0EEEEDaSU_SV_EUlSU_E_NS1_11comp_targetILNS1_3genE2ELNS1_11target_archE906ELNS1_3gpuE6ELNS1_3repE0EEENS1_30default_config_static_selectorELNS0_4arch9wavefront6targetE0EEEvT1_,comdat
.Lfunc_end671:
	.size	_ZN7rocprim17ROCPRIM_400000_NS6detail17trampoline_kernelINS0_14default_configENS1_33run_length_encode_config_selectorIjjNS0_4plusIjEEEEZZNS1_33reduce_by_key_impl_wrapped_configILNS1_25lookback_scan_determinismE0ES3_S7_PKjNS0_17constant_iteratorIjlEEPjPlSF_S6_NS0_8equal_toIjEEEE10hipError_tPvRmT2_T3_mT4_T5_T6_T7_T8_P12ihipStream_tbENKUlT_T0_E_clISt17integral_constantIbLb1EESY_IbLb0EEEEDaSU_SV_EUlSU_E_NS1_11comp_targetILNS1_3genE2ELNS1_11target_archE906ELNS1_3gpuE6ELNS1_3repE0EEENS1_30default_config_static_selectorELNS0_4arch9wavefront6targetE0EEEvT1_, .Lfunc_end671-_ZN7rocprim17ROCPRIM_400000_NS6detail17trampoline_kernelINS0_14default_configENS1_33run_length_encode_config_selectorIjjNS0_4plusIjEEEEZZNS1_33reduce_by_key_impl_wrapped_configILNS1_25lookback_scan_determinismE0ES3_S7_PKjNS0_17constant_iteratorIjlEEPjPlSF_S6_NS0_8equal_toIjEEEE10hipError_tPvRmT2_T3_mT4_T5_T6_T7_T8_P12ihipStream_tbENKUlT_T0_E_clISt17integral_constantIbLb1EESY_IbLb0EEEEDaSU_SV_EUlSU_E_NS1_11comp_targetILNS1_3genE2ELNS1_11target_archE906ELNS1_3gpuE6ELNS1_3repE0EEENS1_30default_config_static_selectorELNS0_4arch9wavefront6targetE0EEEvT1_
                                        ; -- End function
	.set _ZN7rocprim17ROCPRIM_400000_NS6detail17trampoline_kernelINS0_14default_configENS1_33run_length_encode_config_selectorIjjNS0_4plusIjEEEEZZNS1_33reduce_by_key_impl_wrapped_configILNS1_25lookback_scan_determinismE0ES3_S7_PKjNS0_17constant_iteratorIjlEEPjPlSF_S6_NS0_8equal_toIjEEEE10hipError_tPvRmT2_T3_mT4_T5_T6_T7_T8_P12ihipStream_tbENKUlT_T0_E_clISt17integral_constantIbLb1EESY_IbLb0EEEEDaSU_SV_EUlSU_E_NS1_11comp_targetILNS1_3genE2ELNS1_11target_archE906ELNS1_3gpuE6ELNS1_3repE0EEENS1_30default_config_static_selectorELNS0_4arch9wavefront6targetE0EEEvT1_.num_vgpr, 0
	.set _ZN7rocprim17ROCPRIM_400000_NS6detail17trampoline_kernelINS0_14default_configENS1_33run_length_encode_config_selectorIjjNS0_4plusIjEEEEZZNS1_33reduce_by_key_impl_wrapped_configILNS1_25lookback_scan_determinismE0ES3_S7_PKjNS0_17constant_iteratorIjlEEPjPlSF_S6_NS0_8equal_toIjEEEE10hipError_tPvRmT2_T3_mT4_T5_T6_T7_T8_P12ihipStream_tbENKUlT_T0_E_clISt17integral_constantIbLb1EESY_IbLb0EEEEDaSU_SV_EUlSU_E_NS1_11comp_targetILNS1_3genE2ELNS1_11target_archE906ELNS1_3gpuE6ELNS1_3repE0EEENS1_30default_config_static_selectorELNS0_4arch9wavefront6targetE0EEEvT1_.num_agpr, 0
	.set _ZN7rocprim17ROCPRIM_400000_NS6detail17trampoline_kernelINS0_14default_configENS1_33run_length_encode_config_selectorIjjNS0_4plusIjEEEEZZNS1_33reduce_by_key_impl_wrapped_configILNS1_25lookback_scan_determinismE0ES3_S7_PKjNS0_17constant_iteratorIjlEEPjPlSF_S6_NS0_8equal_toIjEEEE10hipError_tPvRmT2_T3_mT4_T5_T6_T7_T8_P12ihipStream_tbENKUlT_T0_E_clISt17integral_constantIbLb1EESY_IbLb0EEEEDaSU_SV_EUlSU_E_NS1_11comp_targetILNS1_3genE2ELNS1_11target_archE906ELNS1_3gpuE6ELNS1_3repE0EEENS1_30default_config_static_selectorELNS0_4arch9wavefront6targetE0EEEvT1_.numbered_sgpr, 0
	.set _ZN7rocprim17ROCPRIM_400000_NS6detail17trampoline_kernelINS0_14default_configENS1_33run_length_encode_config_selectorIjjNS0_4plusIjEEEEZZNS1_33reduce_by_key_impl_wrapped_configILNS1_25lookback_scan_determinismE0ES3_S7_PKjNS0_17constant_iteratorIjlEEPjPlSF_S6_NS0_8equal_toIjEEEE10hipError_tPvRmT2_T3_mT4_T5_T6_T7_T8_P12ihipStream_tbENKUlT_T0_E_clISt17integral_constantIbLb1EESY_IbLb0EEEEDaSU_SV_EUlSU_E_NS1_11comp_targetILNS1_3genE2ELNS1_11target_archE906ELNS1_3gpuE6ELNS1_3repE0EEENS1_30default_config_static_selectorELNS0_4arch9wavefront6targetE0EEEvT1_.num_named_barrier, 0
	.set _ZN7rocprim17ROCPRIM_400000_NS6detail17trampoline_kernelINS0_14default_configENS1_33run_length_encode_config_selectorIjjNS0_4plusIjEEEEZZNS1_33reduce_by_key_impl_wrapped_configILNS1_25lookback_scan_determinismE0ES3_S7_PKjNS0_17constant_iteratorIjlEEPjPlSF_S6_NS0_8equal_toIjEEEE10hipError_tPvRmT2_T3_mT4_T5_T6_T7_T8_P12ihipStream_tbENKUlT_T0_E_clISt17integral_constantIbLb1EESY_IbLb0EEEEDaSU_SV_EUlSU_E_NS1_11comp_targetILNS1_3genE2ELNS1_11target_archE906ELNS1_3gpuE6ELNS1_3repE0EEENS1_30default_config_static_selectorELNS0_4arch9wavefront6targetE0EEEvT1_.private_seg_size, 0
	.set _ZN7rocprim17ROCPRIM_400000_NS6detail17trampoline_kernelINS0_14default_configENS1_33run_length_encode_config_selectorIjjNS0_4plusIjEEEEZZNS1_33reduce_by_key_impl_wrapped_configILNS1_25lookback_scan_determinismE0ES3_S7_PKjNS0_17constant_iteratorIjlEEPjPlSF_S6_NS0_8equal_toIjEEEE10hipError_tPvRmT2_T3_mT4_T5_T6_T7_T8_P12ihipStream_tbENKUlT_T0_E_clISt17integral_constantIbLb1EESY_IbLb0EEEEDaSU_SV_EUlSU_E_NS1_11comp_targetILNS1_3genE2ELNS1_11target_archE906ELNS1_3gpuE6ELNS1_3repE0EEENS1_30default_config_static_selectorELNS0_4arch9wavefront6targetE0EEEvT1_.uses_vcc, 0
	.set _ZN7rocprim17ROCPRIM_400000_NS6detail17trampoline_kernelINS0_14default_configENS1_33run_length_encode_config_selectorIjjNS0_4plusIjEEEEZZNS1_33reduce_by_key_impl_wrapped_configILNS1_25lookback_scan_determinismE0ES3_S7_PKjNS0_17constant_iteratorIjlEEPjPlSF_S6_NS0_8equal_toIjEEEE10hipError_tPvRmT2_T3_mT4_T5_T6_T7_T8_P12ihipStream_tbENKUlT_T0_E_clISt17integral_constantIbLb1EESY_IbLb0EEEEDaSU_SV_EUlSU_E_NS1_11comp_targetILNS1_3genE2ELNS1_11target_archE906ELNS1_3gpuE6ELNS1_3repE0EEENS1_30default_config_static_selectorELNS0_4arch9wavefront6targetE0EEEvT1_.uses_flat_scratch, 0
	.set _ZN7rocprim17ROCPRIM_400000_NS6detail17trampoline_kernelINS0_14default_configENS1_33run_length_encode_config_selectorIjjNS0_4plusIjEEEEZZNS1_33reduce_by_key_impl_wrapped_configILNS1_25lookback_scan_determinismE0ES3_S7_PKjNS0_17constant_iteratorIjlEEPjPlSF_S6_NS0_8equal_toIjEEEE10hipError_tPvRmT2_T3_mT4_T5_T6_T7_T8_P12ihipStream_tbENKUlT_T0_E_clISt17integral_constantIbLb1EESY_IbLb0EEEEDaSU_SV_EUlSU_E_NS1_11comp_targetILNS1_3genE2ELNS1_11target_archE906ELNS1_3gpuE6ELNS1_3repE0EEENS1_30default_config_static_selectorELNS0_4arch9wavefront6targetE0EEEvT1_.has_dyn_sized_stack, 0
	.set _ZN7rocprim17ROCPRIM_400000_NS6detail17trampoline_kernelINS0_14default_configENS1_33run_length_encode_config_selectorIjjNS0_4plusIjEEEEZZNS1_33reduce_by_key_impl_wrapped_configILNS1_25lookback_scan_determinismE0ES3_S7_PKjNS0_17constant_iteratorIjlEEPjPlSF_S6_NS0_8equal_toIjEEEE10hipError_tPvRmT2_T3_mT4_T5_T6_T7_T8_P12ihipStream_tbENKUlT_T0_E_clISt17integral_constantIbLb1EESY_IbLb0EEEEDaSU_SV_EUlSU_E_NS1_11comp_targetILNS1_3genE2ELNS1_11target_archE906ELNS1_3gpuE6ELNS1_3repE0EEENS1_30default_config_static_selectorELNS0_4arch9wavefront6targetE0EEEvT1_.has_recursion, 0
	.set _ZN7rocprim17ROCPRIM_400000_NS6detail17trampoline_kernelINS0_14default_configENS1_33run_length_encode_config_selectorIjjNS0_4plusIjEEEEZZNS1_33reduce_by_key_impl_wrapped_configILNS1_25lookback_scan_determinismE0ES3_S7_PKjNS0_17constant_iteratorIjlEEPjPlSF_S6_NS0_8equal_toIjEEEE10hipError_tPvRmT2_T3_mT4_T5_T6_T7_T8_P12ihipStream_tbENKUlT_T0_E_clISt17integral_constantIbLb1EESY_IbLb0EEEEDaSU_SV_EUlSU_E_NS1_11comp_targetILNS1_3genE2ELNS1_11target_archE906ELNS1_3gpuE6ELNS1_3repE0EEENS1_30default_config_static_selectorELNS0_4arch9wavefront6targetE0EEEvT1_.has_indirect_call, 0
	.section	.AMDGPU.csdata,"",@progbits
; Kernel info:
; codeLenInByte = 0
; TotalNumSgprs: 0
; NumVgprs: 0
; ScratchSize: 0
; MemoryBound: 0
; FloatMode: 240
; IeeeMode: 1
; LDSByteSize: 0 bytes/workgroup (compile time only)
; SGPRBlocks: 0
; VGPRBlocks: 0
; NumSGPRsForWavesPerEU: 1
; NumVGPRsForWavesPerEU: 1
; NamedBarCnt: 0
; Occupancy: 16
; WaveLimiterHint : 0
; COMPUTE_PGM_RSRC2:SCRATCH_EN: 0
; COMPUTE_PGM_RSRC2:USER_SGPR: 2
; COMPUTE_PGM_RSRC2:TRAP_HANDLER: 0
; COMPUTE_PGM_RSRC2:TGID_X_EN: 1
; COMPUTE_PGM_RSRC2:TGID_Y_EN: 0
; COMPUTE_PGM_RSRC2:TGID_Z_EN: 0
; COMPUTE_PGM_RSRC2:TIDIG_COMP_CNT: 0
	.section	.text._ZN7rocprim17ROCPRIM_400000_NS6detail17trampoline_kernelINS0_14default_configENS1_33run_length_encode_config_selectorIjjNS0_4plusIjEEEEZZNS1_33reduce_by_key_impl_wrapped_configILNS1_25lookback_scan_determinismE0ES3_S7_PKjNS0_17constant_iteratorIjlEEPjPlSF_S6_NS0_8equal_toIjEEEE10hipError_tPvRmT2_T3_mT4_T5_T6_T7_T8_P12ihipStream_tbENKUlT_T0_E_clISt17integral_constantIbLb1EESY_IbLb0EEEEDaSU_SV_EUlSU_E_NS1_11comp_targetILNS1_3genE10ELNS1_11target_archE1201ELNS1_3gpuE5ELNS1_3repE0EEENS1_30default_config_static_selectorELNS0_4arch9wavefront6targetE0EEEvT1_,"axG",@progbits,_ZN7rocprim17ROCPRIM_400000_NS6detail17trampoline_kernelINS0_14default_configENS1_33run_length_encode_config_selectorIjjNS0_4plusIjEEEEZZNS1_33reduce_by_key_impl_wrapped_configILNS1_25lookback_scan_determinismE0ES3_S7_PKjNS0_17constant_iteratorIjlEEPjPlSF_S6_NS0_8equal_toIjEEEE10hipError_tPvRmT2_T3_mT4_T5_T6_T7_T8_P12ihipStream_tbENKUlT_T0_E_clISt17integral_constantIbLb1EESY_IbLb0EEEEDaSU_SV_EUlSU_E_NS1_11comp_targetILNS1_3genE10ELNS1_11target_archE1201ELNS1_3gpuE5ELNS1_3repE0EEENS1_30default_config_static_selectorELNS0_4arch9wavefront6targetE0EEEvT1_,comdat
	.protected	_ZN7rocprim17ROCPRIM_400000_NS6detail17trampoline_kernelINS0_14default_configENS1_33run_length_encode_config_selectorIjjNS0_4plusIjEEEEZZNS1_33reduce_by_key_impl_wrapped_configILNS1_25lookback_scan_determinismE0ES3_S7_PKjNS0_17constant_iteratorIjlEEPjPlSF_S6_NS0_8equal_toIjEEEE10hipError_tPvRmT2_T3_mT4_T5_T6_T7_T8_P12ihipStream_tbENKUlT_T0_E_clISt17integral_constantIbLb1EESY_IbLb0EEEEDaSU_SV_EUlSU_E_NS1_11comp_targetILNS1_3genE10ELNS1_11target_archE1201ELNS1_3gpuE5ELNS1_3repE0EEENS1_30default_config_static_selectorELNS0_4arch9wavefront6targetE0EEEvT1_ ; -- Begin function _ZN7rocprim17ROCPRIM_400000_NS6detail17trampoline_kernelINS0_14default_configENS1_33run_length_encode_config_selectorIjjNS0_4plusIjEEEEZZNS1_33reduce_by_key_impl_wrapped_configILNS1_25lookback_scan_determinismE0ES3_S7_PKjNS0_17constant_iteratorIjlEEPjPlSF_S6_NS0_8equal_toIjEEEE10hipError_tPvRmT2_T3_mT4_T5_T6_T7_T8_P12ihipStream_tbENKUlT_T0_E_clISt17integral_constantIbLb1EESY_IbLb0EEEEDaSU_SV_EUlSU_E_NS1_11comp_targetILNS1_3genE10ELNS1_11target_archE1201ELNS1_3gpuE5ELNS1_3repE0EEENS1_30default_config_static_selectorELNS0_4arch9wavefront6targetE0EEEvT1_
	.globl	_ZN7rocprim17ROCPRIM_400000_NS6detail17trampoline_kernelINS0_14default_configENS1_33run_length_encode_config_selectorIjjNS0_4plusIjEEEEZZNS1_33reduce_by_key_impl_wrapped_configILNS1_25lookback_scan_determinismE0ES3_S7_PKjNS0_17constant_iteratorIjlEEPjPlSF_S6_NS0_8equal_toIjEEEE10hipError_tPvRmT2_T3_mT4_T5_T6_T7_T8_P12ihipStream_tbENKUlT_T0_E_clISt17integral_constantIbLb1EESY_IbLb0EEEEDaSU_SV_EUlSU_E_NS1_11comp_targetILNS1_3genE10ELNS1_11target_archE1201ELNS1_3gpuE5ELNS1_3repE0EEENS1_30default_config_static_selectorELNS0_4arch9wavefront6targetE0EEEvT1_
	.p2align	8
	.type	_ZN7rocprim17ROCPRIM_400000_NS6detail17trampoline_kernelINS0_14default_configENS1_33run_length_encode_config_selectorIjjNS0_4plusIjEEEEZZNS1_33reduce_by_key_impl_wrapped_configILNS1_25lookback_scan_determinismE0ES3_S7_PKjNS0_17constant_iteratorIjlEEPjPlSF_S6_NS0_8equal_toIjEEEE10hipError_tPvRmT2_T3_mT4_T5_T6_T7_T8_P12ihipStream_tbENKUlT_T0_E_clISt17integral_constantIbLb1EESY_IbLb0EEEEDaSU_SV_EUlSU_E_NS1_11comp_targetILNS1_3genE10ELNS1_11target_archE1201ELNS1_3gpuE5ELNS1_3repE0EEENS1_30default_config_static_selectorELNS0_4arch9wavefront6targetE0EEEvT1_,@function
_ZN7rocprim17ROCPRIM_400000_NS6detail17trampoline_kernelINS0_14default_configENS1_33run_length_encode_config_selectorIjjNS0_4plusIjEEEEZZNS1_33reduce_by_key_impl_wrapped_configILNS1_25lookback_scan_determinismE0ES3_S7_PKjNS0_17constant_iteratorIjlEEPjPlSF_S6_NS0_8equal_toIjEEEE10hipError_tPvRmT2_T3_mT4_T5_T6_T7_T8_P12ihipStream_tbENKUlT_T0_E_clISt17integral_constantIbLb1EESY_IbLb0EEEEDaSU_SV_EUlSU_E_NS1_11comp_targetILNS1_3genE10ELNS1_11target_archE1201ELNS1_3gpuE5ELNS1_3repE0EEENS1_30default_config_static_selectorELNS0_4arch9wavefront6targetE0EEEvT1_: ; @_ZN7rocprim17ROCPRIM_400000_NS6detail17trampoline_kernelINS0_14default_configENS1_33run_length_encode_config_selectorIjjNS0_4plusIjEEEEZZNS1_33reduce_by_key_impl_wrapped_configILNS1_25lookback_scan_determinismE0ES3_S7_PKjNS0_17constant_iteratorIjlEEPjPlSF_S6_NS0_8equal_toIjEEEE10hipError_tPvRmT2_T3_mT4_T5_T6_T7_T8_P12ihipStream_tbENKUlT_T0_E_clISt17integral_constantIbLb1EESY_IbLb0EEEEDaSU_SV_EUlSU_E_NS1_11comp_targetILNS1_3genE10ELNS1_11target_archE1201ELNS1_3gpuE5ELNS1_3repE0EEENS1_30default_config_static_selectorELNS0_4arch9wavefront6targetE0EEEvT1_
; %bb.0:
	.section	.rodata,"a",@progbits
	.p2align	6, 0x0
	.amdhsa_kernel _ZN7rocprim17ROCPRIM_400000_NS6detail17trampoline_kernelINS0_14default_configENS1_33run_length_encode_config_selectorIjjNS0_4plusIjEEEEZZNS1_33reduce_by_key_impl_wrapped_configILNS1_25lookback_scan_determinismE0ES3_S7_PKjNS0_17constant_iteratorIjlEEPjPlSF_S6_NS0_8equal_toIjEEEE10hipError_tPvRmT2_T3_mT4_T5_T6_T7_T8_P12ihipStream_tbENKUlT_T0_E_clISt17integral_constantIbLb1EESY_IbLb0EEEEDaSU_SV_EUlSU_E_NS1_11comp_targetILNS1_3genE10ELNS1_11target_archE1201ELNS1_3gpuE5ELNS1_3repE0EEENS1_30default_config_static_selectorELNS0_4arch9wavefront6targetE0EEEvT1_
		.amdhsa_group_segment_fixed_size 0
		.amdhsa_private_segment_fixed_size 0
		.amdhsa_kernarg_size 128
		.amdhsa_user_sgpr_count 2
		.amdhsa_user_sgpr_dispatch_ptr 0
		.amdhsa_user_sgpr_queue_ptr 0
		.amdhsa_user_sgpr_kernarg_segment_ptr 1
		.amdhsa_user_sgpr_dispatch_id 0
		.amdhsa_user_sgpr_kernarg_preload_length 0
		.amdhsa_user_sgpr_kernarg_preload_offset 0
		.amdhsa_user_sgpr_private_segment_size 0
		.amdhsa_wavefront_size32 1
		.amdhsa_uses_dynamic_stack 0
		.amdhsa_enable_private_segment 0
		.amdhsa_system_sgpr_workgroup_id_x 1
		.amdhsa_system_sgpr_workgroup_id_y 0
		.amdhsa_system_sgpr_workgroup_id_z 0
		.amdhsa_system_sgpr_workgroup_info 0
		.amdhsa_system_vgpr_workitem_id 0
		.amdhsa_next_free_vgpr 1
		.amdhsa_next_free_sgpr 1
		.amdhsa_named_barrier_count 0
		.amdhsa_reserve_vcc 0
		.amdhsa_float_round_mode_32 0
		.amdhsa_float_round_mode_16_64 0
		.amdhsa_float_denorm_mode_32 3
		.amdhsa_float_denorm_mode_16_64 3
		.amdhsa_fp16_overflow 0
		.amdhsa_memory_ordered 1
		.amdhsa_forward_progress 1
		.amdhsa_inst_pref_size 0
		.amdhsa_round_robin_scheduling 0
		.amdhsa_exception_fp_ieee_invalid_op 0
		.amdhsa_exception_fp_denorm_src 0
		.amdhsa_exception_fp_ieee_div_zero 0
		.amdhsa_exception_fp_ieee_overflow 0
		.amdhsa_exception_fp_ieee_underflow 0
		.amdhsa_exception_fp_ieee_inexact 0
		.amdhsa_exception_int_div_zero 0
	.end_amdhsa_kernel
	.section	.text._ZN7rocprim17ROCPRIM_400000_NS6detail17trampoline_kernelINS0_14default_configENS1_33run_length_encode_config_selectorIjjNS0_4plusIjEEEEZZNS1_33reduce_by_key_impl_wrapped_configILNS1_25lookback_scan_determinismE0ES3_S7_PKjNS0_17constant_iteratorIjlEEPjPlSF_S6_NS0_8equal_toIjEEEE10hipError_tPvRmT2_T3_mT4_T5_T6_T7_T8_P12ihipStream_tbENKUlT_T0_E_clISt17integral_constantIbLb1EESY_IbLb0EEEEDaSU_SV_EUlSU_E_NS1_11comp_targetILNS1_3genE10ELNS1_11target_archE1201ELNS1_3gpuE5ELNS1_3repE0EEENS1_30default_config_static_selectorELNS0_4arch9wavefront6targetE0EEEvT1_,"axG",@progbits,_ZN7rocprim17ROCPRIM_400000_NS6detail17trampoline_kernelINS0_14default_configENS1_33run_length_encode_config_selectorIjjNS0_4plusIjEEEEZZNS1_33reduce_by_key_impl_wrapped_configILNS1_25lookback_scan_determinismE0ES3_S7_PKjNS0_17constant_iteratorIjlEEPjPlSF_S6_NS0_8equal_toIjEEEE10hipError_tPvRmT2_T3_mT4_T5_T6_T7_T8_P12ihipStream_tbENKUlT_T0_E_clISt17integral_constantIbLb1EESY_IbLb0EEEEDaSU_SV_EUlSU_E_NS1_11comp_targetILNS1_3genE10ELNS1_11target_archE1201ELNS1_3gpuE5ELNS1_3repE0EEENS1_30default_config_static_selectorELNS0_4arch9wavefront6targetE0EEEvT1_,comdat
.Lfunc_end672:
	.size	_ZN7rocprim17ROCPRIM_400000_NS6detail17trampoline_kernelINS0_14default_configENS1_33run_length_encode_config_selectorIjjNS0_4plusIjEEEEZZNS1_33reduce_by_key_impl_wrapped_configILNS1_25lookback_scan_determinismE0ES3_S7_PKjNS0_17constant_iteratorIjlEEPjPlSF_S6_NS0_8equal_toIjEEEE10hipError_tPvRmT2_T3_mT4_T5_T6_T7_T8_P12ihipStream_tbENKUlT_T0_E_clISt17integral_constantIbLb1EESY_IbLb0EEEEDaSU_SV_EUlSU_E_NS1_11comp_targetILNS1_3genE10ELNS1_11target_archE1201ELNS1_3gpuE5ELNS1_3repE0EEENS1_30default_config_static_selectorELNS0_4arch9wavefront6targetE0EEEvT1_, .Lfunc_end672-_ZN7rocprim17ROCPRIM_400000_NS6detail17trampoline_kernelINS0_14default_configENS1_33run_length_encode_config_selectorIjjNS0_4plusIjEEEEZZNS1_33reduce_by_key_impl_wrapped_configILNS1_25lookback_scan_determinismE0ES3_S7_PKjNS0_17constant_iteratorIjlEEPjPlSF_S6_NS0_8equal_toIjEEEE10hipError_tPvRmT2_T3_mT4_T5_T6_T7_T8_P12ihipStream_tbENKUlT_T0_E_clISt17integral_constantIbLb1EESY_IbLb0EEEEDaSU_SV_EUlSU_E_NS1_11comp_targetILNS1_3genE10ELNS1_11target_archE1201ELNS1_3gpuE5ELNS1_3repE0EEENS1_30default_config_static_selectorELNS0_4arch9wavefront6targetE0EEEvT1_
                                        ; -- End function
	.set _ZN7rocprim17ROCPRIM_400000_NS6detail17trampoline_kernelINS0_14default_configENS1_33run_length_encode_config_selectorIjjNS0_4plusIjEEEEZZNS1_33reduce_by_key_impl_wrapped_configILNS1_25lookback_scan_determinismE0ES3_S7_PKjNS0_17constant_iteratorIjlEEPjPlSF_S6_NS0_8equal_toIjEEEE10hipError_tPvRmT2_T3_mT4_T5_T6_T7_T8_P12ihipStream_tbENKUlT_T0_E_clISt17integral_constantIbLb1EESY_IbLb0EEEEDaSU_SV_EUlSU_E_NS1_11comp_targetILNS1_3genE10ELNS1_11target_archE1201ELNS1_3gpuE5ELNS1_3repE0EEENS1_30default_config_static_selectorELNS0_4arch9wavefront6targetE0EEEvT1_.num_vgpr, 0
	.set _ZN7rocprim17ROCPRIM_400000_NS6detail17trampoline_kernelINS0_14default_configENS1_33run_length_encode_config_selectorIjjNS0_4plusIjEEEEZZNS1_33reduce_by_key_impl_wrapped_configILNS1_25lookback_scan_determinismE0ES3_S7_PKjNS0_17constant_iteratorIjlEEPjPlSF_S6_NS0_8equal_toIjEEEE10hipError_tPvRmT2_T3_mT4_T5_T6_T7_T8_P12ihipStream_tbENKUlT_T0_E_clISt17integral_constantIbLb1EESY_IbLb0EEEEDaSU_SV_EUlSU_E_NS1_11comp_targetILNS1_3genE10ELNS1_11target_archE1201ELNS1_3gpuE5ELNS1_3repE0EEENS1_30default_config_static_selectorELNS0_4arch9wavefront6targetE0EEEvT1_.num_agpr, 0
	.set _ZN7rocprim17ROCPRIM_400000_NS6detail17trampoline_kernelINS0_14default_configENS1_33run_length_encode_config_selectorIjjNS0_4plusIjEEEEZZNS1_33reduce_by_key_impl_wrapped_configILNS1_25lookback_scan_determinismE0ES3_S7_PKjNS0_17constant_iteratorIjlEEPjPlSF_S6_NS0_8equal_toIjEEEE10hipError_tPvRmT2_T3_mT4_T5_T6_T7_T8_P12ihipStream_tbENKUlT_T0_E_clISt17integral_constantIbLb1EESY_IbLb0EEEEDaSU_SV_EUlSU_E_NS1_11comp_targetILNS1_3genE10ELNS1_11target_archE1201ELNS1_3gpuE5ELNS1_3repE0EEENS1_30default_config_static_selectorELNS0_4arch9wavefront6targetE0EEEvT1_.numbered_sgpr, 0
	.set _ZN7rocprim17ROCPRIM_400000_NS6detail17trampoline_kernelINS0_14default_configENS1_33run_length_encode_config_selectorIjjNS0_4plusIjEEEEZZNS1_33reduce_by_key_impl_wrapped_configILNS1_25lookback_scan_determinismE0ES3_S7_PKjNS0_17constant_iteratorIjlEEPjPlSF_S6_NS0_8equal_toIjEEEE10hipError_tPvRmT2_T3_mT4_T5_T6_T7_T8_P12ihipStream_tbENKUlT_T0_E_clISt17integral_constantIbLb1EESY_IbLb0EEEEDaSU_SV_EUlSU_E_NS1_11comp_targetILNS1_3genE10ELNS1_11target_archE1201ELNS1_3gpuE5ELNS1_3repE0EEENS1_30default_config_static_selectorELNS0_4arch9wavefront6targetE0EEEvT1_.num_named_barrier, 0
	.set _ZN7rocprim17ROCPRIM_400000_NS6detail17trampoline_kernelINS0_14default_configENS1_33run_length_encode_config_selectorIjjNS0_4plusIjEEEEZZNS1_33reduce_by_key_impl_wrapped_configILNS1_25lookback_scan_determinismE0ES3_S7_PKjNS0_17constant_iteratorIjlEEPjPlSF_S6_NS0_8equal_toIjEEEE10hipError_tPvRmT2_T3_mT4_T5_T6_T7_T8_P12ihipStream_tbENKUlT_T0_E_clISt17integral_constantIbLb1EESY_IbLb0EEEEDaSU_SV_EUlSU_E_NS1_11comp_targetILNS1_3genE10ELNS1_11target_archE1201ELNS1_3gpuE5ELNS1_3repE0EEENS1_30default_config_static_selectorELNS0_4arch9wavefront6targetE0EEEvT1_.private_seg_size, 0
	.set _ZN7rocprim17ROCPRIM_400000_NS6detail17trampoline_kernelINS0_14default_configENS1_33run_length_encode_config_selectorIjjNS0_4plusIjEEEEZZNS1_33reduce_by_key_impl_wrapped_configILNS1_25lookback_scan_determinismE0ES3_S7_PKjNS0_17constant_iteratorIjlEEPjPlSF_S6_NS0_8equal_toIjEEEE10hipError_tPvRmT2_T3_mT4_T5_T6_T7_T8_P12ihipStream_tbENKUlT_T0_E_clISt17integral_constantIbLb1EESY_IbLb0EEEEDaSU_SV_EUlSU_E_NS1_11comp_targetILNS1_3genE10ELNS1_11target_archE1201ELNS1_3gpuE5ELNS1_3repE0EEENS1_30default_config_static_selectorELNS0_4arch9wavefront6targetE0EEEvT1_.uses_vcc, 0
	.set _ZN7rocprim17ROCPRIM_400000_NS6detail17trampoline_kernelINS0_14default_configENS1_33run_length_encode_config_selectorIjjNS0_4plusIjEEEEZZNS1_33reduce_by_key_impl_wrapped_configILNS1_25lookback_scan_determinismE0ES3_S7_PKjNS0_17constant_iteratorIjlEEPjPlSF_S6_NS0_8equal_toIjEEEE10hipError_tPvRmT2_T3_mT4_T5_T6_T7_T8_P12ihipStream_tbENKUlT_T0_E_clISt17integral_constantIbLb1EESY_IbLb0EEEEDaSU_SV_EUlSU_E_NS1_11comp_targetILNS1_3genE10ELNS1_11target_archE1201ELNS1_3gpuE5ELNS1_3repE0EEENS1_30default_config_static_selectorELNS0_4arch9wavefront6targetE0EEEvT1_.uses_flat_scratch, 0
	.set _ZN7rocprim17ROCPRIM_400000_NS6detail17trampoline_kernelINS0_14default_configENS1_33run_length_encode_config_selectorIjjNS0_4plusIjEEEEZZNS1_33reduce_by_key_impl_wrapped_configILNS1_25lookback_scan_determinismE0ES3_S7_PKjNS0_17constant_iteratorIjlEEPjPlSF_S6_NS0_8equal_toIjEEEE10hipError_tPvRmT2_T3_mT4_T5_T6_T7_T8_P12ihipStream_tbENKUlT_T0_E_clISt17integral_constantIbLb1EESY_IbLb0EEEEDaSU_SV_EUlSU_E_NS1_11comp_targetILNS1_3genE10ELNS1_11target_archE1201ELNS1_3gpuE5ELNS1_3repE0EEENS1_30default_config_static_selectorELNS0_4arch9wavefront6targetE0EEEvT1_.has_dyn_sized_stack, 0
	.set _ZN7rocprim17ROCPRIM_400000_NS6detail17trampoline_kernelINS0_14default_configENS1_33run_length_encode_config_selectorIjjNS0_4plusIjEEEEZZNS1_33reduce_by_key_impl_wrapped_configILNS1_25lookback_scan_determinismE0ES3_S7_PKjNS0_17constant_iteratorIjlEEPjPlSF_S6_NS0_8equal_toIjEEEE10hipError_tPvRmT2_T3_mT4_T5_T6_T7_T8_P12ihipStream_tbENKUlT_T0_E_clISt17integral_constantIbLb1EESY_IbLb0EEEEDaSU_SV_EUlSU_E_NS1_11comp_targetILNS1_3genE10ELNS1_11target_archE1201ELNS1_3gpuE5ELNS1_3repE0EEENS1_30default_config_static_selectorELNS0_4arch9wavefront6targetE0EEEvT1_.has_recursion, 0
	.set _ZN7rocprim17ROCPRIM_400000_NS6detail17trampoline_kernelINS0_14default_configENS1_33run_length_encode_config_selectorIjjNS0_4plusIjEEEEZZNS1_33reduce_by_key_impl_wrapped_configILNS1_25lookback_scan_determinismE0ES3_S7_PKjNS0_17constant_iteratorIjlEEPjPlSF_S6_NS0_8equal_toIjEEEE10hipError_tPvRmT2_T3_mT4_T5_T6_T7_T8_P12ihipStream_tbENKUlT_T0_E_clISt17integral_constantIbLb1EESY_IbLb0EEEEDaSU_SV_EUlSU_E_NS1_11comp_targetILNS1_3genE10ELNS1_11target_archE1201ELNS1_3gpuE5ELNS1_3repE0EEENS1_30default_config_static_selectorELNS0_4arch9wavefront6targetE0EEEvT1_.has_indirect_call, 0
	.section	.AMDGPU.csdata,"",@progbits
; Kernel info:
; codeLenInByte = 0
; TotalNumSgprs: 0
; NumVgprs: 0
; ScratchSize: 0
; MemoryBound: 0
; FloatMode: 240
; IeeeMode: 1
; LDSByteSize: 0 bytes/workgroup (compile time only)
; SGPRBlocks: 0
; VGPRBlocks: 0
; NumSGPRsForWavesPerEU: 1
; NumVGPRsForWavesPerEU: 1
; NamedBarCnt: 0
; Occupancy: 16
; WaveLimiterHint : 0
; COMPUTE_PGM_RSRC2:SCRATCH_EN: 0
; COMPUTE_PGM_RSRC2:USER_SGPR: 2
; COMPUTE_PGM_RSRC2:TRAP_HANDLER: 0
; COMPUTE_PGM_RSRC2:TGID_X_EN: 1
; COMPUTE_PGM_RSRC2:TGID_Y_EN: 0
; COMPUTE_PGM_RSRC2:TGID_Z_EN: 0
; COMPUTE_PGM_RSRC2:TIDIG_COMP_CNT: 0
	.section	.text._ZN7rocprim17ROCPRIM_400000_NS6detail17trampoline_kernelINS0_14default_configENS1_33run_length_encode_config_selectorIjjNS0_4plusIjEEEEZZNS1_33reduce_by_key_impl_wrapped_configILNS1_25lookback_scan_determinismE0ES3_S7_PKjNS0_17constant_iteratorIjlEEPjPlSF_S6_NS0_8equal_toIjEEEE10hipError_tPvRmT2_T3_mT4_T5_T6_T7_T8_P12ihipStream_tbENKUlT_T0_E_clISt17integral_constantIbLb1EESY_IbLb0EEEEDaSU_SV_EUlSU_E_NS1_11comp_targetILNS1_3genE10ELNS1_11target_archE1200ELNS1_3gpuE4ELNS1_3repE0EEENS1_30default_config_static_selectorELNS0_4arch9wavefront6targetE0EEEvT1_,"axG",@progbits,_ZN7rocprim17ROCPRIM_400000_NS6detail17trampoline_kernelINS0_14default_configENS1_33run_length_encode_config_selectorIjjNS0_4plusIjEEEEZZNS1_33reduce_by_key_impl_wrapped_configILNS1_25lookback_scan_determinismE0ES3_S7_PKjNS0_17constant_iteratorIjlEEPjPlSF_S6_NS0_8equal_toIjEEEE10hipError_tPvRmT2_T3_mT4_T5_T6_T7_T8_P12ihipStream_tbENKUlT_T0_E_clISt17integral_constantIbLb1EESY_IbLb0EEEEDaSU_SV_EUlSU_E_NS1_11comp_targetILNS1_3genE10ELNS1_11target_archE1200ELNS1_3gpuE4ELNS1_3repE0EEENS1_30default_config_static_selectorELNS0_4arch9wavefront6targetE0EEEvT1_,comdat
	.protected	_ZN7rocprim17ROCPRIM_400000_NS6detail17trampoline_kernelINS0_14default_configENS1_33run_length_encode_config_selectorIjjNS0_4plusIjEEEEZZNS1_33reduce_by_key_impl_wrapped_configILNS1_25lookback_scan_determinismE0ES3_S7_PKjNS0_17constant_iteratorIjlEEPjPlSF_S6_NS0_8equal_toIjEEEE10hipError_tPvRmT2_T3_mT4_T5_T6_T7_T8_P12ihipStream_tbENKUlT_T0_E_clISt17integral_constantIbLb1EESY_IbLb0EEEEDaSU_SV_EUlSU_E_NS1_11comp_targetILNS1_3genE10ELNS1_11target_archE1200ELNS1_3gpuE4ELNS1_3repE0EEENS1_30default_config_static_selectorELNS0_4arch9wavefront6targetE0EEEvT1_ ; -- Begin function _ZN7rocprim17ROCPRIM_400000_NS6detail17trampoline_kernelINS0_14default_configENS1_33run_length_encode_config_selectorIjjNS0_4plusIjEEEEZZNS1_33reduce_by_key_impl_wrapped_configILNS1_25lookback_scan_determinismE0ES3_S7_PKjNS0_17constant_iteratorIjlEEPjPlSF_S6_NS0_8equal_toIjEEEE10hipError_tPvRmT2_T3_mT4_T5_T6_T7_T8_P12ihipStream_tbENKUlT_T0_E_clISt17integral_constantIbLb1EESY_IbLb0EEEEDaSU_SV_EUlSU_E_NS1_11comp_targetILNS1_3genE10ELNS1_11target_archE1200ELNS1_3gpuE4ELNS1_3repE0EEENS1_30default_config_static_selectorELNS0_4arch9wavefront6targetE0EEEvT1_
	.globl	_ZN7rocprim17ROCPRIM_400000_NS6detail17trampoline_kernelINS0_14default_configENS1_33run_length_encode_config_selectorIjjNS0_4plusIjEEEEZZNS1_33reduce_by_key_impl_wrapped_configILNS1_25lookback_scan_determinismE0ES3_S7_PKjNS0_17constant_iteratorIjlEEPjPlSF_S6_NS0_8equal_toIjEEEE10hipError_tPvRmT2_T3_mT4_T5_T6_T7_T8_P12ihipStream_tbENKUlT_T0_E_clISt17integral_constantIbLb1EESY_IbLb0EEEEDaSU_SV_EUlSU_E_NS1_11comp_targetILNS1_3genE10ELNS1_11target_archE1200ELNS1_3gpuE4ELNS1_3repE0EEENS1_30default_config_static_selectorELNS0_4arch9wavefront6targetE0EEEvT1_
	.p2align	8
	.type	_ZN7rocprim17ROCPRIM_400000_NS6detail17trampoline_kernelINS0_14default_configENS1_33run_length_encode_config_selectorIjjNS0_4plusIjEEEEZZNS1_33reduce_by_key_impl_wrapped_configILNS1_25lookback_scan_determinismE0ES3_S7_PKjNS0_17constant_iteratorIjlEEPjPlSF_S6_NS0_8equal_toIjEEEE10hipError_tPvRmT2_T3_mT4_T5_T6_T7_T8_P12ihipStream_tbENKUlT_T0_E_clISt17integral_constantIbLb1EESY_IbLb0EEEEDaSU_SV_EUlSU_E_NS1_11comp_targetILNS1_3genE10ELNS1_11target_archE1200ELNS1_3gpuE4ELNS1_3repE0EEENS1_30default_config_static_selectorELNS0_4arch9wavefront6targetE0EEEvT1_,@function
_ZN7rocprim17ROCPRIM_400000_NS6detail17trampoline_kernelINS0_14default_configENS1_33run_length_encode_config_selectorIjjNS0_4plusIjEEEEZZNS1_33reduce_by_key_impl_wrapped_configILNS1_25lookback_scan_determinismE0ES3_S7_PKjNS0_17constant_iteratorIjlEEPjPlSF_S6_NS0_8equal_toIjEEEE10hipError_tPvRmT2_T3_mT4_T5_T6_T7_T8_P12ihipStream_tbENKUlT_T0_E_clISt17integral_constantIbLb1EESY_IbLb0EEEEDaSU_SV_EUlSU_E_NS1_11comp_targetILNS1_3genE10ELNS1_11target_archE1200ELNS1_3gpuE4ELNS1_3repE0EEENS1_30default_config_static_selectorELNS0_4arch9wavefront6targetE0EEEvT1_: ; @_ZN7rocprim17ROCPRIM_400000_NS6detail17trampoline_kernelINS0_14default_configENS1_33run_length_encode_config_selectorIjjNS0_4plusIjEEEEZZNS1_33reduce_by_key_impl_wrapped_configILNS1_25lookback_scan_determinismE0ES3_S7_PKjNS0_17constant_iteratorIjlEEPjPlSF_S6_NS0_8equal_toIjEEEE10hipError_tPvRmT2_T3_mT4_T5_T6_T7_T8_P12ihipStream_tbENKUlT_T0_E_clISt17integral_constantIbLb1EESY_IbLb0EEEEDaSU_SV_EUlSU_E_NS1_11comp_targetILNS1_3genE10ELNS1_11target_archE1200ELNS1_3gpuE4ELNS1_3repE0EEENS1_30default_config_static_selectorELNS0_4arch9wavefront6targetE0EEEvT1_
; %bb.0:
	.section	.rodata,"a",@progbits
	.p2align	6, 0x0
	.amdhsa_kernel _ZN7rocprim17ROCPRIM_400000_NS6detail17trampoline_kernelINS0_14default_configENS1_33run_length_encode_config_selectorIjjNS0_4plusIjEEEEZZNS1_33reduce_by_key_impl_wrapped_configILNS1_25lookback_scan_determinismE0ES3_S7_PKjNS0_17constant_iteratorIjlEEPjPlSF_S6_NS0_8equal_toIjEEEE10hipError_tPvRmT2_T3_mT4_T5_T6_T7_T8_P12ihipStream_tbENKUlT_T0_E_clISt17integral_constantIbLb1EESY_IbLb0EEEEDaSU_SV_EUlSU_E_NS1_11comp_targetILNS1_3genE10ELNS1_11target_archE1200ELNS1_3gpuE4ELNS1_3repE0EEENS1_30default_config_static_selectorELNS0_4arch9wavefront6targetE0EEEvT1_
		.amdhsa_group_segment_fixed_size 0
		.amdhsa_private_segment_fixed_size 0
		.amdhsa_kernarg_size 128
		.amdhsa_user_sgpr_count 2
		.amdhsa_user_sgpr_dispatch_ptr 0
		.amdhsa_user_sgpr_queue_ptr 0
		.amdhsa_user_sgpr_kernarg_segment_ptr 1
		.amdhsa_user_sgpr_dispatch_id 0
		.amdhsa_user_sgpr_kernarg_preload_length 0
		.amdhsa_user_sgpr_kernarg_preload_offset 0
		.amdhsa_user_sgpr_private_segment_size 0
		.amdhsa_wavefront_size32 1
		.amdhsa_uses_dynamic_stack 0
		.amdhsa_enable_private_segment 0
		.amdhsa_system_sgpr_workgroup_id_x 1
		.amdhsa_system_sgpr_workgroup_id_y 0
		.amdhsa_system_sgpr_workgroup_id_z 0
		.amdhsa_system_sgpr_workgroup_info 0
		.amdhsa_system_vgpr_workitem_id 0
		.amdhsa_next_free_vgpr 1
		.amdhsa_next_free_sgpr 1
		.amdhsa_named_barrier_count 0
		.amdhsa_reserve_vcc 0
		.amdhsa_float_round_mode_32 0
		.amdhsa_float_round_mode_16_64 0
		.amdhsa_float_denorm_mode_32 3
		.amdhsa_float_denorm_mode_16_64 3
		.amdhsa_fp16_overflow 0
		.amdhsa_memory_ordered 1
		.amdhsa_forward_progress 1
		.amdhsa_inst_pref_size 0
		.amdhsa_round_robin_scheduling 0
		.amdhsa_exception_fp_ieee_invalid_op 0
		.amdhsa_exception_fp_denorm_src 0
		.amdhsa_exception_fp_ieee_div_zero 0
		.amdhsa_exception_fp_ieee_overflow 0
		.amdhsa_exception_fp_ieee_underflow 0
		.amdhsa_exception_fp_ieee_inexact 0
		.amdhsa_exception_int_div_zero 0
	.end_amdhsa_kernel
	.section	.text._ZN7rocprim17ROCPRIM_400000_NS6detail17trampoline_kernelINS0_14default_configENS1_33run_length_encode_config_selectorIjjNS0_4plusIjEEEEZZNS1_33reduce_by_key_impl_wrapped_configILNS1_25lookback_scan_determinismE0ES3_S7_PKjNS0_17constant_iteratorIjlEEPjPlSF_S6_NS0_8equal_toIjEEEE10hipError_tPvRmT2_T3_mT4_T5_T6_T7_T8_P12ihipStream_tbENKUlT_T0_E_clISt17integral_constantIbLb1EESY_IbLb0EEEEDaSU_SV_EUlSU_E_NS1_11comp_targetILNS1_3genE10ELNS1_11target_archE1200ELNS1_3gpuE4ELNS1_3repE0EEENS1_30default_config_static_selectorELNS0_4arch9wavefront6targetE0EEEvT1_,"axG",@progbits,_ZN7rocprim17ROCPRIM_400000_NS6detail17trampoline_kernelINS0_14default_configENS1_33run_length_encode_config_selectorIjjNS0_4plusIjEEEEZZNS1_33reduce_by_key_impl_wrapped_configILNS1_25lookback_scan_determinismE0ES3_S7_PKjNS0_17constant_iteratorIjlEEPjPlSF_S6_NS0_8equal_toIjEEEE10hipError_tPvRmT2_T3_mT4_T5_T6_T7_T8_P12ihipStream_tbENKUlT_T0_E_clISt17integral_constantIbLb1EESY_IbLb0EEEEDaSU_SV_EUlSU_E_NS1_11comp_targetILNS1_3genE10ELNS1_11target_archE1200ELNS1_3gpuE4ELNS1_3repE0EEENS1_30default_config_static_selectorELNS0_4arch9wavefront6targetE0EEEvT1_,comdat
.Lfunc_end673:
	.size	_ZN7rocprim17ROCPRIM_400000_NS6detail17trampoline_kernelINS0_14default_configENS1_33run_length_encode_config_selectorIjjNS0_4plusIjEEEEZZNS1_33reduce_by_key_impl_wrapped_configILNS1_25lookback_scan_determinismE0ES3_S7_PKjNS0_17constant_iteratorIjlEEPjPlSF_S6_NS0_8equal_toIjEEEE10hipError_tPvRmT2_T3_mT4_T5_T6_T7_T8_P12ihipStream_tbENKUlT_T0_E_clISt17integral_constantIbLb1EESY_IbLb0EEEEDaSU_SV_EUlSU_E_NS1_11comp_targetILNS1_3genE10ELNS1_11target_archE1200ELNS1_3gpuE4ELNS1_3repE0EEENS1_30default_config_static_selectorELNS0_4arch9wavefront6targetE0EEEvT1_, .Lfunc_end673-_ZN7rocprim17ROCPRIM_400000_NS6detail17trampoline_kernelINS0_14default_configENS1_33run_length_encode_config_selectorIjjNS0_4plusIjEEEEZZNS1_33reduce_by_key_impl_wrapped_configILNS1_25lookback_scan_determinismE0ES3_S7_PKjNS0_17constant_iteratorIjlEEPjPlSF_S6_NS0_8equal_toIjEEEE10hipError_tPvRmT2_T3_mT4_T5_T6_T7_T8_P12ihipStream_tbENKUlT_T0_E_clISt17integral_constantIbLb1EESY_IbLb0EEEEDaSU_SV_EUlSU_E_NS1_11comp_targetILNS1_3genE10ELNS1_11target_archE1200ELNS1_3gpuE4ELNS1_3repE0EEENS1_30default_config_static_selectorELNS0_4arch9wavefront6targetE0EEEvT1_
                                        ; -- End function
	.set _ZN7rocprim17ROCPRIM_400000_NS6detail17trampoline_kernelINS0_14default_configENS1_33run_length_encode_config_selectorIjjNS0_4plusIjEEEEZZNS1_33reduce_by_key_impl_wrapped_configILNS1_25lookback_scan_determinismE0ES3_S7_PKjNS0_17constant_iteratorIjlEEPjPlSF_S6_NS0_8equal_toIjEEEE10hipError_tPvRmT2_T3_mT4_T5_T6_T7_T8_P12ihipStream_tbENKUlT_T0_E_clISt17integral_constantIbLb1EESY_IbLb0EEEEDaSU_SV_EUlSU_E_NS1_11comp_targetILNS1_3genE10ELNS1_11target_archE1200ELNS1_3gpuE4ELNS1_3repE0EEENS1_30default_config_static_selectorELNS0_4arch9wavefront6targetE0EEEvT1_.num_vgpr, 0
	.set _ZN7rocprim17ROCPRIM_400000_NS6detail17trampoline_kernelINS0_14default_configENS1_33run_length_encode_config_selectorIjjNS0_4plusIjEEEEZZNS1_33reduce_by_key_impl_wrapped_configILNS1_25lookback_scan_determinismE0ES3_S7_PKjNS0_17constant_iteratorIjlEEPjPlSF_S6_NS0_8equal_toIjEEEE10hipError_tPvRmT2_T3_mT4_T5_T6_T7_T8_P12ihipStream_tbENKUlT_T0_E_clISt17integral_constantIbLb1EESY_IbLb0EEEEDaSU_SV_EUlSU_E_NS1_11comp_targetILNS1_3genE10ELNS1_11target_archE1200ELNS1_3gpuE4ELNS1_3repE0EEENS1_30default_config_static_selectorELNS0_4arch9wavefront6targetE0EEEvT1_.num_agpr, 0
	.set _ZN7rocprim17ROCPRIM_400000_NS6detail17trampoline_kernelINS0_14default_configENS1_33run_length_encode_config_selectorIjjNS0_4plusIjEEEEZZNS1_33reduce_by_key_impl_wrapped_configILNS1_25lookback_scan_determinismE0ES3_S7_PKjNS0_17constant_iteratorIjlEEPjPlSF_S6_NS0_8equal_toIjEEEE10hipError_tPvRmT2_T3_mT4_T5_T6_T7_T8_P12ihipStream_tbENKUlT_T0_E_clISt17integral_constantIbLb1EESY_IbLb0EEEEDaSU_SV_EUlSU_E_NS1_11comp_targetILNS1_3genE10ELNS1_11target_archE1200ELNS1_3gpuE4ELNS1_3repE0EEENS1_30default_config_static_selectorELNS0_4arch9wavefront6targetE0EEEvT1_.numbered_sgpr, 0
	.set _ZN7rocprim17ROCPRIM_400000_NS6detail17trampoline_kernelINS0_14default_configENS1_33run_length_encode_config_selectorIjjNS0_4plusIjEEEEZZNS1_33reduce_by_key_impl_wrapped_configILNS1_25lookback_scan_determinismE0ES3_S7_PKjNS0_17constant_iteratorIjlEEPjPlSF_S6_NS0_8equal_toIjEEEE10hipError_tPvRmT2_T3_mT4_T5_T6_T7_T8_P12ihipStream_tbENKUlT_T0_E_clISt17integral_constantIbLb1EESY_IbLb0EEEEDaSU_SV_EUlSU_E_NS1_11comp_targetILNS1_3genE10ELNS1_11target_archE1200ELNS1_3gpuE4ELNS1_3repE0EEENS1_30default_config_static_selectorELNS0_4arch9wavefront6targetE0EEEvT1_.num_named_barrier, 0
	.set _ZN7rocprim17ROCPRIM_400000_NS6detail17trampoline_kernelINS0_14default_configENS1_33run_length_encode_config_selectorIjjNS0_4plusIjEEEEZZNS1_33reduce_by_key_impl_wrapped_configILNS1_25lookback_scan_determinismE0ES3_S7_PKjNS0_17constant_iteratorIjlEEPjPlSF_S6_NS0_8equal_toIjEEEE10hipError_tPvRmT2_T3_mT4_T5_T6_T7_T8_P12ihipStream_tbENKUlT_T0_E_clISt17integral_constantIbLb1EESY_IbLb0EEEEDaSU_SV_EUlSU_E_NS1_11comp_targetILNS1_3genE10ELNS1_11target_archE1200ELNS1_3gpuE4ELNS1_3repE0EEENS1_30default_config_static_selectorELNS0_4arch9wavefront6targetE0EEEvT1_.private_seg_size, 0
	.set _ZN7rocprim17ROCPRIM_400000_NS6detail17trampoline_kernelINS0_14default_configENS1_33run_length_encode_config_selectorIjjNS0_4plusIjEEEEZZNS1_33reduce_by_key_impl_wrapped_configILNS1_25lookback_scan_determinismE0ES3_S7_PKjNS0_17constant_iteratorIjlEEPjPlSF_S6_NS0_8equal_toIjEEEE10hipError_tPvRmT2_T3_mT4_T5_T6_T7_T8_P12ihipStream_tbENKUlT_T0_E_clISt17integral_constantIbLb1EESY_IbLb0EEEEDaSU_SV_EUlSU_E_NS1_11comp_targetILNS1_3genE10ELNS1_11target_archE1200ELNS1_3gpuE4ELNS1_3repE0EEENS1_30default_config_static_selectorELNS0_4arch9wavefront6targetE0EEEvT1_.uses_vcc, 0
	.set _ZN7rocprim17ROCPRIM_400000_NS6detail17trampoline_kernelINS0_14default_configENS1_33run_length_encode_config_selectorIjjNS0_4plusIjEEEEZZNS1_33reduce_by_key_impl_wrapped_configILNS1_25lookback_scan_determinismE0ES3_S7_PKjNS0_17constant_iteratorIjlEEPjPlSF_S6_NS0_8equal_toIjEEEE10hipError_tPvRmT2_T3_mT4_T5_T6_T7_T8_P12ihipStream_tbENKUlT_T0_E_clISt17integral_constantIbLb1EESY_IbLb0EEEEDaSU_SV_EUlSU_E_NS1_11comp_targetILNS1_3genE10ELNS1_11target_archE1200ELNS1_3gpuE4ELNS1_3repE0EEENS1_30default_config_static_selectorELNS0_4arch9wavefront6targetE0EEEvT1_.uses_flat_scratch, 0
	.set _ZN7rocprim17ROCPRIM_400000_NS6detail17trampoline_kernelINS0_14default_configENS1_33run_length_encode_config_selectorIjjNS0_4plusIjEEEEZZNS1_33reduce_by_key_impl_wrapped_configILNS1_25lookback_scan_determinismE0ES3_S7_PKjNS0_17constant_iteratorIjlEEPjPlSF_S6_NS0_8equal_toIjEEEE10hipError_tPvRmT2_T3_mT4_T5_T6_T7_T8_P12ihipStream_tbENKUlT_T0_E_clISt17integral_constantIbLb1EESY_IbLb0EEEEDaSU_SV_EUlSU_E_NS1_11comp_targetILNS1_3genE10ELNS1_11target_archE1200ELNS1_3gpuE4ELNS1_3repE0EEENS1_30default_config_static_selectorELNS0_4arch9wavefront6targetE0EEEvT1_.has_dyn_sized_stack, 0
	.set _ZN7rocprim17ROCPRIM_400000_NS6detail17trampoline_kernelINS0_14default_configENS1_33run_length_encode_config_selectorIjjNS0_4plusIjEEEEZZNS1_33reduce_by_key_impl_wrapped_configILNS1_25lookback_scan_determinismE0ES3_S7_PKjNS0_17constant_iteratorIjlEEPjPlSF_S6_NS0_8equal_toIjEEEE10hipError_tPvRmT2_T3_mT4_T5_T6_T7_T8_P12ihipStream_tbENKUlT_T0_E_clISt17integral_constantIbLb1EESY_IbLb0EEEEDaSU_SV_EUlSU_E_NS1_11comp_targetILNS1_3genE10ELNS1_11target_archE1200ELNS1_3gpuE4ELNS1_3repE0EEENS1_30default_config_static_selectorELNS0_4arch9wavefront6targetE0EEEvT1_.has_recursion, 0
	.set _ZN7rocprim17ROCPRIM_400000_NS6detail17trampoline_kernelINS0_14default_configENS1_33run_length_encode_config_selectorIjjNS0_4plusIjEEEEZZNS1_33reduce_by_key_impl_wrapped_configILNS1_25lookback_scan_determinismE0ES3_S7_PKjNS0_17constant_iteratorIjlEEPjPlSF_S6_NS0_8equal_toIjEEEE10hipError_tPvRmT2_T3_mT4_T5_T6_T7_T8_P12ihipStream_tbENKUlT_T0_E_clISt17integral_constantIbLb1EESY_IbLb0EEEEDaSU_SV_EUlSU_E_NS1_11comp_targetILNS1_3genE10ELNS1_11target_archE1200ELNS1_3gpuE4ELNS1_3repE0EEENS1_30default_config_static_selectorELNS0_4arch9wavefront6targetE0EEEvT1_.has_indirect_call, 0
	.section	.AMDGPU.csdata,"",@progbits
; Kernel info:
; codeLenInByte = 0
; TotalNumSgprs: 0
; NumVgprs: 0
; ScratchSize: 0
; MemoryBound: 0
; FloatMode: 240
; IeeeMode: 1
; LDSByteSize: 0 bytes/workgroup (compile time only)
; SGPRBlocks: 0
; VGPRBlocks: 0
; NumSGPRsForWavesPerEU: 1
; NumVGPRsForWavesPerEU: 1
; NamedBarCnt: 0
; Occupancy: 16
; WaveLimiterHint : 0
; COMPUTE_PGM_RSRC2:SCRATCH_EN: 0
; COMPUTE_PGM_RSRC2:USER_SGPR: 2
; COMPUTE_PGM_RSRC2:TRAP_HANDLER: 0
; COMPUTE_PGM_RSRC2:TGID_X_EN: 1
; COMPUTE_PGM_RSRC2:TGID_Y_EN: 0
; COMPUTE_PGM_RSRC2:TGID_Z_EN: 0
; COMPUTE_PGM_RSRC2:TIDIG_COMP_CNT: 0
	.section	.text._ZN7rocprim17ROCPRIM_400000_NS6detail17trampoline_kernelINS0_14default_configENS1_33run_length_encode_config_selectorIjjNS0_4plusIjEEEEZZNS1_33reduce_by_key_impl_wrapped_configILNS1_25lookback_scan_determinismE0ES3_S7_PKjNS0_17constant_iteratorIjlEEPjPlSF_S6_NS0_8equal_toIjEEEE10hipError_tPvRmT2_T3_mT4_T5_T6_T7_T8_P12ihipStream_tbENKUlT_T0_E_clISt17integral_constantIbLb1EESY_IbLb0EEEEDaSU_SV_EUlSU_E_NS1_11comp_targetILNS1_3genE9ELNS1_11target_archE1100ELNS1_3gpuE3ELNS1_3repE0EEENS1_30default_config_static_selectorELNS0_4arch9wavefront6targetE0EEEvT1_,"axG",@progbits,_ZN7rocprim17ROCPRIM_400000_NS6detail17trampoline_kernelINS0_14default_configENS1_33run_length_encode_config_selectorIjjNS0_4plusIjEEEEZZNS1_33reduce_by_key_impl_wrapped_configILNS1_25lookback_scan_determinismE0ES3_S7_PKjNS0_17constant_iteratorIjlEEPjPlSF_S6_NS0_8equal_toIjEEEE10hipError_tPvRmT2_T3_mT4_T5_T6_T7_T8_P12ihipStream_tbENKUlT_T0_E_clISt17integral_constantIbLb1EESY_IbLb0EEEEDaSU_SV_EUlSU_E_NS1_11comp_targetILNS1_3genE9ELNS1_11target_archE1100ELNS1_3gpuE3ELNS1_3repE0EEENS1_30default_config_static_selectorELNS0_4arch9wavefront6targetE0EEEvT1_,comdat
	.protected	_ZN7rocprim17ROCPRIM_400000_NS6detail17trampoline_kernelINS0_14default_configENS1_33run_length_encode_config_selectorIjjNS0_4plusIjEEEEZZNS1_33reduce_by_key_impl_wrapped_configILNS1_25lookback_scan_determinismE0ES3_S7_PKjNS0_17constant_iteratorIjlEEPjPlSF_S6_NS0_8equal_toIjEEEE10hipError_tPvRmT2_T3_mT4_T5_T6_T7_T8_P12ihipStream_tbENKUlT_T0_E_clISt17integral_constantIbLb1EESY_IbLb0EEEEDaSU_SV_EUlSU_E_NS1_11comp_targetILNS1_3genE9ELNS1_11target_archE1100ELNS1_3gpuE3ELNS1_3repE0EEENS1_30default_config_static_selectorELNS0_4arch9wavefront6targetE0EEEvT1_ ; -- Begin function _ZN7rocprim17ROCPRIM_400000_NS6detail17trampoline_kernelINS0_14default_configENS1_33run_length_encode_config_selectorIjjNS0_4plusIjEEEEZZNS1_33reduce_by_key_impl_wrapped_configILNS1_25lookback_scan_determinismE0ES3_S7_PKjNS0_17constant_iteratorIjlEEPjPlSF_S6_NS0_8equal_toIjEEEE10hipError_tPvRmT2_T3_mT4_T5_T6_T7_T8_P12ihipStream_tbENKUlT_T0_E_clISt17integral_constantIbLb1EESY_IbLb0EEEEDaSU_SV_EUlSU_E_NS1_11comp_targetILNS1_3genE9ELNS1_11target_archE1100ELNS1_3gpuE3ELNS1_3repE0EEENS1_30default_config_static_selectorELNS0_4arch9wavefront6targetE0EEEvT1_
	.globl	_ZN7rocprim17ROCPRIM_400000_NS6detail17trampoline_kernelINS0_14default_configENS1_33run_length_encode_config_selectorIjjNS0_4plusIjEEEEZZNS1_33reduce_by_key_impl_wrapped_configILNS1_25lookback_scan_determinismE0ES3_S7_PKjNS0_17constant_iteratorIjlEEPjPlSF_S6_NS0_8equal_toIjEEEE10hipError_tPvRmT2_T3_mT4_T5_T6_T7_T8_P12ihipStream_tbENKUlT_T0_E_clISt17integral_constantIbLb1EESY_IbLb0EEEEDaSU_SV_EUlSU_E_NS1_11comp_targetILNS1_3genE9ELNS1_11target_archE1100ELNS1_3gpuE3ELNS1_3repE0EEENS1_30default_config_static_selectorELNS0_4arch9wavefront6targetE0EEEvT1_
	.p2align	8
	.type	_ZN7rocprim17ROCPRIM_400000_NS6detail17trampoline_kernelINS0_14default_configENS1_33run_length_encode_config_selectorIjjNS0_4plusIjEEEEZZNS1_33reduce_by_key_impl_wrapped_configILNS1_25lookback_scan_determinismE0ES3_S7_PKjNS0_17constant_iteratorIjlEEPjPlSF_S6_NS0_8equal_toIjEEEE10hipError_tPvRmT2_T3_mT4_T5_T6_T7_T8_P12ihipStream_tbENKUlT_T0_E_clISt17integral_constantIbLb1EESY_IbLb0EEEEDaSU_SV_EUlSU_E_NS1_11comp_targetILNS1_3genE9ELNS1_11target_archE1100ELNS1_3gpuE3ELNS1_3repE0EEENS1_30default_config_static_selectorELNS0_4arch9wavefront6targetE0EEEvT1_,@function
_ZN7rocprim17ROCPRIM_400000_NS6detail17trampoline_kernelINS0_14default_configENS1_33run_length_encode_config_selectorIjjNS0_4plusIjEEEEZZNS1_33reduce_by_key_impl_wrapped_configILNS1_25lookback_scan_determinismE0ES3_S7_PKjNS0_17constant_iteratorIjlEEPjPlSF_S6_NS0_8equal_toIjEEEE10hipError_tPvRmT2_T3_mT4_T5_T6_T7_T8_P12ihipStream_tbENKUlT_T0_E_clISt17integral_constantIbLb1EESY_IbLb0EEEEDaSU_SV_EUlSU_E_NS1_11comp_targetILNS1_3genE9ELNS1_11target_archE1100ELNS1_3gpuE3ELNS1_3repE0EEENS1_30default_config_static_selectorELNS0_4arch9wavefront6targetE0EEEvT1_: ; @_ZN7rocprim17ROCPRIM_400000_NS6detail17trampoline_kernelINS0_14default_configENS1_33run_length_encode_config_selectorIjjNS0_4plusIjEEEEZZNS1_33reduce_by_key_impl_wrapped_configILNS1_25lookback_scan_determinismE0ES3_S7_PKjNS0_17constant_iteratorIjlEEPjPlSF_S6_NS0_8equal_toIjEEEE10hipError_tPvRmT2_T3_mT4_T5_T6_T7_T8_P12ihipStream_tbENKUlT_T0_E_clISt17integral_constantIbLb1EESY_IbLb0EEEEDaSU_SV_EUlSU_E_NS1_11comp_targetILNS1_3genE9ELNS1_11target_archE1100ELNS1_3gpuE3ELNS1_3repE0EEENS1_30default_config_static_selectorELNS0_4arch9wavefront6targetE0EEEvT1_
; %bb.0:
	.section	.rodata,"a",@progbits
	.p2align	6, 0x0
	.amdhsa_kernel _ZN7rocprim17ROCPRIM_400000_NS6detail17trampoline_kernelINS0_14default_configENS1_33run_length_encode_config_selectorIjjNS0_4plusIjEEEEZZNS1_33reduce_by_key_impl_wrapped_configILNS1_25lookback_scan_determinismE0ES3_S7_PKjNS0_17constant_iteratorIjlEEPjPlSF_S6_NS0_8equal_toIjEEEE10hipError_tPvRmT2_T3_mT4_T5_T6_T7_T8_P12ihipStream_tbENKUlT_T0_E_clISt17integral_constantIbLb1EESY_IbLb0EEEEDaSU_SV_EUlSU_E_NS1_11comp_targetILNS1_3genE9ELNS1_11target_archE1100ELNS1_3gpuE3ELNS1_3repE0EEENS1_30default_config_static_selectorELNS0_4arch9wavefront6targetE0EEEvT1_
		.amdhsa_group_segment_fixed_size 0
		.amdhsa_private_segment_fixed_size 0
		.amdhsa_kernarg_size 128
		.amdhsa_user_sgpr_count 2
		.amdhsa_user_sgpr_dispatch_ptr 0
		.amdhsa_user_sgpr_queue_ptr 0
		.amdhsa_user_sgpr_kernarg_segment_ptr 1
		.amdhsa_user_sgpr_dispatch_id 0
		.amdhsa_user_sgpr_kernarg_preload_length 0
		.amdhsa_user_sgpr_kernarg_preload_offset 0
		.amdhsa_user_sgpr_private_segment_size 0
		.amdhsa_wavefront_size32 1
		.amdhsa_uses_dynamic_stack 0
		.amdhsa_enable_private_segment 0
		.amdhsa_system_sgpr_workgroup_id_x 1
		.amdhsa_system_sgpr_workgroup_id_y 0
		.amdhsa_system_sgpr_workgroup_id_z 0
		.amdhsa_system_sgpr_workgroup_info 0
		.amdhsa_system_vgpr_workitem_id 0
		.amdhsa_next_free_vgpr 1
		.amdhsa_next_free_sgpr 1
		.amdhsa_named_barrier_count 0
		.amdhsa_reserve_vcc 0
		.amdhsa_float_round_mode_32 0
		.amdhsa_float_round_mode_16_64 0
		.amdhsa_float_denorm_mode_32 3
		.amdhsa_float_denorm_mode_16_64 3
		.amdhsa_fp16_overflow 0
		.amdhsa_memory_ordered 1
		.amdhsa_forward_progress 1
		.amdhsa_inst_pref_size 0
		.amdhsa_round_robin_scheduling 0
		.amdhsa_exception_fp_ieee_invalid_op 0
		.amdhsa_exception_fp_denorm_src 0
		.amdhsa_exception_fp_ieee_div_zero 0
		.amdhsa_exception_fp_ieee_overflow 0
		.amdhsa_exception_fp_ieee_underflow 0
		.amdhsa_exception_fp_ieee_inexact 0
		.amdhsa_exception_int_div_zero 0
	.end_amdhsa_kernel
	.section	.text._ZN7rocprim17ROCPRIM_400000_NS6detail17trampoline_kernelINS0_14default_configENS1_33run_length_encode_config_selectorIjjNS0_4plusIjEEEEZZNS1_33reduce_by_key_impl_wrapped_configILNS1_25lookback_scan_determinismE0ES3_S7_PKjNS0_17constant_iteratorIjlEEPjPlSF_S6_NS0_8equal_toIjEEEE10hipError_tPvRmT2_T3_mT4_T5_T6_T7_T8_P12ihipStream_tbENKUlT_T0_E_clISt17integral_constantIbLb1EESY_IbLb0EEEEDaSU_SV_EUlSU_E_NS1_11comp_targetILNS1_3genE9ELNS1_11target_archE1100ELNS1_3gpuE3ELNS1_3repE0EEENS1_30default_config_static_selectorELNS0_4arch9wavefront6targetE0EEEvT1_,"axG",@progbits,_ZN7rocprim17ROCPRIM_400000_NS6detail17trampoline_kernelINS0_14default_configENS1_33run_length_encode_config_selectorIjjNS0_4plusIjEEEEZZNS1_33reduce_by_key_impl_wrapped_configILNS1_25lookback_scan_determinismE0ES3_S7_PKjNS0_17constant_iteratorIjlEEPjPlSF_S6_NS0_8equal_toIjEEEE10hipError_tPvRmT2_T3_mT4_T5_T6_T7_T8_P12ihipStream_tbENKUlT_T0_E_clISt17integral_constantIbLb1EESY_IbLb0EEEEDaSU_SV_EUlSU_E_NS1_11comp_targetILNS1_3genE9ELNS1_11target_archE1100ELNS1_3gpuE3ELNS1_3repE0EEENS1_30default_config_static_selectorELNS0_4arch9wavefront6targetE0EEEvT1_,comdat
.Lfunc_end674:
	.size	_ZN7rocprim17ROCPRIM_400000_NS6detail17trampoline_kernelINS0_14default_configENS1_33run_length_encode_config_selectorIjjNS0_4plusIjEEEEZZNS1_33reduce_by_key_impl_wrapped_configILNS1_25lookback_scan_determinismE0ES3_S7_PKjNS0_17constant_iteratorIjlEEPjPlSF_S6_NS0_8equal_toIjEEEE10hipError_tPvRmT2_T3_mT4_T5_T6_T7_T8_P12ihipStream_tbENKUlT_T0_E_clISt17integral_constantIbLb1EESY_IbLb0EEEEDaSU_SV_EUlSU_E_NS1_11comp_targetILNS1_3genE9ELNS1_11target_archE1100ELNS1_3gpuE3ELNS1_3repE0EEENS1_30default_config_static_selectorELNS0_4arch9wavefront6targetE0EEEvT1_, .Lfunc_end674-_ZN7rocprim17ROCPRIM_400000_NS6detail17trampoline_kernelINS0_14default_configENS1_33run_length_encode_config_selectorIjjNS0_4plusIjEEEEZZNS1_33reduce_by_key_impl_wrapped_configILNS1_25lookback_scan_determinismE0ES3_S7_PKjNS0_17constant_iteratorIjlEEPjPlSF_S6_NS0_8equal_toIjEEEE10hipError_tPvRmT2_T3_mT4_T5_T6_T7_T8_P12ihipStream_tbENKUlT_T0_E_clISt17integral_constantIbLb1EESY_IbLb0EEEEDaSU_SV_EUlSU_E_NS1_11comp_targetILNS1_3genE9ELNS1_11target_archE1100ELNS1_3gpuE3ELNS1_3repE0EEENS1_30default_config_static_selectorELNS0_4arch9wavefront6targetE0EEEvT1_
                                        ; -- End function
	.set _ZN7rocprim17ROCPRIM_400000_NS6detail17trampoline_kernelINS0_14default_configENS1_33run_length_encode_config_selectorIjjNS0_4plusIjEEEEZZNS1_33reduce_by_key_impl_wrapped_configILNS1_25lookback_scan_determinismE0ES3_S7_PKjNS0_17constant_iteratorIjlEEPjPlSF_S6_NS0_8equal_toIjEEEE10hipError_tPvRmT2_T3_mT4_T5_T6_T7_T8_P12ihipStream_tbENKUlT_T0_E_clISt17integral_constantIbLb1EESY_IbLb0EEEEDaSU_SV_EUlSU_E_NS1_11comp_targetILNS1_3genE9ELNS1_11target_archE1100ELNS1_3gpuE3ELNS1_3repE0EEENS1_30default_config_static_selectorELNS0_4arch9wavefront6targetE0EEEvT1_.num_vgpr, 0
	.set _ZN7rocprim17ROCPRIM_400000_NS6detail17trampoline_kernelINS0_14default_configENS1_33run_length_encode_config_selectorIjjNS0_4plusIjEEEEZZNS1_33reduce_by_key_impl_wrapped_configILNS1_25lookback_scan_determinismE0ES3_S7_PKjNS0_17constant_iteratorIjlEEPjPlSF_S6_NS0_8equal_toIjEEEE10hipError_tPvRmT2_T3_mT4_T5_T6_T7_T8_P12ihipStream_tbENKUlT_T0_E_clISt17integral_constantIbLb1EESY_IbLb0EEEEDaSU_SV_EUlSU_E_NS1_11comp_targetILNS1_3genE9ELNS1_11target_archE1100ELNS1_3gpuE3ELNS1_3repE0EEENS1_30default_config_static_selectorELNS0_4arch9wavefront6targetE0EEEvT1_.num_agpr, 0
	.set _ZN7rocprim17ROCPRIM_400000_NS6detail17trampoline_kernelINS0_14default_configENS1_33run_length_encode_config_selectorIjjNS0_4plusIjEEEEZZNS1_33reduce_by_key_impl_wrapped_configILNS1_25lookback_scan_determinismE0ES3_S7_PKjNS0_17constant_iteratorIjlEEPjPlSF_S6_NS0_8equal_toIjEEEE10hipError_tPvRmT2_T3_mT4_T5_T6_T7_T8_P12ihipStream_tbENKUlT_T0_E_clISt17integral_constantIbLb1EESY_IbLb0EEEEDaSU_SV_EUlSU_E_NS1_11comp_targetILNS1_3genE9ELNS1_11target_archE1100ELNS1_3gpuE3ELNS1_3repE0EEENS1_30default_config_static_selectorELNS0_4arch9wavefront6targetE0EEEvT1_.numbered_sgpr, 0
	.set _ZN7rocprim17ROCPRIM_400000_NS6detail17trampoline_kernelINS0_14default_configENS1_33run_length_encode_config_selectorIjjNS0_4plusIjEEEEZZNS1_33reduce_by_key_impl_wrapped_configILNS1_25lookback_scan_determinismE0ES3_S7_PKjNS0_17constant_iteratorIjlEEPjPlSF_S6_NS0_8equal_toIjEEEE10hipError_tPvRmT2_T3_mT4_T5_T6_T7_T8_P12ihipStream_tbENKUlT_T0_E_clISt17integral_constantIbLb1EESY_IbLb0EEEEDaSU_SV_EUlSU_E_NS1_11comp_targetILNS1_3genE9ELNS1_11target_archE1100ELNS1_3gpuE3ELNS1_3repE0EEENS1_30default_config_static_selectorELNS0_4arch9wavefront6targetE0EEEvT1_.num_named_barrier, 0
	.set _ZN7rocprim17ROCPRIM_400000_NS6detail17trampoline_kernelINS0_14default_configENS1_33run_length_encode_config_selectorIjjNS0_4plusIjEEEEZZNS1_33reduce_by_key_impl_wrapped_configILNS1_25lookback_scan_determinismE0ES3_S7_PKjNS0_17constant_iteratorIjlEEPjPlSF_S6_NS0_8equal_toIjEEEE10hipError_tPvRmT2_T3_mT4_T5_T6_T7_T8_P12ihipStream_tbENKUlT_T0_E_clISt17integral_constantIbLb1EESY_IbLb0EEEEDaSU_SV_EUlSU_E_NS1_11comp_targetILNS1_3genE9ELNS1_11target_archE1100ELNS1_3gpuE3ELNS1_3repE0EEENS1_30default_config_static_selectorELNS0_4arch9wavefront6targetE0EEEvT1_.private_seg_size, 0
	.set _ZN7rocprim17ROCPRIM_400000_NS6detail17trampoline_kernelINS0_14default_configENS1_33run_length_encode_config_selectorIjjNS0_4plusIjEEEEZZNS1_33reduce_by_key_impl_wrapped_configILNS1_25lookback_scan_determinismE0ES3_S7_PKjNS0_17constant_iteratorIjlEEPjPlSF_S6_NS0_8equal_toIjEEEE10hipError_tPvRmT2_T3_mT4_T5_T6_T7_T8_P12ihipStream_tbENKUlT_T0_E_clISt17integral_constantIbLb1EESY_IbLb0EEEEDaSU_SV_EUlSU_E_NS1_11comp_targetILNS1_3genE9ELNS1_11target_archE1100ELNS1_3gpuE3ELNS1_3repE0EEENS1_30default_config_static_selectorELNS0_4arch9wavefront6targetE0EEEvT1_.uses_vcc, 0
	.set _ZN7rocprim17ROCPRIM_400000_NS6detail17trampoline_kernelINS0_14default_configENS1_33run_length_encode_config_selectorIjjNS0_4plusIjEEEEZZNS1_33reduce_by_key_impl_wrapped_configILNS1_25lookback_scan_determinismE0ES3_S7_PKjNS0_17constant_iteratorIjlEEPjPlSF_S6_NS0_8equal_toIjEEEE10hipError_tPvRmT2_T3_mT4_T5_T6_T7_T8_P12ihipStream_tbENKUlT_T0_E_clISt17integral_constantIbLb1EESY_IbLb0EEEEDaSU_SV_EUlSU_E_NS1_11comp_targetILNS1_3genE9ELNS1_11target_archE1100ELNS1_3gpuE3ELNS1_3repE0EEENS1_30default_config_static_selectorELNS0_4arch9wavefront6targetE0EEEvT1_.uses_flat_scratch, 0
	.set _ZN7rocprim17ROCPRIM_400000_NS6detail17trampoline_kernelINS0_14default_configENS1_33run_length_encode_config_selectorIjjNS0_4plusIjEEEEZZNS1_33reduce_by_key_impl_wrapped_configILNS1_25lookback_scan_determinismE0ES3_S7_PKjNS0_17constant_iteratorIjlEEPjPlSF_S6_NS0_8equal_toIjEEEE10hipError_tPvRmT2_T3_mT4_T5_T6_T7_T8_P12ihipStream_tbENKUlT_T0_E_clISt17integral_constantIbLb1EESY_IbLb0EEEEDaSU_SV_EUlSU_E_NS1_11comp_targetILNS1_3genE9ELNS1_11target_archE1100ELNS1_3gpuE3ELNS1_3repE0EEENS1_30default_config_static_selectorELNS0_4arch9wavefront6targetE0EEEvT1_.has_dyn_sized_stack, 0
	.set _ZN7rocprim17ROCPRIM_400000_NS6detail17trampoline_kernelINS0_14default_configENS1_33run_length_encode_config_selectorIjjNS0_4plusIjEEEEZZNS1_33reduce_by_key_impl_wrapped_configILNS1_25lookback_scan_determinismE0ES3_S7_PKjNS0_17constant_iteratorIjlEEPjPlSF_S6_NS0_8equal_toIjEEEE10hipError_tPvRmT2_T3_mT4_T5_T6_T7_T8_P12ihipStream_tbENKUlT_T0_E_clISt17integral_constantIbLb1EESY_IbLb0EEEEDaSU_SV_EUlSU_E_NS1_11comp_targetILNS1_3genE9ELNS1_11target_archE1100ELNS1_3gpuE3ELNS1_3repE0EEENS1_30default_config_static_selectorELNS0_4arch9wavefront6targetE0EEEvT1_.has_recursion, 0
	.set _ZN7rocprim17ROCPRIM_400000_NS6detail17trampoline_kernelINS0_14default_configENS1_33run_length_encode_config_selectorIjjNS0_4plusIjEEEEZZNS1_33reduce_by_key_impl_wrapped_configILNS1_25lookback_scan_determinismE0ES3_S7_PKjNS0_17constant_iteratorIjlEEPjPlSF_S6_NS0_8equal_toIjEEEE10hipError_tPvRmT2_T3_mT4_T5_T6_T7_T8_P12ihipStream_tbENKUlT_T0_E_clISt17integral_constantIbLb1EESY_IbLb0EEEEDaSU_SV_EUlSU_E_NS1_11comp_targetILNS1_3genE9ELNS1_11target_archE1100ELNS1_3gpuE3ELNS1_3repE0EEENS1_30default_config_static_selectorELNS0_4arch9wavefront6targetE0EEEvT1_.has_indirect_call, 0
	.section	.AMDGPU.csdata,"",@progbits
; Kernel info:
; codeLenInByte = 0
; TotalNumSgprs: 0
; NumVgprs: 0
; ScratchSize: 0
; MemoryBound: 0
; FloatMode: 240
; IeeeMode: 1
; LDSByteSize: 0 bytes/workgroup (compile time only)
; SGPRBlocks: 0
; VGPRBlocks: 0
; NumSGPRsForWavesPerEU: 1
; NumVGPRsForWavesPerEU: 1
; NamedBarCnt: 0
; Occupancy: 16
; WaveLimiterHint : 0
; COMPUTE_PGM_RSRC2:SCRATCH_EN: 0
; COMPUTE_PGM_RSRC2:USER_SGPR: 2
; COMPUTE_PGM_RSRC2:TRAP_HANDLER: 0
; COMPUTE_PGM_RSRC2:TGID_X_EN: 1
; COMPUTE_PGM_RSRC2:TGID_Y_EN: 0
; COMPUTE_PGM_RSRC2:TGID_Z_EN: 0
; COMPUTE_PGM_RSRC2:TIDIG_COMP_CNT: 0
	.section	.text._ZN7rocprim17ROCPRIM_400000_NS6detail17trampoline_kernelINS0_14default_configENS1_33run_length_encode_config_selectorIjjNS0_4plusIjEEEEZZNS1_33reduce_by_key_impl_wrapped_configILNS1_25lookback_scan_determinismE0ES3_S7_PKjNS0_17constant_iteratorIjlEEPjPlSF_S6_NS0_8equal_toIjEEEE10hipError_tPvRmT2_T3_mT4_T5_T6_T7_T8_P12ihipStream_tbENKUlT_T0_E_clISt17integral_constantIbLb1EESY_IbLb0EEEEDaSU_SV_EUlSU_E_NS1_11comp_targetILNS1_3genE8ELNS1_11target_archE1030ELNS1_3gpuE2ELNS1_3repE0EEENS1_30default_config_static_selectorELNS0_4arch9wavefront6targetE0EEEvT1_,"axG",@progbits,_ZN7rocprim17ROCPRIM_400000_NS6detail17trampoline_kernelINS0_14default_configENS1_33run_length_encode_config_selectorIjjNS0_4plusIjEEEEZZNS1_33reduce_by_key_impl_wrapped_configILNS1_25lookback_scan_determinismE0ES3_S7_PKjNS0_17constant_iteratorIjlEEPjPlSF_S6_NS0_8equal_toIjEEEE10hipError_tPvRmT2_T3_mT4_T5_T6_T7_T8_P12ihipStream_tbENKUlT_T0_E_clISt17integral_constantIbLb1EESY_IbLb0EEEEDaSU_SV_EUlSU_E_NS1_11comp_targetILNS1_3genE8ELNS1_11target_archE1030ELNS1_3gpuE2ELNS1_3repE0EEENS1_30default_config_static_selectorELNS0_4arch9wavefront6targetE0EEEvT1_,comdat
	.protected	_ZN7rocprim17ROCPRIM_400000_NS6detail17trampoline_kernelINS0_14default_configENS1_33run_length_encode_config_selectorIjjNS0_4plusIjEEEEZZNS1_33reduce_by_key_impl_wrapped_configILNS1_25lookback_scan_determinismE0ES3_S7_PKjNS0_17constant_iteratorIjlEEPjPlSF_S6_NS0_8equal_toIjEEEE10hipError_tPvRmT2_T3_mT4_T5_T6_T7_T8_P12ihipStream_tbENKUlT_T0_E_clISt17integral_constantIbLb1EESY_IbLb0EEEEDaSU_SV_EUlSU_E_NS1_11comp_targetILNS1_3genE8ELNS1_11target_archE1030ELNS1_3gpuE2ELNS1_3repE0EEENS1_30default_config_static_selectorELNS0_4arch9wavefront6targetE0EEEvT1_ ; -- Begin function _ZN7rocprim17ROCPRIM_400000_NS6detail17trampoline_kernelINS0_14default_configENS1_33run_length_encode_config_selectorIjjNS0_4plusIjEEEEZZNS1_33reduce_by_key_impl_wrapped_configILNS1_25lookback_scan_determinismE0ES3_S7_PKjNS0_17constant_iteratorIjlEEPjPlSF_S6_NS0_8equal_toIjEEEE10hipError_tPvRmT2_T3_mT4_T5_T6_T7_T8_P12ihipStream_tbENKUlT_T0_E_clISt17integral_constantIbLb1EESY_IbLb0EEEEDaSU_SV_EUlSU_E_NS1_11comp_targetILNS1_3genE8ELNS1_11target_archE1030ELNS1_3gpuE2ELNS1_3repE0EEENS1_30default_config_static_selectorELNS0_4arch9wavefront6targetE0EEEvT1_
	.globl	_ZN7rocprim17ROCPRIM_400000_NS6detail17trampoline_kernelINS0_14default_configENS1_33run_length_encode_config_selectorIjjNS0_4plusIjEEEEZZNS1_33reduce_by_key_impl_wrapped_configILNS1_25lookback_scan_determinismE0ES3_S7_PKjNS0_17constant_iteratorIjlEEPjPlSF_S6_NS0_8equal_toIjEEEE10hipError_tPvRmT2_T3_mT4_T5_T6_T7_T8_P12ihipStream_tbENKUlT_T0_E_clISt17integral_constantIbLb1EESY_IbLb0EEEEDaSU_SV_EUlSU_E_NS1_11comp_targetILNS1_3genE8ELNS1_11target_archE1030ELNS1_3gpuE2ELNS1_3repE0EEENS1_30default_config_static_selectorELNS0_4arch9wavefront6targetE0EEEvT1_
	.p2align	8
	.type	_ZN7rocprim17ROCPRIM_400000_NS6detail17trampoline_kernelINS0_14default_configENS1_33run_length_encode_config_selectorIjjNS0_4plusIjEEEEZZNS1_33reduce_by_key_impl_wrapped_configILNS1_25lookback_scan_determinismE0ES3_S7_PKjNS0_17constant_iteratorIjlEEPjPlSF_S6_NS0_8equal_toIjEEEE10hipError_tPvRmT2_T3_mT4_T5_T6_T7_T8_P12ihipStream_tbENKUlT_T0_E_clISt17integral_constantIbLb1EESY_IbLb0EEEEDaSU_SV_EUlSU_E_NS1_11comp_targetILNS1_3genE8ELNS1_11target_archE1030ELNS1_3gpuE2ELNS1_3repE0EEENS1_30default_config_static_selectorELNS0_4arch9wavefront6targetE0EEEvT1_,@function
_ZN7rocprim17ROCPRIM_400000_NS6detail17trampoline_kernelINS0_14default_configENS1_33run_length_encode_config_selectorIjjNS0_4plusIjEEEEZZNS1_33reduce_by_key_impl_wrapped_configILNS1_25lookback_scan_determinismE0ES3_S7_PKjNS0_17constant_iteratorIjlEEPjPlSF_S6_NS0_8equal_toIjEEEE10hipError_tPvRmT2_T3_mT4_T5_T6_T7_T8_P12ihipStream_tbENKUlT_T0_E_clISt17integral_constantIbLb1EESY_IbLb0EEEEDaSU_SV_EUlSU_E_NS1_11comp_targetILNS1_3genE8ELNS1_11target_archE1030ELNS1_3gpuE2ELNS1_3repE0EEENS1_30default_config_static_selectorELNS0_4arch9wavefront6targetE0EEEvT1_: ; @_ZN7rocprim17ROCPRIM_400000_NS6detail17trampoline_kernelINS0_14default_configENS1_33run_length_encode_config_selectorIjjNS0_4plusIjEEEEZZNS1_33reduce_by_key_impl_wrapped_configILNS1_25lookback_scan_determinismE0ES3_S7_PKjNS0_17constant_iteratorIjlEEPjPlSF_S6_NS0_8equal_toIjEEEE10hipError_tPvRmT2_T3_mT4_T5_T6_T7_T8_P12ihipStream_tbENKUlT_T0_E_clISt17integral_constantIbLb1EESY_IbLb0EEEEDaSU_SV_EUlSU_E_NS1_11comp_targetILNS1_3genE8ELNS1_11target_archE1030ELNS1_3gpuE2ELNS1_3repE0EEENS1_30default_config_static_selectorELNS0_4arch9wavefront6targetE0EEEvT1_
; %bb.0:
	.section	.rodata,"a",@progbits
	.p2align	6, 0x0
	.amdhsa_kernel _ZN7rocprim17ROCPRIM_400000_NS6detail17trampoline_kernelINS0_14default_configENS1_33run_length_encode_config_selectorIjjNS0_4plusIjEEEEZZNS1_33reduce_by_key_impl_wrapped_configILNS1_25lookback_scan_determinismE0ES3_S7_PKjNS0_17constant_iteratorIjlEEPjPlSF_S6_NS0_8equal_toIjEEEE10hipError_tPvRmT2_T3_mT4_T5_T6_T7_T8_P12ihipStream_tbENKUlT_T0_E_clISt17integral_constantIbLb1EESY_IbLb0EEEEDaSU_SV_EUlSU_E_NS1_11comp_targetILNS1_3genE8ELNS1_11target_archE1030ELNS1_3gpuE2ELNS1_3repE0EEENS1_30default_config_static_selectorELNS0_4arch9wavefront6targetE0EEEvT1_
		.amdhsa_group_segment_fixed_size 0
		.amdhsa_private_segment_fixed_size 0
		.amdhsa_kernarg_size 128
		.amdhsa_user_sgpr_count 2
		.amdhsa_user_sgpr_dispatch_ptr 0
		.amdhsa_user_sgpr_queue_ptr 0
		.amdhsa_user_sgpr_kernarg_segment_ptr 1
		.amdhsa_user_sgpr_dispatch_id 0
		.amdhsa_user_sgpr_kernarg_preload_length 0
		.amdhsa_user_sgpr_kernarg_preload_offset 0
		.amdhsa_user_sgpr_private_segment_size 0
		.amdhsa_wavefront_size32 1
		.amdhsa_uses_dynamic_stack 0
		.amdhsa_enable_private_segment 0
		.amdhsa_system_sgpr_workgroup_id_x 1
		.amdhsa_system_sgpr_workgroup_id_y 0
		.amdhsa_system_sgpr_workgroup_id_z 0
		.amdhsa_system_sgpr_workgroup_info 0
		.amdhsa_system_vgpr_workitem_id 0
		.amdhsa_next_free_vgpr 1
		.amdhsa_next_free_sgpr 1
		.amdhsa_named_barrier_count 0
		.amdhsa_reserve_vcc 0
		.amdhsa_float_round_mode_32 0
		.amdhsa_float_round_mode_16_64 0
		.amdhsa_float_denorm_mode_32 3
		.amdhsa_float_denorm_mode_16_64 3
		.amdhsa_fp16_overflow 0
		.amdhsa_memory_ordered 1
		.amdhsa_forward_progress 1
		.amdhsa_inst_pref_size 0
		.amdhsa_round_robin_scheduling 0
		.amdhsa_exception_fp_ieee_invalid_op 0
		.amdhsa_exception_fp_denorm_src 0
		.amdhsa_exception_fp_ieee_div_zero 0
		.amdhsa_exception_fp_ieee_overflow 0
		.amdhsa_exception_fp_ieee_underflow 0
		.amdhsa_exception_fp_ieee_inexact 0
		.amdhsa_exception_int_div_zero 0
	.end_amdhsa_kernel
	.section	.text._ZN7rocprim17ROCPRIM_400000_NS6detail17trampoline_kernelINS0_14default_configENS1_33run_length_encode_config_selectorIjjNS0_4plusIjEEEEZZNS1_33reduce_by_key_impl_wrapped_configILNS1_25lookback_scan_determinismE0ES3_S7_PKjNS0_17constant_iteratorIjlEEPjPlSF_S6_NS0_8equal_toIjEEEE10hipError_tPvRmT2_T3_mT4_T5_T6_T7_T8_P12ihipStream_tbENKUlT_T0_E_clISt17integral_constantIbLb1EESY_IbLb0EEEEDaSU_SV_EUlSU_E_NS1_11comp_targetILNS1_3genE8ELNS1_11target_archE1030ELNS1_3gpuE2ELNS1_3repE0EEENS1_30default_config_static_selectorELNS0_4arch9wavefront6targetE0EEEvT1_,"axG",@progbits,_ZN7rocprim17ROCPRIM_400000_NS6detail17trampoline_kernelINS0_14default_configENS1_33run_length_encode_config_selectorIjjNS0_4plusIjEEEEZZNS1_33reduce_by_key_impl_wrapped_configILNS1_25lookback_scan_determinismE0ES3_S7_PKjNS0_17constant_iteratorIjlEEPjPlSF_S6_NS0_8equal_toIjEEEE10hipError_tPvRmT2_T3_mT4_T5_T6_T7_T8_P12ihipStream_tbENKUlT_T0_E_clISt17integral_constantIbLb1EESY_IbLb0EEEEDaSU_SV_EUlSU_E_NS1_11comp_targetILNS1_3genE8ELNS1_11target_archE1030ELNS1_3gpuE2ELNS1_3repE0EEENS1_30default_config_static_selectorELNS0_4arch9wavefront6targetE0EEEvT1_,comdat
.Lfunc_end675:
	.size	_ZN7rocprim17ROCPRIM_400000_NS6detail17trampoline_kernelINS0_14default_configENS1_33run_length_encode_config_selectorIjjNS0_4plusIjEEEEZZNS1_33reduce_by_key_impl_wrapped_configILNS1_25lookback_scan_determinismE0ES3_S7_PKjNS0_17constant_iteratorIjlEEPjPlSF_S6_NS0_8equal_toIjEEEE10hipError_tPvRmT2_T3_mT4_T5_T6_T7_T8_P12ihipStream_tbENKUlT_T0_E_clISt17integral_constantIbLb1EESY_IbLb0EEEEDaSU_SV_EUlSU_E_NS1_11comp_targetILNS1_3genE8ELNS1_11target_archE1030ELNS1_3gpuE2ELNS1_3repE0EEENS1_30default_config_static_selectorELNS0_4arch9wavefront6targetE0EEEvT1_, .Lfunc_end675-_ZN7rocprim17ROCPRIM_400000_NS6detail17trampoline_kernelINS0_14default_configENS1_33run_length_encode_config_selectorIjjNS0_4plusIjEEEEZZNS1_33reduce_by_key_impl_wrapped_configILNS1_25lookback_scan_determinismE0ES3_S7_PKjNS0_17constant_iteratorIjlEEPjPlSF_S6_NS0_8equal_toIjEEEE10hipError_tPvRmT2_T3_mT4_T5_T6_T7_T8_P12ihipStream_tbENKUlT_T0_E_clISt17integral_constantIbLb1EESY_IbLb0EEEEDaSU_SV_EUlSU_E_NS1_11comp_targetILNS1_3genE8ELNS1_11target_archE1030ELNS1_3gpuE2ELNS1_3repE0EEENS1_30default_config_static_selectorELNS0_4arch9wavefront6targetE0EEEvT1_
                                        ; -- End function
	.set _ZN7rocprim17ROCPRIM_400000_NS6detail17trampoline_kernelINS0_14default_configENS1_33run_length_encode_config_selectorIjjNS0_4plusIjEEEEZZNS1_33reduce_by_key_impl_wrapped_configILNS1_25lookback_scan_determinismE0ES3_S7_PKjNS0_17constant_iteratorIjlEEPjPlSF_S6_NS0_8equal_toIjEEEE10hipError_tPvRmT2_T3_mT4_T5_T6_T7_T8_P12ihipStream_tbENKUlT_T0_E_clISt17integral_constantIbLb1EESY_IbLb0EEEEDaSU_SV_EUlSU_E_NS1_11comp_targetILNS1_3genE8ELNS1_11target_archE1030ELNS1_3gpuE2ELNS1_3repE0EEENS1_30default_config_static_selectorELNS0_4arch9wavefront6targetE0EEEvT1_.num_vgpr, 0
	.set _ZN7rocprim17ROCPRIM_400000_NS6detail17trampoline_kernelINS0_14default_configENS1_33run_length_encode_config_selectorIjjNS0_4plusIjEEEEZZNS1_33reduce_by_key_impl_wrapped_configILNS1_25lookback_scan_determinismE0ES3_S7_PKjNS0_17constant_iteratorIjlEEPjPlSF_S6_NS0_8equal_toIjEEEE10hipError_tPvRmT2_T3_mT4_T5_T6_T7_T8_P12ihipStream_tbENKUlT_T0_E_clISt17integral_constantIbLb1EESY_IbLb0EEEEDaSU_SV_EUlSU_E_NS1_11comp_targetILNS1_3genE8ELNS1_11target_archE1030ELNS1_3gpuE2ELNS1_3repE0EEENS1_30default_config_static_selectorELNS0_4arch9wavefront6targetE0EEEvT1_.num_agpr, 0
	.set _ZN7rocprim17ROCPRIM_400000_NS6detail17trampoline_kernelINS0_14default_configENS1_33run_length_encode_config_selectorIjjNS0_4plusIjEEEEZZNS1_33reduce_by_key_impl_wrapped_configILNS1_25lookback_scan_determinismE0ES3_S7_PKjNS0_17constant_iteratorIjlEEPjPlSF_S6_NS0_8equal_toIjEEEE10hipError_tPvRmT2_T3_mT4_T5_T6_T7_T8_P12ihipStream_tbENKUlT_T0_E_clISt17integral_constantIbLb1EESY_IbLb0EEEEDaSU_SV_EUlSU_E_NS1_11comp_targetILNS1_3genE8ELNS1_11target_archE1030ELNS1_3gpuE2ELNS1_3repE0EEENS1_30default_config_static_selectorELNS0_4arch9wavefront6targetE0EEEvT1_.numbered_sgpr, 0
	.set _ZN7rocprim17ROCPRIM_400000_NS6detail17trampoline_kernelINS0_14default_configENS1_33run_length_encode_config_selectorIjjNS0_4plusIjEEEEZZNS1_33reduce_by_key_impl_wrapped_configILNS1_25lookback_scan_determinismE0ES3_S7_PKjNS0_17constant_iteratorIjlEEPjPlSF_S6_NS0_8equal_toIjEEEE10hipError_tPvRmT2_T3_mT4_T5_T6_T7_T8_P12ihipStream_tbENKUlT_T0_E_clISt17integral_constantIbLb1EESY_IbLb0EEEEDaSU_SV_EUlSU_E_NS1_11comp_targetILNS1_3genE8ELNS1_11target_archE1030ELNS1_3gpuE2ELNS1_3repE0EEENS1_30default_config_static_selectorELNS0_4arch9wavefront6targetE0EEEvT1_.num_named_barrier, 0
	.set _ZN7rocprim17ROCPRIM_400000_NS6detail17trampoline_kernelINS0_14default_configENS1_33run_length_encode_config_selectorIjjNS0_4plusIjEEEEZZNS1_33reduce_by_key_impl_wrapped_configILNS1_25lookback_scan_determinismE0ES3_S7_PKjNS0_17constant_iteratorIjlEEPjPlSF_S6_NS0_8equal_toIjEEEE10hipError_tPvRmT2_T3_mT4_T5_T6_T7_T8_P12ihipStream_tbENKUlT_T0_E_clISt17integral_constantIbLb1EESY_IbLb0EEEEDaSU_SV_EUlSU_E_NS1_11comp_targetILNS1_3genE8ELNS1_11target_archE1030ELNS1_3gpuE2ELNS1_3repE0EEENS1_30default_config_static_selectorELNS0_4arch9wavefront6targetE0EEEvT1_.private_seg_size, 0
	.set _ZN7rocprim17ROCPRIM_400000_NS6detail17trampoline_kernelINS0_14default_configENS1_33run_length_encode_config_selectorIjjNS0_4plusIjEEEEZZNS1_33reduce_by_key_impl_wrapped_configILNS1_25lookback_scan_determinismE0ES3_S7_PKjNS0_17constant_iteratorIjlEEPjPlSF_S6_NS0_8equal_toIjEEEE10hipError_tPvRmT2_T3_mT4_T5_T6_T7_T8_P12ihipStream_tbENKUlT_T0_E_clISt17integral_constantIbLb1EESY_IbLb0EEEEDaSU_SV_EUlSU_E_NS1_11comp_targetILNS1_3genE8ELNS1_11target_archE1030ELNS1_3gpuE2ELNS1_3repE0EEENS1_30default_config_static_selectorELNS0_4arch9wavefront6targetE0EEEvT1_.uses_vcc, 0
	.set _ZN7rocprim17ROCPRIM_400000_NS6detail17trampoline_kernelINS0_14default_configENS1_33run_length_encode_config_selectorIjjNS0_4plusIjEEEEZZNS1_33reduce_by_key_impl_wrapped_configILNS1_25lookback_scan_determinismE0ES3_S7_PKjNS0_17constant_iteratorIjlEEPjPlSF_S6_NS0_8equal_toIjEEEE10hipError_tPvRmT2_T3_mT4_T5_T6_T7_T8_P12ihipStream_tbENKUlT_T0_E_clISt17integral_constantIbLb1EESY_IbLb0EEEEDaSU_SV_EUlSU_E_NS1_11comp_targetILNS1_3genE8ELNS1_11target_archE1030ELNS1_3gpuE2ELNS1_3repE0EEENS1_30default_config_static_selectorELNS0_4arch9wavefront6targetE0EEEvT1_.uses_flat_scratch, 0
	.set _ZN7rocprim17ROCPRIM_400000_NS6detail17trampoline_kernelINS0_14default_configENS1_33run_length_encode_config_selectorIjjNS0_4plusIjEEEEZZNS1_33reduce_by_key_impl_wrapped_configILNS1_25lookback_scan_determinismE0ES3_S7_PKjNS0_17constant_iteratorIjlEEPjPlSF_S6_NS0_8equal_toIjEEEE10hipError_tPvRmT2_T3_mT4_T5_T6_T7_T8_P12ihipStream_tbENKUlT_T0_E_clISt17integral_constantIbLb1EESY_IbLb0EEEEDaSU_SV_EUlSU_E_NS1_11comp_targetILNS1_3genE8ELNS1_11target_archE1030ELNS1_3gpuE2ELNS1_3repE0EEENS1_30default_config_static_selectorELNS0_4arch9wavefront6targetE0EEEvT1_.has_dyn_sized_stack, 0
	.set _ZN7rocprim17ROCPRIM_400000_NS6detail17trampoline_kernelINS0_14default_configENS1_33run_length_encode_config_selectorIjjNS0_4plusIjEEEEZZNS1_33reduce_by_key_impl_wrapped_configILNS1_25lookback_scan_determinismE0ES3_S7_PKjNS0_17constant_iteratorIjlEEPjPlSF_S6_NS0_8equal_toIjEEEE10hipError_tPvRmT2_T3_mT4_T5_T6_T7_T8_P12ihipStream_tbENKUlT_T0_E_clISt17integral_constantIbLb1EESY_IbLb0EEEEDaSU_SV_EUlSU_E_NS1_11comp_targetILNS1_3genE8ELNS1_11target_archE1030ELNS1_3gpuE2ELNS1_3repE0EEENS1_30default_config_static_selectorELNS0_4arch9wavefront6targetE0EEEvT1_.has_recursion, 0
	.set _ZN7rocprim17ROCPRIM_400000_NS6detail17trampoline_kernelINS0_14default_configENS1_33run_length_encode_config_selectorIjjNS0_4plusIjEEEEZZNS1_33reduce_by_key_impl_wrapped_configILNS1_25lookback_scan_determinismE0ES3_S7_PKjNS0_17constant_iteratorIjlEEPjPlSF_S6_NS0_8equal_toIjEEEE10hipError_tPvRmT2_T3_mT4_T5_T6_T7_T8_P12ihipStream_tbENKUlT_T0_E_clISt17integral_constantIbLb1EESY_IbLb0EEEEDaSU_SV_EUlSU_E_NS1_11comp_targetILNS1_3genE8ELNS1_11target_archE1030ELNS1_3gpuE2ELNS1_3repE0EEENS1_30default_config_static_selectorELNS0_4arch9wavefront6targetE0EEEvT1_.has_indirect_call, 0
	.section	.AMDGPU.csdata,"",@progbits
; Kernel info:
; codeLenInByte = 0
; TotalNumSgprs: 0
; NumVgprs: 0
; ScratchSize: 0
; MemoryBound: 0
; FloatMode: 240
; IeeeMode: 1
; LDSByteSize: 0 bytes/workgroup (compile time only)
; SGPRBlocks: 0
; VGPRBlocks: 0
; NumSGPRsForWavesPerEU: 1
; NumVGPRsForWavesPerEU: 1
; NamedBarCnt: 0
; Occupancy: 16
; WaveLimiterHint : 0
; COMPUTE_PGM_RSRC2:SCRATCH_EN: 0
; COMPUTE_PGM_RSRC2:USER_SGPR: 2
; COMPUTE_PGM_RSRC2:TRAP_HANDLER: 0
; COMPUTE_PGM_RSRC2:TGID_X_EN: 1
; COMPUTE_PGM_RSRC2:TGID_Y_EN: 0
; COMPUTE_PGM_RSRC2:TGID_Z_EN: 0
; COMPUTE_PGM_RSRC2:TIDIG_COMP_CNT: 0
	.section	.text._ZN7rocprim17ROCPRIM_400000_NS6detail17trampoline_kernelINS0_14default_configENS1_33run_length_encode_config_selectorIjjNS0_4plusIjEEEEZZNS1_33reduce_by_key_impl_wrapped_configILNS1_25lookback_scan_determinismE0ES3_S7_PKjNS0_17constant_iteratorIjlEEPjPlSF_S6_NS0_8equal_toIjEEEE10hipError_tPvRmT2_T3_mT4_T5_T6_T7_T8_P12ihipStream_tbENKUlT_T0_E_clISt17integral_constantIbLb0EESY_IbLb1EEEEDaSU_SV_EUlSU_E_NS1_11comp_targetILNS1_3genE0ELNS1_11target_archE4294967295ELNS1_3gpuE0ELNS1_3repE0EEENS1_30default_config_static_selectorELNS0_4arch9wavefront6targetE0EEEvT1_,"axG",@progbits,_ZN7rocprim17ROCPRIM_400000_NS6detail17trampoline_kernelINS0_14default_configENS1_33run_length_encode_config_selectorIjjNS0_4plusIjEEEEZZNS1_33reduce_by_key_impl_wrapped_configILNS1_25lookback_scan_determinismE0ES3_S7_PKjNS0_17constant_iteratorIjlEEPjPlSF_S6_NS0_8equal_toIjEEEE10hipError_tPvRmT2_T3_mT4_T5_T6_T7_T8_P12ihipStream_tbENKUlT_T0_E_clISt17integral_constantIbLb0EESY_IbLb1EEEEDaSU_SV_EUlSU_E_NS1_11comp_targetILNS1_3genE0ELNS1_11target_archE4294967295ELNS1_3gpuE0ELNS1_3repE0EEENS1_30default_config_static_selectorELNS0_4arch9wavefront6targetE0EEEvT1_,comdat
	.protected	_ZN7rocprim17ROCPRIM_400000_NS6detail17trampoline_kernelINS0_14default_configENS1_33run_length_encode_config_selectorIjjNS0_4plusIjEEEEZZNS1_33reduce_by_key_impl_wrapped_configILNS1_25lookback_scan_determinismE0ES3_S7_PKjNS0_17constant_iteratorIjlEEPjPlSF_S6_NS0_8equal_toIjEEEE10hipError_tPvRmT2_T3_mT4_T5_T6_T7_T8_P12ihipStream_tbENKUlT_T0_E_clISt17integral_constantIbLb0EESY_IbLb1EEEEDaSU_SV_EUlSU_E_NS1_11comp_targetILNS1_3genE0ELNS1_11target_archE4294967295ELNS1_3gpuE0ELNS1_3repE0EEENS1_30default_config_static_selectorELNS0_4arch9wavefront6targetE0EEEvT1_ ; -- Begin function _ZN7rocprim17ROCPRIM_400000_NS6detail17trampoline_kernelINS0_14default_configENS1_33run_length_encode_config_selectorIjjNS0_4plusIjEEEEZZNS1_33reduce_by_key_impl_wrapped_configILNS1_25lookback_scan_determinismE0ES3_S7_PKjNS0_17constant_iteratorIjlEEPjPlSF_S6_NS0_8equal_toIjEEEE10hipError_tPvRmT2_T3_mT4_T5_T6_T7_T8_P12ihipStream_tbENKUlT_T0_E_clISt17integral_constantIbLb0EESY_IbLb1EEEEDaSU_SV_EUlSU_E_NS1_11comp_targetILNS1_3genE0ELNS1_11target_archE4294967295ELNS1_3gpuE0ELNS1_3repE0EEENS1_30default_config_static_selectorELNS0_4arch9wavefront6targetE0EEEvT1_
	.globl	_ZN7rocprim17ROCPRIM_400000_NS6detail17trampoline_kernelINS0_14default_configENS1_33run_length_encode_config_selectorIjjNS0_4plusIjEEEEZZNS1_33reduce_by_key_impl_wrapped_configILNS1_25lookback_scan_determinismE0ES3_S7_PKjNS0_17constant_iteratorIjlEEPjPlSF_S6_NS0_8equal_toIjEEEE10hipError_tPvRmT2_T3_mT4_T5_T6_T7_T8_P12ihipStream_tbENKUlT_T0_E_clISt17integral_constantIbLb0EESY_IbLb1EEEEDaSU_SV_EUlSU_E_NS1_11comp_targetILNS1_3genE0ELNS1_11target_archE4294967295ELNS1_3gpuE0ELNS1_3repE0EEENS1_30default_config_static_selectorELNS0_4arch9wavefront6targetE0EEEvT1_
	.p2align	8
	.type	_ZN7rocprim17ROCPRIM_400000_NS6detail17trampoline_kernelINS0_14default_configENS1_33run_length_encode_config_selectorIjjNS0_4plusIjEEEEZZNS1_33reduce_by_key_impl_wrapped_configILNS1_25lookback_scan_determinismE0ES3_S7_PKjNS0_17constant_iteratorIjlEEPjPlSF_S6_NS0_8equal_toIjEEEE10hipError_tPvRmT2_T3_mT4_T5_T6_T7_T8_P12ihipStream_tbENKUlT_T0_E_clISt17integral_constantIbLb0EESY_IbLb1EEEEDaSU_SV_EUlSU_E_NS1_11comp_targetILNS1_3genE0ELNS1_11target_archE4294967295ELNS1_3gpuE0ELNS1_3repE0EEENS1_30default_config_static_selectorELNS0_4arch9wavefront6targetE0EEEvT1_,@function
_ZN7rocprim17ROCPRIM_400000_NS6detail17trampoline_kernelINS0_14default_configENS1_33run_length_encode_config_selectorIjjNS0_4plusIjEEEEZZNS1_33reduce_by_key_impl_wrapped_configILNS1_25lookback_scan_determinismE0ES3_S7_PKjNS0_17constant_iteratorIjlEEPjPlSF_S6_NS0_8equal_toIjEEEE10hipError_tPvRmT2_T3_mT4_T5_T6_T7_T8_P12ihipStream_tbENKUlT_T0_E_clISt17integral_constantIbLb0EESY_IbLb1EEEEDaSU_SV_EUlSU_E_NS1_11comp_targetILNS1_3genE0ELNS1_11target_archE4294967295ELNS1_3gpuE0ELNS1_3repE0EEENS1_30default_config_static_selectorELNS0_4arch9wavefront6targetE0EEEvT1_: ; @_ZN7rocprim17ROCPRIM_400000_NS6detail17trampoline_kernelINS0_14default_configENS1_33run_length_encode_config_selectorIjjNS0_4plusIjEEEEZZNS1_33reduce_by_key_impl_wrapped_configILNS1_25lookback_scan_determinismE0ES3_S7_PKjNS0_17constant_iteratorIjlEEPjPlSF_S6_NS0_8equal_toIjEEEE10hipError_tPvRmT2_T3_mT4_T5_T6_T7_T8_P12ihipStream_tbENKUlT_T0_E_clISt17integral_constantIbLb0EESY_IbLb1EEEEDaSU_SV_EUlSU_E_NS1_11comp_targetILNS1_3genE0ELNS1_11target_archE4294967295ELNS1_3gpuE0ELNS1_3repE0EEENS1_30default_config_static_selectorELNS0_4arch9wavefront6targetE0EEEvT1_
; %bb.0:
	s_clause 0x5
	s_load_b32 s8, s[0:1], 0x10
	s_load_b128 s[28:31], s[0:1], 0x20
	s_load_b64 s[34:35], s[0:1], 0x30
	s_load_b64 s[36:37], s[0:1], 0x70
	s_load_b128 s[16:19], s[0:1], 0x60
	s_load_b256 s[20:27], s[0:1], 0x40
	v_cmp_ne_u32_e64 s3, 0, v0
	v_cmp_eq_u32_e64 s2, 0, v0
	s_and_saveexec_b32 s4, s2
	s_cbranch_execz .LBB676_4
; %bb.1:
	s_mov_b32 s6, exec_lo
	s_mov_b32 s5, exec_lo
	v_mbcnt_lo_u32_b32 v1, s6, 0
                                        ; implicit-def: $vgpr2
	s_delay_alu instid0(VALU_DEP_1)
	v_cmpx_eq_u32_e32 0, v1
	s_cbranch_execz .LBB676_3
; %bb.2:
	s_load_b64 s[10:11], s[0:1], 0x78
	s_bcnt1_i32_b32 s6, s6
	s_delay_alu instid0(SALU_CYCLE_1)
	v_dual_mov_b32 v2, 0 :: v_dual_mov_b32 v3, s6
	s_wait_xcnt 0x0
	s_wait_kmcnt 0x0
	global_atomic_add_u32 v2, v2, v3, s[10:11] th:TH_ATOMIC_RETURN scope:SCOPE_DEV
.LBB676_3:
	s_wait_xcnt 0x0
	s_or_b32 exec_lo, exec_lo, s5
	s_wait_loadcnt 0x0
	v_readfirstlane_b32 s5, v2
	s_delay_alu instid0(VALU_DEP_1)
	v_dual_mov_b32 v2, 0 :: v_dual_add_nc_u32 v1, s5, v1
	ds_store_b32 v2, v1
.LBB676_4:
	s_or_b32 exec_lo, exec_lo, s4
	v_mov_b32_e32 v3, 0
	s_wait_dscnt 0x0
	s_barrier_signal -1
	s_barrier_wait -1
	ds_load_b32 v1, v3
	s_load_b128 s[4:7], s[0:1], 0x0
	s_wait_kmcnt 0x0
	s_mul_u64 s[0:1], s[24:25], s[22:23]
	s_mov_b32 s25, 0
	s_wait_dscnt 0x0
	s_barrier_signal -1
	s_barrier_wait -1
	v_mul_lo_u32 v2, 0xe00, v1
	v_readfirstlane_b32 s24, v1
	s_lshl_b64 s[6:7], s[6:7], 2
	s_delay_alu instid0(SALU_CYCLE_1)
	s_add_nc_u64 s[4:5], s[4:5], s[6:7]
	s_add_nc_u64 s[6:7], s[26:27], -1
	s_add_nc_u64 s[14:15], s[0:1], s[24:25]
	s_mul_i32 s38, s6, 0xfffff200
	s_cmp_eq_u64 s[14:15], s[6:7]
	s_cselect_b32 s33, -1, 0
	v_lshlrev_b64_e32 v[2:3], 2, v[2:3]
	s_cmp_lg_u64 s[14:15], s[6:7]
	s_cselect_b32 s0, -1, 0
	s_and_b32 vcc_lo, exec_lo, s33
	s_delay_alu instid0(VALU_DEP_1)
	v_add_nc_u64_e32 v[14:15], s[4:5], v[2:3]
	s_cbranch_vccnz .LBB676_6
; %bb.5:
	s_delay_alu instid0(VALU_DEP_1) | instskip(NEXT) | instid1(VALU_DEP_2)
	v_readfirstlane_b32 s4, v14
	v_readfirstlane_b32 s5, v15
	v_lshlrev_b32_e32 v17, 2, v0
	s_mov_b32 s1, 0
	s_mov_b32 s25, -1
	s_clause 0xd
	global_load_b32 v1, v0, s[4:5] scale_offset
	global_load_b32 v2, v0, s[4:5] offset:1024 scale_offset
	global_load_b32 v3, v0, s[4:5] offset:2048 scale_offset
	;; [unrolled: 1-line block ×13, first 2 shown]
	v_mad_u32_u24 v18, v0, 52, v17
	s_wait_loadcnt 0xc
	ds_store_2addr_stride64_b32 v17, v1, v2 offset1:4
	s_wait_loadcnt 0xa
	ds_store_2addr_stride64_b32 v17, v3, v4 offset0:8 offset1:12
	s_wait_loadcnt 0x8
	ds_store_2addr_stride64_b32 v17, v5, v6 offset0:16 offset1:20
	;; [unrolled: 2-line block ×6, first 2 shown]
	s_wait_dscnt 0x0
	s_barrier_signal -1
	s_barrier_wait -1
	ds_load_2addr_b64 v[10:13], v18 offset1:1
	ds_load_2addr_b64 v[6:9], v18 offset0:2 offset1:3
	ds_load_2addr_b64 v[2:5], v18 offset0:4 offset1:5
	ds_load_b64 v[22:23], v18 offset:48
	s_wait_dscnt 0x3
	v_dual_mov_b32 v16, v10 :: v_dual_mov_b32 v17, v12
	s_wait_dscnt 0x2
	v_dual_mov_b32 v18, v6 :: v_dual_mov_b32 v19, v8
	;; [unrolled: 2-line block ×3, first 2 shown]
	s_branch .LBB676_7
.LBB676_6:
	s_mov_b32 s1, -1
                                        ; implicit-def: $vgpr4
                                        ; implicit-def: $vgpr8
                                        ; implicit-def: $vgpr12
                                        ; implicit-def: $vgpr22_vgpr23
                                        ; implicit-def: $vgpr20_vgpr21
                                        ; implicit-def: $vgpr18_vgpr19
                                        ; implicit-def: $vgpr16_vgpr17
.LBB676_7:
	v_dual_mov_b32 v1, s8 :: v_dual_mov_b32 v50, s8
	v_dual_mov_b32 v51, s8 :: v_dual_mov_b32 v53, s8
	;; [unrolled: 1-line block ×6, first 2 shown]
	v_mov_b32_e32 v52, s8
	s_and_not1_b32 vcc_lo, exec_lo, s1
	s_add_co_i32 s38, s38, s16
                                        ; implicit-def: $vgpr76
	s_cbranch_vccnz .LBB676_37
; %bb.8:
	s_mov_b32 s1, exec_lo
                                        ; implicit-def: $vgpr1
	v_cmpx_gt_u32_e64 s38, v0
	s_cbranch_execz .LBB676_10
; %bb.9:
	v_readfirstlane_b32 s4, v14
	v_readfirstlane_b32 s5, v15
	global_load_b32 v1, v0, s[4:5] scale_offset
.LBB676_10:
	s_wait_xcnt 0x0
	s_or_b32 exec_lo, exec_lo, s1
	v_or_b32_e32 v2, 0x100, v0
	s_delay_alu instid0(VALU_DEP_1)
	v_cmp_gt_u32_e32 vcc_lo, s38, v2
                                        ; implicit-def: $vgpr2
	s_and_saveexec_b32 s1, vcc_lo
	s_cbranch_execz .LBB676_12
; %bb.11:
	v_readfirstlane_b32 s4, v14
	v_readfirstlane_b32 s5, v15
	global_load_b32 v2, v0, s[4:5] offset:1024 scale_offset
.LBB676_12:
	s_wait_xcnt 0x0
	s_or_b32 exec_lo, exec_lo, s1
	v_or_b32_e32 v3, 0x200, v0
	s_delay_alu instid0(VALU_DEP_1)
	v_cmp_gt_u32_e32 vcc_lo, s38, v3
                                        ; implicit-def: $vgpr3
	s_and_saveexec_b32 s1, vcc_lo
	s_cbranch_execz .LBB676_14
; %bb.13:
	v_readfirstlane_b32 s4, v14
	v_readfirstlane_b32 s5, v15
	global_load_b32 v3, v0, s[4:5] offset:2048 scale_offset
.LBB676_14:
	s_wait_xcnt 0x0
	s_or_b32 exec_lo, exec_lo, s1
	v_or_b32_e32 v4, 0x300, v0
	s_delay_alu instid0(VALU_DEP_1)
	v_cmp_gt_u32_e32 vcc_lo, s38, v4
                                        ; implicit-def: $vgpr4
	s_and_saveexec_b32 s1, vcc_lo
	s_cbranch_execz .LBB676_16
; %bb.15:
	v_readfirstlane_b32 s4, v14
	v_readfirstlane_b32 s5, v15
	global_load_b32 v4, v0, s[4:5] offset:3072 scale_offset
.LBB676_16:
	s_wait_xcnt 0x0
	s_or_b32 exec_lo, exec_lo, s1
	v_or_b32_e32 v5, 0x400, v0
	s_delay_alu instid0(VALU_DEP_1)
	v_cmp_gt_u32_e32 vcc_lo, s38, v5
                                        ; implicit-def: $vgpr5
	s_and_saveexec_b32 s1, vcc_lo
	s_cbranch_execz .LBB676_18
; %bb.17:
	v_readfirstlane_b32 s4, v14
	v_readfirstlane_b32 s5, v15
	global_load_b32 v5, v0, s[4:5] offset:4096 scale_offset
.LBB676_18:
	s_wait_xcnt 0x0
	s_or_b32 exec_lo, exec_lo, s1
	v_or_b32_e32 v6, 0x500, v0
	s_delay_alu instid0(VALU_DEP_1)
	v_cmp_gt_u32_e32 vcc_lo, s38, v6
                                        ; implicit-def: $vgpr6
	s_and_saveexec_b32 s1, vcc_lo
	s_cbranch_execz .LBB676_20
; %bb.19:
	v_readfirstlane_b32 s4, v14
	v_readfirstlane_b32 s5, v15
	global_load_b32 v6, v0, s[4:5] offset:5120 scale_offset
.LBB676_20:
	s_wait_xcnt 0x0
	s_or_b32 exec_lo, exec_lo, s1
	v_or_b32_e32 v7, 0x600, v0
	s_delay_alu instid0(VALU_DEP_1)
	v_cmp_gt_u32_e32 vcc_lo, s38, v7
                                        ; implicit-def: $vgpr7
	s_and_saveexec_b32 s1, vcc_lo
	s_cbranch_execz .LBB676_22
; %bb.21:
	v_readfirstlane_b32 s4, v14
	v_readfirstlane_b32 s5, v15
	global_load_b32 v7, v0, s[4:5] offset:6144 scale_offset
.LBB676_22:
	s_wait_xcnt 0x0
	s_or_b32 exec_lo, exec_lo, s1
	v_or_b32_e32 v8, 0x700, v0
	s_delay_alu instid0(VALU_DEP_1)
	v_cmp_gt_u32_e32 vcc_lo, s38, v8
                                        ; implicit-def: $vgpr8
	s_and_saveexec_b32 s1, vcc_lo
	s_cbranch_execz .LBB676_24
; %bb.23:
	v_readfirstlane_b32 s4, v14
	v_readfirstlane_b32 s5, v15
	global_load_b32 v8, v0, s[4:5] offset:7168 scale_offset
.LBB676_24:
	s_wait_xcnt 0x0
	s_or_b32 exec_lo, exec_lo, s1
	v_or_b32_e32 v9, 0x800, v0
	s_delay_alu instid0(VALU_DEP_1)
	v_cmp_gt_u32_e32 vcc_lo, s38, v9
                                        ; implicit-def: $vgpr9
	s_and_saveexec_b32 s1, vcc_lo
	s_cbranch_execz .LBB676_26
; %bb.25:
	v_readfirstlane_b32 s4, v14
	v_readfirstlane_b32 s5, v15
	global_load_b32 v9, v0, s[4:5] offset:8192 scale_offset
.LBB676_26:
	s_wait_xcnt 0x0
	s_or_b32 exec_lo, exec_lo, s1
	v_or_b32_e32 v10, 0x900, v0
	s_delay_alu instid0(VALU_DEP_1)
	v_cmp_gt_u32_e32 vcc_lo, s38, v10
                                        ; implicit-def: $vgpr10
	s_and_saveexec_b32 s1, vcc_lo
	s_cbranch_execz .LBB676_28
; %bb.27:
	v_readfirstlane_b32 s4, v14
	v_readfirstlane_b32 s5, v15
	global_load_b32 v10, v0, s[4:5] offset:9216 scale_offset
.LBB676_28:
	s_wait_xcnt 0x0
	s_or_b32 exec_lo, exec_lo, s1
	v_or_b32_e32 v11, 0xa00, v0
	s_delay_alu instid0(VALU_DEP_1)
	v_cmp_gt_u32_e32 vcc_lo, s38, v11
                                        ; implicit-def: $vgpr11
	s_and_saveexec_b32 s1, vcc_lo
	s_cbranch_execz .LBB676_30
; %bb.29:
	v_readfirstlane_b32 s4, v14
	v_readfirstlane_b32 s5, v15
	global_load_b32 v11, v0, s[4:5] offset:10240 scale_offset
.LBB676_30:
	s_wait_xcnt 0x0
	s_or_b32 exec_lo, exec_lo, s1
	v_or_b32_e32 v12, 0xb00, v0
	s_delay_alu instid0(VALU_DEP_1)
	v_cmp_gt_u32_e32 vcc_lo, s38, v12
                                        ; implicit-def: $vgpr12
	s_and_saveexec_b32 s1, vcc_lo
	s_cbranch_execz .LBB676_32
; %bb.31:
	v_readfirstlane_b32 s4, v14
	v_readfirstlane_b32 s5, v15
	global_load_b32 v12, v0, s[4:5] offset:11264 scale_offset
.LBB676_32:
	s_wait_xcnt 0x0
	s_or_b32 exec_lo, exec_lo, s1
	v_or_b32_e32 v13, 0xc00, v0
	s_delay_alu instid0(VALU_DEP_1)
	v_cmp_gt_u32_e32 vcc_lo, s38, v13
                                        ; implicit-def: $vgpr13
	s_and_saveexec_b32 s1, vcc_lo
	s_cbranch_execz .LBB676_34
; %bb.33:
	v_readfirstlane_b32 s4, v14
	v_readfirstlane_b32 s5, v15
	global_load_b32 v13, v0, s[4:5] offset:12288 scale_offset
.LBB676_34:
	s_wait_xcnt 0x0
	s_or_b32 exec_lo, exec_lo, s1
	v_or_b32_e32 v16, 0xd00, v0
	s_delay_alu instid0(VALU_DEP_1)
	v_cmp_gt_u32_e32 vcc_lo, s38, v16
                                        ; implicit-def: $vgpr16
	s_and_saveexec_b32 s1, vcc_lo
	s_cbranch_execz .LBB676_36
; %bb.35:
	v_readfirstlane_b32 s4, v14
	v_readfirstlane_b32 s5, v15
	global_load_b32 v16, v0, s[4:5] offset:13312 scale_offset
.LBB676_36:
	s_wait_xcnt 0x0
	s_or_b32 exec_lo, exec_lo, s1
	v_lshlrev_b32_e32 v17, 2, v0
	v_mad_u32_u24 v18, v0, 14, 13
	v_mov_b32_e32 v76, 0
	s_wait_loadcnt 0x0
	ds_store_2addr_stride64_b32 v17, v1, v2 offset1:4
	ds_store_2addr_stride64_b32 v17, v3, v4 offset0:8 offset1:12
	ds_store_2addr_stride64_b32 v17, v5, v6 offset0:16 offset1:20
	;; [unrolled: 1-line block ×6, first 2 shown]
	v_mad_u32_u24 v1, v0, 52, v17
	s_wait_dscnt 0x0
	s_barrier_signal -1
	s_barrier_wait -1
	ds_load_2addr_b64 v[10:13], v1 offset1:1
	ds_load_2addr_b64 v[6:9], v1 offset0:2 offset1:3
	v_mul_u32_u24_e32 v16, 14, v0
	ds_load_2addr_b64 v[2:5], v1 offset0:4 offset1:5
	ds_load_b64 v[22:23], v1 offset:48
	v_mad_u32_u24 v1, v0, 14, 2
	v_cmp_gt_u32_e64 s25, s38, v18
	v_or_b32_e32 v17, 1, v16
	v_cmp_gt_u32_e32 vcc_lo, s38, v16
	v_mad_u32_u24 v16, v0, 14, 3
	v_cndmask_b32_e64 v52, 0, s8, vcc_lo
	s_wait_dscnt 0x2
	v_mov_b32_e32 v18, v6
	v_cmp_gt_u32_e32 vcc_lo, s38, v17
	v_mad_u32_u24 v17, v0, 14, 4
	s_wait_dscnt 0x1
	v_dual_mov_b32 v20, v2 :: v_dual_mov_b32 v21, v4
	v_mov_b32_e32 v19, v8
	v_cndmask_b32_e64 v68, 0, s8, vcc_lo
	v_cmp_gt_u32_e32 vcc_lo, s38, v1
	v_mad_u32_u24 v1, v0, 14, 5
	v_cndmask_b32_e64 v72, 0, s8, vcc_lo
	v_cmp_gt_u32_e32 vcc_lo, s38, v16
	v_mad_u32_u24 v16, v0, 14, 6
	;; [unrolled: 3-line block ×8, first 2 shown]
	v_cndmask_b32_e64 v53, 0, s8, vcc_lo
	v_cmp_gt_u32_e32 vcc_lo, s38, v1
	v_cndmask_b32_e64 v51, 0, s8, vcc_lo
	s_delay_alu instid0(VALU_DEP_4)
	v_cmp_gt_u32_e32 vcc_lo, s38, v16
	v_mov_b32_e32 v16, v10
	v_cndmask_b32_e64 v50, 0, s8, vcc_lo
	v_cmp_gt_u32_e32 vcc_lo, s38, v17
	v_mov_b32_e32 v17, v12
	v_cndmask_b32_e64 v1, 0, s8, vcc_lo
.LBB676_37:
	s_and_saveexec_b32 s1, s25
; %bb.38:
	v_mov_b32_e32 v76, s8
; %bb.39:
	s_or_b32 exec_lo, exec_lo, s1
	s_cmp_eq_u64 s[14:15], 0
	s_wait_dscnt 0x0
	s_cselect_b32 s25, -1, 0
	s_cmp_lg_u64 s[14:15], 0
	s_barrier_signal -1
	s_cselect_b32 s26, -1, 0
	s_and_b32 vcc_lo, exec_lo, s0
	s_barrier_wait -1
	s_cbranch_vccz .LBB676_44
; %bb.40:
	s_and_b32 vcc_lo, exec_lo, s26
	s_cbranch_vccz .LBB676_45
; %bb.41:
	global_load_b32 v24, v[14:15], off offset:-4
	v_lshlrev_b32_e32 v25, 2, v0
	ds_store_b32 v25, v23
	s_wait_loadcnt_dscnt 0x0
	s_barrier_signal -1
	s_barrier_wait -1
	s_and_saveexec_b32 s0, s3
; %bb.42:
	v_add_nc_u32_e32 v24, -4, v25
	ds_load_b32 v24, v24
; %bb.43:
	s_or_b32 exec_lo, exec_lo, s0
	v_cmp_ne_u32_e32 vcc_lo, v22, v23
	s_wait_dscnt 0x0
	v_cmp_ne_u32_e64 s40, v24, v10
	s_mov_b32 s39, -1
	v_cndmask_b32_e64 v56, 0, 1, vcc_lo
	v_cmp_ne_u32_e32 vcc_lo, v16, v11
	v_cndmask_b32_e64 v66, 0, 1, vcc_lo
	v_cmp_ne_u32_e32 vcc_lo, v17, v11
	;; [unrolled: 2-line block ×12, first 2 shown]
	v_cndmask_b32_e64 v62, 0, 1, vcc_lo
	s_branch .LBB676_49
.LBB676_44:
	s_mov_b32 s39, 0
                                        ; implicit-def: $sgpr40
                                        ; implicit-def: $vgpr56
                                        ; implicit-def: $vgpr62
                                        ; implicit-def: $vgpr55
                                        ; implicit-def: $vgpr54
                                        ; implicit-def: $vgpr57
                                        ; implicit-def: $vgpr58
                                        ; implicit-def: $vgpr59
                                        ; implicit-def: $vgpr60
                                        ; implicit-def: $vgpr65
                                        ; implicit-def: $vgpr61
                                        ; implicit-def: $vgpr63
                                        ; implicit-def: $vgpr64
                                        ; implicit-def: $vgpr66
	s_cbranch_execnz .LBB676_50
	s_branch .LBB676_58
.LBB676_45:
	s_mov_b32 s39, 0
                                        ; implicit-def: $sgpr40
                                        ; implicit-def: $vgpr56
                                        ; implicit-def: $vgpr62
                                        ; implicit-def: $vgpr55
                                        ; implicit-def: $vgpr54
                                        ; implicit-def: $vgpr57
                                        ; implicit-def: $vgpr58
                                        ; implicit-def: $vgpr59
                                        ; implicit-def: $vgpr60
                                        ; implicit-def: $vgpr65
                                        ; implicit-def: $vgpr61
                                        ; implicit-def: $vgpr63
                                        ; implicit-def: $vgpr64
                                        ; implicit-def: $vgpr66
	s_cbranch_execz .LBB676_49
; %bb.46:
	v_lshlrev_b32_e32 v24, 2, v0
	v_cmp_ne_u32_e64 s6, v22, v23
	v_cmp_ne_u32_e64 s0, v21, v5
	;; [unrolled: 1-line block ×12, first 2 shown]
	v_cmp_ne_u32_e32 vcc_lo, v22, v5
	ds_store_b32 v24, v23
	s_wait_dscnt 0x0
	s_barrier_signal -1
	s_barrier_wait -1
                                        ; implicit-def: $sgpr40
	s_and_saveexec_b32 s27, s3
	s_delay_alu instid0(SALU_CYCLE_1)
	s_xor_b32 s27, exec_lo, s27
	s_cbranch_execz .LBB676_48
; %bb.47:
	v_add_nc_u32_e32 v16, -4, v24
	s_or_b32 s39, s39, exec_lo
	ds_load_b32 v16, v16
	s_wait_dscnt 0x0
	v_cmp_ne_u32_e64 s40, v16, v10
.LBB676_48:
	s_or_b32 exec_lo, exec_lo, s27
	v_cndmask_b32_e64 v56, 0, 1, s6
	v_cndmask_b32_e64 v66, 0, 1, s13
	v_cndmask_b32_e64 v64, 0, 1, s12
	v_cndmask_b32_e64 v63, 0, 1, s11
	v_cndmask_b32_e64 v61, 0, 1, s10
	v_cndmask_b32_e64 v65, 0, 1, s9
	v_cndmask_b32_e64 v60, 0, 1, s8
	v_cndmask_b32_e64 v59, 0, 1, s7
	v_cndmask_b32_e64 v58, 0, 1, s5
	v_cndmask_b32_e64 v57, 0, 1, s4
	v_cndmask_b32_e64 v54, 0, 1, s1
	v_cndmask_b32_e64 v55, 0, 1, s0
	v_cndmask_b32_e64 v62, 0, 1, vcc_lo
.LBB676_49:
	s_branch .LBB676_58
.LBB676_50:
	s_mov_b64 s[0:1], 0xfffffffffffff200
	v_cmp_ne_u32_e64 s12, v5, v22
	s_mul_u64 s[40:41], s[14:15], s[0:1]
	v_cmp_ne_u32_e64 s14, v22, v23
	v_cmp_ne_u32_e64 s13, v4, v5
	;; [unrolled: 1-line block ×12, first 2 shown]
	v_mul_u32_u24_e32 v16, 14, v0
	v_mad_u32_u24 v18, v0, 14, 13
	v_mad_u32_u24 v42, v0, 14, 12
	;; [unrolled: 1-line block ×12, first 2 shown]
	s_and_b32 vcc_lo, exec_lo, s26
	s_add_nc_u64 s[26:27], s[40:41], s[16:17]
	s_cbranch_vccz .LBB676_54
; %bb.51:
	global_load_b32 v14, v[14:15], off offset:-4
	s_wait_xcnt 0x0
	v_dual_mov_b32 v19, 0 :: v_dual_lshlrev_b32 v15, 2, v0
	s_delay_alu instid0(VALU_DEP_1) | instskip(SKIP_4) | instid1(VALU_DEP_3)
	v_dual_mov_b32 v21, v19 :: v_dual_bitop2_b32 v44, 1, v16 bitop3:0x54
	v_cmp_gt_u64_e32 vcc_lo, s[26:27], v[18:19]
	v_dual_mov_b32 v43, v19 :: v_dual_mov_b32 v41, v19
	v_dual_mov_b32 v39, v19 :: v_dual_mov_b32 v37, v19
	;; [unrolled: 1-line block ×3, first 2 shown]
	v_cmp_gt_u64_e64 s15, s[26:27], v[42:43]
	s_delay_alu instid0(VALU_DEP_4)
	v_cmp_gt_u64_e64 s16, s[26:27], v[40:41]
	s_and_b32 s39, vcc_lo, s14
	v_cmp_gt_u64_e32 vcc_lo, s[26:27], v[38:39]
	v_cmp_gt_u64_e64 s14, s[26:27], v[36:37]
	v_cmp_gt_u64_e64 s17, s[26:27], v[34:35]
	v_dual_mov_b32 v31, v19 :: v_dual_mov_b32 v29, v19
	v_dual_mov_b32 v27, v19 :: v_dual_mov_b32 v25, v19
	v_mov_b32_e32 v45, v19
	s_and_b32 s40, s15, s12
	s_and_b32 s41, s16, s13
	s_and_b32 s42, vcc_lo, s9
	s_and_b32 s15, s14, s10
	s_and_b32 s16, s17, s11
	v_cmp_gt_u64_e32 vcc_lo, s[26:27], v[32:33]
	v_cmp_gt_u64_e64 s9, s[26:27], v[30:31]
	v_cmp_gt_u64_e64 s10, s[26:27], v[28:29]
	;; [unrolled: 1-line block ×6, first 2 shown]
	s_and_b32 s17, vcc_lo, s0
	s_and_b32 s9, s9, s1
	s_and_b32 s0, s10, s4
	;; [unrolled: 1-line block ×6, first 2 shown]
	ds_store_b32 v15, v23
	s_wait_loadcnt_dscnt 0x0
	s_barrier_signal -1
	s_barrier_wait -1
	s_and_saveexec_b32 s7, s3
; %bb.52:
	v_add_nc_u32_e32 v14, -4, v15
	ds_load_b32 v14, v14
; %bb.53:
	s_or_b32 exec_lo, exec_lo, s7
	v_mov_b32_e32 v17, v19
	v_cndmask_b32_e64 v65, 0, 1, s0
	s_wait_dscnt 0x0
	v_cmp_ne_u32_e64 s0, v14, v10
	v_cndmask_b32_e64 v56, 0, 1, s39
	v_cndmask_b32_e64 v62, 0, 1, s40
	v_cmp_gt_u64_e32 vcc_lo, s[26:27], v[16:17]
	v_cndmask_b32_e64 v55, 0, 1, s41
	v_cndmask_b32_e64 v54, 0, 1, s42
	;; [unrolled: 1-line block ×10, first 2 shown]
	s_and_b32 s40, vcc_lo, s0
	s_mov_b32 s39, -1
	s_branch .LBB676_58
.LBB676_54:
                                        ; implicit-def: $sgpr40
                                        ; implicit-def: $vgpr56
                                        ; implicit-def: $vgpr62
                                        ; implicit-def: $vgpr55
                                        ; implicit-def: $vgpr54
                                        ; implicit-def: $vgpr57
                                        ; implicit-def: $vgpr58
                                        ; implicit-def: $vgpr59
                                        ; implicit-def: $vgpr60
                                        ; implicit-def: $vgpr65
                                        ; implicit-def: $vgpr61
                                        ; implicit-def: $vgpr63
                                        ; implicit-def: $vgpr64
                                        ; implicit-def: $vgpr66
	s_cbranch_execz .LBB676_58
; %bb.55:
	v_dual_mov_b32 v19, 0 :: v_dual_lshlrev_b32 v14, 2, v0
	v_cmp_ne_u32_e32 vcc_lo, v22, v23
	v_cmp_ne_u32_e64 s0, v5, v22
	v_cmp_ne_u32_e64 s1, v4, v5
	s_delay_alu instid0(VALU_DEP_4) | instskip(SKIP_2) | instid1(VALU_DEP_3)
	v_dual_mov_b32 v43, v19 :: v_dual_mov_b32 v41, v19
	v_dual_mov_b32 v39, v19 :: v_dual_mov_b32 v37, v19
	v_cmp_gt_u64_e64 s4, s[26:27], v[18:19]
	v_cmp_gt_u64_e64 s5, s[26:27], v[42:43]
	s_delay_alu instid0(VALU_DEP_4) | instskip(NEXT) | instid1(VALU_DEP_4)
	v_cmp_gt_u64_e64 s6, s[26:27], v[40:41]
	v_cmp_gt_u64_e64 s7, s[26:27], v[38:39]
	v_cmp_ne_u32_e64 s8, v3, v4
	v_dual_mov_b32 v35, v19 :: v_dual_mov_b32 v33, v19
	s_and_b32 s11, s4, vcc_lo
	v_cmp_gt_u64_e32 vcc_lo, s[26:27], v[36:37]
	v_dual_mov_b32 v31, v19 :: v_dual_mov_b32 v29, v19
	s_and_b32 s12, s5, s0
	v_cmp_ne_u32_e64 s0, v2, v3
	s_and_b32 s13, s6, s1
	s_and_b32 s14, s7, s8
	v_cmp_gt_u64_e64 s1, s[26:27], v[34:35]
	v_cmp_gt_u64_e64 s5, s[26:27], v[32:33]
	;; [unrolled: 1-line block ×3, first 2 shown]
	v_cmp_ne_u32_e64 s4, v9, v2
	v_cmp_ne_u32_e64 s6, v8, v9
	s_and_b32 s15, vcc_lo, s0
	v_cmp_ne_u32_e32 vcc_lo, v7, v8
	v_dual_mov_b32 v27, v19 :: v_dual_mov_b32 v25, v19
	v_dual_mov_b32 v21, v19 :: v_dual_bitop2_b32 v18, 1, v16 bitop3:0x54
	s_and_b32 s16, s1, s4
	s_and_b32 s17, s5, s6
	s_and_b32 s41, s7, vcc_lo
	v_cmp_gt_u64_e32 vcc_lo, s[26:27], v[28:29]
	v_cmp_gt_u64_e64 s1, s[26:27], v[26:27]
	v_cmp_gt_u64_e64 s5, s[26:27], v[24:25]
	v_cmp_gt_u64_e64 s7, s[26:27], v[20:21]
	v_cmp_gt_u64_e64 s8, s[26:27], v[18:19]
	v_cmp_ne_u32_e64 s0, v6, v7
	v_cmp_ne_u32_e64 s4, v13, v6
	;; [unrolled: 1-line block ×5, first 2 shown]
	s_and_b32 s42, vcc_lo, s0
	s_and_b32 s1, s1, s4
	s_and_b32 s4, s5, s6
	;; [unrolled: 1-line block ×4, first 2 shown]
	ds_store_b32 v14, v23
	s_wait_dscnt 0x0
	s_barrier_signal -1
	s_barrier_wait -1
                                        ; implicit-def: $sgpr40
	s_and_saveexec_b32 s7, s3
	s_cbranch_execz .LBB676_57
; %bb.56:
	v_dual_mov_b32 v17, v19 :: v_dual_add_nc_u32 v14, -4, v14
	s_or_b32 s39, s39, exec_lo
	ds_load_b32 v14, v14
	v_cmp_gt_u64_e32 vcc_lo, s[26:27], v[16:17]
	s_wait_dscnt 0x0
	v_cmp_ne_u32_e64 s0, v14, v10
	s_and_b32 s40, vcc_lo, s0
.LBB676_57:
	s_or_b32 exec_lo, exec_lo, s7
	v_cndmask_b32_e64 v56, 0, 1, s11
	v_cndmask_b32_e64 v62, 0, 1, s12
	;; [unrolled: 1-line block ×13, first 2 shown]
.LBB676_58:
	v_mov_b32_e32 v67, 1
	s_and_saveexec_b32 s0, s39
; %bb.59:
	v_cndmask_b32_e64 v67, 0, 1, s40
; %bb.60:
	s_or_b32 exec_lo, exec_lo, s0
	s_delay_alu instid0(VALU_DEP_1) | instskip(SKIP_3) | instid1(VALU_DEP_4)
	v_dual_add_nc_u32 v14, v66, v67 :: v_dual_lshrrev_b32 v78, 5, v0
	v_cmp_eq_u32_e64 s12, 0, v66
	v_cmp_eq_u32_e64 s11, 0, v64
	;; [unrolled: 1-line block ×3, first 2 shown]
	v_add3_u32 v80, v14, v64, v63
	v_cmp_eq_u32_e64 s9, 0, v61
	v_cmp_eq_u32_e64 s8, 0, v65
	;; [unrolled: 1-line block ×9, first 2 shown]
	v_mbcnt_lo_u32_b32 v77, -1, 0
	v_or_b32_e32 v79, 31, v0
	s_cmp_eq_u64 s[22:23], 0
	v_cmp_eq_u32_e32 vcc_lo, 0, v56
	s_cselect_b32 s16, -1, 0
	s_cmp_lg_u32 s24, 0
	s_cbranch_scc0 .LBB676_81
; %bb.61:
	v_dual_cndmask_b32 v14, 0, v52, s12 :: v_dual_bitop2_b32 v17, 15, v77 bitop3:0x40
	v_add3_u32 v15, v80, v61, v65
	s_delay_alu instid0(VALU_DEP_2) | instskip(NEXT) | instid1(VALU_DEP_2)
	v_add_nc_u32_e32 v14, v14, v68
	v_add3_u32 v15, v15, v60, v59
	s_delay_alu instid0(VALU_DEP_2) | instskip(NEXT) | instid1(VALU_DEP_2)
	v_cndmask_b32_e64 v14, 0, v14, s11
	v_add3_u32 v15, v15, v58, v57
	s_delay_alu instid0(VALU_DEP_2) | instskip(NEXT) | instid1(VALU_DEP_2)
	v_add_nc_u32_e32 v14, v14, v72
	v_add3_u32 v15, v15, v54, v55
	s_delay_alu instid0(VALU_DEP_1) | instskip(NEXT) | instid1(VALU_DEP_3)
	v_add3_u32 v15, v15, v62, v56
	v_cndmask_b32_e64 v14, 0, v14, s10
	s_delay_alu instid0(VALU_DEP_2) | instskip(NEXT) | instid1(VALU_DEP_2)
	v_mov_b32_dpp v18, v15 row_shr:1 row_mask:0xf bank_mask:0xf
	v_add_nc_u32_e32 v14, v14, v74
	s_delay_alu instid0(VALU_DEP_1) | instskip(NEXT) | instid1(VALU_DEP_1)
	v_cndmask_b32_e64 v14, 0, v14, s9
	v_add_nc_u32_e32 v14, v14, v70
	s_delay_alu instid0(VALU_DEP_1) | instskip(NEXT) | instid1(VALU_DEP_1)
	v_cndmask_b32_e64 v14, 0, v14, s8
	;; [unrolled: 3-line block ×9, first 2 shown]
	v_add_nc_u32_e32 v14, v14, v1
	s_delay_alu instid0(VALU_DEP_1) | instskip(SKIP_1) | instid1(VALU_DEP_2)
	v_cndmask_b32_e32 v14, 0, v14, vcc_lo
	v_cmp_eq_u32_e32 vcc_lo, 0, v15
	v_add_nc_u32_e32 v14, v14, v76
	s_delay_alu instid0(VALU_DEP_1) | instskip(NEXT) | instid1(VALU_DEP_1)
	v_mov_b32_dpp v16, v14 row_shr:1 row_mask:0xf bank_mask:0xf
	v_cndmask_b32_e32 v16, 0, v16, vcc_lo
	v_cmp_eq_u32_e32 vcc_lo, 0, v17
	v_cndmask_b32_e64 v18, v18, 0, vcc_lo
	s_delay_alu instid0(VALU_DEP_3) | instskip(SKIP_1) | instid1(VALU_DEP_2)
	v_cndmask_b32_e64 v16, v16, 0, vcc_lo
	v_cmp_lt_u32_e32 vcc_lo, 1, v17
	v_dual_add_nc_u32 v15, v18, v15 :: v_dual_add_nc_u32 v14, v16, v14
	s_delay_alu instid0(VALU_DEP_1) | instskip(SKIP_1) | instid1(VALU_DEP_3)
	v_mov_b32_dpp v16, v15 row_shr:2 row_mask:0xf bank_mask:0xf
	v_cmp_eq_u32_e64 s13, 0, v15
	v_mov_b32_dpp v18, v14 row_shr:2 row_mask:0xf bank_mask:0xf
	s_delay_alu instid0(VALU_DEP_3) | instskip(SKIP_1) | instid1(VALU_DEP_2)
	v_cndmask_b32_e32 v16, 0, v16, vcc_lo
	s_and_b32 vcc_lo, vcc_lo, s13
	v_cndmask_b32_e32 v18, 0, v18, vcc_lo
	v_cmp_lt_u32_e32 vcc_lo, 3, v17
	s_delay_alu instid0(VALU_DEP_2) | instskip(NEXT) | instid1(VALU_DEP_1)
	v_dual_add_nc_u32 v15, v15, v16 :: v_dual_add_nc_u32 v14, v18, v14
	v_mov_b32_dpp v16, v15 row_shr:4 row_mask:0xf bank_mask:0xf
	v_cmp_eq_u32_e64 s13, 0, v15
	s_delay_alu instid0(VALU_DEP_3) | instskip(NEXT) | instid1(VALU_DEP_3)
	v_mov_b32_dpp v18, v14 row_shr:4 row_mask:0xf bank_mask:0xf
	v_cndmask_b32_e32 v16, 0, v16, vcc_lo
	s_and_b32 vcc_lo, vcc_lo, s13
	s_delay_alu instid0(VALU_DEP_2) | instskip(SKIP_1) | instid1(VALU_DEP_2)
	v_cndmask_b32_e32 v18, 0, v18, vcc_lo
	v_cmp_lt_u32_e32 vcc_lo, 7, v17
	v_dual_add_nc_u32 v15, v16, v15 :: v_dual_add_nc_u32 v14, v14, v18
	v_bfe_i32 v18, v77, 4, 1
	s_delay_alu instid0(VALU_DEP_2) | instskip(SKIP_1) | instid1(VALU_DEP_4)
	v_mov_b32_dpp v16, v15 row_shr:8 row_mask:0xf bank_mask:0xf
	v_cmp_eq_u32_e64 s13, 0, v15
	v_mov_b32_dpp v17, v14 row_shr:8 row_mask:0xf bank_mask:0xf
	s_delay_alu instid0(VALU_DEP_3) | instskip(SKIP_2) | instid1(VALU_DEP_2)
	v_cndmask_b32_e32 v16, 0, v16, vcc_lo
	s_and_b32 vcc_lo, vcc_lo, s13
	s_mov_b32 s13, exec_lo
	v_cndmask_b32_e32 v17, 0, v17, vcc_lo
	s_delay_alu instid0(VALU_DEP_1)
	v_dual_add_nc_u32 v17, v17, v14 :: v_dual_add_nc_u32 v14, v16, v15
	ds_swizzle_b32 v15, v17 offset:swizzle(BROADCAST,32,15)
	ds_swizzle_b32 v16, v14 offset:swizzle(BROADCAST,32,15)
	v_cmp_eq_u32_e32 vcc_lo, 0, v14
	s_wait_dscnt 0x0
	v_dual_cndmask_b32 v15, 0, v15, vcc_lo :: v_dual_bitop2_b32 v16, v18, v16 bitop3:0x40
	s_delay_alu instid0(VALU_DEP_1) | instskip(NEXT) | instid1(VALU_DEP_1)
	v_dual_add_nc_u32 v14, v16, v14 :: v_dual_bitop2_b32 v15, v18, v15 bitop3:0x40
	v_dual_lshlrev_b32 v16, 3, v78 :: v_dual_add_nc_u32 v15, v15, v17
	v_cmpx_eq_u32_e64 v0, v79
; %bb.62:
	ds_store_b64 v16, v[14:15] offset:2064
; %bb.63:
	s_or_b32 exec_lo, exec_lo, s13
	s_delay_alu instid0(SALU_CYCLE_1)
	s_mov_b32 s14, exec_lo
	s_wait_dscnt 0x0
	s_barrier_signal -1
	s_barrier_wait -1
	v_cmpx_gt_u32_e32 8, v0
	s_cbranch_execz .LBB676_65
; %bb.64:
	v_dual_lshlrev_b32 v17, 3, v0 :: v_dual_bitop2_b32 v21, 7, v77 bitop3:0x40
	ds_load_b64 v[18:19], v17 offset:2064
	s_wait_dscnt 0x0
	v_mov_b32_dpp v20, v19 row_shr:1 row_mask:0xf bank_mask:0xf
	v_cmp_eq_u32_e32 vcc_lo, 0, v18
	v_mov_b32_dpp v24, v18 row_shr:1 row_mask:0xf bank_mask:0xf
	s_delay_alu instid0(VALU_DEP_3) | instskip(SKIP_1) | instid1(VALU_DEP_3)
	v_cndmask_b32_e32 v20, 0, v20, vcc_lo
	v_cmp_eq_u32_e32 vcc_lo, 0, v21
	v_cndmask_b32_e64 v24, v24, 0, vcc_lo
	s_delay_alu instid0(VALU_DEP_1) | instskip(NEXT) | instid1(VALU_DEP_4)
	v_add_nc_u32_e32 v18, v24, v18
	v_cndmask_b32_e64 v20, v20, 0, vcc_lo
	v_cmp_lt_u32_e32 vcc_lo, 1, v21
	s_delay_alu instid0(VALU_DEP_3) | instskip(NEXT) | instid1(VALU_DEP_3)
	v_cmp_eq_u32_e64 s13, 0, v18
	v_add_nc_u32_e32 v19, v20, v19
	v_mov_b32_dpp v20, v18 row_shr:2 row_mask:0xf bank_mask:0xf
	s_delay_alu instid0(VALU_DEP_1) | instskip(NEXT) | instid1(VALU_DEP_3)
	v_cndmask_b32_e32 v20, 0, v20, vcc_lo
	v_mov_b32_dpp v24, v19 row_shr:2 row_mask:0xf bank_mask:0xf
	s_and_b32 vcc_lo, vcc_lo, s13
	s_delay_alu instid0(VALU_DEP_1) | instid1(SALU_CYCLE_1)
	v_dual_add_nc_u32 v18, v20, v18 :: v_dual_cndmask_b32 v24, 0, v24, vcc_lo
	v_cmp_lt_u32_e32 vcc_lo, 3, v21
	s_delay_alu instid0(VALU_DEP_2) | instskip(NEXT) | instid1(VALU_DEP_3)
	v_mov_b32_dpp v20, v18 row_shr:4 row_mask:0xf bank_mask:0xf
	v_add_nc_u32_e32 v19, v24, v19
	v_cmp_eq_u32_e64 s13, 0, v18
	s_delay_alu instid0(VALU_DEP_3) | instskip(NEXT) | instid1(VALU_DEP_3)
	v_cndmask_b32_e32 v20, 0, v20, vcc_lo
	v_mov_b32_dpp v21, v19 row_shr:4 row_mask:0xf bank_mask:0xf
	s_and_b32 vcc_lo, vcc_lo, s13
	s_delay_alu instid0(VALU_DEP_1) | instskip(NEXT) | instid1(VALU_DEP_1)
	v_dual_cndmask_b32 v21, 0, v21 :: v_dual_add_nc_u32 v18, v20, v18
	v_add_nc_u32_e32 v19, v21, v19
	ds_store_b64 v17, v[18:19] offset:2064
.LBB676_65:
	s_or_b32 exec_lo, exec_lo, s14
	v_dual_mov_b32 v24, 0 :: v_dual_mov_b32 v25, 0
	s_mov_b32 s14, exec_lo
	v_cmp_gt_u32_e32 vcc_lo, 32, v0
	s_wait_dscnt 0x0
	s_barrier_signal -1
	s_barrier_wait -1
	v_cmpx_lt_u32_e32 31, v0
	s_cbranch_execz .LBB676_67
; %bb.66:
	ds_load_b64 v[24:25], v16 offset:2056
	v_cmp_eq_u32_e64 s13, 0, v14
	s_wait_dscnt 0x0
	s_delay_alu instid0(VALU_DEP_1) | instskip(NEXT) | instid1(VALU_DEP_1)
	v_dual_cndmask_b32 v16, 0, v25, s13 :: v_dual_add_nc_u32 v14, v24, v14
	v_add_nc_u32_e32 v15, v16, v15
.LBB676_67:
	s_or_b32 exec_lo, exec_lo, s14
	v_sub_co_u32 v16, s13, v77, 1
	s_delay_alu instid0(VALU_DEP_1) | instskip(NEXT) | instid1(VALU_DEP_1)
	v_cmp_gt_i32_e64 s14, 0, v16
	v_cndmask_b32_e64 v16, v16, v77, s14
	s_delay_alu instid0(VALU_DEP_1)
	v_lshlrev_b32_e32 v16, 2, v16
	ds_bpermute_b32 v30, v16, v14
	ds_bpermute_b32 v31, v16, v15
	s_and_saveexec_b32 s17, vcc_lo
	s_cbranch_execz .LBB676_86
; %bb.68:
	v_mov_b32_e32 v17, 0
	ds_load_b64 v[14:15], v17 offset:2120
	s_and_saveexec_b32 s14, s13
	s_cbranch_execz .LBB676_70
; %bb.69:
	s_add_co_i32 s22, s24, 32
	s_mov_b32 s23, 0
	v_mov_b32_e32 v16, 1
	s_lshl_b64 s[22:23], s[22:23], 4
	s_delay_alu instid0(SALU_CYCLE_1) | instskip(NEXT) | instid1(SALU_CYCLE_1)
	s_add_nc_u64 s[22:23], s[20:21], s[22:23]
	v_mov_b64_e32 v[18:19], s[22:23]
	s_wait_dscnt 0x0
	;;#ASMSTART
	global_store_b128 v[18:19], v[14:17] off scope:SCOPE_DEV	
s_wait_storecnt 0x0
	;;#ASMEND
.LBB676_70:
	s_or_b32 exec_lo, exec_lo, s14
	v_xad_u32 v26, v77, -1, s24
	s_mov_b32 s15, 0
	s_mov_b32 s14, exec_lo
	s_delay_alu instid0(VALU_DEP_1) | instskip(NEXT) | instid1(VALU_DEP_1)
	v_add_nc_u32_e32 v16, 32, v26
	v_lshl_add_u64 v[16:17], v[16:17], 4, s[20:21]
	;;#ASMSTART
	global_load_b128 v[18:21], v[16:17] off scope:SCOPE_DEV	
s_wait_loadcnt 0x0
	;;#ASMEND
	v_and_b32_e32 v21, 0xff, v20
	s_delay_alu instid0(VALU_DEP_1)
	v_cmpx_eq_u16_e32 0, v21
	s_cbranch_execz .LBB676_73
.LBB676_71:                             ; =>This Inner Loop Header: Depth=1
	;;#ASMSTART
	global_load_b128 v[18:21], v[16:17] off scope:SCOPE_DEV	
s_wait_loadcnt 0x0
	;;#ASMEND
	v_and_b32_e32 v21, 0xff, v20
	s_delay_alu instid0(VALU_DEP_1) | instskip(SKIP_1) | instid1(SALU_CYCLE_1)
	v_cmp_ne_u16_e32 vcc_lo, 0, v21
	s_or_b32 s15, vcc_lo, s15
	s_and_not1_b32 exec_lo, exec_lo, s15
	s_cbranch_execnz .LBB676_71
; %bb.72:
	s_or_b32 exec_lo, exec_lo, s15
.LBB676_73:
	s_delay_alu instid0(SALU_CYCLE_1)
	s_or_b32 exec_lo, exec_lo, s14
	v_cmp_ne_u32_e32 vcc_lo, 31, v77
	v_lshlrev_b32_e64 v33, v77, -1
	v_cmp_gt_u32_e64 s15, 30, v77
	v_lshl_or_b32 v40, v77, 2, 64
	v_add_nc_u32_e32 v35, 2, v77
	v_add_co_ci_u32_e64 v16, null, 0, v77, vcc_lo
	s_delay_alu instid0(VALU_DEP_4) | instskip(SKIP_1) | instid1(VALU_DEP_3)
	v_cndmask_b32_e64 v27, 0, 2, s15
	v_dual_add_nc_u32 v37, 4, v77 :: v_dual_add_nc_u32 v39, 8, v77
	v_lshlrev_b32_e32 v32, 2, v16
	v_and_b32_e32 v16, 0xff, v20
	s_delay_alu instid0(VALU_DEP_4)
	v_add_lshl_u32 v34, v27, v77, 2
	v_add_nc_u32_e32 v41, 16, v77
	ds_bpermute_b32 v17, v32, v18
	v_cmp_eq_u16_e32 vcc_lo, 2, v16
	v_and_or_b32 v21, vcc_lo, v33, 0x80000000
	v_cmp_eq_u32_e32 vcc_lo, 0, v18
	s_delay_alu instid0(VALU_DEP_2) | instskip(NEXT) | instid1(VALU_DEP_1)
	v_ctz_i32_b32_e32 v21, v21
	v_cmp_lt_u32_e64 s14, v77, v21
	s_wait_dscnt 0x0
	s_delay_alu instid0(VALU_DEP_1) | instskip(SKIP_4) | instid1(VALU_DEP_1)
	v_cndmask_b32_e64 v17, 0, v17, s14
	ds_bpermute_b32 v16, v32, v19
	s_and_b32 vcc_lo, s14, vcc_lo
	s_wait_dscnt 0x0
	v_dual_cndmask_b32 v16, 0, v16 :: v_dual_add_nc_u32 v17, v17, v18
	v_cmp_eq_u32_e32 vcc_lo, 0, v17
	s_delay_alu instid0(VALU_DEP_2)
	v_add_nc_u32_e32 v16, v16, v19
	ds_bpermute_b32 v19, v34, v16
	s_wait_dscnt 0x0
	v_cndmask_b32_e32 v18, 0, v19, vcc_lo
	ds_bpermute_b32 v19, v34, v17
	v_cmp_gt_u32_e32 vcc_lo, 28, v77
	v_cndmask_b32_e64 v27, 0, 4, vcc_lo
	v_cmp_gt_u32_e32 vcc_lo, v35, v21
	s_delay_alu instid0(VALU_DEP_2) | instskip(SKIP_2) | instid1(VALU_DEP_1)
	v_add_lshl_u32 v36, v27, v77, 2
	s_wait_dscnt 0x0
	v_cndmask_b32_e64 v19, v19, 0, vcc_lo
	v_add_nc_u32_e32 v17, v17, v19
	v_cndmask_b32_e64 v18, v18, 0, vcc_lo
	ds_bpermute_b32 v19, v36, v17
	v_add_nc_u32_e32 v16, v18, v16
	v_cmp_eq_u32_e32 vcc_lo, 0, v17
	ds_bpermute_b32 v18, v36, v16
	s_wait_dscnt 0x0
	v_cndmask_b32_e32 v18, 0, v18, vcc_lo
	v_cmp_gt_u32_e32 vcc_lo, 24, v77
	v_cndmask_b32_e64 v27, 0, 8, vcc_lo
	v_cmp_gt_u32_e32 vcc_lo, v37, v21
	s_delay_alu instid0(VALU_DEP_2) | instskip(SKIP_1) | instid1(VALU_DEP_1)
	v_add_lshl_u32 v38, v27, v77, 2
	v_cndmask_b32_e64 v19, v19, 0, vcc_lo
	v_dual_mov_b32 v27, 0 :: v_dual_add_nc_u32 v17, v17, v19
	v_cndmask_b32_e64 v18, v18, 0, vcc_lo
	ds_bpermute_b32 v19, v38, v17
	v_add_nc_u32_e32 v16, v16, v18
	v_cmp_eq_u32_e32 vcc_lo, 0, v17
	ds_bpermute_b32 v18, v38, v16
	s_wait_dscnt 0x0
	v_cndmask_b32_e32 v18, 0, v18, vcc_lo
	v_cmp_gt_u32_e32 vcc_lo, v39, v21
	s_delay_alu instid0(VALU_DEP_2) | instskip(NEXT) | instid1(VALU_DEP_1)
	v_cndmask_b32_e64 v18, v18, 0, vcc_lo
	v_add_nc_u32_e32 v16, v16, v18
	v_cndmask_b32_e64 v18, v19, 0, vcc_lo
	s_delay_alu instid0(VALU_DEP_1)
	v_add_nc_u32_e32 v17, v17, v18
	ds_bpermute_b32 v19, v40, v16
	ds_bpermute_b32 v18, v40, v17
	v_cmp_eq_u32_e32 vcc_lo, 0, v17
	s_wait_dscnt 0x1
	v_cndmask_b32_e32 v19, 0, v19, vcc_lo
	v_cmp_gt_u32_e32 vcc_lo, v41, v21
	s_wait_dscnt 0x0
	v_cndmask_b32_e64 v18, v18, 0, vcc_lo
	s_delay_alu instid0(VALU_DEP_1) | instskip(SKIP_1) | instid1(VALU_DEP_1)
	v_add_nc_u32_e32 v18, v18, v17
	v_cndmask_b32_e64 v19, v19, 0, vcc_lo
	v_add_nc_u32_e32 v19, v19, v16
	s_branch .LBB676_77
.LBB676_74:                             ;   in Loop: Header=BB676_77 Depth=1
	s_or_b32 exec_lo, exec_lo, s15
.LBB676_75:                             ;   in Loop: Header=BB676_77 Depth=1
	s_delay_alu instid0(SALU_CYCLE_1)
	s_or_b32 exec_lo, exec_lo, s14
	v_and_b32_e32 v21, 0xff, v20
	ds_bpermute_b32 v28, v32, v18
	v_subrev_nc_u32_e32 v26, 32, v26
	v_cmp_eq_u16_e32 vcc_lo, 2, v21
	ds_bpermute_b32 v21, v32, v19
	v_and_or_b32 v29, vcc_lo, v33, 0x80000000
	v_cmp_eq_u32_e32 vcc_lo, 0, v18
	s_delay_alu instid0(VALU_DEP_2) | instskip(NEXT) | instid1(VALU_DEP_1)
	v_ctz_i32_b32_e32 v29, v29
	v_cmp_lt_u32_e64 s14, v77, v29
	s_and_b32 vcc_lo, s14, vcc_lo
	s_wait_dscnt 0x0
	v_dual_cndmask_b32 v28, 0, v28, s14 :: v_dual_cndmask_b32 v21, 0, v21, vcc_lo
	s_mov_b32 s14, 0
	s_delay_alu instid0(VALU_DEP_1)
	v_dual_add_nc_u32 v18, v28, v18 :: v_dual_add_nc_u32 v19, v21, v19
	ds_bpermute_b32 v28, v34, v18
	ds_bpermute_b32 v21, v34, v19
	v_cmp_eq_u32_e32 vcc_lo, 0, v18
	s_wait_dscnt 0x0
	v_cndmask_b32_e32 v21, 0, v21, vcc_lo
	v_cmp_gt_u32_e32 vcc_lo, v35, v29
	v_cndmask_b32_e64 v28, v28, 0, vcc_lo
	s_delay_alu instid0(VALU_DEP_1) | instskip(NEXT) | instid1(VALU_DEP_4)
	v_add_nc_u32_e32 v18, v18, v28
	v_cndmask_b32_e64 v21, v21, 0, vcc_lo
	s_delay_alu instid0(VALU_DEP_2) | instskip(NEXT) | instid1(VALU_DEP_2)
	v_cmp_eq_u32_e32 vcc_lo, 0, v18
	v_add_nc_u32_e32 v19, v21, v19
	ds_bpermute_b32 v28, v36, v18
	ds_bpermute_b32 v21, v36, v19
	s_wait_dscnt 0x0
	v_cndmask_b32_e32 v21, 0, v21, vcc_lo
	v_cmp_gt_u32_e32 vcc_lo, v37, v29
	s_delay_alu instid0(VALU_DEP_2) | instskip(SKIP_1) | instid1(VALU_DEP_1)
	v_cndmask_b32_e64 v21, v21, 0, vcc_lo
	v_cndmask_b32_e64 v28, v28, 0, vcc_lo
	v_dual_add_nc_u32 v19, v19, v21 :: v_dual_add_nc_u32 v18, v18, v28
	ds_bpermute_b32 v21, v38, v19
	ds_bpermute_b32 v28, v38, v18
	v_cmp_eq_u32_e32 vcc_lo, 0, v18
	s_wait_dscnt 0x1
	v_cndmask_b32_e32 v21, 0, v21, vcc_lo
	v_cmp_gt_u32_e32 vcc_lo, v39, v29
	s_wait_dscnt 0x0
	v_cndmask_b32_e64 v28, v28, 0, vcc_lo
	s_delay_alu instid0(VALU_DEP_1) | instskip(SKIP_1) | instid1(VALU_DEP_2)
	v_add_nc_u32_e32 v18, v18, v28
	v_cndmask_b32_e64 v21, v21, 0, vcc_lo
	v_cmp_eq_u32_e32 vcc_lo, 0, v18
	s_delay_alu instid0(VALU_DEP_2)
	v_add_nc_u32_e32 v19, v19, v21
	ds_bpermute_b32 v28, v40, v18
	ds_bpermute_b32 v21, v40, v19
	s_wait_dscnt 0x0
	v_cndmask_b32_e32 v21, 0, v21, vcc_lo
	v_cmp_gt_u32_e32 vcc_lo, v41, v29
	s_delay_alu instid0(VALU_DEP_2) | instskip(NEXT) | instid1(VALU_DEP_1)
	v_cndmask_b32_e64 v21, v21, 0, vcc_lo
	v_add_nc_u32_e32 v19, v21, v19
	v_cndmask_b32_e64 v21, v28, 0, vcc_lo
	v_cmp_eq_u32_e32 vcc_lo, 0, v16
	s_delay_alu instid0(VALU_DEP_2) | instskip(NEXT) | instid1(VALU_DEP_4)
	v_add3_u32 v18, v18, v16, v21
	v_cndmask_b32_e32 v19, 0, v19, vcc_lo
	s_delay_alu instid0(VALU_DEP_1)
	v_add_nc_u32_e32 v19, v19, v17
.LBB676_76:                             ;   in Loop: Header=BB676_77 Depth=1
	s_and_b32 vcc_lo, exec_lo, s14
	s_cbranch_vccnz .LBB676_82
.LBB676_77:                             ; =>This Loop Header: Depth=1
                                        ;     Child Loop BB676_80 Depth 2
	v_and_b32_e32 v16, 0xff, v20
	s_delay_alu instid0(VALU_DEP_2) | instskip(SKIP_1) | instid1(VALU_DEP_2)
	v_mov_b32_e32 v17, v19
	s_mov_b32 s14, -1
                                        ; implicit-def: $vgpr19
                                        ; implicit-def: $vgpr20
	v_cmp_ne_u16_e32 vcc_lo, 2, v16
	v_mov_b32_e32 v16, v18
                                        ; implicit-def: $vgpr18
	s_cmp_lg_u32 vcc_lo, exec_lo
	s_cbranch_scc1 .LBB676_76
; %bb.78:                               ;   in Loop: Header=BB676_77 Depth=1
	v_lshl_add_u64 v[28:29], v[26:27], 4, s[20:21]
	;;#ASMSTART
	global_load_b128 v[18:21], v[28:29] off scope:SCOPE_DEV	
s_wait_loadcnt 0x0
	;;#ASMEND
	v_and_b32_e32 v21, 0xff, v20
	s_mov_b32 s14, exec_lo
	s_delay_alu instid0(VALU_DEP_1)
	v_cmpx_eq_u16_e32 0, v21
	s_cbranch_execz .LBB676_75
; %bb.79:                               ;   in Loop: Header=BB676_77 Depth=1
	s_mov_b32 s15, 0
.LBB676_80:                             ;   Parent Loop BB676_77 Depth=1
                                        ; =>  This Inner Loop Header: Depth=2
	;;#ASMSTART
	global_load_b128 v[18:21], v[28:29] off scope:SCOPE_DEV	
s_wait_loadcnt 0x0
	;;#ASMEND
	v_and_b32_e32 v21, 0xff, v20
	s_delay_alu instid0(VALU_DEP_1) | instskip(SKIP_1) | instid1(SALU_CYCLE_1)
	v_cmp_ne_u16_e32 vcc_lo, 0, v21
	s_or_b32 s15, vcc_lo, s15
	s_and_not1_b32 exec_lo, exec_lo, s15
	s_cbranch_execnz .LBB676_80
	s_branch .LBB676_74
.LBB676_81:
                                        ; implicit-def: $vgpr14
                                        ; implicit-def: $vgpr18
                                        ; implicit-def: $vgpr20_vgpr21
                                        ; implicit-def: $vgpr28_vgpr29
                                        ; implicit-def: $vgpr36_vgpr37
                                        ; implicit-def: $vgpr30_vgpr31
                                        ; implicit-def: $vgpr44_vgpr45
                                        ; implicit-def: $vgpr48_vgpr49
                                        ; implicit-def: $vgpr46_vgpr47
                                        ; implicit-def: $vgpr42_vgpr43
                                        ; implicit-def: $vgpr38_vgpr39
                                        ; implicit-def: $vgpr32_vgpr33
                                        ; implicit-def: $vgpr34_vgpr35
                                        ; implicit-def: $vgpr40_vgpr41
                                        ; implicit-def: $vgpr24_vgpr25
                                        ; implicit-def: $vgpr26_vgpr27
	s_cbranch_execnz .LBB676_87
	s_branch .LBB676_98
.LBB676_82:
	s_and_saveexec_b32 s14, s13
	s_cbranch_execz .LBB676_84
; %bb.83:
	v_cmp_eq_u32_e32 vcc_lo, 0, v14
	s_mov_b32 s23, 0
	s_add_co_i32 s22, s24, 32
	v_mov_b32_e32 v21, 0
	s_lshl_b64 s[22:23], s[22:23], 4
	v_dual_cndmask_b32 v19, 0, v17 :: v_dual_add_nc_u32 v18, v16, v14
	s_add_nc_u64 s[22:23], s[20:21], s[22:23]
	v_mov_b32_e32 v20, 2
	v_mov_b64_e32 v[26:27], s[22:23]
	s_delay_alu instid0(VALU_DEP_3)
	v_add_nc_u32_e32 v19, v19, v15
	;;#ASMSTART
	global_store_b128 v[26:27], v[18:21] off scope:SCOPE_DEV	
s_wait_storecnt 0x0
	;;#ASMEND
	ds_store_b128 v21, v[14:17] offset:2048
.LBB676_84:
	s_or_b32 exec_lo, exec_lo, s14
	s_delay_alu instid0(SALU_CYCLE_1)
	s_and_b32 exec_lo, exec_lo, s2
; %bb.85:
	v_mov_b32_e32 v14, 0
	ds_store_b64 v14, v[16:17] offset:2120
.LBB676_86:
	s_or_b32 exec_lo, exec_lo, s17
	s_wait_dscnt 0x1
	v_dual_mov_b32 v16, 0 :: v_dual_cndmask_b32 v17, v30, v24, s13
	s_wait_dscnt 0x0
	s_barrier_signal -1
	s_barrier_wait -1
	ds_load_b64 v[14:15], v16 offset:2120
	v_cmp_eq_u32_e32 vcc_lo, 0, v17
	v_cndmask_b32_e64 v18, v31, v25, s13
	v_cndmask_b32_e64 v17, v17, 0, s2
	s_wait_dscnt 0x0
	s_barrier_signal -1
	s_barrier_wait -1
	v_cndmask_b32_e32 v19, 0, v15, vcc_lo
	v_cmp_eq_u32_e32 vcc_lo, 0, v67
	s_delay_alu instid0(VALU_DEP_2) | instskip(NEXT) | instid1(VALU_DEP_1)
	v_dual_add_nc_u32 v44, v14, v17 :: v_dual_add_nc_u32 v18, v19, v18
	v_add_nc_u32_e32 v48, v44, v67
	s_delay_alu instid0(VALU_DEP_1) | instskip(NEXT) | instid1(VALU_DEP_1)
	v_dual_cndmask_b32 v45, v18, v15, s2 :: v_dual_add_nc_u32 v46, v48, v66
	v_cndmask_b32_e32 v15, 0, v45, vcc_lo
	s_delay_alu instid0(VALU_DEP_1) | instskip(NEXT) | instid1(VALU_DEP_1)
	v_add_nc_u32_e32 v49, v15, v52
	v_cndmask_b32_e64 v15, 0, v49, s12
	s_delay_alu instid0(VALU_DEP_1) | instskip(NEXT) | instid1(VALU_DEP_1)
	v_add_nc_u32_e32 v47, v15, v68
	v_cndmask_b32_e64 v15, 0, v47, s11
	;; [unrolled: 3-line block ×7, first 2 shown]
	s_delay_alu instid0(VALU_DEP_1) | instskip(NEXT) | instid1(VALU_DEP_1)
	v_add_nc_u32_e32 v25, v14, v73
	v_dual_add_nc_u32 v42, v46, v64 :: v_dual_cndmask_b32 v14, 0, v25, s5
	s_delay_alu instid0(VALU_DEP_1) | instskip(NEXT) | instid1(VALU_DEP_2)
	v_add_nc_u32_e32 v38, v42, v63
	v_add_nc_u32_e32 v27, v14, v69
	s_delay_alu instid0(VALU_DEP_1) | instskip(NEXT) | instid1(VALU_DEP_1)
	v_dual_add_nc_u32 v32, v38, v61 :: v_dual_cndmask_b32 v14, 0, v27, s4
	v_add_nc_u32_e32 v34, v32, v65
	s_delay_alu instid0(VALU_DEP_1) | instskip(NEXT) | instid1(VALU_DEP_1)
	v_add_nc_u32_e32 v40, v34, v60
	v_add_nc_u32_e32 v24, v40, v59
	s_delay_alu instid0(VALU_DEP_1) | instskip(NEXT) | instid1(VALU_DEP_1)
	v_add_nc_u32_e32 v26, v24, v58
	v_add_nc_u32_e32 v30, v26, v57
	s_delay_alu instid0(VALU_DEP_1) | instskip(SKIP_3) | instid1(VALU_DEP_1)
	v_add_nc_u32_e32 v36, v30, v54
	v_add_nc_u32_e32 v31, v14, v53
	ds_load_b128 v[14:17], v16 offset:2048
	v_add_nc_u32_e32 v28, v36, v55
	v_dual_cndmask_b32 v18, 0, v31, s3 :: v_dual_add_nc_u32 v20, v28, v62
	s_delay_alu instid0(VALU_DEP_1) | instskip(NEXT) | instid1(VALU_DEP_1)
	v_add_nc_u32_e32 v37, v18, v51
	v_cndmask_b32_e64 v18, 0, v37, s1
	s_delay_alu instid0(VALU_DEP_1) | instskip(SKIP_2) | instid1(VALU_DEP_2)
	v_add_nc_u32_e32 v29, v18, v50
	s_wait_dscnt 0x0
	v_cmp_eq_u32_e32 vcc_lo, 0, v14
	v_cndmask_b32_e64 v18, 0, v29, s0
	v_cndmask_b32_e32 v17, 0, v17, vcc_lo
	s_delay_alu instid0(VALU_DEP_1)
	v_dual_add_nc_u32 v21, v18, v1 :: v_dual_add_nc_u32 v18, v17, v15
	s_branch .LBB676_98
.LBB676_87:
	s_cmp_eq_u64 s[36:37], 0
	v_mov_b32_e32 v18, v52
	s_cselect_b32 s0, -1, 0
	s_delay_alu instid0(SALU_CYCLE_1) | instskip(NEXT) | instid1(SALU_CYCLE_1)
	s_or_b32 s0, s16, s0
	s_and_b32 vcc_lo, exec_lo, s0
	s_cbranch_vccnz .LBB676_89
; %bb.88:
	v_mov_b32_e32 v14, 0
	global_load_b32 v18, v14, s[36:37]
.LBB676_89:
	v_add3_u32 v15, v80, v61, v65
	v_cmp_eq_u32_e64 s6, 0, v66
	v_cmp_eq_u32_e64 s7, 0, v64
	;; [unrolled: 1-line block ×4, first 2 shown]
	v_add3_u32 v15, v15, v60, v59
	s_wait_xcnt 0x0
	v_dual_cndmask_b32 v14, 0, v52, s6 :: v_dual_bitop2_b32 v17, 15, v77 bitop3:0x40
	v_cmp_eq_u32_e64 s11, 0, v65
	v_cmp_eq_u32_e64 s10, 0, v60
	v_add3_u32 v15, v15, v58, v57
	v_cmp_eq_u32_e64 s5, 0, v59
	v_cmp_eq_u32_e64 s4, 0, v58
	;; [unrolled: 1-line block ×4, first 2 shown]
	v_add3_u32 v15, v15, v54, v55
	v_cmp_eq_u32_e32 vcc_lo, 0, v55
	v_cmp_eq_u32_e64 s0, 0, v62
	v_cmp_eq_u32_e64 s12, 0, v56
	s_delay_alu instid0(VALU_DEP_4) | instskip(SKIP_1) | instid1(VALU_DEP_2)
	v_add3_u32 v15, v15, v62, v56
	v_add_nc_u32_e32 v14, v14, v68
	v_mov_b32_dpp v19, v15 row_shr:1 row_mask:0xf bank_mask:0xf
	s_delay_alu instid0(VALU_DEP_2) | instskip(NEXT) | instid1(VALU_DEP_1)
	v_cndmask_b32_e64 v14, 0, v14, s7
	v_add_nc_u32_e32 v14, v14, v72
	s_delay_alu instid0(VALU_DEP_1) | instskip(NEXT) | instid1(VALU_DEP_1)
	v_cndmask_b32_e64 v14, 0, v14, s8
	v_add_nc_u32_e32 v14, v14, v74
	s_delay_alu instid0(VALU_DEP_1) | instskip(NEXT) | instid1(VALU_DEP_1)
	;; [unrolled: 3-line block ×9, first 2 shown]
	v_cndmask_b32_e32 v14, 0, v14, vcc_lo
	v_add_nc_u32_e32 v14, v14, v50
	s_delay_alu instid0(VALU_DEP_1) | instskip(NEXT) | instid1(VALU_DEP_1)
	v_cndmask_b32_e64 v14, 0, v14, s0
	v_add_nc_u32_e32 v14, v14, v1
	s_delay_alu instid0(VALU_DEP_1) | instskip(SKIP_1) | instid1(VALU_DEP_2)
	v_cndmask_b32_e64 v14, 0, v14, s12
	v_cmp_eq_u32_e64 s12, 0, v15
	v_add_nc_u32_e32 v14, v14, v76
	s_delay_alu instid0(VALU_DEP_1) | instskip(NEXT) | instid1(VALU_DEP_1)
	v_mov_b32_dpp v16, v14 row_shr:1 row_mask:0xf bank_mask:0xf
	v_cndmask_b32_e64 v16, 0, v16, s12
	v_cmp_eq_u32_e64 s12, 0, v17
	s_delay_alu instid0(VALU_DEP_1) | instskip(NEXT) | instid1(VALU_DEP_3)
	v_cndmask_b32_e64 v19, v19, 0, s12
	v_cndmask_b32_e64 v16, v16, 0, s12
	v_cmp_lt_u32_e64 s12, 1, v17
	s_delay_alu instid0(VALU_DEP_2) | instskip(NEXT) | instid1(VALU_DEP_1)
	v_dual_add_nc_u32 v15, v19, v15 :: v_dual_add_nc_u32 v14, v16, v14
	v_mov_b32_dpp v16, v15 row_shr:2 row_mask:0xf bank_mask:0xf
	v_cmp_eq_u32_e64 s13, 0, v15
	s_delay_alu instid0(VALU_DEP_3) | instskip(NEXT) | instid1(VALU_DEP_3)
	v_mov_b32_dpp v19, v14 row_shr:2 row_mask:0xf bank_mask:0xf
	v_cndmask_b32_e64 v16, 0, v16, s12
	s_and_b32 s12, s12, s13
	s_delay_alu instid0(VALU_DEP_2) | instid1(SALU_CYCLE_1)
	v_cndmask_b32_e64 v19, 0, v19, s12
	v_cmp_lt_u32_e64 s12, 3, v17
	s_delay_alu instid0(VALU_DEP_3) | instskip(NEXT) | instid1(VALU_DEP_3)
	v_add_nc_u32_e32 v15, v15, v16
	v_add_nc_u32_e32 v14, v19, v14
	s_delay_alu instid0(VALU_DEP_2) | instskip(SKIP_1) | instid1(VALU_DEP_3)
	v_mov_b32_dpp v16, v15 row_shr:4 row_mask:0xf bank_mask:0xf
	v_cmp_eq_u32_e64 s13, 0, v15
	v_mov_b32_dpp v19, v14 row_shr:4 row_mask:0xf bank_mask:0xf
	s_delay_alu instid0(VALU_DEP_3)
	v_cndmask_b32_e64 v16, 0, v16, s12
	s_and_b32 s12, s12, s13
	s_delay_alu instid0(VALU_DEP_2) | instid1(SALU_CYCLE_1)
	v_cndmask_b32_e64 v19, 0, v19, s12
	v_cmp_lt_u32_e64 s12, 7, v17
	s_delay_alu instid0(VALU_DEP_3) | instskip(NEXT) | instid1(VALU_DEP_3)
	v_add_nc_u32_e32 v15, v16, v15
	v_add_nc_u32_e32 v14, v14, v19
	v_bfe_i32 v19, v77, 4, 1
	s_delay_alu instid0(VALU_DEP_3) | instskip(SKIP_1) | instid1(VALU_DEP_4)
	v_mov_b32_dpp v16, v15 row_shr:8 row_mask:0xf bank_mask:0xf
	v_cmp_eq_u32_e64 s13, 0, v15
	v_mov_b32_dpp v17, v14 row_shr:8 row_mask:0xf bank_mask:0xf
	s_delay_alu instid0(VALU_DEP_3) | instskip(SKIP_2) | instid1(VALU_DEP_2)
	v_cndmask_b32_e64 v16, 0, v16, s12
	s_and_b32 s12, s12, s13
	s_mov_b32 s13, exec_lo
	v_cndmask_b32_e64 v17, 0, v17, s12
	s_delay_alu instid0(VALU_DEP_1) | instskip(SKIP_4) | instid1(VALU_DEP_1)
	v_dual_add_nc_u32 v17, v17, v14 :: v_dual_add_nc_u32 v14, v16, v15
	ds_swizzle_b32 v15, v17 offset:swizzle(BROADCAST,32,15)
	ds_swizzle_b32 v16, v14 offset:swizzle(BROADCAST,32,15)
	v_cmp_eq_u32_e64 s12, 0, v14
	s_wait_dscnt 0x0
	v_dual_cndmask_b32 v15, 0, v15, s12 :: v_dual_bitop2_b32 v16, v19, v16 bitop3:0x40
	s_delay_alu instid0(VALU_DEP_1) | instskip(NEXT) | instid1(VALU_DEP_1)
	v_dual_add_nc_u32 v14, v16, v14 :: v_dual_bitop2_b32 v15, v19, v15 bitop3:0x40
	v_dual_add_nc_u32 v15, v15, v17 :: v_dual_lshlrev_b32 v17, 3, v78
	v_cmpx_eq_u32_e64 v0, v79
; %bb.90:
	ds_store_b64 v17, v[14:15] offset:2064
; %bb.91:
	s_or_b32 exec_lo, exec_lo, s13
	s_delay_alu instid0(SALU_CYCLE_1)
	s_mov_b32 s14, exec_lo
	s_wait_loadcnt_dscnt 0x0
	s_barrier_signal -1
	s_barrier_wait -1
	v_cmpx_gt_u32_e32 8, v0
	s_cbranch_execz .LBB676_93
; %bb.92:
	v_dual_lshlrev_b32 v16, 3, v0 :: v_dual_bitop2_b32 v24, 7, v77 bitop3:0x40
	ds_load_b64 v[20:21], v16 offset:2064
	s_wait_dscnt 0x0
	v_mov_b32_dpp v19, v21 row_shr:1 row_mask:0xf bank_mask:0xf
	v_cmp_eq_u32_e64 s12, 0, v20
	v_mov_b32_dpp v25, v20 row_shr:1 row_mask:0xf bank_mask:0xf
	s_delay_alu instid0(VALU_DEP_2) | instskip(SKIP_1) | instid1(VALU_DEP_1)
	v_cndmask_b32_e64 v19, 0, v19, s12
	v_cmp_eq_u32_e64 s12, 0, v24
	v_cndmask_b32_e64 v25, v25, 0, s12
	s_delay_alu instid0(VALU_DEP_1) | instskip(NEXT) | instid1(VALU_DEP_4)
	v_add_nc_u32_e32 v20, v25, v20
	v_cndmask_b32_e64 v19, v19, 0, s12
	v_cmp_lt_u32_e64 s12, 1, v24
	s_delay_alu instid0(VALU_DEP_3) | instskip(NEXT) | instid1(VALU_DEP_3)
	v_cmp_eq_u32_e64 s13, 0, v20
	v_add_nc_u32_e32 v19, v19, v21
	v_mov_b32_dpp v21, v20 row_shr:2 row_mask:0xf bank_mask:0xf
	s_delay_alu instid0(VALU_DEP_1) | instskip(NEXT) | instid1(VALU_DEP_3)
	v_cndmask_b32_e64 v21, 0, v21, s12
	v_mov_b32_dpp v25, v19 row_shr:2 row_mask:0xf bank_mask:0xf
	s_and_b32 s12, s12, s13
	s_delay_alu instid0(VALU_DEP_1) | instid1(SALU_CYCLE_1)
	v_dual_add_nc_u32 v20, v21, v20 :: v_dual_cndmask_b32 v25, 0, v25, s12
	v_cmp_lt_u32_e64 s12, 3, v24
	s_delay_alu instid0(VALU_DEP_2) | instskip(NEXT) | instid1(VALU_DEP_3)
	v_mov_b32_dpp v21, v20 row_shr:4 row_mask:0xf bank_mask:0xf
	v_add_nc_u32_e32 v19, v25, v19
	v_cmp_eq_u32_e64 s13, 0, v20
	s_delay_alu instid0(VALU_DEP_3) | instskip(NEXT) | instid1(VALU_DEP_3)
	v_cndmask_b32_e64 v21, 0, v21, s12
	v_mov_b32_dpp v24, v19 row_shr:4 row_mask:0xf bank_mask:0xf
	s_and_b32 s12, s12, s13
	s_delay_alu instid0(VALU_DEP_1) | instid1(SALU_CYCLE_1)
	v_cndmask_b32_e64 v24, 0, v24, s12
	s_delay_alu instid0(VALU_DEP_1)
	v_dual_add_nc_u32 v20, v21, v20 :: v_dual_add_nc_u32 v21, v24, v19
	ds_store_b64 v16, v[20:21] offset:2064
.LBB676_93:
	s_or_b32 exec_lo, exec_lo, s14
	v_dual_mov_b32 v19, 0 :: v_dual_mov_b32 v16, 0
	v_mov_b32_e32 v20, v18
	s_mov_b32 s13, exec_lo
	s_wait_dscnt 0x0
	s_barrier_signal -1
	s_barrier_wait -1
	v_cmpx_lt_u32_e32 31, v0
	s_cbranch_execz .LBB676_95
; %bb.94:
	ds_load_b64 v[16:17], v17 offset:2056
	s_wait_dscnt 0x0
	v_cmp_eq_u32_e64 s12, 0, v16
	s_delay_alu instid0(VALU_DEP_1) | instskip(NEXT) | instid1(VALU_DEP_1)
	v_cndmask_b32_e64 v20, 0, v18, s12
	v_add_nc_u32_e32 v20, v20, v17
.LBB676_95:
	s_or_b32 exec_lo, exec_lo, s13
	v_sub_co_u32 v17, s12, v77, 1
	s_delay_alu instid0(VALU_DEP_1) | instskip(NEXT) | instid1(VALU_DEP_1)
	v_cmp_gt_i32_e64 s13, 0, v17
	v_cndmask_b32_e64 v17, v17, v77, s13
	v_cmp_eq_u32_e64 s13, 0, v14
	s_delay_alu instid0(VALU_DEP_1) | instskip(NEXT) | instid1(VALU_DEP_3)
	v_dual_cndmask_b32 v21, 0, v20, s13 :: v_dual_add_nc_u32 v14, v16, v14
	v_lshlrev_b32_e32 v17, 2, v17
	ds_bpermute_b32 v14, v17, v14
	s_wait_dscnt 0x0
	v_dual_add_nc_u32 v15, v21, v15 :: v_dual_cndmask_b32 v14, v14, v16, s12
	ds_bpermute_b32 v15, v17, v15
	v_cndmask_b32_e64 v44, v14, 0, s2
	s_delay_alu instid0(VALU_DEP_1) | instskip(NEXT) | instid1(VALU_DEP_1)
	v_add_nc_u32_e32 v48, v44, v67
	v_add_nc_u32_e32 v46, v48, v66
	s_delay_alu instid0(VALU_DEP_1) | instskip(SKIP_3) | instid1(VALU_DEP_2)
	v_add_nc_u32_e32 v42, v46, v64
	s_wait_dscnt 0x0
	v_cndmask_b32_e64 v15, v15, v20, s12
	v_cmp_eq_u32_e64 s12, 0, v67
	v_cndmask_b32_e64 v45, v15, v18, s2
	s_delay_alu instid0(VALU_DEP_1) | instskip(NEXT) | instid1(VALU_DEP_1)
	v_cndmask_b32_e64 v15, 0, v45, s12
	v_add_nc_u32_e32 v49, v15, v52
	s_delay_alu instid0(VALU_DEP_1) | instskip(NEXT) | instid1(VALU_DEP_1)
	v_cndmask_b32_e64 v15, 0, v49, s6
	v_add_nc_u32_e32 v47, v15, v68
	;; [unrolled: 3-line block ×8, first 2 shown]
	s_delay_alu instid0(VALU_DEP_1) | instskip(NEXT) | instid1(VALU_DEP_1)
	v_dual_add_nc_u32 v38, v42, v63 :: v_dual_cndmask_b32 v14, 0, v25, s4
	v_add_nc_u32_e32 v32, v38, v61
	s_delay_alu instid0(VALU_DEP_2) | instskip(NEXT) | instid1(VALU_DEP_1)
	v_add_nc_u32_e32 v27, v14, v69
	v_dual_add_nc_u32 v34, v32, v65 :: v_dual_cndmask_b32 v14, 0, v27, s3
	s_delay_alu instid0(VALU_DEP_1) | instskip(NEXT) | instid1(VALU_DEP_2)
	v_add_nc_u32_e32 v40, v34, v60
	v_add_nc_u32_e32 v31, v14, v53
	ds_load_b64 v[14:15], v19 offset:2120
	v_add_nc_u32_e32 v24, v40, v59
	s_delay_alu instid0(VALU_DEP_1) | instskip(NEXT) | instid1(VALU_DEP_1)
	v_dual_cndmask_b32 v16, 0, v31, s1 :: v_dual_add_nc_u32 v26, v24, v58
	v_add_nc_u32_e32 v37, v16, v51
	s_delay_alu instid0(VALU_DEP_1) | instskip(NEXT) | instid1(VALU_DEP_1)
	v_cndmask_b32_e32 v16, 0, v37, vcc_lo
	v_dual_add_nc_u32 v30, v26, v57 :: v_dual_add_nc_u32 v29, v16, v50
	s_delay_alu instid0(VALU_DEP_1) | instskip(SKIP_2) | instid1(VALU_DEP_2)
	v_add_nc_u32_e32 v36, v30, v54
	s_wait_dscnt 0x0
	v_cmp_eq_u32_e32 vcc_lo, 0, v14
	v_dual_cndmask_b32 v16, 0, v29, s0 :: v_dual_add_nc_u32 v28, v36, v55
	s_delay_alu instid0(VALU_DEP_1) | instskip(NEXT) | instid1(VALU_DEP_1)
	v_dual_cndmask_b32 v17, 0, v18, vcc_lo :: v_dual_add_nc_u32 v21, v16, v1
	v_dual_add_nc_u32 v20, v28, v62 :: v_dual_add_nc_u32 v18, v17, v15
	s_and_saveexec_b32 s0, s2
	s_cbranch_execz .LBB676_97
; %bb.96:
	s_add_nc_u64 s[4:5], s[20:21], 0x200
	v_dual_mov_b32 v16, 2 :: v_dual_mov_b32 v17, 0
	v_mov_b32_e32 v15, v18
	v_mov_b64_e32 v[50:51], s[4:5]
	;;#ASMSTART
	global_store_b128 v[50:51], v[14:17] off scope:SCOPE_DEV	
s_wait_storecnt 0x0
	;;#ASMEND
.LBB676_97:
	s_or_b32 exec_lo, exec_lo, s0
	v_mov_b32_e32 v16, 0
.LBB676_98:
	s_cmp_eq_u64 s[18:19], 0
	v_mov_b64_e32 v[50:51], 0
	s_cselect_b32 s0, -1, 0
	s_delay_alu instid0(SALU_CYCLE_1)
	s_or_b32 s0, s16, s0
	s_barrier_signal -1
	s_and_b32 vcc_lo, exec_lo, s0
	s_barrier_wait -1
	s_cbranch_vccnz .LBB676_100
; %bb.99:
	v_mov_b32_e32 v1, 0
	global_load_b64 v[50:51], v1, s[18:19]
.LBB676_100:
	v_cmp_eq_u32_e32 vcc_lo, 0, v67
	s_wait_loadcnt 0x0
	v_lshlrev_b64_e32 v[52:53], 2, v[50:51]
	v_cmp_ne_u32_e64 s14, 0, v67
	v_cmp_ne_u32_e64 s13, 0, v66
	;; [unrolled: 1-line block ×3, first 2 shown]
	v_cndmask_b32_e64 v1, 1, 2, vcc_lo
	v_cmp_eq_u32_e32 vcc_lo, 0, v66
	v_cmp_ne_u32_e64 s11, 0, v63
	v_add_nc_u64_e32 v[52:53], s[28:29], v[52:53]
	v_cmp_ne_u32_e64 s10, 0, v61
	v_cmp_ne_u32_e64 s9, 0, v65
	v_cndmask_b32_e64 v15, 1, 2, vcc_lo
	v_cmp_eq_u32_e32 vcc_lo, 0, v64
	v_cmp_ne_u32_e64 s8, 0, v60
	v_cmp_ne_u32_e64 s7, 0, v59
	;; [unrolled: 1-line block ×3, first 2 shown]
	v_and_b32_e32 v1, v15, v1
	v_cndmask_b32_e64 v17, 1, 2, vcc_lo
	v_cmp_eq_u32_e32 vcc_lo, 0, v63
	v_cmp_ne_u32_e64 s5, 0, v57
	v_cmp_ne_u32_e64 s4, 0, v54
	;; [unrolled: 1-line block ×4, first 2 shown]
	v_cndmask_b32_e64 v19, 1, 2, vcc_lo
	v_cmp_eq_u32_e32 vcc_lo, 0, v61
	v_cmp_ne_u32_e64 s0, 0, v56
	s_mov_b32 s16, -1
	v_bitop3_b16 v1, v1, v19, v17 bitop3:0x80
	v_cndmask_b32_e64 v15, 1, 2, vcc_lo
	v_cmp_eq_u32_e32 vcc_lo, 0, v65
	v_mov_b32_e32 v17, 0
	v_cndmask_b32_e64 v19, 1, 2, vcc_lo
	v_cmp_eq_u32_e32 vcc_lo, 0, v60
	s_delay_alu instid0(VALU_DEP_3) | instskip(NEXT) | instid1(VALU_DEP_3)
	v_lshlrev_b64_e32 v[68:69], 2, v[16:17]
	v_bitop3_b16 v1, v1, v19, v15 bitop3:0x80
	v_cndmask_b32_e64 v15, 1, 2, vcc_lo
	v_cmp_eq_u32_e32 vcc_lo, 0, v59
	s_delay_alu instid0(VALU_DEP_4) | instskip(SKIP_2) | instid1(VALU_DEP_2)
	v_add_nc_u64_e32 v[52:53], v[52:53], v[68:69]
	v_cndmask_b32_e64 v19, 1, 2, vcc_lo
	v_cmp_eq_u32_e32 vcc_lo, 0, v58
	v_bitop3_b16 v1, v1, v19, v15 bitop3:0x80
	v_cndmask_b32_e64 v15, 1, 2, vcc_lo
	v_cmp_eq_u32_e32 vcc_lo, 0, v57
	v_cndmask_b32_e64 v19, 1, 2, vcc_lo
	v_cmp_eq_u32_e32 vcc_lo, 0, v54
	s_delay_alu instid0(VALU_DEP_2) | instskip(SKIP_4) | instid1(VALU_DEP_2)
	v_bitop3_b16 v1, v1, v19, v15 bitop3:0x80
	v_cndmask_b32_e64 v15, 1, 2, vcc_lo
	v_cmp_eq_u32_e32 vcc_lo, 0, v55
	v_cndmask_b32_e64 v19, 1, 2, vcc_lo
	v_cmp_eq_u32_e32 vcc_lo, 0, v62
	v_bitop3_b16 v1, v1, v19, v15 bitop3:0x80
	v_cndmask_b32_e64 v15, 1, 2, vcc_lo
	v_cmp_eq_u32_e32 vcc_lo, 0, v56
	v_cndmask_b32_e64 v19, 1, 2, vcc_lo
	v_cmp_gt_u32_e32 vcc_lo, 0x100, v14
	s_delay_alu instid0(VALU_DEP_2) | instskip(NEXT) | instid1(VALU_DEP_1)
	v_bitop3_b16 v1, v1, v19, v15 bitop3:0x80
	v_cmp_gt_i16_e64 s15, 2, v1
	s_cbranch_vccz .LBB676_107
; %bb.101:
	s_and_saveexec_b32 s16, s15
	s_cbranch_execz .LBB676_106
; %bb.102:
	s_mov_b32 s17, 0
	s_mov_b32 s15, exec_lo
	v_cmpx_ne_u16_e32 1, v1
	s_xor_b32 s15, exec_lo, s15
	s_cbranch_execnz .LBB676_150
; %bb.103:
	s_and_not1_saveexec_b32 s15, s15
	s_cbranch_execnz .LBB676_165
.LBB676_104:
	s_or_b32 exec_lo, exec_lo, s15
	s_delay_alu instid0(SALU_CYCLE_1)
	s_and_b32 exec_lo, exec_lo, s17
	s_cbranch_execz .LBB676_106
.LBB676_105:
	v_sub_nc_u32_e32 v15, v20, v16
	v_readfirstlane_b32 s18, v52
	v_readfirstlane_b32 s19, v53
	global_store_b32 v15, v23, s[18:19] scale_offset
.LBB676_106:
	s_wait_xcnt 0x0
	s_or_b32 exec_lo, exec_lo, s16
	s_mov_b32 s16, 0
.LBB676_107:
	s_delay_alu instid0(SALU_CYCLE_1)
	s_and_b32 vcc_lo, exec_lo, s16
	s_cbranch_vccz .LBB676_129
; %bb.108:
	s_mov_b32 s15, exec_lo
	v_cmpx_gt_i16_e32 2, v1
	s_cbranch_execz .LBB676_113
; %bb.109:
	s_mov_b32 s17, 0
	s_mov_b32 s16, exec_lo
	v_cmpx_ne_u16_e32 1, v1
	s_xor_b32 s16, exec_lo, s16
	s_cbranch_execnz .LBB676_166
; %bb.110:
	s_and_not1_saveexec_b32 s0, s16
	s_cbranch_execnz .LBB676_181
.LBB676_111:
	s_or_b32 exec_lo, exec_lo, s0
	s_delay_alu instid0(SALU_CYCLE_1)
	s_and_b32 exec_lo, exec_lo, s17
.LBB676_112:
	v_sub_nc_u32_e32 v1, v20, v16
	s_delay_alu instid0(VALU_DEP_1)
	v_lshlrev_b32_e32 v1, 2, v1
	ds_store_b32 v1, v23
.LBB676_113:
	s_or_b32 exec_lo, exec_lo, s15
	s_delay_alu instid0(SALU_CYCLE_1)
	s_mov_b32 s0, exec_lo
	s_wait_storecnt_dscnt 0x0
	s_barrier_signal -1
	s_barrier_wait -1
	v_cmpx_lt_u32_e64 v0, v14
	s_cbranch_execz .LBB676_128
; %bb.114:
	v_xad_u32 v2, v0, -1, v14
	v_mov_b32_e32 v1, v0
	s_mov_b32 s5, -1
	s_mov_b32 s3, exec_lo
	s_delay_alu instid0(VALU_DEP_2)
	v_cmp_gt_u32_e64 s1, 0x1900, v2
	v_cmpx_lt_u32_e32 0x18ff, v2
	s_cbranch_execz .LBB676_125
; %bb.115:
	v_sub_nc_u32_e32 v1, v0, v14
	s_delay_alu instid0(VALU_DEP_1) | instskip(NEXT) | instid1(VALU_DEP_1)
	v_or_b32_e32 v1, 0xff, v1
	v_cmp_ge_u32_e32 vcc_lo, v1, v0
	v_mov_b32_e32 v1, v0
	s_and_saveexec_b32 s4, vcc_lo
	s_cbranch_execz .LBB676_124
; %bb.116:
	v_lshrrev_b32_e32 v6, 8, v2
	v_or_b32_e32 v1, 0x100, v0
	s_delay_alu instid0(VALU_DEP_2) | instskip(NEXT) | instid1(VALU_DEP_1)
	v_dual_mov_b32 v10, 0 :: v_dual_add_nc_u32 v2, -1, v6
	v_lshrrev_b32_e32 v3, 1, v2
	v_cmp_lt_u32_e32 vcc_lo, 13, v2
	s_delay_alu instid0(VALU_DEP_2)
	v_add_nc_u32_e32 v7, 1, v3
	v_mov_b64_e32 v[2:3], v[0:1]
	s_and_saveexec_b32 s5, vcc_lo
	s_cbranch_execz .LBB676_120
; %bb.117:
	v_mov_b64_e32 v[2:3], v[0:1]
	v_dual_lshlrev_b32 v9, 2, v0 :: v_dual_bitop2_b32 v8, -8, v7 bitop3:0x40
	v_mov_b32_e32 v5, 0
	s_mov_b32 s6, 0
	s_mov_b32 s7, 0
.LBB676_118:                            ; =>This Inner Loop Header: Depth=1
	s_delay_alu instid0(VALU_DEP_1)
	v_dual_mov_b32 v4, v2 :: v_dual_mov_b32 v23, v5
	ds_load_2addr_stride64_b32 v[12:13], v9 offset1:4
	v_add_nc_u32_e32 v8, -8, v8
	ds_load_2addr_stride64_b32 v[68:69], v9 offset0:8 offset1:12
	v_lshl_add_u64 v[94:95], v[4:5], 2, v[52:53]
	v_mov_b32_e32 v4, v3
	ds_load_2addr_stride64_b32 v[72:73], v9 offset0:16 offset1:20
	ds_load_2addr_stride64_b32 v[76:77], v9 offset0:24 offset1:28
	v_dual_mov_b32 v71, v5 :: v_dual_add_nc_u32 v22, 0x200, v3
	v_lshl_add_u64 v[96:97], v[4:5], 2, v[52:53]
	v_add_nc_u32_e32 v4, 0x200, v2
	ds_load_2addr_stride64_b32 v[80:81], v9 offset0:32 offset1:36
	v_lshl_add_u64 v[22:23], v[22:23], 2, v[52:53]
	ds_load_2addr_stride64_b32 v[84:85], v9 offset0:40 offset1:44
	ds_load_2addr_stride64_b32 v[88:89], v9 offset0:48 offset1:52
	v_lshl_add_u64 v[98:99], v[4:5], 2, v[52:53]
	v_add_nc_u32_e32 v4, 0x400, v2
	ds_load_2addr_stride64_b32 v[92:93], v9 offset0:56 offset1:60
	s_wait_dscnt 0x7
	s_clause 0x1
	global_store_b32 v[94:95], v12, off
	global_store_b32 v[96:97], v13, off
	s_wait_dscnt 0x6
	s_clause 0x1
	global_store_b32 v[98:99], v68, off
	global_store_b32 v[22:23], v69, off
	v_lshl_add_u64 v[100:101], v[4:5], 2, v[52:53]
	v_add_nc_u32_e32 v4, 0x600, v2
	v_dual_mov_b32 v75, v5 :: v_dual_add_nc_u32 v70, 0x400, v3
	v_dual_mov_b32 v79, v5 :: v_dual_add_nc_u32 v74, 0x600, v3
	s_wait_xcnt 0x2
	s_delay_alu instid0(VALU_DEP_3)
	v_lshl_add_u64 v[12:13], v[4:5], 2, v[52:53]
	v_add_nc_u32_e32 v4, 0x800, v2
	v_lshl_add_u64 v[70:71], v[70:71], 2, v[52:53]
	v_dual_mov_b32 v83, v5 :: v_dual_add_nc_u32 v78, 0x800, v3
	v_lshl_add_u64 v[74:75], v[74:75], 2, v[52:53]
	s_wait_xcnt 0x0
	v_lshl_add_u64 v[22:23], v[4:5], 2, v[52:53]
	v_add_nc_u32_e32 v4, 0xa00, v2
	s_wait_dscnt 0x5
	s_clause 0x1
	global_store_b32 v[100:101], v72, off
	global_store_b32 v[70:71], v73, off
	s_wait_dscnt 0x4
	global_store_b32 v[12:13], v76, off
	v_dual_mov_b32 v87, v5 :: v_dual_add_nc_u32 v82, 0xa00, v3
	s_wait_xcnt 0x0
	v_lshl_add_u64 v[12:13], v[4:5], 2, v[52:53]
	v_add_nc_u32_e32 v4, 0xc00, v2
	v_dual_mov_b32 v91, v5 :: v_dual_add_nc_u32 v86, 0xc00, v3
	v_lshl_add_u64 v[78:79], v[78:79], 2, v[52:53]
	global_store_b32 v[74:75], v77, off
	s_wait_dscnt 0x3
	global_store_b32 v[22:23], v80, off
	s_wait_xcnt 0x0
	v_lshl_add_u64 v[22:23], v[4:5], 2, v[52:53]
	v_add_nc_u32_e32 v4, 0xe00, v2
	v_add_nc_u32_e32 v90, 0xe00, v3
	s_add_co_i32 s7, s7, 16
	v_cmp_eq_u32_e32 vcc_lo, 0, v8
	v_lshl_add_u64 v[82:83], v[82:83], 2, v[52:53]
	v_dual_mov_b32 v10, s7 :: v_dual_add_nc_u32 v9, 0x4000, v9
	v_add_nc_u32_e32 v3, 0x1000, v3
	v_add_nc_u32_e32 v2, 0x1000, v2
	v_lshl_add_u64 v[86:87], v[86:87], 2, v[52:53]
	global_store_b32 v[78:79], v81, off
	s_wait_dscnt 0x2
	s_clause 0x1
	global_store_b32 v[12:13], v84, off
	global_store_b32 v[82:83], v85, off
	s_wait_xcnt 0x1
	v_lshl_add_u64 v[12:13], v[4:5], 2, v[52:53]
	v_lshl_add_u64 v[90:91], v[90:91], 2, v[52:53]
	s_or_b32 s6, vcc_lo, s6
	s_wait_dscnt 0x1
	s_clause 0x1
	global_store_b32 v[22:23], v88, off
	global_store_b32 v[86:87], v89, off
	s_wait_dscnt 0x0
	s_clause 0x1
	global_store_b32 v[12:13], v92, off
	global_store_b32 v[90:91], v93, off
	s_wait_xcnt 0x0
	s_and_not1_b32 exec_lo, exec_lo, s6
	s_cbranch_execnz .LBB676_118
; %bb.119:
	s_or_b32 exec_lo, exec_lo, s6
.LBB676_120:
	s_delay_alu instid0(SALU_CYCLE_1) | instskip(SKIP_3) | instid1(VALU_DEP_1)
	s_or_b32 exec_lo, exec_lo, s5
	v_and_b32_e32 v1, 7, v7
	s_mov_b32 s6, 0
	s_mov_b32 s5, exec_lo
	v_cmpx_ne_u32_e32 0, v1
	s_cbranch_execz .LBB676_123
; %bb.121:
	v_dual_mov_b32 v5, 0 :: v_dual_lshlrev_b32 v4, 2, v0
	s_delay_alu instid0(VALU_DEP_1)
	v_lshl_or_b32 v7, v10, 10, v4
.LBB676_122:                            ; =>This Inner Loop Header: Depth=1
	ds_load_2addr_stride64_b32 v[8:9], v7 offset1:4
	v_dual_mov_b32 v4, v2 :: v_dual_add_nc_u32 v1, -1, v1
	v_add_nc_u32_e32 v2, 0x200, v2
	v_add_nc_u32_e32 v7, 0x800, v7
	s_delay_alu instid0(VALU_DEP_3) | instskip(SKIP_3) | instid1(VALU_DEP_3)
	v_lshl_add_u64 v[10:11], v[4:5], 2, v[52:53]
	v_mov_b32_e32 v4, v3
	v_cmp_eq_u32_e32 vcc_lo, 0, v1
	v_add_nc_u32_e32 v3, 0x200, v3
	v_lshl_add_u64 v[12:13], v[4:5], 2, v[52:53]
	s_or_b32 s6, vcc_lo, s6
	s_wait_dscnt 0x0
	s_clause 0x1
	global_store_b32 v[10:11], v8, off
	global_store_b32 v[12:13], v9, off
	s_wait_xcnt 0x0
	s_and_not1_b32 exec_lo, exec_lo, s6
	s_cbranch_execnz .LBB676_122
.LBB676_123:
	s_or_b32 exec_lo, exec_lo, s5
	v_add_nc_u32_e32 v1, 1, v6
	s_delay_alu instid0(VALU_DEP_1) | instskip(NEXT) | instid1(VALU_DEP_1)
	v_and_b32_e32 v2, 0x1fffffe, v1
	v_cmp_ne_u32_e32 vcc_lo, v1, v2
	v_lshl_or_b32 v1, v2, 8, v0
	s_or_not1_b32 s5, vcc_lo, exec_lo
.LBB676_124:
	s_or_b32 exec_lo, exec_lo, s4
	s_delay_alu instid0(SALU_CYCLE_1) | instskip(SKIP_1) | instid1(SALU_CYCLE_1)
	s_and_not1_b32 s1, s1, exec_lo
	s_and_b32 s4, s5, exec_lo
	s_or_b32 s1, s1, s4
.LBB676_125:
	s_or_b32 exec_lo, exec_lo, s3
	s_delay_alu instid0(SALU_CYCLE_1)
	s_and_b32 exec_lo, exec_lo, s1
	s_cbranch_execz .LBB676_128
; %bb.126:
	v_lshlrev_b32_e32 v2, 2, v1
	s_mov_b32 s1, 0
.LBB676_127:                            ; =>This Inner Loop Header: Depth=1
	ds_load_b32 v3, v2
	v_readfirstlane_b32 s4, v52
	v_readfirstlane_b32 s5, v53
	v_add_nc_u32_e32 v2, 0x400, v2
	s_wait_dscnt 0x0
	global_store_b32 v1, v3, s[4:5] scale_offset
	s_wait_xcnt 0x0
	v_add_nc_u32_e32 v1, 0x100, v1
	s_delay_alu instid0(VALU_DEP_1) | instskip(SKIP_1) | instid1(SALU_CYCLE_1)
	v_cmp_ge_u32_e32 vcc_lo, v1, v14
	s_or_b32 s1, vcc_lo, s1
	s_and_not1_b32 exec_lo, exec_lo, s1
	s_cbranch_execnz .LBB676_127
.LBB676_128:
	s_or_b32 exec_lo, exec_lo, s0
.LBB676_129:
	s_cmp_lg_u32 s38, 0xe00
	v_cndmask_b32_e64 v6, 0, 1, s25
	s_cselect_b32 s0, -1, 0
	s_lshr_b32 s1, s38, 1
	s_and_b32 s0, s0, s33
	v_mad_i32_i24 v3, v0, -14, s38
	v_cndmask_b32_e64 v2, 0, 1, s0
	s_mul_hi_u32 s0, s1, 0x92492493
	s_and_b32 s1, s2, s25
	s_lshr_b32 s0, s0, 2
	v_cndmask_b32_e64 v4, v67, 0, s1
	v_cmp_eq_u32_e32 vcc_lo, s0, v0
	v_cmp_ne_u32_e64 s0, 0, v3
	v_sub_nc_u32_e32 v1, v14, v6
	s_mov_b32 s15, -1
	s_wait_storecnt 0x0
	s_and_b32 vcc_lo, vcc_lo, s33
	s_barrier_signal -1
	v_dual_add_nc_u32 v1, v1, v2 :: v_dual_cndmask_b32 v2, 1, v4, s0
	v_cmp_ne_u32_e64 s0, 1, v3
	s_barrier_wait -1
	s_delay_alu instid0(VALU_DEP_1) | instskip(SKIP_1) | instid1(VALU_DEP_1)
	v_cndmask_b32_e64 v5, 1, v66, s0
	v_cmp_ne_u32_e64 s0, 2, v3
	v_cndmask_b32_e64 v7, 1, v64, s0
	v_cmp_ne_u32_e64 s0, 3, v3
	s_delay_alu instid0(VALU_DEP_2) | instskip(NEXT) | instid1(VALU_DEP_2)
	v_cndmask_b32_e32 v7, v64, v7, vcc_lo
	v_cndmask_b32_e64 v8, 1, v63, s0
	v_cmp_ne_u32_e64 s0, 4, v3
	v_cndmask_b32_e32 v53, v4, v2, vcc_lo
	s_delay_alu instid0(VALU_DEP_4) | instskip(NEXT) | instid1(VALU_DEP_3)
	v_cmp_ne_u32_e64 s11, 0, v7
	v_cndmask_b32_e64 v9, 1, v61, s0
	v_cmp_ne_u32_e64 s0, 5, v3
	s_delay_alu instid0(VALU_DEP_1) | instskip(SKIP_1) | instid1(VALU_DEP_1)
	v_cndmask_b32_e64 v10, 1, v65, s0
	v_cmp_ne_u32_e64 s0, 6, v3
	v_cndmask_b32_e64 v11, 1, v60, s0
	v_cmp_ne_u32_e64 s0, 7, v3
	s_delay_alu instid0(VALU_DEP_2) | instskip(NEXT) | instid1(VALU_DEP_2)
	v_dual_cndmask_b32 v9, v61, v9, vcc_lo :: v_dual_cndmask_b32 v11, v60, v11, vcc_lo
	v_cndmask_b32_e64 v12, 1, v59, s0
	v_cmp_ne_u32_e64 s0, 8, v3
	v_cndmask_b32_e32 v10, v65, v10, vcc_lo
	s_delay_alu instid0(VALU_DEP_4) | instskip(NEXT) | instid1(VALU_DEP_3)
	v_cmp_ne_u32_e64 s7, 0, v11
	v_cndmask_b32_e64 v13, 1, v58, s0
	v_cmp_ne_u32_e64 s0, 9, v3
	s_delay_alu instid0(VALU_DEP_4) | instskip(NEXT) | instid1(VALU_DEP_2)
	v_cmp_ne_u32_e64 s8, 0, v10
	v_cndmask_b32_e64 v15, 1, v57, s0
	v_cmp_ne_u32_e64 s0, 10, v3
	s_delay_alu instid0(VALU_DEP_2) | instskip(NEXT) | instid1(VALU_DEP_2)
	v_dual_cndmask_b32 v13, v58, v13, vcc_lo :: v_dual_cndmask_b32 v15, v57, v15, vcc_lo
	v_cndmask_b32_e64 v19, 1, v54, s0
	v_cmp_ne_u32_e64 s0, 13, v3
	s_delay_alu instid0(VALU_DEP_3) | instskip(NEXT) | instid1(VALU_DEP_2)
	v_cmp_ne_u32_e64 s5, 0, v13
	v_cndmask_b32_e64 v22, 1, v56, s0
	v_cmp_ne_u32_e64 s0, 12, v3
	v_dual_cndmask_b32 v12, v59, v12 :: v_dual_cndmask_b32 v19, v54, v19
	s_delay_alu instid0(VALU_DEP_2) | instskip(SKIP_2) | instid1(VALU_DEP_4)
	v_cndmask_b32_e64 v23, 1, v62, s0
	v_cmp_ne_u32_e64 s0, 11, v3
	v_lshlrev_b64_e32 v[2:3], 3, v[50:51]
	v_cmp_ne_u32_e64 s6, 0, v12
	v_cmp_ne_u32_e64 s3, 0, v19
	s_delay_alu instid0(VALU_DEP_4)
	v_dual_cndmask_b32 v52, 1, v55, s0 :: v_dual_cndmask_b32 v22, v56, v22, vcc_lo
	v_cndmask_b32_e32 v23, v62, v23, vcc_lo
	v_cndmask_b32_e32 v56, v66, v5, vcc_lo
	v_cmp_eq_u32_e64 s0, 0, v53
	v_add_nc_u64_e32 v[2:3], s[30:31], v[2:3]
	v_lshlrev_b64_e32 v[4:5], 3, v[16:17]
	v_cndmask_b32_e32 v52, v55, v52, vcc_lo
	v_cmp_ne_u32_e64 s13, 0, v53
	v_cndmask_b32_e64 v62, 1, 2, s0
	v_cmp_eq_u32_e64 s0, 0, v56
	v_cmp_ne_u32_e64 s12, 0, v56
	v_cmp_ne_u32_e64 s2, 0, v52
	v_add_nc_u64_e32 v[2:3], v[2:3], v[4:5]
	v_lshlrev_b32_e32 v4, 3, v6
	v_cndmask_b32_e64 v65, 1, 2, s0
	v_cndmask_b32_e32 v8, v63, v8, vcc_lo
	v_cmp_eq_u32_e64 s0, 0, v7
	v_mov_b32_e32 v5, 0
	v_cmp_eq_u32_e32 vcc_lo, 0, v13
	v_and_b32_e32 v62, v65, v62
	v_add_nc_u32_e32 v6, v16, v6
	v_cndmask_b32_e64 v63, 1, 2, s0
	v_cmp_eq_u32_e64 s0, 0, v8
	v_cmp_ne_u32_e64 s10, 0, v8
	v_cmp_ne_u32_e64 s9, 0, v9
	v_add_nc_u64_e32 v[4:5], v[2:3], v[4:5]
	v_cmp_ne_u32_e64 s4, 0, v15
	v_cndmask_b32_e64 v64, 1, 2, s0
	v_cmp_eq_u32_e64 s0, 0, v9
	v_cmp_ne_u32_e64 s1, 0, v23
	s_delay_alu instid0(VALU_DEP_3) | instskip(NEXT) | instid1(VALU_DEP_3)
	v_bitop3_b16 v61, v62, v64, v63 bitop3:0x80
	v_cndmask_b32_e64 v62, 1, 2, s0
	v_cmp_eq_u32_e64 s0, 0, v10
	v_add_nc_u64_e32 v[4:5], -8, v[4:5]
	s_delay_alu instid0(VALU_DEP_2) | instskip(SKIP_1) | instid1(VALU_DEP_2)
	v_cndmask_b32_e64 v63, 1, 2, s0
	v_cmp_eq_u32_e64 s0, 0, v11
	v_bitop3_b16 v55, v61, v63, v62 bitop3:0x80
	s_delay_alu instid0(VALU_DEP_2) | instskip(SKIP_1) | instid1(VALU_DEP_1)
	v_cndmask_b32_e64 v59, 1, 2, s0
	v_cmp_eq_u32_e64 s0, 0, v12
	v_cndmask_b32_e64 v60, 1, 2, s0
	v_cmp_ne_u32_e64 s0, 0, v22
	s_delay_alu instid0(VALU_DEP_2) | instskip(SKIP_4) | instid1(VALU_DEP_2)
	v_bitop3_b16 v54, v55, v60, v59 bitop3:0x80
	v_cndmask_b32_e64 v55, 1, 2, vcc_lo
	v_cmp_eq_u32_e32 vcc_lo, 0, v15
	v_cndmask_b32_e64 v57, 1, 2, vcc_lo
	v_cmp_eq_u32_e32 vcc_lo, 0, v19
	v_bitop3_b16 v7, v54, v57, v55 bitop3:0x80
	v_cndmask_b32_e64 v53, 1, 2, vcc_lo
	v_cmp_eq_u32_e32 vcc_lo, 0, v52
	v_cndmask_b32_e64 v54, 1, 2, vcc_lo
	v_cmp_eq_u32_e32 vcc_lo, 0, v23
	s_delay_alu instid0(VALU_DEP_2) | instskip(SKIP_4) | instid1(VALU_DEP_2)
	v_bitop3_b16 v7, v7, v54, v53 bitop3:0x80
	v_cndmask_b32_e64 v8, 1, 2, vcc_lo
	v_cmp_eq_u32_e32 vcc_lo, 0, v22
	v_cndmask_b32_e64 v9, 1, 2, vcc_lo
	v_cmp_gt_u32_e32 vcc_lo, 0x100, v1
	v_bitop3_b16 v7, v7, v9, v8 bitop3:0x80
	s_delay_alu instid0(VALU_DEP_1)
	v_cmp_gt_i16_e64 s14, 2, v7
	s_cbranch_vccnz .LBB676_133
; %bb.130:
	s_and_b32 vcc_lo, exec_lo, s15
	s_cbranch_vccnz .LBB676_139
.LBB676_131:
	v_cmp_eq_u32_e32 vcc_lo, 0xff, v0
	s_and_b32 s0, vcc_lo, s33
	s_delay_alu instid0(SALU_CYCLE_1)
	s_and_saveexec_b32 s1, s0
	s_cbranch_execnz .LBB676_148
.LBB676_132:
	s_sendmsg sendmsg(MSG_DEALLOC_VGPRS)
	s_endpgm
.LBB676_133:
	s_and_saveexec_b32 s15, s14
	s_cbranch_execz .LBB676_138
; %bb.134:
	s_mov_b32 s16, 0
	s_mov_b32 s14, exec_lo
	v_cmpx_ne_u16_e32 1, v7
	s_xor_b32 s14, exec_lo, s14
	s_cbranch_execnz .LBB676_182
; %bb.135:
	s_and_not1_saveexec_b32 s14, s14
	s_cbranch_execnz .LBB676_197
.LBB676_136:
	s_or_b32 exec_lo, exec_lo, s14
	s_delay_alu instid0(SALU_CYCLE_1)
	s_and_b32 exec_lo, exec_lo, s16
	s_cbranch_execz .LBB676_138
.LBB676_137:
	v_dual_mov_b32 v9, 0 :: v_dual_mov_b32 v8, v21
	v_sub_nc_u32_e32 v10, v20, v6
	v_readfirstlane_b32 s16, v4
	v_readfirstlane_b32 s17, v5
	global_store_b64 v10, v[8:9], s[16:17] scale_offset
.LBB676_138:
	s_wait_xcnt 0x0
	s_or_b32 exec_lo, exec_lo, s15
	s_branch .LBB676_131
.LBB676_139:
	s_mov_b32 s14, exec_lo
	v_cmpx_gt_i16_e32 2, v7
	s_cbranch_execz .LBB676_144
; %bb.140:
	s_mov_b32 s16, 0
	s_mov_b32 s15, exec_lo
	v_cmpx_ne_u16_e32 1, v7
	s_xor_b32 s15, exec_lo, s15
	s_cbranch_execnz .LBB676_198
; %bb.141:
	s_and_not1_saveexec_b32 s0, s15
	s_cbranch_execnz .LBB676_213
.LBB676_142:
	s_or_b32 exec_lo, exec_lo, s0
	s_delay_alu instid0(SALU_CYCLE_1)
	s_and_b32 exec_lo, exec_lo, s16
.LBB676_143:
	v_sub_nc_u32_e32 v6, v20, v6
	s_delay_alu instid0(VALU_DEP_1)
	v_lshlrev_b32_e32 v6, 2, v6
	ds_store_b32 v6, v21
.LBB676_144:
	s_or_b32 exec_lo, exec_lo, s14
	s_delay_alu instid0(SALU_CYCLE_1)
	s_mov_b32 s0, exec_lo
	s_wait_storecnt_dscnt 0x0
	s_barrier_signal -1
	s_barrier_wait -1
	v_cmpx_lt_u32_e64 v0, v1
	s_cbranch_execz .LBB676_147
; %bb.145:
	v_dual_mov_b32 v7, 0 :: v_dual_lshlrev_b32 v8, 2, v0
	v_mov_b32_e32 v9, v0
	s_mov_b32 s1, 0
.LBB676_146:                            ; =>This Inner Loop Header: Depth=1
	ds_load_b32 v6, v8
	v_readfirstlane_b32 s2, v4
	v_readfirstlane_b32 s3, v5
	v_add_nc_u32_e32 v8, 0x400, v8
	s_wait_dscnt 0x0
	global_store_b64 v9, v[6:7], s[2:3] scale_offset
	s_wait_xcnt 0x0
	v_add_nc_u32_e32 v9, 0x100, v9
	s_delay_alu instid0(VALU_DEP_1) | instskip(SKIP_1) | instid1(SALU_CYCLE_1)
	v_cmp_ge_u32_e32 vcc_lo, v9, v1
	s_or_b32 s1, vcc_lo, s1
	s_and_not1_b32 exec_lo, exec_lo, s1
	s_cbranch_execnz .LBB676_146
.LBB676_147:
	s_or_b32 exec_lo, exec_lo, s0
	v_cmp_eq_u32_e32 vcc_lo, 0xff, v0
	s_and_b32 s0, vcc_lo, s33
	s_delay_alu instid0(SALU_CYCLE_1)
	s_and_saveexec_b32 s1, s0
	s_cbranch_execz .LBB676_132
.LBB676_148:
	v_mov_b32_e32 v15, 0
	s_cmp_lg_u32 s38, 0xe00
	s_delay_alu instid0(VALU_DEP_1) | instskip(NEXT) | instid1(VALU_DEP_1)
	v_add_nc_u64_e32 v[0:1], v[14:15], v[16:17]
	v_add_nc_u64_e32 v[0:1], v[0:1], v[50:51]
	global_store_b64 v15, v[0:1], s[34:35]
	s_cbranch_scc1 .LBB676_132
; %bb.149:
	s_wait_xcnt 0x0
	v_lshlrev_b64_e32 v[0:1], 3, v[14:15]
	v_mov_b32_e32 v19, v15
	s_delay_alu instid0(VALU_DEP_2)
	v_add_nc_u64_e32 v[0:1], v[2:3], v[0:1]
	global_store_b64 v[0:1], v[18:19], off offset:-8
	s_sendmsg sendmsg(MSG_DEALLOC_VGPRS)
	s_endpgm
.LBB676_150:
	s_and_saveexec_b32 s17, s14
	s_cbranch_execnz .LBB676_214
; %bb.151:
	s_or_b32 exec_lo, exec_lo, s17
	s_and_saveexec_b32 s17, s13
	s_cbranch_execnz .LBB676_215
.LBB676_152:
	s_or_b32 exec_lo, exec_lo, s17
	s_and_saveexec_b32 s17, s12
	s_cbranch_execnz .LBB676_216
.LBB676_153:
	s_or_b32 exec_lo, exec_lo, s17
	s_and_saveexec_b32 s17, s11
	s_cbranch_execnz .LBB676_217
.LBB676_154:
	s_or_b32 exec_lo, exec_lo, s17
	s_and_saveexec_b32 s17, s10
	s_cbranch_execnz .LBB676_218
.LBB676_155:
	s_or_b32 exec_lo, exec_lo, s17
	s_and_saveexec_b32 s17, s9
	s_cbranch_execnz .LBB676_219
.LBB676_156:
	s_or_b32 exec_lo, exec_lo, s17
	s_and_saveexec_b32 s17, s8
	s_cbranch_execnz .LBB676_220
.LBB676_157:
	s_or_b32 exec_lo, exec_lo, s17
	s_and_saveexec_b32 s17, s7
	s_cbranch_execnz .LBB676_221
.LBB676_158:
	s_or_b32 exec_lo, exec_lo, s17
	s_and_saveexec_b32 s17, s6
	s_cbranch_execnz .LBB676_222
.LBB676_159:
	s_or_b32 exec_lo, exec_lo, s17
	s_and_saveexec_b32 s17, s5
	s_cbranch_execnz .LBB676_223
.LBB676_160:
	s_or_b32 exec_lo, exec_lo, s17
	s_and_saveexec_b32 s17, s4
	s_cbranch_execnz .LBB676_224
.LBB676_161:
	s_or_b32 exec_lo, exec_lo, s17
	s_and_saveexec_b32 s17, s3
	s_cbranch_execnz .LBB676_225
.LBB676_162:
	s_or_b32 exec_lo, exec_lo, s17
	s_and_saveexec_b32 s17, s1
	s_cbranch_execz .LBB676_164
.LBB676_163:
	v_sub_nc_u32_e32 v15, v28, v16
	v_readfirstlane_b32 s18, v52
	v_readfirstlane_b32 s19, v53
	global_store_b32 v15, v22, s[18:19] scale_offset
.LBB676_164:
	s_wait_xcnt 0x0
	s_or_b32 exec_lo, exec_lo, s17
	s_delay_alu instid0(SALU_CYCLE_1)
	s_and_b32 s17, s0, exec_lo
	s_and_not1_saveexec_b32 s15, s15
	s_cbranch_execz .LBB676_104
.LBB676_165:
	v_dual_sub_nc_u32 v15, v44, v16 :: v_dual_sub_nc_u32 v68, v46, v16
	v_readfirstlane_b32 s18, v52
	v_readfirstlane_b32 s19, v53
	v_sub_nc_u32_e32 v19, v48, v16
	s_clause 0x1
	global_store_b32 v15, v10, s[18:19] scale_offset
	global_store_b32 v19, v11, s[18:19] scale_offset
	s_wait_xcnt 0x1
	v_sub_nc_u32_e32 v15, v42, v16
	s_wait_xcnt 0x0
	v_sub_nc_u32_e32 v19, v38, v16
	global_store_b32 v68, v12, s[18:19] scale_offset
	s_wait_xcnt 0x0
	v_dual_sub_nc_u32 v68, v32, v16 :: v_dual_sub_nc_u32 v69, v34, v16
	global_store_b32 v15, v13, s[18:19] scale_offset
	s_wait_xcnt 0x0
	v_sub_nc_u32_e32 v15, v40, v16
	s_clause 0x2
	global_store_b32 v19, v6, s[18:19] scale_offset
	global_store_b32 v68, v7, s[18:19] scale_offset
	;; [unrolled: 1-line block ×3, first 2 shown]
	s_wait_xcnt 0x1
	v_dual_sub_nc_u32 v19, v24, v16 :: v_dual_sub_nc_u32 v68, v30, v16
	s_wait_xcnt 0x0
	v_sub_nc_u32_e32 v69, v36, v16
	global_store_b32 v15, v9, s[18:19] scale_offset
	s_wait_xcnt 0x0
	v_sub_nc_u32_e32 v15, v26, v16
	global_store_b32 v19, v2, s[18:19] scale_offset
	s_wait_xcnt 0x0
	v_sub_nc_u32_e32 v19, v28, v16
	s_or_b32 s17, s17, exec_lo
	s_clause 0x3
	global_store_b32 v15, v3, s[18:19] scale_offset
	global_store_b32 v68, v4, s[18:19] scale_offset
	;; [unrolled: 1-line block ×4, first 2 shown]
	s_wait_xcnt 0x0
	s_or_b32 exec_lo, exec_lo, s15
	s_delay_alu instid0(SALU_CYCLE_1)
	s_and_b32 exec_lo, exec_lo, s17
	s_cbranch_execnz .LBB676_105
	s_branch .LBB676_106
.LBB676_166:
	s_and_saveexec_b32 s17, s14
	s_cbranch_execnz .LBB676_226
; %bb.167:
	s_or_b32 exec_lo, exec_lo, s17
	s_and_saveexec_b32 s14, s13
	s_cbranch_execnz .LBB676_227
.LBB676_168:
	s_or_b32 exec_lo, exec_lo, s14
	s_and_saveexec_b32 s13, s12
	s_cbranch_execnz .LBB676_228
.LBB676_169:
	s_or_b32 exec_lo, exec_lo, s13
	s_and_saveexec_b32 s12, s11
	s_cbranch_execnz .LBB676_229
.LBB676_170:
	s_or_b32 exec_lo, exec_lo, s12
	s_and_saveexec_b32 s11, s10
	s_cbranch_execnz .LBB676_230
.LBB676_171:
	s_or_b32 exec_lo, exec_lo, s11
	s_and_saveexec_b32 s10, s9
	s_cbranch_execnz .LBB676_231
.LBB676_172:
	s_or_b32 exec_lo, exec_lo, s10
	s_and_saveexec_b32 s9, s8
	s_cbranch_execnz .LBB676_232
.LBB676_173:
	s_or_b32 exec_lo, exec_lo, s9
	s_and_saveexec_b32 s8, s7
	s_cbranch_execnz .LBB676_233
.LBB676_174:
	s_or_b32 exec_lo, exec_lo, s8
	s_and_saveexec_b32 s7, s6
	s_cbranch_execnz .LBB676_234
.LBB676_175:
	s_or_b32 exec_lo, exec_lo, s7
	s_and_saveexec_b32 s6, s5
	s_cbranch_execnz .LBB676_235
.LBB676_176:
	s_or_b32 exec_lo, exec_lo, s6
	s_and_saveexec_b32 s5, s4
	s_cbranch_execnz .LBB676_236
.LBB676_177:
	s_or_b32 exec_lo, exec_lo, s5
	s_and_saveexec_b32 s4, s3
	s_cbranch_execnz .LBB676_237
.LBB676_178:
	s_or_b32 exec_lo, exec_lo, s4
	s_and_saveexec_b32 s3, s1
.LBB676_179:
	v_sub_nc_u32_e32 v1, v28, v16
	s_delay_alu instid0(VALU_DEP_1)
	v_lshlrev_b32_e32 v1, 2, v1
	ds_store_b32 v1, v22
.LBB676_180:
	s_or_b32 exec_lo, exec_lo, s3
	s_delay_alu instid0(SALU_CYCLE_1)
	s_and_b32 s17, s0, exec_lo
                                        ; implicit-def: $vgpr4
                                        ; implicit-def: $vgpr8
                                        ; implicit-def: $vgpr12
	s_and_not1_saveexec_b32 s0, s16
	s_cbranch_execz .LBB676_111
.LBB676_181:
	v_dual_sub_nc_u32 v1, v44, v16 :: v_dual_sub_nc_u32 v19, v46, v16
	v_sub_nc_u32_e32 v15, v48, v16
	s_or_b32 s17, s17, exec_lo
	s_delay_alu instid0(VALU_DEP_2) | instskip(NEXT) | instid1(VALU_DEP_3)
	v_dual_sub_nc_u32 v68, v42, v16 :: v_dual_lshlrev_b32 v1, 2, v1
	v_dual_lshlrev_b32 v19, 2, v19 :: v_dual_sub_nc_u32 v69, v38, v16
	s_delay_alu instid0(VALU_DEP_3)
	v_lshlrev_b32_e32 v15, 2, v15
	ds_store_b32 v1, v10
	ds_store_b32 v15, v11
	;; [unrolled: 1-line block ×3, first 2 shown]
	v_dual_sub_nc_u32 v1, v32, v16 :: v_dual_sub_nc_u32 v10, v34, v16
	v_dual_lshlrev_b32 v11, 2, v68 :: v_dual_lshlrev_b32 v15, 2, v69
	s_delay_alu instid0(VALU_DEP_2) | instskip(NEXT) | instid1(VALU_DEP_3)
	v_dual_sub_nc_u32 v12, v40, v16 :: v_dual_lshlrev_b32 v1, 2, v1
	v_lshlrev_b32_e32 v10, 2, v10
	ds_store_b32 v11, v13
	v_lshlrev_b32_e32 v11, 2, v12
	ds_store_b32 v15, v6
	ds_store_b32 v1, v7
	;; [unrolled: 1-line block ×3, first 2 shown]
	v_dual_sub_nc_u32 v1, v24, v16 :: v_dual_sub_nc_u32 v6, v26, v16
	v_dual_sub_nc_u32 v7, v30, v16 :: v_dual_sub_nc_u32 v8, v36, v16
	ds_store_b32 v11, v9
	v_dual_lshlrev_b32 v1, 2, v1 :: v_dual_sub_nc_u32 v9, v28, v16
	v_dual_lshlrev_b32 v6, 2, v6 :: v_dual_lshlrev_b32 v7, 2, v7
	v_lshlrev_b32_e32 v8, 2, v8
	ds_store_b32 v1, v2
	v_lshlrev_b32_e32 v1, 2, v9
	ds_store_b32 v6, v3
	ds_store_b32 v7, v4
	;; [unrolled: 1-line block ×4, first 2 shown]
	s_or_b32 exec_lo, exec_lo, s0
	s_delay_alu instid0(SALU_CYCLE_1)
	s_and_b32 exec_lo, exec_lo, s17
	s_cbranch_execnz .LBB676_112
	s_branch .LBB676_113
.LBB676_182:
	s_and_saveexec_b32 s16, s13
	s_cbranch_execnz .LBB676_238
; %bb.183:
	s_or_b32 exec_lo, exec_lo, s16
	s_and_saveexec_b32 s16, s12
	s_cbranch_execnz .LBB676_239
.LBB676_184:
	s_or_b32 exec_lo, exec_lo, s16
	s_and_saveexec_b32 s16, s11
	s_cbranch_execnz .LBB676_240
.LBB676_185:
	s_or_b32 exec_lo, exec_lo, s16
	s_and_saveexec_b32 s16, s10
	s_cbranch_execnz .LBB676_241
.LBB676_186:
	s_or_b32 exec_lo, exec_lo, s16
	s_and_saveexec_b32 s16, s9
	s_cbranch_execnz .LBB676_242
.LBB676_187:
	s_or_b32 exec_lo, exec_lo, s16
	s_and_saveexec_b32 s16, s8
	s_cbranch_execnz .LBB676_243
.LBB676_188:
	s_or_b32 exec_lo, exec_lo, s16
	s_and_saveexec_b32 s16, s7
	s_cbranch_execnz .LBB676_244
.LBB676_189:
	s_or_b32 exec_lo, exec_lo, s16
	s_and_saveexec_b32 s16, s6
	s_cbranch_execnz .LBB676_245
.LBB676_190:
	s_or_b32 exec_lo, exec_lo, s16
	s_and_saveexec_b32 s16, s5
	s_cbranch_execnz .LBB676_246
.LBB676_191:
	s_or_b32 exec_lo, exec_lo, s16
	s_and_saveexec_b32 s16, s4
	s_cbranch_execnz .LBB676_247
.LBB676_192:
	s_or_b32 exec_lo, exec_lo, s16
	s_and_saveexec_b32 s16, s3
	s_cbranch_execnz .LBB676_248
.LBB676_193:
	s_or_b32 exec_lo, exec_lo, s16
	s_and_saveexec_b32 s16, s2
	s_cbranch_execnz .LBB676_249
.LBB676_194:
	s_or_b32 exec_lo, exec_lo, s16
	s_and_saveexec_b32 s16, s1
	s_cbranch_execz .LBB676_196
.LBB676_195:
	v_dual_mov_b32 v9, 0 :: v_dual_sub_nc_u32 v10, v28, v6
	v_mov_b32_e32 v8, v29
	v_readfirstlane_b32 s18, v4
	v_readfirstlane_b32 s19, v5
	global_store_b64 v10, v[8:9], s[18:19] scale_offset
.LBB676_196:
	s_wait_xcnt 0x0
	s_or_b32 exec_lo, exec_lo, s16
	s_delay_alu instid0(SALU_CYCLE_1)
	s_and_b32 s16, s0, exec_lo
	s_and_not1_saveexec_b32 s14, s14
	s_cbranch_execz .LBB676_136
.LBB676_197:
	v_dual_mov_b32 v9, 0 :: v_dual_mov_b32 v8, v45
	v_sub_nc_u32_e32 v10, v44, v6
	v_readfirstlane_b32 s18, v4
	v_readfirstlane_b32 s19, v5
	v_sub_nc_u32_e32 v11, v46, v6
	s_or_b32 s16, s16, exec_lo
	global_store_b64 v10, v[8:9], s[18:19] scale_offset
	s_wait_xcnt 0x0
	v_dual_sub_nc_u32 v10, v48, v6 :: v_dual_mov_b32 v8, v49
	global_store_b64 v10, v[8:9], s[18:19] scale_offset
	s_wait_xcnt 0x0
	v_dual_mov_b32 v8, v47 :: v_dual_sub_nc_u32 v10, v42, v6
	global_store_b64 v11, v[8:9], s[18:19] scale_offset
	s_wait_xcnt 0x0
	v_dual_mov_b32 v8, v43 :: v_dual_sub_nc_u32 v11, v38, v6
	;; [unrolled: 3-line block ×9, first 2 shown]
	global_store_b64 v11, v[8:9], s[18:19] scale_offset
	s_wait_xcnt 0x0
	v_mov_b32_e32 v8, v37
	global_store_b64 v10, v[8:9], s[18:19] scale_offset
	s_wait_xcnt 0x0
	v_dual_mov_b32 v8, v29 :: v_dual_sub_nc_u32 v10, v28, v6
	global_store_b64 v10, v[8:9], s[18:19] scale_offset
	s_wait_xcnt 0x0
	s_or_b32 exec_lo, exec_lo, s14
	s_delay_alu instid0(SALU_CYCLE_1)
	s_and_b32 exec_lo, exec_lo, s16
	s_cbranch_execnz .LBB676_137
	s_branch .LBB676_138
.LBB676_198:
	s_and_saveexec_b32 s16, s13
	s_cbranch_execnz .LBB676_250
; %bb.199:
	s_or_b32 exec_lo, exec_lo, s16
	s_and_saveexec_b32 s13, s12
	s_cbranch_execnz .LBB676_251
.LBB676_200:
	s_or_b32 exec_lo, exec_lo, s13
	s_and_saveexec_b32 s12, s11
	s_cbranch_execnz .LBB676_252
.LBB676_201:
	s_or_b32 exec_lo, exec_lo, s12
	s_and_saveexec_b32 s11, s10
	s_cbranch_execnz .LBB676_253
.LBB676_202:
	s_or_b32 exec_lo, exec_lo, s11
	s_and_saveexec_b32 s10, s9
	s_cbranch_execnz .LBB676_254
.LBB676_203:
	s_or_b32 exec_lo, exec_lo, s10
	s_and_saveexec_b32 s9, s8
	s_cbranch_execnz .LBB676_255
.LBB676_204:
	s_or_b32 exec_lo, exec_lo, s9
	s_and_saveexec_b32 s8, s7
	s_cbranch_execnz .LBB676_256
.LBB676_205:
	s_or_b32 exec_lo, exec_lo, s8
	s_and_saveexec_b32 s7, s6
	s_cbranch_execnz .LBB676_257
.LBB676_206:
	s_or_b32 exec_lo, exec_lo, s7
	s_and_saveexec_b32 s6, s5
	s_cbranch_execnz .LBB676_258
.LBB676_207:
	s_or_b32 exec_lo, exec_lo, s6
	s_and_saveexec_b32 s5, s4
	s_cbranch_execnz .LBB676_259
.LBB676_208:
	s_or_b32 exec_lo, exec_lo, s5
	s_and_saveexec_b32 s4, s3
	s_cbranch_execnz .LBB676_260
.LBB676_209:
	s_or_b32 exec_lo, exec_lo, s4
	s_and_saveexec_b32 s3, s2
	s_cbranch_execnz .LBB676_261
.LBB676_210:
	s_or_b32 exec_lo, exec_lo, s3
	s_and_saveexec_b32 s2, s1
.LBB676_211:
	v_sub_nc_u32_e32 v7, v28, v6
	s_delay_alu instid0(VALU_DEP_1)
	v_lshlrev_b32_e32 v7, 2, v7
	ds_store_b32 v7, v29
.LBB676_212:
	s_or_b32 exec_lo, exec_lo, s2
	s_delay_alu instid0(SALU_CYCLE_1)
	s_and_b32 s16, s0, exec_lo
                                        ; implicit-def: $vgpr28_vgpr29
                                        ; implicit-def: $vgpr36_vgpr37
                                        ; implicit-def: $vgpr30_vgpr31
                                        ; implicit-def: $vgpr44_vgpr45
                                        ; implicit-def: $vgpr48_vgpr49
                                        ; implicit-def: $vgpr46_vgpr47
                                        ; implicit-def: $vgpr42_vgpr43
                                        ; implicit-def: $vgpr38_vgpr39
                                        ; implicit-def: $vgpr32_vgpr33
                                        ; implicit-def: $vgpr34_vgpr35
                                        ; implicit-def: $vgpr40_vgpr41
                                        ; implicit-def: $vgpr24_vgpr25
                                        ; implicit-def: $vgpr26_vgpr27
	s_and_not1_saveexec_b32 s0, s15
	s_cbranch_execz .LBB676_142
.LBB676_213:
	v_dual_sub_nc_u32 v7, v44, v6 :: v_dual_sub_nc_u32 v9, v46, v6
	v_dual_sub_nc_u32 v8, v48, v6 :: v_dual_sub_nc_u32 v10, v42, v6
	s_delay_alu instid0(VALU_DEP_2) | instskip(NEXT) | instid1(VALU_DEP_2)
	v_dual_sub_nc_u32 v11, v38, v6 :: v_dual_lshlrev_b32 v7, 2, v7
	v_dual_lshlrev_b32 v9, 2, v9 :: v_dual_lshlrev_b32 v8, 2, v8
	s_or_b32 s16, s16, exec_lo
	ds_store_b32 v7, v45
	ds_store_b32 v8, v49
	;; [unrolled: 1-line block ×3, first 2 shown]
	v_sub_nc_u32_e32 v7, v32, v6
	v_lshlrev_b32_e32 v9, 2, v10
	v_dual_sub_nc_u32 v10, v40, v6 :: v_dual_sub_nc_u32 v8, v34, v6
	v_lshlrev_b32_e32 v11, 2, v11
	s_delay_alu instid0(VALU_DEP_4)
	v_lshlrev_b32_e32 v7, 2, v7
	ds_store_b32 v9, v43
	v_dual_lshlrev_b32 v9, 2, v10 :: v_dual_lshlrev_b32 v8, 2, v8
	ds_store_b32 v11, v39
	ds_store_b32 v7, v33
	ds_store_b32 v8, v35
	v_dual_sub_nc_u32 v7, v24, v6 :: v_dual_sub_nc_u32 v8, v26, v6
	ds_store_b32 v9, v41
	v_dual_sub_nc_u32 v9, v30, v6 :: v_dual_sub_nc_u32 v10, v36, v6
	v_dual_lshlrev_b32 v7, 2, v7 :: v_dual_sub_nc_u32 v11, v28, v6
	s_delay_alu instid0(VALU_DEP_2) | instskip(NEXT) | instid1(VALU_DEP_3)
	v_dual_lshlrev_b32 v8, 2, v8 :: v_dual_lshlrev_b32 v9, 2, v9
	v_lshlrev_b32_e32 v10, 2, v10
	ds_store_b32 v7, v25
	v_lshlrev_b32_e32 v7, 2, v11
	ds_store_b32 v8, v27
	ds_store_b32 v9, v31
	;; [unrolled: 1-line block ×4, first 2 shown]
	s_or_b32 exec_lo, exec_lo, s0
	s_delay_alu instid0(SALU_CYCLE_1)
	s_and_b32 exec_lo, exec_lo, s16
	s_cbranch_execnz .LBB676_143
	s_branch .LBB676_144
.LBB676_214:
	v_sub_nc_u32_e32 v15, v44, v16
	v_readfirstlane_b32 s18, v52
	v_readfirstlane_b32 s19, v53
	global_store_b32 v15, v10, s[18:19] scale_offset
	s_wait_xcnt 0x0
	s_or_b32 exec_lo, exec_lo, s17
	s_and_saveexec_b32 s17, s13
	s_cbranch_execz .LBB676_152
.LBB676_215:
	v_sub_nc_u32_e32 v15, v48, v16
	v_readfirstlane_b32 s18, v52
	v_readfirstlane_b32 s19, v53
	global_store_b32 v15, v11, s[18:19] scale_offset
	s_wait_xcnt 0x0
	s_or_b32 exec_lo, exec_lo, s17
	s_and_saveexec_b32 s17, s12
	s_cbranch_execz .LBB676_153
.LBB676_216:
	v_sub_nc_u32_e32 v15, v46, v16
	v_readfirstlane_b32 s18, v52
	v_readfirstlane_b32 s19, v53
	global_store_b32 v15, v12, s[18:19] scale_offset
	s_wait_xcnt 0x0
	s_or_b32 exec_lo, exec_lo, s17
	s_and_saveexec_b32 s17, s11
	s_cbranch_execz .LBB676_154
.LBB676_217:
	v_sub_nc_u32_e32 v15, v42, v16
	v_readfirstlane_b32 s18, v52
	v_readfirstlane_b32 s19, v53
	global_store_b32 v15, v13, s[18:19] scale_offset
	s_wait_xcnt 0x0
	s_or_b32 exec_lo, exec_lo, s17
	s_and_saveexec_b32 s17, s10
	s_cbranch_execz .LBB676_155
.LBB676_218:
	v_sub_nc_u32_e32 v15, v38, v16
	v_readfirstlane_b32 s18, v52
	v_readfirstlane_b32 s19, v53
	global_store_b32 v15, v6, s[18:19] scale_offset
	s_wait_xcnt 0x0
	s_or_b32 exec_lo, exec_lo, s17
	s_and_saveexec_b32 s17, s9
	s_cbranch_execz .LBB676_156
.LBB676_219:
	v_sub_nc_u32_e32 v15, v32, v16
	v_readfirstlane_b32 s18, v52
	v_readfirstlane_b32 s19, v53
	global_store_b32 v15, v7, s[18:19] scale_offset
	s_wait_xcnt 0x0
	s_or_b32 exec_lo, exec_lo, s17
	s_and_saveexec_b32 s17, s8
	s_cbranch_execz .LBB676_157
.LBB676_220:
	v_sub_nc_u32_e32 v15, v34, v16
	v_readfirstlane_b32 s18, v52
	v_readfirstlane_b32 s19, v53
	global_store_b32 v15, v8, s[18:19] scale_offset
	s_wait_xcnt 0x0
	s_or_b32 exec_lo, exec_lo, s17
	s_and_saveexec_b32 s17, s7
	s_cbranch_execz .LBB676_158
.LBB676_221:
	v_sub_nc_u32_e32 v15, v40, v16
	v_readfirstlane_b32 s18, v52
	v_readfirstlane_b32 s19, v53
	global_store_b32 v15, v9, s[18:19] scale_offset
	s_wait_xcnt 0x0
	s_or_b32 exec_lo, exec_lo, s17
	s_and_saveexec_b32 s17, s6
	s_cbranch_execz .LBB676_159
.LBB676_222:
	v_sub_nc_u32_e32 v15, v24, v16
	v_readfirstlane_b32 s18, v52
	v_readfirstlane_b32 s19, v53
	global_store_b32 v15, v2, s[18:19] scale_offset
	s_wait_xcnt 0x0
	s_or_b32 exec_lo, exec_lo, s17
	s_and_saveexec_b32 s17, s5
	s_cbranch_execz .LBB676_160
.LBB676_223:
	v_sub_nc_u32_e32 v15, v26, v16
	v_readfirstlane_b32 s18, v52
	v_readfirstlane_b32 s19, v53
	global_store_b32 v15, v3, s[18:19] scale_offset
	s_wait_xcnt 0x0
	s_or_b32 exec_lo, exec_lo, s17
	s_and_saveexec_b32 s17, s4
	s_cbranch_execz .LBB676_161
.LBB676_224:
	v_sub_nc_u32_e32 v15, v30, v16
	v_readfirstlane_b32 s18, v52
	v_readfirstlane_b32 s19, v53
	global_store_b32 v15, v4, s[18:19] scale_offset
	s_wait_xcnt 0x0
	s_or_b32 exec_lo, exec_lo, s17
	s_and_saveexec_b32 s17, s3
	s_cbranch_execz .LBB676_162
.LBB676_225:
	v_sub_nc_u32_e32 v15, v36, v16
	v_readfirstlane_b32 s18, v52
	v_readfirstlane_b32 s19, v53
	global_store_b32 v15, v5, s[18:19] scale_offset
	s_wait_xcnt 0x0
	s_or_b32 exec_lo, exec_lo, s17
	s_and_saveexec_b32 s17, s1
	s_cbranch_execnz .LBB676_163
	s_branch .LBB676_164
.LBB676_226:
	v_sub_nc_u32_e32 v1, v44, v16
	s_delay_alu instid0(VALU_DEP_1)
	v_lshlrev_b32_e32 v1, 2, v1
	ds_store_b32 v1, v10
	s_or_b32 exec_lo, exec_lo, s17
	s_and_saveexec_b32 s14, s13
	s_cbranch_execz .LBB676_168
.LBB676_227:
	v_sub_nc_u32_e32 v1, v48, v16
	s_delay_alu instid0(VALU_DEP_1)
	v_lshlrev_b32_e32 v1, 2, v1
	ds_store_b32 v1, v11
	s_or_b32 exec_lo, exec_lo, s14
	s_and_saveexec_b32 s13, s12
	s_cbranch_execz .LBB676_169
.LBB676_228:
	v_sub_nc_u32_e32 v1, v46, v16
	s_delay_alu instid0(VALU_DEP_1)
	v_lshlrev_b32_e32 v1, 2, v1
	ds_store_b32 v1, v12
	s_or_b32 exec_lo, exec_lo, s13
	s_and_saveexec_b32 s12, s11
	s_cbranch_execz .LBB676_170
.LBB676_229:
	v_sub_nc_u32_e32 v1, v42, v16
	s_delay_alu instid0(VALU_DEP_1)
	v_lshlrev_b32_e32 v1, 2, v1
	ds_store_b32 v1, v13
	s_or_b32 exec_lo, exec_lo, s12
	s_and_saveexec_b32 s11, s10
	s_cbranch_execz .LBB676_171
.LBB676_230:
	v_sub_nc_u32_e32 v1, v38, v16
	s_delay_alu instid0(VALU_DEP_1)
	v_lshlrev_b32_e32 v1, 2, v1
	ds_store_b32 v1, v6
	s_or_b32 exec_lo, exec_lo, s11
	s_and_saveexec_b32 s10, s9
	s_cbranch_execz .LBB676_172
.LBB676_231:
	v_sub_nc_u32_e32 v1, v32, v16
	s_delay_alu instid0(VALU_DEP_1)
	v_lshlrev_b32_e32 v1, 2, v1
	ds_store_b32 v1, v7
	s_or_b32 exec_lo, exec_lo, s10
	s_and_saveexec_b32 s9, s8
	s_cbranch_execz .LBB676_173
.LBB676_232:
	v_sub_nc_u32_e32 v1, v34, v16
	s_delay_alu instid0(VALU_DEP_1)
	v_lshlrev_b32_e32 v1, 2, v1
	ds_store_b32 v1, v8
	s_or_b32 exec_lo, exec_lo, s9
	s_and_saveexec_b32 s8, s7
	s_cbranch_execz .LBB676_174
.LBB676_233:
	v_sub_nc_u32_e32 v1, v40, v16
	s_delay_alu instid0(VALU_DEP_1)
	v_lshlrev_b32_e32 v1, 2, v1
	ds_store_b32 v1, v9
	s_or_b32 exec_lo, exec_lo, s8
	s_and_saveexec_b32 s7, s6
	s_cbranch_execz .LBB676_175
.LBB676_234:
	v_sub_nc_u32_e32 v1, v24, v16
	s_delay_alu instid0(VALU_DEP_1)
	v_lshlrev_b32_e32 v1, 2, v1
	ds_store_b32 v1, v2
	s_or_b32 exec_lo, exec_lo, s7
	s_and_saveexec_b32 s6, s5
	s_cbranch_execz .LBB676_176
.LBB676_235:
	v_sub_nc_u32_e32 v1, v26, v16
	s_delay_alu instid0(VALU_DEP_1)
	v_lshlrev_b32_e32 v1, 2, v1
	ds_store_b32 v1, v3
	s_or_b32 exec_lo, exec_lo, s6
	s_and_saveexec_b32 s5, s4
	s_cbranch_execz .LBB676_177
.LBB676_236:
	v_sub_nc_u32_e32 v1, v30, v16
	s_delay_alu instid0(VALU_DEP_1)
	v_lshlrev_b32_e32 v1, 2, v1
	ds_store_b32 v1, v4
	s_or_b32 exec_lo, exec_lo, s5
	s_and_saveexec_b32 s4, s3
	s_cbranch_execz .LBB676_178
.LBB676_237:
	v_sub_nc_u32_e32 v1, v36, v16
	s_delay_alu instid0(VALU_DEP_1)
	v_lshlrev_b32_e32 v1, 2, v1
	ds_store_b32 v1, v5
	s_or_b32 exec_lo, exec_lo, s4
	s_and_saveexec_b32 s3, s1
	s_cbranch_execnz .LBB676_179
	s_branch .LBB676_180
.LBB676_238:
	v_dual_mov_b32 v9, 0 :: v_dual_sub_nc_u32 v10, v44, v6
	v_mov_b32_e32 v8, v45
	v_readfirstlane_b32 s18, v4
	v_readfirstlane_b32 s19, v5
	global_store_b64 v10, v[8:9], s[18:19] scale_offset
	s_wait_xcnt 0x0
	s_or_b32 exec_lo, exec_lo, s16
	s_and_saveexec_b32 s16, s12
	s_cbranch_execz .LBB676_184
.LBB676_239:
	v_dual_mov_b32 v9, 0 :: v_dual_sub_nc_u32 v10, v48, v6
	v_mov_b32_e32 v8, v49
	v_readfirstlane_b32 s18, v4
	v_readfirstlane_b32 s19, v5
	global_store_b64 v10, v[8:9], s[18:19] scale_offset
	s_wait_xcnt 0x0
	s_or_b32 exec_lo, exec_lo, s16
	s_and_saveexec_b32 s16, s11
	s_cbranch_execz .LBB676_185
.LBB676_240:
	v_dual_mov_b32 v9, 0 :: v_dual_sub_nc_u32 v10, v46, v6
	v_mov_b32_e32 v8, v47
	v_readfirstlane_b32 s18, v4
	v_readfirstlane_b32 s19, v5
	global_store_b64 v10, v[8:9], s[18:19] scale_offset
	s_wait_xcnt 0x0
	s_or_b32 exec_lo, exec_lo, s16
	s_and_saveexec_b32 s16, s10
	s_cbranch_execz .LBB676_186
.LBB676_241:
	v_dual_mov_b32 v9, 0 :: v_dual_sub_nc_u32 v10, v42, v6
	v_mov_b32_e32 v8, v43
	v_readfirstlane_b32 s18, v4
	v_readfirstlane_b32 s19, v5
	global_store_b64 v10, v[8:9], s[18:19] scale_offset
	s_wait_xcnt 0x0
	s_or_b32 exec_lo, exec_lo, s16
	s_and_saveexec_b32 s16, s9
	s_cbranch_execz .LBB676_187
.LBB676_242:
	v_dual_mov_b32 v9, 0 :: v_dual_sub_nc_u32 v10, v38, v6
	v_mov_b32_e32 v8, v39
	v_readfirstlane_b32 s18, v4
	v_readfirstlane_b32 s19, v5
	global_store_b64 v10, v[8:9], s[18:19] scale_offset
	s_wait_xcnt 0x0
	s_or_b32 exec_lo, exec_lo, s16
	s_and_saveexec_b32 s16, s8
	s_cbranch_execz .LBB676_188
.LBB676_243:
	v_dual_mov_b32 v9, 0 :: v_dual_sub_nc_u32 v10, v32, v6
	v_mov_b32_e32 v8, v33
	v_readfirstlane_b32 s18, v4
	v_readfirstlane_b32 s19, v5
	global_store_b64 v10, v[8:9], s[18:19] scale_offset
	s_wait_xcnt 0x0
	s_or_b32 exec_lo, exec_lo, s16
	s_and_saveexec_b32 s16, s7
	s_cbranch_execz .LBB676_189
.LBB676_244:
	v_dual_mov_b32 v9, 0 :: v_dual_sub_nc_u32 v10, v34, v6
	v_mov_b32_e32 v8, v35
	v_readfirstlane_b32 s18, v4
	v_readfirstlane_b32 s19, v5
	global_store_b64 v10, v[8:9], s[18:19] scale_offset
	s_wait_xcnt 0x0
	s_or_b32 exec_lo, exec_lo, s16
	s_and_saveexec_b32 s16, s6
	s_cbranch_execz .LBB676_190
.LBB676_245:
	v_dual_mov_b32 v9, 0 :: v_dual_sub_nc_u32 v10, v40, v6
	v_mov_b32_e32 v8, v41
	v_readfirstlane_b32 s18, v4
	v_readfirstlane_b32 s19, v5
	global_store_b64 v10, v[8:9], s[18:19] scale_offset
	s_wait_xcnt 0x0
	s_or_b32 exec_lo, exec_lo, s16
	s_and_saveexec_b32 s16, s5
	s_cbranch_execz .LBB676_191
.LBB676_246:
	v_dual_mov_b32 v9, 0 :: v_dual_sub_nc_u32 v10, v24, v6
	v_mov_b32_e32 v8, v25
	v_readfirstlane_b32 s18, v4
	v_readfirstlane_b32 s19, v5
	global_store_b64 v10, v[8:9], s[18:19] scale_offset
	s_wait_xcnt 0x0
	s_or_b32 exec_lo, exec_lo, s16
	s_and_saveexec_b32 s16, s4
	s_cbranch_execz .LBB676_192
.LBB676_247:
	v_dual_mov_b32 v9, 0 :: v_dual_sub_nc_u32 v10, v26, v6
	v_mov_b32_e32 v8, v27
	v_readfirstlane_b32 s18, v4
	v_readfirstlane_b32 s19, v5
	global_store_b64 v10, v[8:9], s[18:19] scale_offset
	s_wait_xcnt 0x0
	s_or_b32 exec_lo, exec_lo, s16
	s_and_saveexec_b32 s16, s3
	s_cbranch_execz .LBB676_193
.LBB676_248:
	v_dual_mov_b32 v9, 0 :: v_dual_sub_nc_u32 v10, v30, v6
	v_mov_b32_e32 v8, v31
	v_readfirstlane_b32 s18, v4
	v_readfirstlane_b32 s19, v5
	global_store_b64 v10, v[8:9], s[18:19] scale_offset
	s_wait_xcnt 0x0
	s_or_b32 exec_lo, exec_lo, s16
	s_and_saveexec_b32 s16, s2
	s_cbranch_execz .LBB676_194
.LBB676_249:
	v_dual_mov_b32 v9, 0 :: v_dual_sub_nc_u32 v10, v36, v6
	v_mov_b32_e32 v8, v37
	v_readfirstlane_b32 s18, v4
	v_readfirstlane_b32 s19, v5
	global_store_b64 v10, v[8:9], s[18:19] scale_offset
	s_wait_xcnt 0x0
	s_or_b32 exec_lo, exec_lo, s16
	s_and_saveexec_b32 s16, s1
	s_cbranch_execnz .LBB676_195
	s_branch .LBB676_196
.LBB676_250:
	v_sub_nc_u32_e32 v7, v44, v6
	s_delay_alu instid0(VALU_DEP_1)
	v_lshlrev_b32_e32 v7, 2, v7
	ds_store_b32 v7, v45
	s_or_b32 exec_lo, exec_lo, s16
	s_and_saveexec_b32 s13, s12
	s_cbranch_execz .LBB676_200
.LBB676_251:
	v_sub_nc_u32_e32 v7, v48, v6
	s_delay_alu instid0(VALU_DEP_1)
	v_lshlrev_b32_e32 v7, 2, v7
	ds_store_b32 v7, v49
	s_or_b32 exec_lo, exec_lo, s13
	s_and_saveexec_b32 s12, s11
	s_cbranch_execz .LBB676_201
.LBB676_252:
	v_sub_nc_u32_e32 v7, v46, v6
	s_delay_alu instid0(VALU_DEP_1)
	v_lshlrev_b32_e32 v7, 2, v7
	ds_store_b32 v7, v47
	s_or_b32 exec_lo, exec_lo, s12
	s_and_saveexec_b32 s11, s10
	s_cbranch_execz .LBB676_202
.LBB676_253:
	v_sub_nc_u32_e32 v7, v42, v6
	s_delay_alu instid0(VALU_DEP_1)
	v_lshlrev_b32_e32 v7, 2, v7
	ds_store_b32 v7, v43
	s_or_b32 exec_lo, exec_lo, s11
	s_and_saveexec_b32 s10, s9
	s_cbranch_execz .LBB676_203
.LBB676_254:
	v_sub_nc_u32_e32 v7, v38, v6
	s_delay_alu instid0(VALU_DEP_1)
	v_lshlrev_b32_e32 v7, 2, v7
	ds_store_b32 v7, v39
	s_or_b32 exec_lo, exec_lo, s10
	s_and_saveexec_b32 s9, s8
	s_cbranch_execz .LBB676_204
.LBB676_255:
	v_sub_nc_u32_e32 v7, v32, v6
	s_delay_alu instid0(VALU_DEP_1)
	v_lshlrev_b32_e32 v7, 2, v7
	ds_store_b32 v7, v33
	s_or_b32 exec_lo, exec_lo, s9
	s_and_saveexec_b32 s8, s7
	s_cbranch_execz .LBB676_205
.LBB676_256:
	v_sub_nc_u32_e32 v7, v34, v6
	s_delay_alu instid0(VALU_DEP_1)
	v_lshlrev_b32_e32 v7, 2, v7
	ds_store_b32 v7, v35
	s_or_b32 exec_lo, exec_lo, s8
	s_and_saveexec_b32 s7, s6
	s_cbranch_execz .LBB676_206
.LBB676_257:
	v_sub_nc_u32_e32 v7, v40, v6
	s_delay_alu instid0(VALU_DEP_1)
	v_lshlrev_b32_e32 v7, 2, v7
	ds_store_b32 v7, v41
	s_or_b32 exec_lo, exec_lo, s7
	s_and_saveexec_b32 s6, s5
	s_cbranch_execz .LBB676_207
.LBB676_258:
	v_sub_nc_u32_e32 v7, v24, v6
	s_delay_alu instid0(VALU_DEP_1)
	v_lshlrev_b32_e32 v7, 2, v7
	ds_store_b32 v7, v25
	s_or_b32 exec_lo, exec_lo, s6
	s_and_saveexec_b32 s5, s4
	s_cbranch_execz .LBB676_208
.LBB676_259:
	v_sub_nc_u32_e32 v7, v26, v6
	s_delay_alu instid0(VALU_DEP_1)
	v_lshlrev_b32_e32 v7, 2, v7
	ds_store_b32 v7, v27
	s_or_b32 exec_lo, exec_lo, s5
	s_and_saveexec_b32 s4, s3
	s_cbranch_execz .LBB676_209
.LBB676_260:
	v_sub_nc_u32_e32 v7, v30, v6
	s_delay_alu instid0(VALU_DEP_1)
	v_lshlrev_b32_e32 v7, 2, v7
	ds_store_b32 v7, v31
	s_or_b32 exec_lo, exec_lo, s4
	s_and_saveexec_b32 s3, s2
	s_cbranch_execz .LBB676_210
.LBB676_261:
	v_sub_nc_u32_e32 v7, v36, v6
	s_delay_alu instid0(VALU_DEP_1)
	v_lshlrev_b32_e32 v7, 2, v7
	ds_store_b32 v7, v37
	s_or_b32 exec_lo, exec_lo, s3
	s_and_saveexec_b32 s2, s1
	s_cbranch_execnz .LBB676_211
	s_branch .LBB676_212
	.section	.rodata,"a",@progbits
	.p2align	6, 0x0
	.amdhsa_kernel _ZN7rocprim17ROCPRIM_400000_NS6detail17trampoline_kernelINS0_14default_configENS1_33run_length_encode_config_selectorIjjNS0_4plusIjEEEEZZNS1_33reduce_by_key_impl_wrapped_configILNS1_25lookback_scan_determinismE0ES3_S7_PKjNS0_17constant_iteratorIjlEEPjPlSF_S6_NS0_8equal_toIjEEEE10hipError_tPvRmT2_T3_mT4_T5_T6_T7_T8_P12ihipStream_tbENKUlT_T0_E_clISt17integral_constantIbLb0EESY_IbLb1EEEEDaSU_SV_EUlSU_E_NS1_11comp_targetILNS1_3genE0ELNS1_11target_archE4294967295ELNS1_3gpuE0ELNS1_3repE0EEENS1_30default_config_static_selectorELNS0_4arch9wavefront6targetE0EEEvT1_
		.amdhsa_group_segment_fixed_size 14336
		.amdhsa_private_segment_fixed_size 0
		.amdhsa_kernarg_size 128
		.amdhsa_user_sgpr_count 2
		.amdhsa_user_sgpr_dispatch_ptr 0
		.amdhsa_user_sgpr_queue_ptr 0
		.amdhsa_user_sgpr_kernarg_segment_ptr 1
		.amdhsa_user_sgpr_dispatch_id 0
		.amdhsa_user_sgpr_kernarg_preload_length 0
		.amdhsa_user_sgpr_kernarg_preload_offset 0
		.amdhsa_user_sgpr_private_segment_size 0
		.amdhsa_wavefront_size32 1
		.amdhsa_uses_dynamic_stack 0
		.amdhsa_enable_private_segment 0
		.amdhsa_system_sgpr_workgroup_id_x 1
		.amdhsa_system_sgpr_workgroup_id_y 0
		.amdhsa_system_sgpr_workgroup_id_z 0
		.amdhsa_system_sgpr_workgroup_info 0
		.amdhsa_system_vgpr_workitem_id 0
		.amdhsa_next_free_vgpr 102
		.amdhsa_next_free_sgpr 43
		.amdhsa_named_barrier_count 0
		.amdhsa_reserve_vcc 1
		.amdhsa_float_round_mode_32 0
		.amdhsa_float_round_mode_16_64 0
		.amdhsa_float_denorm_mode_32 3
		.amdhsa_float_denorm_mode_16_64 3
		.amdhsa_fp16_overflow 0
		.amdhsa_memory_ordered 1
		.amdhsa_forward_progress 1
		.amdhsa_inst_pref_size 119
		.amdhsa_round_robin_scheduling 0
		.amdhsa_exception_fp_ieee_invalid_op 0
		.amdhsa_exception_fp_denorm_src 0
		.amdhsa_exception_fp_ieee_div_zero 0
		.amdhsa_exception_fp_ieee_overflow 0
		.amdhsa_exception_fp_ieee_underflow 0
		.amdhsa_exception_fp_ieee_inexact 0
		.amdhsa_exception_int_div_zero 0
	.end_amdhsa_kernel
	.section	.text._ZN7rocprim17ROCPRIM_400000_NS6detail17trampoline_kernelINS0_14default_configENS1_33run_length_encode_config_selectorIjjNS0_4plusIjEEEEZZNS1_33reduce_by_key_impl_wrapped_configILNS1_25lookback_scan_determinismE0ES3_S7_PKjNS0_17constant_iteratorIjlEEPjPlSF_S6_NS0_8equal_toIjEEEE10hipError_tPvRmT2_T3_mT4_T5_T6_T7_T8_P12ihipStream_tbENKUlT_T0_E_clISt17integral_constantIbLb0EESY_IbLb1EEEEDaSU_SV_EUlSU_E_NS1_11comp_targetILNS1_3genE0ELNS1_11target_archE4294967295ELNS1_3gpuE0ELNS1_3repE0EEENS1_30default_config_static_selectorELNS0_4arch9wavefront6targetE0EEEvT1_,"axG",@progbits,_ZN7rocprim17ROCPRIM_400000_NS6detail17trampoline_kernelINS0_14default_configENS1_33run_length_encode_config_selectorIjjNS0_4plusIjEEEEZZNS1_33reduce_by_key_impl_wrapped_configILNS1_25lookback_scan_determinismE0ES3_S7_PKjNS0_17constant_iteratorIjlEEPjPlSF_S6_NS0_8equal_toIjEEEE10hipError_tPvRmT2_T3_mT4_T5_T6_T7_T8_P12ihipStream_tbENKUlT_T0_E_clISt17integral_constantIbLb0EESY_IbLb1EEEEDaSU_SV_EUlSU_E_NS1_11comp_targetILNS1_3genE0ELNS1_11target_archE4294967295ELNS1_3gpuE0ELNS1_3repE0EEENS1_30default_config_static_selectorELNS0_4arch9wavefront6targetE0EEEvT1_,comdat
.Lfunc_end676:
	.size	_ZN7rocprim17ROCPRIM_400000_NS6detail17trampoline_kernelINS0_14default_configENS1_33run_length_encode_config_selectorIjjNS0_4plusIjEEEEZZNS1_33reduce_by_key_impl_wrapped_configILNS1_25lookback_scan_determinismE0ES3_S7_PKjNS0_17constant_iteratorIjlEEPjPlSF_S6_NS0_8equal_toIjEEEE10hipError_tPvRmT2_T3_mT4_T5_T6_T7_T8_P12ihipStream_tbENKUlT_T0_E_clISt17integral_constantIbLb0EESY_IbLb1EEEEDaSU_SV_EUlSU_E_NS1_11comp_targetILNS1_3genE0ELNS1_11target_archE4294967295ELNS1_3gpuE0ELNS1_3repE0EEENS1_30default_config_static_selectorELNS0_4arch9wavefront6targetE0EEEvT1_, .Lfunc_end676-_ZN7rocprim17ROCPRIM_400000_NS6detail17trampoline_kernelINS0_14default_configENS1_33run_length_encode_config_selectorIjjNS0_4plusIjEEEEZZNS1_33reduce_by_key_impl_wrapped_configILNS1_25lookback_scan_determinismE0ES3_S7_PKjNS0_17constant_iteratorIjlEEPjPlSF_S6_NS0_8equal_toIjEEEE10hipError_tPvRmT2_T3_mT4_T5_T6_T7_T8_P12ihipStream_tbENKUlT_T0_E_clISt17integral_constantIbLb0EESY_IbLb1EEEEDaSU_SV_EUlSU_E_NS1_11comp_targetILNS1_3genE0ELNS1_11target_archE4294967295ELNS1_3gpuE0ELNS1_3repE0EEENS1_30default_config_static_selectorELNS0_4arch9wavefront6targetE0EEEvT1_
                                        ; -- End function
	.set _ZN7rocprim17ROCPRIM_400000_NS6detail17trampoline_kernelINS0_14default_configENS1_33run_length_encode_config_selectorIjjNS0_4plusIjEEEEZZNS1_33reduce_by_key_impl_wrapped_configILNS1_25lookback_scan_determinismE0ES3_S7_PKjNS0_17constant_iteratorIjlEEPjPlSF_S6_NS0_8equal_toIjEEEE10hipError_tPvRmT2_T3_mT4_T5_T6_T7_T8_P12ihipStream_tbENKUlT_T0_E_clISt17integral_constantIbLb0EESY_IbLb1EEEEDaSU_SV_EUlSU_E_NS1_11comp_targetILNS1_3genE0ELNS1_11target_archE4294967295ELNS1_3gpuE0ELNS1_3repE0EEENS1_30default_config_static_selectorELNS0_4arch9wavefront6targetE0EEEvT1_.num_vgpr, 102
	.set _ZN7rocprim17ROCPRIM_400000_NS6detail17trampoline_kernelINS0_14default_configENS1_33run_length_encode_config_selectorIjjNS0_4plusIjEEEEZZNS1_33reduce_by_key_impl_wrapped_configILNS1_25lookback_scan_determinismE0ES3_S7_PKjNS0_17constant_iteratorIjlEEPjPlSF_S6_NS0_8equal_toIjEEEE10hipError_tPvRmT2_T3_mT4_T5_T6_T7_T8_P12ihipStream_tbENKUlT_T0_E_clISt17integral_constantIbLb0EESY_IbLb1EEEEDaSU_SV_EUlSU_E_NS1_11comp_targetILNS1_3genE0ELNS1_11target_archE4294967295ELNS1_3gpuE0ELNS1_3repE0EEENS1_30default_config_static_selectorELNS0_4arch9wavefront6targetE0EEEvT1_.num_agpr, 0
	.set _ZN7rocprim17ROCPRIM_400000_NS6detail17trampoline_kernelINS0_14default_configENS1_33run_length_encode_config_selectorIjjNS0_4plusIjEEEEZZNS1_33reduce_by_key_impl_wrapped_configILNS1_25lookback_scan_determinismE0ES3_S7_PKjNS0_17constant_iteratorIjlEEPjPlSF_S6_NS0_8equal_toIjEEEE10hipError_tPvRmT2_T3_mT4_T5_T6_T7_T8_P12ihipStream_tbENKUlT_T0_E_clISt17integral_constantIbLb0EESY_IbLb1EEEEDaSU_SV_EUlSU_E_NS1_11comp_targetILNS1_3genE0ELNS1_11target_archE4294967295ELNS1_3gpuE0ELNS1_3repE0EEENS1_30default_config_static_selectorELNS0_4arch9wavefront6targetE0EEEvT1_.numbered_sgpr, 43
	.set _ZN7rocprim17ROCPRIM_400000_NS6detail17trampoline_kernelINS0_14default_configENS1_33run_length_encode_config_selectorIjjNS0_4plusIjEEEEZZNS1_33reduce_by_key_impl_wrapped_configILNS1_25lookback_scan_determinismE0ES3_S7_PKjNS0_17constant_iteratorIjlEEPjPlSF_S6_NS0_8equal_toIjEEEE10hipError_tPvRmT2_T3_mT4_T5_T6_T7_T8_P12ihipStream_tbENKUlT_T0_E_clISt17integral_constantIbLb0EESY_IbLb1EEEEDaSU_SV_EUlSU_E_NS1_11comp_targetILNS1_3genE0ELNS1_11target_archE4294967295ELNS1_3gpuE0ELNS1_3repE0EEENS1_30default_config_static_selectorELNS0_4arch9wavefront6targetE0EEEvT1_.num_named_barrier, 0
	.set _ZN7rocprim17ROCPRIM_400000_NS6detail17trampoline_kernelINS0_14default_configENS1_33run_length_encode_config_selectorIjjNS0_4plusIjEEEEZZNS1_33reduce_by_key_impl_wrapped_configILNS1_25lookback_scan_determinismE0ES3_S7_PKjNS0_17constant_iteratorIjlEEPjPlSF_S6_NS0_8equal_toIjEEEE10hipError_tPvRmT2_T3_mT4_T5_T6_T7_T8_P12ihipStream_tbENKUlT_T0_E_clISt17integral_constantIbLb0EESY_IbLb1EEEEDaSU_SV_EUlSU_E_NS1_11comp_targetILNS1_3genE0ELNS1_11target_archE4294967295ELNS1_3gpuE0ELNS1_3repE0EEENS1_30default_config_static_selectorELNS0_4arch9wavefront6targetE0EEEvT1_.private_seg_size, 0
	.set _ZN7rocprim17ROCPRIM_400000_NS6detail17trampoline_kernelINS0_14default_configENS1_33run_length_encode_config_selectorIjjNS0_4plusIjEEEEZZNS1_33reduce_by_key_impl_wrapped_configILNS1_25lookback_scan_determinismE0ES3_S7_PKjNS0_17constant_iteratorIjlEEPjPlSF_S6_NS0_8equal_toIjEEEE10hipError_tPvRmT2_T3_mT4_T5_T6_T7_T8_P12ihipStream_tbENKUlT_T0_E_clISt17integral_constantIbLb0EESY_IbLb1EEEEDaSU_SV_EUlSU_E_NS1_11comp_targetILNS1_3genE0ELNS1_11target_archE4294967295ELNS1_3gpuE0ELNS1_3repE0EEENS1_30default_config_static_selectorELNS0_4arch9wavefront6targetE0EEEvT1_.uses_vcc, 1
	.set _ZN7rocprim17ROCPRIM_400000_NS6detail17trampoline_kernelINS0_14default_configENS1_33run_length_encode_config_selectorIjjNS0_4plusIjEEEEZZNS1_33reduce_by_key_impl_wrapped_configILNS1_25lookback_scan_determinismE0ES3_S7_PKjNS0_17constant_iteratorIjlEEPjPlSF_S6_NS0_8equal_toIjEEEE10hipError_tPvRmT2_T3_mT4_T5_T6_T7_T8_P12ihipStream_tbENKUlT_T0_E_clISt17integral_constantIbLb0EESY_IbLb1EEEEDaSU_SV_EUlSU_E_NS1_11comp_targetILNS1_3genE0ELNS1_11target_archE4294967295ELNS1_3gpuE0ELNS1_3repE0EEENS1_30default_config_static_selectorELNS0_4arch9wavefront6targetE0EEEvT1_.uses_flat_scratch, 0
	.set _ZN7rocprim17ROCPRIM_400000_NS6detail17trampoline_kernelINS0_14default_configENS1_33run_length_encode_config_selectorIjjNS0_4plusIjEEEEZZNS1_33reduce_by_key_impl_wrapped_configILNS1_25lookback_scan_determinismE0ES3_S7_PKjNS0_17constant_iteratorIjlEEPjPlSF_S6_NS0_8equal_toIjEEEE10hipError_tPvRmT2_T3_mT4_T5_T6_T7_T8_P12ihipStream_tbENKUlT_T0_E_clISt17integral_constantIbLb0EESY_IbLb1EEEEDaSU_SV_EUlSU_E_NS1_11comp_targetILNS1_3genE0ELNS1_11target_archE4294967295ELNS1_3gpuE0ELNS1_3repE0EEENS1_30default_config_static_selectorELNS0_4arch9wavefront6targetE0EEEvT1_.has_dyn_sized_stack, 0
	.set _ZN7rocprim17ROCPRIM_400000_NS6detail17trampoline_kernelINS0_14default_configENS1_33run_length_encode_config_selectorIjjNS0_4plusIjEEEEZZNS1_33reduce_by_key_impl_wrapped_configILNS1_25lookback_scan_determinismE0ES3_S7_PKjNS0_17constant_iteratorIjlEEPjPlSF_S6_NS0_8equal_toIjEEEE10hipError_tPvRmT2_T3_mT4_T5_T6_T7_T8_P12ihipStream_tbENKUlT_T0_E_clISt17integral_constantIbLb0EESY_IbLb1EEEEDaSU_SV_EUlSU_E_NS1_11comp_targetILNS1_3genE0ELNS1_11target_archE4294967295ELNS1_3gpuE0ELNS1_3repE0EEENS1_30default_config_static_selectorELNS0_4arch9wavefront6targetE0EEEvT1_.has_recursion, 0
	.set _ZN7rocprim17ROCPRIM_400000_NS6detail17trampoline_kernelINS0_14default_configENS1_33run_length_encode_config_selectorIjjNS0_4plusIjEEEEZZNS1_33reduce_by_key_impl_wrapped_configILNS1_25lookback_scan_determinismE0ES3_S7_PKjNS0_17constant_iteratorIjlEEPjPlSF_S6_NS0_8equal_toIjEEEE10hipError_tPvRmT2_T3_mT4_T5_T6_T7_T8_P12ihipStream_tbENKUlT_T0_E_clISt17integral_constantIbLb0EESY_IbLb1EEEEDaSU_SV_EUlSU_E_NS1_11comp_targetILNS1_3genE0ELNS1_11target_archE4294967295ELNS1_3gpuE0ELNS1_3repE0EEENS1_30default_config_static_selectorELNS0_4arch9wavefront6targetE0EEEvT1_.has_indirect_call, 0
	.section	.AMDGPU.csdata,"",@progbits
; Kernel info:
; codeLenInByte = 15136
; TotalNumSgprs: 45
; NumVgprs: 102
; ScratchSize: 0
; MemoryBound: 0
; FloatMode: 240
; IeeeMode: 1
; LDSByteSize: 14336 bytes/workgroup (compile time only)
; SGPRBlocks: 0
; VGPRBlocks: 6
; NumSGPRsForWavesPerEU: 45
; NumVGPRsForWavesPerEU: 102
; NamedBarCnt: 0
; Occupancy: 9
; WaveLimiterHint : 1
; COMPUTE_PGM_RSRC2:SCRATCH_EN: 0
; COMPUTE_PGM_RSRC2:USER_SGPR: 2
; COMPUTE_PGM_RSRC2:TRAP_HANDLER: 0
; COMPUTE_PGM_RSRC2:TGID_X_EN: 1
; COMPUTE_PGM_RSRC2:TGID_Y_EN: 0
; COMPUTE_PGM_RSRC2:TGID_Z_EN: 0
; COMPUTE_PGM_RSRC2:TIDIG_COMP_CNT: 0
	.section	.text._ZN7rocprim17ROCPRIM_400000_NS6detail17trampoline_kernelINS0_14default_configENS1_33run_length_encode_config_selectorIjjNS0_4plusIjEEEEZZNS1_33reduce_by_key_impl_wrapped_configILNS1_25lookback_scan_determinismE0ES3_S7_PKjNS0_17constant_iteratorIjlEEPjPlSF_S6_NS0_8equal_toIjEEEE10hipError_tPvRmT2_T3_mT4_T5_T6_T7_T8_P12ihipStream_tbENKUlT_T0_E_clISt17integral_constantIbLb0EESY_IbLb1EEEEDaSU_SV_EUlSU_E_NS1_11comp_targetILNS1_3genE5ELNS1_11target_archE942ELNS1_3gpuE9ELNS1_3repE0EEENS1_30default_config_static_selectorELNS0_4arch9wavefront6targetE0EEEvT1_,"axG",@progbits,_ZN7rocprim17ROCPRIM_400000_NS6detail17trampoline_kernelINS0_14default_configENS1_33run_length_encode_config_selectorIjjNS0_4plusIjEEEEZZNS1_33reduce_by_key_impl_wrapped_configILNS1_25lookback_scan_determinismE0ES3_S7_PKjNS0_17constant_iteratorIjlEEPjPlSF_S6_NS0_8equal_toIjEEEE10hipError_tPvRmT2_T3_mT4_T5_T6_T7_T8_P12ihipStream_tbENKUlT_T0_E_clISt17integral_constantIbLb0EESY_IbLb1EEEEDaSU_SV_EUlSU_E_NS1_11comp_targetILNS1_3genE5ELNS1_11target_archE942ELNS1_3gpuE9ELNS1_3repE0EEENS1_30default_config_static_selectorELNS0_4arch9wavefront6targetE0EEEvT1_,comdat
	.protected	_ZN7rocprim17ROCPRIM_400000_NS6detail17trampoline_kernelINS0_14default_configENS1_33run_length_encode_config_selectorIjjNS0_4plusIjEEEEZZNS1_33reduce_by_key_impl_wrapped_configILNS1_25lookback_scan_determinismE0ES3_S7_PKjNS0_17constant_iteratorIjlEEPjPlSF_S6_NS0_8equal_toIjEEEE10hipError_tPvRmT2_T3_mT4_T5_T6_T7_T8_P12ihipStream_tbENKUlT_T0_E_clISt17integral_constantIbLb0EESY_IbLb1EEEEDaSU_SV_EUlSU_E_NS1_11comp_targetILNS1_3genE5ELNS1_11target_archE942ELNS1_3gpuE9ELNS1_3repE0EEENS1_30default_config_static_selectorELNS0_4arch9wavefront6targetE0EEEvT1_ ; -- Begin function _ZN7rocprim17ROCPRIM_400000_NS6detail17trampoline_kernelINS0_14default_configENS1_33run_length_encode_config_selectorIjjNS0_4plusIjEEEEZZNS1_33reduce_by_key_impl_wrapped_configILNS1_25lookback_scan_determinismE0ES3_S7_PKjNS0_17constant_iteratorIjlEEPjPlSF_S6_NS0_8equal_toIjEEEE10hipError_tPvRmT2_T3_mT4_T5_T6_T7_T8_P12ihipStream_tbENKUlT_T0_E_clISt17integral_constantIbLb0EESY_IbLb1EEEEDaSU_SV_EUlSU_E_NS1_11comp_targetILNS1_3genE5ELNS1_11target_archE942ELNS1_3gpuE9ELNS1_3repE0EEENS1_30default_config_static_selectorELNS0_4arch9wavefront6targetE0EEEvT1_
	.globl	_ZN7rocprim17ROCPRIM_400000_NS6detail17trampoline_kernelINS0_14default_configENS1_33run_length_encode_config_selectorIjjNS0_4plusIjEEEEZZNS1_33reduce_by_key_impl_wrapped_configILNS1_25lookback_scan_determinismE0ES3_S7_PKjNS0_17constant_iteratorIjlEEPjPlSF_S6_NS0_8equal_toIjEEEE10hipError_tPvRmT2_T3_mT4_T5_T6_T7_T8_P12ihipStream_tbENKUlT_T0_E_clISt17integral_constantIbLb0EESY_IbLb1EEEEDaSU_SV_EUlSU_E_NS1_11comp_targetILNS1_3genE5ELNS1_11target_archE942ELNS1_3gpuE9ELNS1_3repE0EEENS1_30default_config_static_selectorELNS0_4arch9wavefront6targetE0EEEvT1_
	.p2align	8
	.type	_ZN7rocprim17ROCPRIM_400000_NS6detail17trampoline_kernelINS0_14default_configENS1_33run_length_encode_config_selectorIjjNS0_4plusIjEEEEZZNS1_33reduce_by_key_impl_wrapped_configILNS1_25lookback_scan_determinismE0ES3_S7_PKjNS0_17constant_iteratorIjlEEPjPlSF_S6_NS0_8equal_toIjEEEE10hipError_tPvRmT2_T3_mT4_T5_T6_T7_T8_P12ihipStream_tbENKUlT_T0_E_clISt17integral_constantIbLb0EESY_IbLb1EEEEDaSU_SV_EUlSU_E_NS1_11comp_targetILNS1_3genE5ELNS1_11target_archE942ELNS1_3gpuE9ELNS1_3repE0EEENS1_30default_config_static_selectorELNS0_4arch9wavefront6targetE0EEEvT1_,@function
_ZN7rocprim17ROCPRIM_400000_NS6detail17trampoline_kernelINS0_14default_configENS1_33run_length_encode_config_selectorIjjNS0_4plusIjEEEEZZNS1_33reduce_by_key_impl_wrapped_configILNS1_25lookback_scan_determinismE0ES3_S7_PKjNS0_17constant_iteratorIjlEEPjPlSF_S6_NS0_8equal_toIjEEEE10hipError_tPvRmT2_T3_mT4_T5_T6_T7_T8_P12ihipStream_tbENKUlT_T0_E_clISt17integral_constantIbLb0EESY_IbLb1EEEEDaSU_SV_EUlSU_E_NS1_11comp_targetILNS1_3genE5ELNS1_11target_archE942ELNS1_3gpuE9ELNS1_3repE0EEENS1_30default_config_static_selectorELNS0_4arch9wavefront6targetE0EEEvT1_: ; @_ZN7rocprim17ROCPRIM_400000_NS6detail17trampoline_kernelINS0_14default_configENS1_33run_length_encode_config_selectorIjjNS0_4plusIjEEEEZZNS1_33reduce_by_key_impl_wrapped_configILNS1_25lookback_scan_determinismE0ES3_S7_PKjNS0_17constant_iteratorIjlEEPjPlSF_S6_NS0_8equal_toIjEEEE10hipError_tPvRmT2_T3_mT4_T5_T6_T7_T8_P12ihipStream_tbENKUlT_T0_E_clISt17integral_constantIbLb0EESY_IbLb1EEEEDaSU_SV_EUlSU_E_NS1_11comp_targetILNS1_3genE5ELNS1_11target_archE942ELNS1_3gpuE9ELNS1_3repE0EEENS1_30default_config_static_selectorELNS0_4arch9wavefront6targetE0EEEvT1_
; %bb.0:
	.section	.rodata,"a",@progbits
	.p2align	6, 0x0
	.amdhsa_kernel _ZN7rocprim17ROCPRIM_400000_NS6detail17trampoline_kernelINS0_14default_configENS1_33run_length_encode_config_selectorIjjNS0_4plusIjEEEEZZNS1_33reduce_by_key_impl_wrapped_configILNS1_25lookback_scan_determinismE0ES3_S7_PKjNS0_17constant_iteratorIjlEEPjPlSF_S6_NS0_8equal_toIjEEEE10hipError_tPvRmT2_T3_mT4_T5_T6_T7_T8_P12ihipStream_tbENKUlT_T0_E_clISt17integral_constantIbLb0EESY_IbLb1EEEEDaSU_SV_EUlSU_E_NS1_11comp_targetILNS1_3genE5ELNS1_11target_archE942ELNS1_3gpuE9ELNS1_3repE0EEENS1_30default_config_static_selectorELNS0_4arch9wavefront6targetE0EEEvT1_
		.amdhsa_group_segment_fixed_size 0
		.amdhsa_private_segment_fixed_size 0
		.amdhsa_kernarg_size 128
		.amdhsa_user_sgpr_count 2
		.amdhsa_user_sgpr_dispatch_ptr 0
		.amdhsa_user_sgpr_queue_ptr 0
		.amdhsa_user_sgpr_kernarg_segment_ptr 1
		.amdhsa_user_sgpr_dispatch_id 0
		.amdhsa_user_sgpr_kernarg_preload_length 0
		.amdhsa_user_sgpr_kernarg_preload_offset 0
		.amdhsa_user_sgpr_private_segment_size 0
		.amdhsa_wavefront_size32 1
		.amdhsa_uses_dynamic_stack 0
		.amdhsa_enable_private_segment 0
		.amdhsa_system_sgpr_workgroup_id_x 1
		.amdhsa_system_sgpr_workgroup_id_y 0
		.amdhsa_system_sgpr_workgroup_id_z 0
		.amdhsa_system_sgpr_workgroup_info 0
		.amdhsa_system_vgpr_workitem_id 0
		.amdhsa_next_free_vgpr 1
		.amdhsa_next_free_sgpr 1
		.amdhsa_named_barrier_count 0
		.amdhsa_reserve_vcc 0
		.amdhsa_float_round_mode_32 0
		.amdhsa_float_round_mode_16_64 0
		.amdhsa_float_denorm_mode_32 3
		.amdhsa_float_denorm_mode_16_64 3
		.amdhsa_fp16_overflow 0
		.amdhsa_memory_ordered 1
		.amdhsa_forward_progress 1
		.amdhsa_inst_pref_size 0
		.amdhsa_round_robin_scheduling 0
		.amdhsa_exception_fp_ieee_invalid_op 0
		.amdhsa_exception_fp_denorm_src 0
		.amdhsa_exception_fp_ieee_div_zero 0
		.amdhsa_exception_fp_ieee_overflow 0
		.amdhsa_exception_fp_ieee_underflow 0
		.amdhsa_exception_fp_ieee_inexact 0
		.amdhsa_exception_int_div_zero 0
	.end_amdhsa_kernel
	.section	.text._ZN7rocprim17ROCPRIM_400000_NS6detail17trampoline_kernelINS0_14default_configENS1_33run_length_encode_config_selectorIjjNS0_4plusIjEEEEZZNS1_33reduce_by_key_impl_wrapped_configILNS1_25lookback_scan_determinismE0ES3_S7_PKjNS0_17constant_iteratorIjlEEPjPlSF_S6_NS0_8equal_toIjEEEE10hipError_tPvRmT2_T3_mT4_T5_T6_T7_T8_P12ihipStream_tbENKUlT_T0_E_clISt17integral_constantIbLb0EESY_IbLb1EEEEDaSU_SV_EUlSU_E_NS1_11comp_targetILNS1_3genE5ELNS1_11target_archE942ELNS1_3gpuE9ELNS1_3repE0EEENS1_30default_config_static_selectorELNS0_4arch9wavefront6targetE0EEEvT1_,"axG",@progbits,_ZN7rocprim17ROCPRIM_400000_NS6detail17trampoline_kernelINS0_14default_configENS1_33run_length_encode_config_selectorIjjNS0_4plusIjEEEEZZNS1_33reduce_by_key_impl_wrapped_configILNS1_25lookback_scan_determinismE0ES3_S7_PKjNS0_17constant_iteratorIjlEEPjPlSF_S6_NS0_8equal_toIjEEEE10hipError_tPvRmT2_T3_mT4_T5_T6_T7_T8_P12ihipStream_tbENKUlT_T0_E_clISt17integral_constantIbLb0EESY_IbLb1EEEEDaSU_SV_EUlSU_E_NS1_11comp_targetILNS1_3genE5ELNS1_11target_archE942ELNS1_3gpuE9ELNS1_3repE0EEENS1_30default_config_static_selectorELNS0_4arch9wavefront6targetE0EEEvT1_,comdat
.Lfunc_end677:
	.size	_ZN7rocprim17ROCPRIM_400000_NS6detail17trampoline_kernelINS0_14default_configENS1_33run_length_encode_config_selectorIjjNS0_4plusIjEEEEZZNS1_33reduce_by_key_impl_wrapped_configILNS1_25lookback_scan_determinismE0ES3_S7_PKjNS0_17constant_iteratorIjlEEPjPlSF_S6_NS0_8equal_toIjEEEE10hipError_tPvRmT2_T3_mT4_T5_T6_T7_T8_P12ihipStream_tbENKUlT_T0_E_clISt17integral_constantIbLb0EESY_IbLb1EEEEDaSU_SV_EUlSU_E_NS1_11comp_targetILNS1_3genE5ELNS1_11target_archE942ELNS1_3gpuE9ELNS1_3repE0EEENS1_30default_config_static_selectorELNS0_4arch9wavefront6targetE0EEEvT1_, .Lfunc_end677-_ZN7rocprim17ROCPRIM_400000_NS6detail17trampoline_kernelINS0_14default_configENS1_33run_length_encode_config_selectorIjjNS0_4plusIjEEEEZZNS1_33reduce_by_key_impl_wrapped_configILNS1_25lookback_scan_determinismE0ES3_S7_PKjNS0_17constant_iteratorIjlEEPjPlSF_S6_NS0_8equal_toIjEEEE10hipError_tPvRmT2_T3_mT4_T5_T6_T7_T8_P12ihipStream_tbENKUlT_T0_E_clISt17integral_constantIbLb0EESY_IbLb1EEEEDaSU_SV_EUlSU_E_NS1_11comp_targetILNS1_3genE5ELNS1_11target_archE942ELNS1_3gpuE9ELNS1_3repE0EEENS1_30default_config_static_selectorELNS0_4arch9wavefront6targetE0EEEvT1_
                                        ; -- End function
	.set _ZN7rocprim17ROCPRIM_400000_NS6detail17trampoline_kernelINS0_14default_configENS1_33run_length_encode_config_selectorIjjNS0_4plusIjEEEEZZNS1_33reduce_by_key_impl_wrapped_configILNS1_25lookback_scan_determinismE0ES3_S7_PKjNS0_17constant_iteratorIjlEEPjPlSF_S6_NS0_8equal_toIjEEEE10hipError_tPvRmT2_T3_mT4_T5_T6_T7_T8_P12ihipStream_tbENKUlT_T0_E_clISt17integral_constantIbLb0EESY_IbLb1EEEEDaSU_SV_EUlSU_E_NS1_11comp_targetILNS1_3genE5ELNS1_11target_archE942ELNS1_3gpuE9ELNS1_3repE0EEENS1_30default_config_static_selectorELNS0_4arch9wavefront6targetE0EEEvT1_.num_vgpr, 0
	.set _ZN7rocprim17ROCPRIM_400000_NS6detail17trampoline_kernelINS0_14default_configENS1_33run_length_encode_config_selectorIjjNS0_4plusIjEEEEZZNS1_33reduce_by_key_impl_wrapped_configILNS1_25lookback_scan_determinismE0ES3_S7_PKjNS0_17constant_iteratorIjlEEPjPlSF_S6_NS0_8equal_toIjEEEE10hipError_tPvRmT2_T3_mT4_T5_T6_T7_T8_P12ihipStream_tbENKUlT_T0_E_clISt17integral_constantIbLb0EESY_IbLb1EEEEDaSU_SV_EUlSU_E_NS1_11comp_targetILNS1_3genE5ELNS1_11target_archE942ELNS1_3gpuE9ELNS1_3repE0EEENS1_30default_config_static_selectorELNS0_4arch9wavefront6targetE0EEEvT1_.num_agpr, 0
	.set _ZN7rocprim17ROCPRIM_400000_NS6detail17trampoline_kernelINS0_14default_configENS1_33run_length_encode_config_selectorIjjNS0_4plusIjEEEEZZNS1_33reduce_by_key_impl_wrapped_configILNS1_25lookback_scan_determinismE0ES3_S7_PKjNS0_17constant_iteratorIjlEEPjPlSF_S6_NS0_8equal_toIjEEEE10hipError_tPvRmT2_T3_mT4_T5_T6_T7_T8_P12ihipStream_tbENKUlT_T0_E_clISt17integral_constantIbLb0EESY_IbLb1EEEEDaSU_SV_EUlSU_E_NS1_11comp_targetILNS1_3genE5ELNS1_11target_archE942ELNS1_3gpuE9ELNS1_3repE0EEENS1_30default_config_static_selectorELNS0_4arch9wavefront6targetE0EEEvT1_.numbered_sgpr, 0
	.set _ZN7rocprim17ROCPRIM_400000_NS6detail17trampoline_kernelINS0_14default_configENS1_33run_length_encode_config_selectorIjjNS0_4plusIjEEEEZZNS1_33reduce_by_key_impl_wrapped_configILNS1_25lookback_scan_determinismE0ES3_S7_PKjNS0_17constant_iteratorIjlEEPjPlSF_S6_NS0_8equal_toIjEEEE10hipError_tPvRmT2_T3_mT4_T5_T6_T7_T8_P12ihipStream_tbENKUlT_T0_E_clISt17integral_constantIbLb0EESY_IbLb1EEEEDaSU_SV_EUlSU_E_NS1_11comp_targetILNS1_3genE5ELNS1_11target_archE942ELNS1_3gpuE9ELNS1_3repE0EEENS1_30default_config_static_selectorELNS0_4arch9wavefront6targetE0EEEvT1_.num_named_barrier, 0
	.set _ZN7rocprim17ROCPRIM_400000_NS6detail17trampoline_kernelINS0_14default_configENS1_33run_length_encode_config_selectorIjjNS0_4plusIjEEEEZZNS1_33reduce_by_key_impl_wrapped_configILNS1_25lookback_scan_determinismE0ES3_S7_PKjNS0_17constant_iteratorIjlEEPjPlSF_S6_NS0_8equal_toIjEEEE10hipError_tPvRmT2_T3_mT4_T5_T6_T7_T8_P12ihipStream_tbENKUlT_T0_E_clISt17integral_constantIbLb0EESY_IbLb1EEEEDaSU_SV_EUlSU_E_NS1_11comp_targetILNS1_3genE5ELNS1_11target_archE942ELNS1_3gpuE9ELNS1_3repE0EEENS1_30default_config_static_selectorELNS0_4arch9wavefront6targetE0EEEvT1_.private_seg_size, 0
	.set _ZN7rocprim17ROCPRIM_400000_NS6detail17trampoline_kernelINS0_14default_configENS1_33run_length_encode_config_selectorIjjNS0_4plusIjEEEEZZNS1_33reduce_by_key_impl_wrapped_configILNS1_25lookback_scan_determinismE0ES3_S7_PKjNS0_17constant_iteratorIjlEEPjPlSF_S6_NS0_8equal_toIjEEEE10hipError_tPvRmT2_T3_mT4_T5_T6_T7_T8_P12ihipStream_tbENKUlT_T0_E_clISt17integral_constantIbLb0EESY_IbLb1EEEEDaSU_SV_EUlSU_E_NS1_11comp_targetILNS1_3genE5ELNS1_11target_archE942ELNS1_3gpuE9ELNS1_3repE0EEENS1_30default_config_static_selectorELNS0_4arch9wavefront6targetE0EEEvT1_.uses_vcc, 0
	.set _ZN7rocprim17ROCPRIM_400000_NS6detail17trampoline_kernelINS0_14default_configENS1_33run_length_encode_config_selectorIjjNS0_4plusIjEEEEZZNS1_33reduce_by_key_impl_wrapped_configILNS1_25lookback_scan_determinismE0ES3_S7_PKjNS0_17constant_iteratorIjlEEPjPlSF_S6_NS0_8equal_toIjEEEE10hipError_tPvRmT2_T3_mT4_T5_T6_T7_T8_P12ihipStream_tbENKUlT_T0_E_clISt17integral_constantIbLb0EESY_IbLb1EEEEDaSU_SV_EUlSU_E_NS1_11comp_targetILNS1_3genE5ELNS1_11target_archE942ELNS1_3gpuE9ELNS1_3repE0EEENS1_30default_config_static_selectorELNS0_4arch9wavefront6targetE0EEEvT1_.uses_flat_scratch, 0
	.set _ZN7rocprim17ROCPRIM_400000_NS6detail17trampoline_kernelINS0_14default_configENS1_33run_length_encode_config_selectorIjjNS0_4plusIjEEEEZZNS1_33reduce_by_key_impl_wrapped_configILNS1_25lookback_scan_determinismE0ES3_S7_PKjNS0_17constant_iteratorIjlEEPjPlSF_S6_NS0_8equal_toIjEEEE10hipError_tPvRmT2_T3_mT4_T5_T6_T7_T8_P12ihipStream_tbENKUlT_T0_E_clISt17integral_constantIbLb0EESY_IbLb1EEEEDaSU_SV_EUlSU_E_NS1_11comp_targetILNS1_3genE5ELNS1_11target_archE942ELNS1_3gpuE9ELNS1_3repE0EEENS1_30default_config_static_selectorELNS0_4arch9wavefront6targetE0EEEvT1_.has_dyn_sized_stack, 0
	.set _ZN7rocprim17ROCPRIM_400000_NS6detail17trampoline_kernelINS0_14default_configENS1_33run_length_encode_config_selectorIjjNS0_4plusIjEEEEZZNS1_33reduce_by_key_impl_wrapped_configILNS1_25lookback_scan_determinismE0ES3_S7_PKjNS0_17constant_iteratorIjlEEPjPlSF_S6_NS0_8equal_toIjEEEE10hipError_tPvRmT2_T3_mT4_T5_T6_T7_T8_P12ihipStream_tbENKUlT_T0_E_clISt17integral_constantIbLb0EESY_IbLb1EEEEDaSU_SV_EUlSU_E_NS1_11comp_targetILNS1_3genE5ELNS1_11target_archE942ELNS1_3gpuE9ELNS1_3repE0EEENS1_30default_config_static_selectorELNS0_4arch9wavefront6targetE0EEEvT1_.has_recursion, 0
	.set _ZN7rocprim17ROCPRIM_400000_NS6detail17trampoline_kernelINS0_14default_configENS1_33run_length_encode_config_selectorIjjNS0_4plusIjEEEEZZNS1_33reduce_by_key_impl_wrapped_configILNS1_25lookback_scan_determinismE0ES3_S7_PKjNS0_17constant_iteratorIjlEEPjPlSF_S6_NS0_8equal_toIjEEEE10hipError_tPvRmT2_T3_mT4_T5_T6_T7_T8_P12ihipStream_tbENKUlT_T0_E_clISt17integral_constantIbLb0EESY_IbLb1EEEEDaSU_SV_EUlSU_E_NS1_11comp_targetILNS1_3genE5ELNS1_11target_archE942ELNS1_3gpuE9ELNS1_3repE0EEENS1_30default_config_static_selectorELNS0_4arch9wavefront6targetE0EEEvT1_.has_indirect_call, 0
	.section	.AMDGPU.csdata,"",@progbits
; Kernel info:
; codeLenInByte = 0
; TotalNumSgprs: 0
; NumVgprs: 0
; ScratchSize: 0
; MemoryBound: 0
; FloatMode: 240
; IeeeMode: 1
; LDSByteSize: 0 bytes/workgroup (compile time only)
; SGPRBlocks: 0
; VGPRBlocks: 0
; NumSGPRsForWavesPerEU: 1
; NumVGPRsForWavesPerEU: 1
; NamedBarCnt: 0
; Occupancy: 16
; WaveLimiterHint : 0
; COMPUTE_PGM_RSRC2:SCRATCH_EN: 0
; COMPUTE_PGM_RSRC2:USER_SGPR: 2
; COMPUTE_PGM_RSRC2:TRAP_HANDLER: 0
; COMPUTE_PGM_RSRC2:TGID_X_EN: 1
; COMPUTE_PGM_RSRC2:TGID_Y_EN: 0
; COMPUTE_PGM_RSRC2:TGID_Z_EN: 0
; COMPUTE_PGM_RSRC2:TIDIG_COMP_CNT: 0
	.section	.text._ZN7rocprim17ROCPRIM_400000_NS6detail17trampoline_kernelINS0_14default_configENS1_33run_length_encode_config_selectorIjjNS0_4plusIjEEEEZZNS1_33reduce_by_key_impl_wrapped_configILNS1_25lookback_scan_determinismE0ES3_S7_PKjNS0_17constant_iteratorIjlEEPjPlSF_S6_NS0_8equal_toIjEEEE10hipError_tPvRmT2_T3_mT4_T5_T6_T7_T8_P12ihipStream_tbENKUlT_T0_E_clISt17integral_constantIbLb0EESY_IbLb1EEEEDaSU_SV_EUlSU_E_NS1_11comp_targetILNS1_3genE4ELNS1_11target_archE910ELNS1_3gpuE8ELNS1_3repE0EEENS1_30default_config_static_selectorELNS0_4arch9wavefront6targetE0EEEvT1_,"axG",@progbits,_ZN7rocprim17ROCPRIM_400000_NS6detail17trampoline_kernelINS0_14default_configENS1_33run_length_encode_config_selectorIjjNS0_4plusIjEEEEZZNS1_33reduce_by_key_impl_wrapped_configILNS1_25lookback_scan_determinismE0ES3_S7_PKjNS0_17constant_iteratorIjlEEPjPlSF_S6_NS0_8equal_toIjEEEE10hipError_tPvRmT2_T3_mT4_T5_T6_T7_T8_P12ihipStream_tbENKUlT_T0_E_clISt17integral_constantIbLb0EESY_IbLb1EEEEDaSU_SV_EUlSU_E_NS1_11comp_targetILNS1_3genE4ELNS1_11target_archE910ELNS1_3gpuE8ELNS1_3repE0EEENS1_30default_config_static_selectorELNS0_4arch9wavefront6targetE0EEEvT1_,comdat
	.protected	_ZN7rocprim17ROCPRIM_400000_NS6detail17trampoline_kernelINS0_14default_configENS1_33run_length_encode_config_selectorIjjNS0_4plusIjEEEEZZNS1_33reduce_by_key_impl_wrapped_configILNS1_25lookback_scan_determinismE0ES3_S7_PKjNS0_17constant_iteratorIjlEEPjPlSF_S6_NS0_8equal_toIjEEEE10hipError_tPvRmT2_T3_mT4_T5_T6_T7_T8_P12ihipStream_tbENKUlT_T0_E_clISt17integral_constantIbLb0EESY_IbLb1EEEEDaSU_SV_EUlSU_E_NS1_11comp_targetILNS1_3genE4ELNS1_11target_archE910ELNS1_3gpuE8ELNS1_3repE0EEENS1_30default_config_static_selectorELNS0_4arch9wavefront6targetE0EEEvT1_ ; -- Begin function _ZN7rocprim17ROCPRIM_400000_NS6detail17trampoline_kernelINS0_14default_configENS1_33run_length_encode_config_selectorIjjNS0_4plusIjEEEEZZNS1_33reduce_by_key_impl_wrapped_configILNS1_25lookback_scan_determinismE0ES3_S7_PKjNS0_17constant_iteratorIjlEEPjPlSF_S6_NS0_8equal_toIjEEEE10hipError_tPvRmT2_T3_mT4_T5_T6_T7_T8_P12ihipStream_tbENKUlT_T0_E_clISt17integral_constantIbLb0EESY_IbLb1EEEEDaSU_SV_EUlSU_E_NS1_11comp_targetILNS1_3genE4ELNS1_11target_archE910ELNS1_3gpuE8ELNS1_3repE0EEENS1_30default_config_static_selectorELNS0_4arch9wavefront6targetE0EEEvT1_
	.globl	_ZN7rocprim17ROCPRIM_400000_NS6detail17trampoline_kernelINS0_14default_configENS1_33run_length_encode_config_selectorIjjNS0_4plusIjEEEEZZNS1_33reduce_by_key_impl_wrapped_configILNS1_25lookback_scan_determinismE0ES3_S7_PKjNS0_17constant_iteratorIjlEEPjPlSF_S6_NS0_8equal_toIjEEEE10hipError_tPvRmT2_T3_mT4_T5_T6_T7_T8_P12ihipStream_tbENKUlT_T0_E_clISt17integral_constantIbLb0EESY_IbLb1EEEEDaSU_SV_EUlSU_E_NS1_11comp_targetILNS1_3genE4ELNS1_11target_archE910ELNS1_3gpuE8ELNS1_3repE0EEENS1_30default_config_static_selectorELNS0_4arch9wavefront6targetE0EEEvT1_
	.p2align	8
	.type	_ZN7rocprim17ROCPRIM_400000_NS6detail17trampoline_kernelINS0_14default_configENS1_33run_length_encode_config_selectorIjjNS0_4plusIjEEEEZZNS1_33reduce_by_key_impl_wrapped_configILNS1_25lookback_scan_determinismE0ES3_S7_PKjNS0_17constant_iteratorIjlEEPjPlSF_S6_NS0_8equal_toIjEEEE10hipError_tPvRmT2_T3_mT4_T5_T6_T7_T8_P12ihipStream_tbENKUlT_T0_E_clISt17integral_constantIbLb0EESY_IbLb1EEEEDaSU_SV_EUlSU_E_NS1_11comp_targetILNS1_3genE4ELNS1_11target_archE910ELNS1_3gpuE8ELNS1_3repE0EEENS1_30default_config_static_selectorELNS0_4arch9wavefront6targetE0EEEvT1_,@function
_ZN7rocprim17ROCPRIM_400000_NS6detail17trampoline_kernelINS0_14default_configENS1_33run_length_encode_config_selectorIjjNS0_4plusIjEEEEZZNS1_33reduce_by_key_impl_wrapped_configILNS1_25lookback_scan_determinismE0ES3_S7_PKjNS0_17constant_iteratorIjlEEPjPlSF_S6_NS0_8equal_toIjEEEE10hipError_tPvRmT2_T3_mT4_T5_T6_T7_T8_P12ihipStream_tbENKUlT_T0_E_clISt17integral_constantIbLb0EESY_IbLb1EEEEDaSU_SV_EUlSU_E_NS1_11comp_targetILNS1_3genE4ELNS1_11target_archE910ELNS1_3gpuE8ELNS1_3repE0EEENS1_30default_config_static_selectorELNS0_4arch9wavefront6targetE0EEEvT1_: ; @_ZN7rocprim17ROCPRIM_400000_NS6detail17trampoline_kernelINS0_14default_configENS1_33run_length_encode_config_selectorIjjNS0_4plusIjEEEEZZNS1_33reduce_by_key_impl_wrapped_configILNS1_25lookback_scan_determinismE0ES3_S7_PKjNS0_17constant_iteratorIjlEEPjPlSF_S6_NS0_8equal_toIjEEEE10hipError_tPvRmT2_T3_mT4_T5_T6_T7_T8_P12ihipStream_tbENKUlT_T0_E_clISt17integral_constantIbLb0EESY_IbLb1EEEEDaSU_SV_EUlSU_E_NS1_11comp_targetILNS1_3genE4ELNS1_11target_archE910ELNS1_3gpuE8ELNS1_3repE0EEENS1_30default_config_static_selectorELNS0_4arch9wavefront6targetE0EEEvT1_
; %bb.0:
	.section	.rodata,"a",@progbits
	.p2align	6, 0x0
	.amdhsa_kernel _ZN7rocprim17ROCPRIM_400000_NS6detail17trampoline_kernelINS0_14default_configENS1_33run_length_encode_config_selectorIjjNS0_4plusIjEEEEZZNS1_33reduce_by_key_impl_wrapped_configILNS1_25lookback_scan_determinismE0ES3_S7_PKjNS0_17constant_iteratorIjlEEPjPlSF_S6_NS0_8equal_toIjEEEE10hipError_tPvRmT2_T3_mT4_T5_T6_T7_T8_P12ihipStream_tbENKUlT_T0_E_clISt17integral_constantIbLb0EESY_IbLb1EEEEDaSU_SV_EUlSU_E_NS1_11comp_targetILNS1_3genE4ELNS1_11target_archE910ELNS1_3gpuE8ELNS1_3repE0EEENS1_30default_config_static_selectorELNS0_4arch9wavefront6targetE0EEEvT1_
		.amdhsa_group_segment_fixed_size 0
		.amdhsa_private_segment_fixed_size 0
		.amdhsa_kernarg_size 128
		.amdhsa_user_sgpr_count 2
		.amdhsa_user_sgpr_dispatch_ptr 0
		.amdhsa_user_sgpr_queue_ptr 0
		.amdhsa_user_sgpr_kernarg_segment_ptr 1
		.amdhsa_user_sgpr_dispatch_id 0
		.amdhsa_user_sgpr_kernarg_preload_length 0
		.amdhsa_user_sgpr_kernarg_preload_offset 0
		.amdhsa_user_sgpr_private_segment_size 0
		.amdhsa_wavefront_size32 1
		.amdhsa_uses_dynamic_stack 0
		.amdhsa_enable_private_segment 0
		.amdhsa_system_sgpr_workgroup_id_x 1
		.amdhsa_system_sgpr_workgroup_id_y 0
		.amdhsa_system_sgpr_workgroup_id_z 0
		.amdhsa_system_sgpr_workgroup_info 0
		.amdhsa_system_vgpr_workitem_id 0
		.amdhsa_next_free_vgpr 1
		.amdhsa_next_free_sgpr 1
		.amdhsa_named_barrier_count 0
		.amdhsa_reserve_vcc 0
		.amdhsa_float_round_mode_32 0
		.amdhsa_float_round_mode_16_64 0
		.amdhsa_float_denorm_mode_32 3
		.amdhsa_float_denorm_mode_16_64 3
		.amdhsa_fp16_overflow 0
		.amdhsa_memory_ordered 1
		.amdhsa_forward_progress 1
		.amdhsa_inst_pref_size 0
		.amdhsa_round_robin_scheduling 0
		.amdhsa_exception_fp_ieee_invalid_op 0
		.amdhsa_exception_fp_denorm_src 0
		.amdhsa_exception_fp_ieee_div_zero 0
		.amdhsa_exception_fp_ieee_overflow 0
		.amdhsa_exception_fp_ieee_underflow 0
		.amdhsa_exception_fp_ieee_inexact 0
		.amdhsa_exception_int_div_zero 0
	.end_amdhsa_kernel
	.section	.text._ZN7rocprim17ROCPRIM_400000_NS6detail17trampoline_kernelINS0_14default_configENS1_33run_length_encode_config_selectorIjjNS0_4plusIjEEEEZZNS1_33reduce_by_key_impl_wrapped_configILNS1_25lookback_scan_determinismE0ES3_S7_PKjNS0_17constant_iteratorIjlEEPjPlSF_S6_NS0_8equal_toIjEEEE10hipError_tPvRmT2_T3_mT4_T5_T6_T7_T8_P12ihipStream_tbENKUlT_T0_E_clISt17integral_constantIbLb0EESY_IbLb1EEEEDaSU_SV_EUlSU_E_NS1_11comp_targetILNS1_3genE4ELNS1_11target_archE910ELNS1_3gpuE8ELNS1_3repE0EEENS1_30default_config_static_selectorELNS0_4arch9wavefront6targetE0EEEvT1_,"axG",@progbits,_ZN7rocprim17ROCPRIM_400000_NS6detail17trampoline_kernelINS0_14default_configENS1_33run_length_encode_config_selectorIjjNS0_4plusIjEEEEZZNS1_33reduce_by_key_impl_wrapped_configILNS1_25lookback_scan_determinismE0ES3_S7_PKjNS0_17constant_iteratorIjlEEPjPlSF_S6_NS0_8equal_toIjEEEE10hipError_tPvRmT2_T3_mT4_T5_T6_T7_T8_P12ihipStream_tbENKUlT_T0_E_clISt17integral_constantIbLb0EESY_IbLb1EEEEDaSU_SV_EUlSU_E_NS1_11comp_targetILNS1_3genE4ELNS1_11target_archE910ELNS1_3gpuE8ELNS1_3repE0EEENS1_30default_config_static_selectorELNS0_4arch9wavefront6targetE0EEEvT1_,comdat
.Lfunc_end678:
	.size	_ZN7rocprim17ROCPRIM_400000_NS6detail17trampoline_kernelINS0_14default_configENS1_33run_length_encode_config_selectorIjjNS0_4plusIjEEEEZZNS1_33reduce_by_key_impl_wrapped_configILNS1_25lookback_scan_determinismE0ES3_S7_PKjNS0_17constant_iteratorIjlEEPjPlSF_S6_NS0_8equal_toIjEEEE10hipError_tPvRmT2_T3_mT4_T5_T6_T7_T8_P12ihipStream_tbENKUlT_T0_E_clISt17integral_constantIbLb0EESY_IbLb1EEEEDaSU_SV_EUlSU_E_NS1_11comp_targetILNS1_3genE4ELNS1_11target_archE910ELNS1_3gpuE8ELNS1_3repE0EEENS1_30default_config_static_selectorELNS0_4arch9wavefront6targetE0EEEvT1_, .Lfunc_end678-_ZN7rocprim17ROCPRIM_400000_NS6detail17trampoline_kernelINS0_14default_configENS1_33run_length_encode_config_selectorIjjNS0_4plusIjEEEEZZNS1_33reduce_by_key_impl_wrapped_configILNS1_25lookback_scan_determinismE0ES3_S7_PKjNS0_17constant_iteratorIjlEEPjPlSF_S6_NS0_8equal_toIjEEEE10hipError_tPvRmT2_T3_mT4_T5_T6_T7_T8_P12ihipStream_tbENKUlT_T0_E_clISt17integral_constantIbLb0EESY_IbLb1EEEEDaSU_SV_EUlSU_E_NS1_11comp_targetILNS1_3genE4ELNS1_11target_archE910ELNS1_3gpuE8ELNS1_3repE0EEENS1_30default_config_static_selectorELNS0_4arch9wavefront6targetE0EEEvT1_
                                        ; -- End function
	.set _ZN7rocprim17ROCPRIM_400000_NS6detail17trampoline_kernelINS0_14default_configENS1_33run_length_encode_config_selectorIjjNS0_4plusIjEEEEZZNS1_33reduce_by_key_impl_wrapped_configILNS1_25lookback_scan_determinismE0ES3_S7_PKjNS0_17constant_iteratorIjlEEPjPlSF_S6_NS0_8equal_toIjEEEE10hipError_tPvRmT2_T3_mT4_T5_T6_T7_T8_P12ihipStream_tbENKUlT_T0_E_clISt17integral_constantIbLb0EESY_IbLb1EEEEDaSU_SV_EUlSU_E_NS1_11comp_targetILNS1_3genE4ELNS1_11target_archE910ELNS1_3gpuE8ELNS1_3repE0EEENS1_30default_config_static_selectorELNS0_4arch9wavefront6targetE0EEEvT1_.num_vgpr, 0
	.set _ZN7rocprim17ROCPRIM_400000_NS6detail17trampoline_kernelINS0_14default_configENS1_33run_length_encode_config_selectorIjjNS0_4plusIjEEEEZZNS1_33reduce_by_key_impl_wrapped_configILNS1_25lookback_scan_determinismE0ES3_S7_PKjNS0_17constant_iteratorIjlEEPjPlSF_S6_NS0_8equal_toIjEEEE10hipError_tPvRmT2_T3_mT4_T5_T6_T7_T8_P12ihipStream_tbENKUlT_T0_E_clISt17integral_constantIbLb0EESY_IbLb1EEEEDaSU_SV_EUlSU_E_NS1_11comp_targetILNS1_3genE4ELNS1_11target_archE910ELNS1_3gpuE8ELNS1_3repE0EEENS1_30default_config_static_selectorELNS0_4arch9wavefront6targetE0EEEvT1_.num_agpr, 0
	.set _ZN7rocprim17ROCPRIM_400000_NS6detail17trampoline_kernelINS0_14default_configENS1_33run_length_encode_config_selectorIjjNS0_4plusIjEEEEZZNS1_33reduce_by_key_impl_wrapped_configILNS1_25lookback_scan_determinismE0ES3_S7_PKjNS0_17constant_iteratorIjlEEPjPlSF_S6_NS0_8equal_toIjEEEE10hipError_tPvRmT2_T3_mT4_T5_T6_T7_T8_P12ihipStream_tbENKUlT_T0_E_clISt17integral_constantIbLb0EESY_IbLb1EEEEDaSU_SV_EUlSU_E_NS1_11comp_targetILNS1_3genE4ELNS1_11target_archE910ELNS1_3gpuE8ELNS1_3repE0EEENS1_30default_config_static_selectorELNS0_4arch9wavefront6targetE0EEEvT1_.numbered_sgpr, 0
	.set _ZN7rocprim17ROCPRIM_400000_NS6detail17trampoline_kernelINS0_14default_configENS1_33run_length_encode_config_selectorIjjNS0_4plusIjEEEEZZNS1_33reduce_by_key_impl_wrapped_configILNS1_25lookback_scan_determinismE0ES3_S7_PKjNS0_17constant_iteratorIjlEEPjPlSF_S6_NS0_8equal_toIjEEEE10hipError_tPvRmT2_T3_mT4_T5_T6_T7_T8_P12ihipStream_tbENKUlT_T0_E_clISt17integral_constantIbLb0EESY_IbLb1EEEEDaSU_SV_EUlSU_E_NS1_11comp_targetILNS1_3genE4ELNS1_11target_archE910ELNS1_3gpuE8ELNS1_3repE0EEENS1_30default_config_static_selectorELNS0_4arch9wavefront6targetE0EEEvT1_.num_named_barrier, 0
	.set _ZN7rocprim17ROCPRIM_400000_NS6detail17trampoline_kernelINS0_14default_configENS1_33run_length_encode_config_selectorIjjNS0_4plusIjEEEEZZNS1_33reduce_by_key_impl_wrapped_configILNS1_25lookback_scan_determinismE0ES3_S7_PKjNS0_17constant_iteratorIjlEEPjPlSF_S6_NS0_8equal_toIjEEEE10hipError_tPvRmT2_T3_mT4_T5_T6_T7_T8_P12ihipStream_tbENKUlT_T0_E_clISt17integral_constantIbLb0EESY_IbLb1EEEEDaSU_SV_EUlSU_E_NS1_11comp_targetILNS1_3genE4ELNS1_11target_archE910ELNS1_3gpuE8ELNS1_3repE0EEENS1_30default_config_static_selectorELNS0_4arch9wavefront6targetE0EEEvT1_.private_seg_size, 0
	.set _ZN7rocprim17ROCPRIM_400000_NS6detail17trampoline_kernelINS0_14default_configENS1_33run_length_encode_config_selectorIjjNS0_4plusIjEEEEZZNS1_33reduce_by_key_impl_wrapped_configILNS1_25lookback_scan_determinismE0ES3_S7_PKjNS0_17constant_iteratorIjlEEPjPlSF_S6_NS0_8equal_toIjEEEE10hipError_tPvRmT2_T3_mT4_T5_T6_T7_T8_P12ihipStream_tbENKUlT_T0_E_clISt17integral_constantIbLb0EESY_IbLb1EEEEDaSU_SV_EUlSU_E_NS1_11comp_targetILNS1_3genE4ELNS1_11target_archE910ELNS1_3gpuE8ELNS1_3repE0EEENS1_30default_config_static_selectorELNS0_4arch9wavefront6targetE0EEEvT1_.uses_vcc, 0
	.set _ZN7rocprim17ROCPRIM_400000_NS6detail17trampoline_kernelINS0_14default_configENS1_33run_length_encode_config_selectorIjjNS0_4plusIjEEEEZZNS1_33reduce_by_key_impl_wrapped_configILNS1_25lookback_scan_determinismE0ES3_S7_PKjNS0_17constant_iteratorIjlEEPjPlSF_S6_NS0_8equal_toIjEEEE10hipError_tPvRmT2_T3_mT4_T5_T6_T7_T8_P12ihipStream_tbENKUlT_T0_E_clISt17integral_constantIbLb0EESY_IbLb1EEEEDaSU_SV_EUlSU_E_NS1_11comp_targetILNS1_3genE4ELNS1_11target_archE910ELNS1_3gpuE8ELNS1_3repE0EEENS1_30default_config_static_selectorELNS0_4arch9wavefront6targetE0EEEvT1_.uses_flat_scratch, 0
	.set _ZN7rocprim17ROCPRIM_400000_NS6detail17trampoline_kernelINS0_14default_configENS1_33run_length_encode_config_selectorIjjNS0_4plusIjEEEEZZNS1_33reduce_by_key_impl_wrapped_configILNS1_25lookback_scan_determinismE0ES3_S7_PKjNS0_17constant_iteratorIjlEEPjPlSF_S6_NS0_8equal_toIjEEEE10hipError_tPvRmT2_T3_mT4_T5_T6_T7_T8_P12ihipStream_tbENKUlT_T0_E_clISt17integral_constantIbLb0EESY_IbLb1EEEEDaSU_SV_EUlSU_E_NS1_11comp_targetILNS1_3genE4ELNS1_11target_archE910ELNS1_3gpuE8ELNS1_3repE0EEENS1_30default_config_static_selectorELNS0_4arch9wavefront6targetE0EEEvT1_.has_dyn_sized_stack, 0
	.set _ZN7rocprim17ROCPRIM_400000_NS6detail17trampoline_kernelINS0_14default_configENS1_33run_length_encode_config_selectorIjjNS0_4plusIjEEEEZZNS1_33reduce_by_key_impl_wrapped_configILNS1_25lookback_scan_determinismE0ES3_S7_PKjNS0_17constant_iteratorIjlEEPjPlSF_S6_NS0_8equal_toIjEEEE10hipError_tPvRmT2_T3_mT4_T5_T6_T7_T8_P12ihipStream_tbENKUlT_T0_E_clISt17integral_constantIbLb0EESY_IbLb1EEEEDaSU_SV_EUlSU_E_NS1_11comp_targetILNS1_3genE4ELNS1_11target_archE910ELNS1_3gpuE8ELNS1_3repE0EEENS1_30default_config_static_selectorELNS0_4arch9wavefront6targetE0EEEvT1_.has_recursion, 0
	.set _ZN7rocprim17ROCPRIM_400000_NS6detail17trampoline_kernelINS0_14default_configENS1_33run_length_encode_config_selectorIjjNS0_4plusIjEEEEZZNS1_33reduce_by_key_impl_wrapped_configILNS1_25lookback_scan_determinismE0ES3_S7_PKjNS0_17constant_iteratorIjlEEPjPlSF_S6_NS0_8equal_toIjEEEE10hipError_tPvRmT2_T3_mT4_T5_T6_T7_T8_P12ihipStream_tbENKUlT_T0_E_clISt17integral_constantIbLb0EESY_IbLb1EEEEDaSU_SV_EUlSU_E_NS1_11comp_targetILNS1_3genE4ELNS1_11target_archE910ELNS1_3gpuE8ELNS1_3repE0EEENS1_30default_config_static_selectorELNS0_4arch9wavefront6targetE0EEEvT1_.has_indirect_call, 0
	.section	.AMDGPU.csdata,"",@progbits
; Kernel info:
; codeLenInByte = 0
; TotalNumSgprs: 0
; NumVgprs: 0
; ScratchSize: 0
; MemoryBound: 0
; FloatMode: 240
; IeeeMode: 1
; LDSByteSize: 0 bytes/workgroup (compile time only)
; SGPRBlocks: 0
; VGPRBlocks: 0
; NumSGPRsForWavesPerEU: 1
; NumVGPRsForWavesPerEU: 1
; NamedBarCnt: 0
; Occupancy: 16
; WaveLimiterHint : 0
; COMPUTE_PGM_RSRC2:SCRATCH_EN: 0
; COMPUTE_PGM_RSRC2:USER_SGPR: 2
; COMPUTE_PGM_RSRC2:TRAP_HANDLER: 0
; COMPUTE_PGM_RSRC2:TGID_X_EN: 1
; COMPUTE_PGM_RSRC2:TGID_Y_EN: 0
; COMPUTE_PGM_RSRC2:TGID_Z_EN: 0
; COMPUTE_PGM_RSRC2:TIDIG_COMP_CNT: 0
	.section	.text._ZN7rocprim17ROCPRIM_400000_NS6detail17trampoline_kernelINS0_14default_configENS1_33run_length_encode_config_selectorIjjNS0_4plusIjEEEEZZNS1_33reduce_by_key_impl_wrapped_configILNS1_25lookback_scan_determinismE0ES3_S7_PKjNS0_17constant_iteratorIjlEEPjPlSF_S6_NS0_8equal_toIjEEEE10hipError_tPvRmT2_T3_mT4_T5_T6_T7_T8_P12ihipStream_tbENKUlT_T0_E_clISt17integral_constantIbLb0EESY_IbLb1EEEEDaSU_SV_EUlSU_E_NS1_11comp_targetILNS1_3genE3ELNS1_11target_archE908ELNS1_3gpuE7ELNS1_3repE0EEENS1_30default_config_static_selectorELNS0_4arch9wavefront6targetE0EEEvT1_,"axG",@progbits,_ZN7rocprim17ROCPRIM_400000_NS6detail17trampoline_kernelINS0_14default_configENS1_33run_length_encode_config_selectorIjjNS0_4plusIjEEEEZZNS1_33reduce_by_key_impl_wrapped_configILNS1_25lookback_scan_determinismE0ES3_S7_PKjNS0_17constant_iteratorIjlEEPjPlSF_S6_NS0_8equal_toIjEEEE10hipError_tPvRmT2_T3_mT4_T5_T6_T7_T8_P12ihipStream_tbENKUlT_T0_E_clISt17integral_constantIbLb0EESY_IbLb1EEEEDaSU_SV_EUlSU_E_NS1_11comp_targetILNS1_3genE3ELNS1_11target_archE908ELNS1_3gpuE7ELNS1_3repE0EEENS1_30default_config_static_selectorELNS0_4arch9wavefront6targetE0EEEvT1_,comdat
	.protected	_ZN7rocprim17ROCPRIM_400000_NS6detail17trampoline_kernelINS0_14default_configENS1_33run_length_encode_config_selectorIjjNS0_4plusIjEEEEZZNS1_33reduce_by_key_impl_wrapped_configILNS1_25lookback_scan_determinismE0ES3_S7_PKjNS0_17constant_iteratorIjlEEPjPlSF_S6_NS0_8equal_toIjEEEE10hipError_tPvRmT2_T3_mT4_T5_T6_T7_T8_P12ihipStream_tbENKUlT_T0_E_clISt17integral_constantIbLb0EESY_IbLb1EEEEDaSU_SV_EUlSU_E_NS1_11comp_targetILNS1_3genE3ELNS1_11target_archE908ELNS1_3gpuE7ELNS1_3repE0EEENS1_30default_config_static_selectorELNS0_4arch9wavefront6targetE0EEEvT1_ ; -- Begin function _ZN7rocprim17ROCPRIM_400000_NS6detail17trampoline_kernelINS0_14default_configENS1_33run_length_encode_config_selectorIjjNS0_4plusIjEEEEZZNS1_33reduce_by_key_impl_wrapped_configILNS1_25lookback_scan_determinismE0ES3_S7_PKjNS0_17constant_iteratorIjlEEPjPlSF_S6_NS0_8equal_toIjEEEE10hipError_tPvRmT2_T3_mT4_T5_T6_T7_T8_P12ihipStream_tbENKUlT_T0_E_clISt17integral_constantIbLb0EESY_IbLb1EEEEDaSU_SV_EUlSU_E_NS1_11comp_targetILNS1_3genE3ELNS1_11target_archE908ELNS1_3gpuE7ELNS1_3repE0EEENS1_30default_config_static_selectorELNS0_4arch9wavefront6targetE0EEEvT1_
	.globl	_ZN7rocprim17ROCPRIM_400000_NS6detail17trampoline_kernelINS0_14default_configENS1_33run_length_encode_config_selectorIjjNS0_4plusIjEEEEZZNS1_33reduce_by_key_impl_wrapped_configILNS1_25lookback_scan_determinismE0ES3_S7_PKjNS0_17constant_iteratorIjlEEPjPlSF_S6_NS0_8equal_toIjEEEE10hipError_tPvRmT2_T3_mT4_T5_T6_T7_T8_P12ihipStream_tbENKUlT_T0_E_clISt17integral_constantIbLb0EESY_IbLb1EEEEDaSU_SV_EUlSU_E_NS1_11comp_targetILNS1_3genE3ELNS1_11target_archE908ELNS1_3gpuE7ELNS1_3repE0EEENS1_30default_config_static_selectorELNS0_4arch9wavefront6targetE0EEEvT1_
	.p2align	8
	.type	_ZN7rocprim17ROCPRIM_400000_NS6detail17trampoline_kernelINS0_14default_configENS1_33run_length_encode_config_selectorIjjNS0_4plusIjEEEEZZNS1_33reduce_by_key_impl_wrapped_configILNS1_25lookback_scan_determinismE0ES3_S7_PKjNS0_17constant_iteratorIjlEEPjPlSF_S6_NS0_8equal_toIjEEEE10hipError_tPvRmT2_T3_mT4_T5_T6_T7_T8_P12ihipStream_tbENKUlT_T0_E_clISt17integral_constantIbLb0EESY_IbLb1EEEEDaSU_SV_EUlSU_E_NS1_11comp_targetILNS1_3genE3ELNS1_11target_archE908ELNS1_3gpuE7ELNS1_3repE0EEENS1_30default_config_static_selectorELNS0_4arch9wavefront6targetE0EEEvT1_,@function
_ZN7rocprim17ROCPRIM_400000_NS6detail17trampoline_kernelINS0_14default_configENS1_33run_length_encode_config_selectorIjjNS0_4plusIjEEEEZZNS1_33reduce_by_key_impl_wrapped_configILNS1_25lookback_scan_determinismE0ES3_S7_PKjNS0_17constant_iteratorIjlEEPjPlSF_S6_NS0_8equal_toIjEEEE10hipError_tPvRmT2_T3_mT4_T5_T6_T7_T8_P12ihipStream_tbENKUlT_T0_E_clISt17integral_constantIbLb0EESY_IbLb1EEEEDaSU_SV_EUlSU_E_NS1_11comp_targetILNS1_3genE3ELNS1_11target_archE908ELNS1_3gpuE7ELNS1_3repE0EEENS1_30default_config_static_selectorELNS0_4arch9wavefront6targetE0EEEvT1_: ; @_ZN7rocprim17ROCPRIM_400000_NS6detail17trampoline_kernelINS0_14default_configENS1_33run_length_encode_config_selectorIjjNS0_4plusIjEEEEZZNS1_33reduce_by_key_impl_wrapped_configILNS1_25lookback_scan_determinismE0ES3_S7_PKjNS0_17constant_iteratorIjlEEPjPlSF_S6_NS0_8equal_toIjEEEE10hipError_tPvRmT2_T3_mT4_T5_T6_T7_T8_P12ihipStream_tbENKUlT_T0_E_clISt17integral_constantIbLb0EESY_IbLb1EEEEDaSU_SV_EUlSU_E_NS1_11comp_targetILNS1_3genE3ELNS1_11target_archE908ELNS1_3gpuE7ELNS1_3repE0EEENS1_30default_config_static_selectorELNS0_4arch9wavefront6targetE0EEEvT1_
; %bb.0:
	.section	.rodata,"a",@progbits
	.p2align	6, 0x0
	.amdhsa_kernel _ZN7rocprim17ROCPRIM_400000_NS6detail17trampoline_kernelINS0_14default_configENS1_33run_length_encode_config_selectorIjjNS0_4plusIjEEEEZZNS1_33reduce_by_key_impl_wrapped_configILNS1_25lookback_scan_determinismE0ES3_S7_PKjNS0_17constant_iteratorIjlEEPjPlSF_S6_NS0_8equal_toIjEEEE10hipError_tPvRmT2_T3_mT4_T5_T6_T7_T8_P12ihipStream_tbENKUlT_T0_E_clISt17integral_constantIbLb0EESY_IbLb1EEEEDaSU_SV_EUlSU_E_NS1_11comp_targetILNS1_3genE3ELNS1_11target_archE908ELNS1_3gpuE7ELNS1_3repE0EEENS1_30default_config_static_selectorELNS0_4arch9wavefront6targetE0EEEvT1_
		.amdhsa_group_segment_fixed_size 0
		.amdhsa_private_segment_fixed_size 0
		.amdhsa_kernarg_size 128
		.amdhsa_user_sgpr_count 2
		.amdhsa_user_sgpr_dispatch_ptr 0
		.amdhsa_user_sgpr_queue_ptr 0
		.amdhsa_user_sgpr_kernarg_segment_ptr 1
		.amdhsa_user_sgpr_dispatch_id 0
		.amdhsa_user_sgpr_kernarg_preload_length 0
		.amdhsa_user_sgpr_kernarg_preload_offset 0
		.amdhsa_user_sgpr_private_segment_size 0
		.amdhsa_wavefront_size32 1
		.amdhsa_uses_dynamic_stack 0
		.amdhsa_enable_private_segment 0
		.amdhsa_system_sgpr_workgroup_id_x 1
		.amdhsa_system_sgpr_workgroup_id_y 0
		.amdhsa_system_sgpr_workgroup_id_z 0
		.amdhsa_system_sgpr_workgroup_info 0
		.amdhsa_system_vgpr_workitem_id 0
		.amdhsa_next_free_vgpr 1
		.amdhsa_next_free_sgpr 1
		.amdhsa_named_barrier_count 0
		.amdhsa_reserve_vcc 0
		.amdhsa_float_round_mode_32 0
		.amdhsa_float_round_mode_16_64 0
		.amdhsa_float_denorm_mode_32 3
		.amdhsa_float_denorm_mode_16_64 3
		.amdhsa_fp16_overflow 0
		.amdhsa_memory_ordered 1
		.amdhsa_forward_progress 1
		.amdhsa_inst_pref_size 0
		.amdhsa_round_robin_scheduling 0
		.amdhsa_exception_fp_ieee_invalid_op 0
		.amdhsa_exception_fp_denorm_src 0
		.amdhsa_exception_fp_ieee_div_zero 0
		.amdhsa_exception_fp_ieee_overflow 0
		.amdhsa_exception_fp_ieee_underflow 0
		.amdhsa_exception_fp_ieee_inexact 0
		.amdhsa_exception_int_div_zero 0
	.end_amdhsa_kernel
	.section	.text._ZN7rocprim17ROCPRIM_400000_NS6detail17trampoline_kernelINS0_14default_configENS1_33run_length_encode_config_selectorIjjNS0_4plusIjEEEEZZNS1_33reduce_by_key_impl_wrapped_configILNS1_25lookback_scan_determinismE0ES3_S7_PKjNS0_17constant_iteratorIjlEEPjPlSF_S6_NS0_8equal_toIjEEEE10hipError_tPvRmT2_T3_mT4_T5_T6_T7_T8_P12ihipStream_tbENKUlT_T0_E_clISt17integral_constantIbLb0EESY_IbLb1EEEEDaSU_SV_EUlSU_E_NS1_11comp_targetILNS1_3genE3ELNS1_11target_archE908ELNS1_3gpuE7ELNS1_3repE0EEENS1_30default_config_static_selectorELNS0_4arch9wavefront6targetE0EEEvT1_,"axG",@progbits,_ZN7rocprim17ROCPRIM_400000_NS6detail17trampoline_kernelINS0_14default_configENS1_33run_length_encode_config_selectorIjjNS0_4plusIjEEEEZZNS1_33reduce_by_key_impl_wrapped_configILNS1_25lookback_scan_determinismE0ES3_S7_PKjNS0_17constant_iteratorIjlEEPjPlSF_S6_NS0_8equal_toIjEEEE10hipError_tPvRmT2_T3_mT4_T5_T6_T7_T8_P12ihipStream_tbENKUlT_T0_E_clISt17integral_constantIbLb0EESY_IbLb1EEEEDaSU_SV_EUlSU_E_NS1_11comp_targetILNS1_3genE3ELNS1_11target_archE908ELNS1_3gpuE7ELNS1_3repE0EEENS1_30default_config_static_selectorELNS0_4arch9wavefront6targetE0EEEvT1_,comdat
.Lfunc_end679:
	.size	_ZN7rocprim17ROCPRIM_400000_NS6detail17trampoline_kernelINS0_14default_configENS1_33run_length_encode_config_selectorIjjNS0_4plusIjEEEEZZNS1_33reduce_by_key_impl_wrapped_configILNS1_25lookback_scan_determinismE0ES3_S7_PKjNS0_17constant_iteratorIjlEEPjPlSF_S6_NS0_8equal_toIjEEEE10hipError_tPvRmT2_T3_mT4_T5_T6_T7_T8_P12ihipStream_tbENKUlT_T0_E_clISt17integral_constantIbLb0EESY_IbLb1EEEEDaSU_SV_EUlSU_E_NS1_11comp_targetILNS1_3genE3ELNS1_11target_archE908ELNS1_3gpuE7ELNS1_3repE0EEENS1_30default_config_static_selectorELNS0_4arch9wavefront6targetE0EEEvT1_, .Lfunc_end679-_ZN7rocprim17ROCPRIM_400000_NS6detail17trampoline_kernelINS0_14default_configENS1_33run_length_encode_config_selectorIjjNS0_4plusIjEEEEZZNS1_33reduce_by_key_impl_wrapped_configILNS1_25lookback_scan_determinismE0ES3_S7_PKjNS0_17constant_iteratorIjlEEPjPlSF_S6_NS0_8equal_toIjEEEE10hipError_tPvRmT2_T3_mT4_T5_T6_T7_T8_P12ihipStream_tbENKUlT_T0_E_clISt17integral_constantIbLb0EESY_IbLb1EEEEDaSU_SV_EUlSU_E_NS1_11comp_targetILNS1_3genE3ELNS1_11target_archE908ELNS1_3gpuE7ELNS1_3repE0EEENS1_30default_config_static_selectorELNS0_4arch9wavefront6targetE0EEEvT1_
                                        ; -- End function
	.set _ZN7rocprim17ROCPRIM_400000_NS6detail17trampoline_kernelINS0_14default_configENS1_33run_length_encode_config_selectorIjjNS0_4plusIjEEEEZZNS1_33reduce_by_key_impl_wrapped_configILNS1_25lookback_scan_determinismE0ES3_S7_PKjNS0_17constant_iteratorIjlEEPjPlSF_S6_NS0_8equal_toIjEEEE10hipError_tPvRmT2_T3_mT4_T5_T6_T7_T8_P12ihipStream_tbENKUlT_T0_E_clISt17integral_constantIbLb0EESY_IbLb1EEEEDaSU_SV_EUlSU_E_NS1_11comp_targetILNS1_3genE3ELNS1_11target_archE908ELNS1_3gpuE7ELNS1_3repE0EEENS1_30default_config_static_selectorELNS0_4arch9wavefront6targetE0EEEvT1_.num_vgpr, 0
	.set _ZN7rocprim17ROCPRIM_400000_NS6detail17trampoline_kernelINS0_14default_configENS1_33run_length_encode_config_selectorIjjNS0_4plusIjEEEEZZNS1_33reduce_by_key_impl_wrapped_configILNS1_25lookback_scan_determinismE0ES3_S7_PKjNS0_17constant_iteratorIjlEEPjPlSF_S6_NS0_8equal_toIjEEEE10hipError_tPvRmT2_T3_mT4_T5_T6_T7_T8_P12ihipStream_tbENKUlT_T0_E_clISt17integral_constantIbLb0EESY_IbLb1EEEEDaSU_SV_EUlSU_E_NS1_11comp_targetILNS1_3genE3ELNS1_11target_archE908ELNS1_3gpuE7ELNS1_3repE0EEENS1_30default_config_static_selectorELNS0_4arch9wavefront6targetE0EEEvT1_.num_agpr, 0
	.set _ZN7rocprim17ROCPRIM_400000_NS6detail17trampoline_kernelINS0_14default_configENS1_33run_length_encode_config_selectorIjjNS0_4plusIjEEEEZZNS1_33reduce_by_key_impl_wrapped_configILNS1_25lookback_scan_determinismE0ES3_S7_PKjNS0_17constant_iteratorIjlEEPjPlSF_S6_NS0_8equal_toIjEEEE10hipError_tPvRmT2_T3_mT4_T5_T6_T7_T8_P12ihipStream_tbENKUlT_T0_E_clISt17integral_constantIbLb0EESY_IbLb1EEEEDaSU_SV_EUlSU_E_NS1_11comp_targetILNS1_3genE3ELNS1_11target_archE908ELNS1_3gpuE7ELNS1_3repE0EEENS1_30default_config_static_selectorELNS0_4arch9wavefront6targetE0EEEvT1_.numbered_sgpr, 0
	.set _ZN7rocprim17ROCPRIM_400000_NS6detail17trampoline_kernelINS0_14default_configENS1_33run_length_encode_config_selectorIjjNS0_4plusIjEEEEZZNS1_33reduce_by_key_impl_wrapped_configILNS1_25lookback_scan_determinismE0ES3_S7_PKjNS0_17constant_iteratorIjlEEPjPlSF_S6_NS0_8equal_toIjEEEE10hipError_tPvRmT2_T3_mT4_T5_T6_T7_T8_P12ihipStream_tbENKUlT_T0_E_clISt17integral_constantIbLb0EESY_IbLb1EEEEDaSU_SV_EUlSU_E_NS1_11comp_targetILNS1_3genE3ELNS1_11target_archE908ELNS1_3gpuE7ELNS1_3repE0EEENS1_30default_config_static_selectorELNS0_4arch9wavefront6targetE0EEEvT1_.num_named_barrier, 0
	.set _ZN7rocprim17ROCPRIM_400000_NS6detail17trampoline_kernelINS0_14default_configENS1_33run_length_encode_config_selectorIjjNS0_4plusIjEEEEZZNS1_33reduce_by_key_impl_wrapped_configILNS1_25lookback_scan_determinismE0ES3_S7_PKjNS0_17constant_iteratorIjlEEPjPlSF_S6_NS0_8equal_toIjEEEE10hipError_tPvRmT2_T3_mT4_T5_T6_T7_T8_P12ihipStream_tbENKUlT_T0_E_clISt17integral_constantIbLb0EESY_IbLb1EEEEDaSU_SV_EUlSU_E_NS1_11comp_targetILNS1_3genE3ELNS1_11target_archE908ELNS1_3gpuE7ELNS1_3repE0EEENS1_30default_config_static_selectorELNS0_4arch9wavefront6targetE0EEEvT1_.private_seg_size, 0
	.set _ZN7rocprim17ROCPRIM_400000_NS6detail17trampoline_kernelINS0_14default_configENS1_33run_length_encode_config_selectorIjjNS0_4plusIjEEEEZZNS1_33reduce_by_key_impl_wrapped_configILNS1_25lookback_scan_determinismE0ES3_S7_PKjNS0_17constant_iteratorIjlEEPjPlSF_S6_NS0_8equal_toIjEEEE10hipError_tPvRmT2_T3_mT4_T5_T6_T7_T8_P12ihipStream_tbENKUlT_T0_E_clISt17integral_constantIbLb0EESY_IbLb1EEEEDaSU_SV_EUlSU_E_NS1_11comp_targetILNS1_3genE3ELNS1_11target_archE908ELNS1_3gpuE7ELNS1_3repE0EEENS1_30default_config_static_selectorELNS0_4arch9wavefront6targetE0EEEvT1_.uses_vcc, 0
	.set _ZN7rocprim17ROCPRIM_400000_NS6detail17trampoline_kernelINS0_14default_configENS1_33run_length_encode_config_selectorIjjNS0_4plusIjEEEEZZNS1_33reduce_by_key_impl_wrapped_configILNS1_25lookback_scan_determinismE0ES3_S7_PKjNS0_17constant_iteratorIjlEEPjPlSF_S6_NS0_8equal_toIjEEEE10hipError_tPvRmT2_T3_mT4_T5_T6_T7_T8_P12ihipStream_tbENKUlT_T0_E_clISt17integral_constantIbLb0EESY_IbLb1EEEEDaSU_SV_EUlSU_E_NS1_11comp_targetILNS1_3genE3ELNS1_11target_archE908ELNS1_3gpuE7ELNS1_3repE0EEENS1_30default_config_static_selectorELNS0_4arch9wavefront6targetE0EEEvT1_.uses_flat_scratch, 0
	.set _ZN7rocprim17ROCPRIM_400000_NS6detail17trampoline_kernelINS0_14default_configENS1_33run_length_encode_config_selectorIjjNS0_4plusIjEEEEZZNS1_33reduce_by_key_impl_wrapped_configILNS1_25lookback_scan_determinismE0ES3_S7_PKjNS0_17constant_iteratorIjlEEPjPlSF_S6_NS0_8equal_toIjEEEE10hipError_tPvRmT2_T3_mT4_T5_T6_T7_T8_P12ihipStream_tbENKUlT_T0_E_clISt17integral_constantIbLb0EESY_IbLb1EEEEDaSU_SV_EUlSU_E_NS1_11comp_targetILNS1_3genE3ELNS1_11target_archE908ELNS1_3gpuE7ELNS1_3repE0EEENS1_30default_config_static_selectorELNS0_4arch9wavefront6targetE0EEEvT1_.has_dyn_sized_stack, 0
	.set _ZN7rocprim17ROCPRIM_400000_NS6detail17trampoline_kernelINS0_14default_configENS1_33run_length_encode_config_selectorIjjNS0_4plusIjEEEEZZNS1_33reduce_by_key_impl_wrapped_configILNS1_25lookback_scan_determinismE0ES3_S7_PKjNS0_17constant_iteratorIjlEEPjPlSF_S6_NS0_8equal_toIjEEEE10hipError_tPvRmT2_T3_mT4_T5_T6_T7_T8_P12ihipStream_tbENKUlT_T0_E_clISt17integral_constantIbLb0EESY_IbLb1EEEEDaSU_SV_EUlSU_E_NS1_11comp_targetILNS1_3genE3ELNS1_11target_archE908ELNS1_3gpuE7ELNS1_3repE0EEENS1_30default_config_static_selectorELNS0_4arch9wavefront6targetE0EEEvT1_.has_recursion, 0
	.set _ZN7rocprim17ROCPRIM_400000_NS6detail17trampoline_kernelINS0_14default_configENS1_33run_length_encode_config_selectorIjjNS0_4plusIjEEEEZZNS1_33reduce_by_key_impl_wrapped_configILNS1_25lookback_scan_determinismE0ES3_S7_PKjNS0_17constant_iteratorIjlEEPjPlSF_S6_NS0_8equal_toIjEEEE10hipError_tPvRmT2_T3_mT4_T5_T6_T7_T8_P12ihipStream_tbENKUlT_T0_E_clISt17integral_constantIbLb0EESY_IbLb1EEEEDaSU_SV_EUlSU_E_NS1_11comp_targetILNS1_3genE3ELNS1_11target_archE908ELNS1_3gpuE7ELNS1_3repE0EEENS1_30default_config_static_selectorELNS0_4arch9wavefront6targetE0EEEvT1_.has_indirect_call, 0
	.section	.AMDGPU.csdata,"",@progbits
; Kernel info:
; codeLenInByte = 0
; TotalNumSgprs: 0
; NumVgprs: 0
; ScratchSize: 0
; MemoryBound: 0
; FloatMode: 240
; IeeeMode: 1
; LDSByteSize: 0 bytes/workgroup (compile time only)
; SGPRBlocks: 0
; VGPRBlocks: 0
; NumSGPRsForWavesPerEU: 1
; NumVGPRsForWavesPerEU: 1
; NamedBarCnt: 0
; Occupancy: 16
; WaveLimiterHint : 0
; COMPUTE_PGM_RSRC2:SCRATCH_EN: 0
; COMPUTE_PGM_RSRC2:USER_SGPR: 2
; COMPUTE_PGM_RSRC2:TRAP_HANDLER: 0
; COMPUTE_PGM_RSRC2:TGID_X_EN: 1
; COMPUTE_PGM_RSRC2:TGID_Y_EN: 0
; COMPUTE_PGM_RSRC2:TGID_Z_EN: 0
; COMPUTE_PGM_RSRC2:TIDIG_COMP_CNT: 0
	.section	.text._ZN7rocprim17ROCPRIM_400000_NS6detail17trampoline_kernelINS0_14default_configENS1_33run_length_encode_config_selectorIjjNS0_4plusIjEEEEZZNS1_33reduce_by_key_impl_wrapped_configILNS1_25lookback_scan_determinismE0ES3_S7_PKjNS0_17constant_iteratorIjlEEPjPlSF_S6_NS0_8equal_toIjEEEE10hipError_tPvRmT2_T3_mT4_T5_T6_T7_T8_P12ihipStream_tbENKUlT_T0_E_clISt17integral_constantIbLb0EESY_IbLb1EEEEDaSU_SV_EUlSU_E_NS1_11comp_targetILNS1_3genE2ELNS1_11target_archE906ELNS1_3gpuE6ELNS1_3repE0EEENS1_30default_config_static_selectorELNS0_4arch9wavefront6targetE0EEEvT1_,"axG",@progbits,_ZN7rocprim17ROCPRIM_400000_NS6detail17trampoline_kernelINS0_14default_configENS1_33run_length_encode_config_selectorIjjNS0_4plusIjEEEEZZNS1_33reduce_by_key_impl_wrapped_configILNS1_25lookback_scan_determinismE0ES3_S7_PKjNS0_17constant_iteratorIjlEEPjPlSF_S6_NS0_8equal_toIjEEEE10hipError_tPvRmT2_T3_mT4_T5_T6_T7_T8_P12ihipStream_tbENKUlT_T0_E_clISt17integral_constantIbLb0EESY_IbLb1EEEEDaSU_SV_EUlSU_E_NS1_11comp_targetILNS1_3genE2ELNS1_11target_archE906ELNS1_3gpuE6ELNS1_3repE0EEENS1_30default_config_static_selectorELNS0_4arch9wavefront6targetE0EEEvT1_,comdat
	.protected	_ZN7rocprim17ROCPRIM_400000_NS6detail17trampoline_kernelINS0_14default_configENS1_33run_length_encode_config_selectorIjjNS0_4plusIjEEEEZZNS1_33reduce_by_key_impl_wrapped_configILNS1_25lookback_scan_determinismE0ES3_S7_PKjNS0_17constant_iteratorIjlEEPjPlSF_S6_NS0_8equal_toIjEEEE10hipError_tPvRmT2_T3_mT4_T5_T6_T7_T8_P12ihipStream_tbENKUlT_T0_E_clISt17integral_constantIbLb0EESY_IbLb1EEEEDaSU_SV_EUlSU_E_NS1_11comp_targetILNS1_3genE2ELNS1_11target_archE906ELNS1_3gpuE6ELNS1_3repE0EEENS1_30default_config_static_selectorELNS0_4arch9wavefront6targetE0EEEvT1_ ; -- Begin function _ZN7rocprim17ROCPRIM_400000_NS6detail17trampoline_kernelINS0_14default_configENS1_33run_length_encode_config_selectorIjjNS0_4plusIjEEEEZZNS1_33reduce_by_key_impl_wrapped_configILNS1_25lookback_scan_determinismE0ES3_S7_PKjNS0_17constant_iteratorIjlEEPjPlSF_S6_NS0_8equal_toIjEEEE10hipError_tPvRmT2_T3_mT4_T5_T6_T7_T8_P12ihipStream_tbENKUlT_T0_E_clISt17integral_constantIbLb0EESY_IbLb1EEEEDaSU_SV_EUlSU_E_NS1_11comp_targetILNS1_3genE2ELNS1_11target_archE906ELNS1_3gpuE6ELNS1_3repE0EEENS1_30default_config_static_selectorELNS0_4arch9wavefront6targetE0EEEvT1_
	.globl	_ZN7rocprim17ROCPRIM_400000_NS6detail17trampoline_kernelINS0_14default_configENS1_33run_length_encode_config_selectorIjjNS0_4plusIjEEEEZZNS1_33reduce_by_key_impl_wrapped_configILNS1_25lookback_scan_determinismE0ES3_S7_PKjNS0_17constant_iteratorIjlEEPjPlSF_S6_NS0_8equal_toIjEEEE10hipError_tPvRmT2_T3_mT4_T5_T6_T7_T8_P12ihipStream_tbENKUlT_T0_E_clISt17integral_constantIbLb0EESY_IbLb1EEEEDaSU_SV_EUlSU_E_NS1_11comp_targetILNS1_3genE2ELNS1_11target_archE906ELNS1_3gpuE6ELNS1_3repE0EEENS1_30default_config_static_selectorELNS0_4arch9wavefront6targetE0EEEvT1_
	.p2align	8
	.type	_ZN7rocprim17ROCPRIM_400000_NS6detail17trampoline_kernelINS0_14default_configENS1_33run_length_encode_config_selectorIjjNS0_4plusIjEEEEZZNS1_33reduce_by_key_impl_wrapped_configILNS1_25lookback_scan_determinismE0ES3_S7_PKjNS0_17constant_iteratorIjlEEPjPlSF_S6_NS0_8equal_toIjEEEE10hipError_tPvRmT2_T3_mT4_T5_T6_T7_T8_P12ihipStream_tbENKUlT_T0_E_clISt17integral_constantIbLb0EESY_IbLb1EEEEDaSU_SV_EUlSU_E_NS1_11comp_targetILNS1_3genE2ELNS1_11target_archE906ELNS1_3gpuE6ELNS1_3repE0EEENS1_30default_config_static_selectorELNS0_4arch9wavefront6targetE0EEEvT1_,@function
_ZN7rocprim17ROCPRIM_400000_NS6detail17trampoline_kernelINS0_14default_configENS1_33run_length_encode_config_selectorIjjNS0_4plusIjEEEEZZNS1_33reduce_by_key_impl_wrapped_configILNS1_25lookback_scan_determinismE0ES3_S7_PKjNS0_17constant_iteratorIjlEEPjPlSF_S6_NS0_8equal_toIjEEEE10hipError_tPvRmT2_T3_mT4_T5_T6_T7_T8_P12ihipStream_tbENKUlT_T0_E_clISt17integral_constantIbLb0EESY_IbLb1EEEEDaSU_SV_EUlSU_E_NS1_11comp_targetILNS1_3genE2ELNS1_11target_archE906ELNS1_3gpuE6ELNS1_3repE0EEENS1_30default_config_static_selectorELNS0_4arch9wavefront6targetE0EEEvT1_: ; @_ZN7rocprim17ROCPRIM_400000_NS6detail17trampoline_kernelINS0_14default_configENS1_33run_length_encode_config_selectorIjjNS0_4plusIjEEEEZZNS1_33reduce_by_key_impl_wrapped_configILNS1_25lookback_scan_determinismE0ES3_S7_PKjNS0_17constant_iteratorIjlEEPjPlSF_S6_NS0_8equal_toIjEEEE10hipError_tPvRmT2_T3_mT4_T5_T6_T7_T8_P12ihipStream_tbENKUlT_T0_E_clISt17integral_constantIbLb0EESY_IbLb1EEEEDaSU_SV_EUlSU_E_NS1_11comp_targetILNS1_3genE2ELNS1_11target_archE906ELNS1_3gpuE6ELNS1_3repE0EEENS1_30default_config_static_selectorELNS0_4arch9wavefront6targetE0EEEvT1_
; %bb.0:
	.section	.rodata,"a",@progbits
	.p2align	6, 0x0
	.amdhsa_kernel _ZN7rocprim17ROCPRIM_400000_NS6detail17trampoline_kernelINS0_14default_configENS1_33run_length_encode_config_selectorIjjNS0_4plusIjEEEEZZNS1_33reduce_by_key_impl_wrapped_configILNS1_25lookback_scan_determinismE0ES3_S7_PKjNS0_17constant_iteratorIjlEEPjPlSF_S6_NS0_8equal_toIjEEEE10hipError_tPvRmT2_T3_mT4_T5_T6_T7_T8_P12ihipStream_tbENKUlT_T0_E_clISt17integral_constantIbLb0EESY_IbLb1EEEEDaSU_SV_EUlSU_E_NS1_11comp_targetILNS1_3genE2ELNS1_11target_archE906ELNS1_3gpuE6ELNS1_3repE0EEENS1_30default_config_static_selectorELNS0_4arch9wavefront6targetE0EEEvT1_
		.amdhsa_group_segment_fixed_size 0
		.amdhsa_private_segment_fixed_size 0
		.amdhsa_kernarg_size 128
		.amdhsa_user_sgpr_count 2
		.amdhsa_user_sgpr_dispatch_ptr 0
		.amdhsa_user_sgpr_queue_ptr 0
		.amdhsa_user_sgpr_kernarg_segment_ptr 1
		.amdhsa_user_sgpr_dispatch_id 0
		.amdhsa_user_sgpr_kernarg_preload_length 0
		.amdhsa_user_sgpr_kernarg_preload_offset 0
		.amdhsa_user_sgpr_private_segment_size 0
		.amdhsa_wavefront_size32 1
		.amdhsa_uses_dynamic_stack 0
		.amdhsa_enable_private_segment 0
		.amdhsa_system_sgpr_workgroup_id_x 1
		.amdhsa_system_sgpr_workgroup_id_y 0
		.amdhsa_system_sgpr_workgroup_id_z 0
		.amdhsa_system_sgpr_workgroup_info 0
		.amdhsa_system_vgpr_workitem_id 0
		.amdhsa_next_free_vgpr 1
		.amdhsa_next_free_sgpr 1
		.amdhsa_named_barrier_count 0
		.amdhsa_reserve_vcc 0
		.amdhsa_float_round_mode_32 0
		.amdhsa_float_round_mode_16_64 0
		.amdhsa_float_denorm_mode_32 3
		.amdhsa_float_denorm_mode_16_64 3
		.amdhsa_fp16_overflow 0
		.amdhsa_memory_ordered 1
		.amdhsa_forward_progress 1
		.amdhsa_inst_pref_size 0
		.amdhsa_round_robin_scheduling 0
		.amdhsa_exception_fp_ieee_invalid_op 0
		.amdhsa_exception_fp_denorm_src 0
		.amdhsa_exception_fp_ieee_div_zero 0
		.amdhsa_exception_fp_ieee_overflow 0
		.amdhsa_exception_fp_ieee_underflow 0
		.amdhsa_exception_fp_ieee_inexact 0
		.amdhsa_exception_int_div_zero 0
	.end_amdhsa_kernel
	.section	.text._ZN7rocprim17ROCPRIM_400000_NS6detail17trampoline_kernelINS0_14default_configENS1_33run_length_encode_config_selectorIjjNS0_4plusIjEEEEZZNS1_33reduce_by_key_impl_wrapped_configILNS1_25lookback_scan_determinismE0ES3_S7_PKjNS0_17constant_iteratorIjlEEPjPlSF_S6_NS0_8equal_toIjEEEE10hipError_tPvRmT2_T3_mT4_T5_T6_T7_T8_P12ihipStream_tbENKUlT_T0_E_clISt17integral_constantIbLb0EESY_IbLb1EEEEDaSU_SV_EUlSU_E_NS1_11comp_targetILNS1_3genE2ELNS1_11target_archE906ELNS1_3gpuE6ELNS1_3repE0EEENS1_30default_config_static_selectorELNS0_4arch9wavefront6targetE0EEEvT1_,"axG",@progbits,_ZN7rocprim17ROCPRIM_400000_NS6detail17trampoline_kernelINS0_14default_configENS1_33run_length_encode_config_selectorIjjNS0_4plusIjEEEEZZNS1_33reduce_by_key_impl_wrapped_configILNS1_25lookback_scan_determinismE0ES3_S7_PKjNS0_17constant_iteratorIjlEEPjPlSF_S6_NS0_8equal_toIjEEEE10hipError_tPvRmT2_T3_mT4_T5_T6_T7_T8_P12ihipStream_tbENKUlT_T0_E_clISt17integral_constantIbLb0EESY_IbLb1EEEEDaSU_SV_EUlSU_E_NS1_11comp_targetILNS1_3genE2ELNS1_11target_archE906ELNS1_3gpuE6ELNS1_3repE0EEENS1_30default_config_static_selectorELNS0_4arch9wavefront6targetE0EEEvT1_,comdat
.Lfunc_end680:
	.size	_ZN7rocprim17ROCPRIM_400000_NS6detail17trampoline_kernelINS0_14default_configENS1_33run_length_encode_config_selectorIjjNS0_4plusIjEEEEZZNS1_33reduce_by_key_impl_wrapped_configILNS1_25lookback_scan_determinismE0ES3_S7_PKjNS0_17constant_iteratorIjlEEPjPlSF_S6_NS0_8equal_toIjEEEE10hipError_tPvRmT2_T3_mT4_T5_T6_T7_T8_P12ihipStream_tbENKUlT_T0_E_clISt17integral_constantIbLb0EESY_IbLb1EEEEDaSU_SV_EUlSU_E_NS1_11comp_targetILNS1_3genE2ELNS1_11target_archE906ELNS1_3gpuE6ELNS1_3repE0EEENS1_30default_config_static_selectorELNS0_4arch9wavefront6targetE0EEEvT1_, .Lfunc_end680-_ZN7rocprim17ROCPRIM_400000_NS6detail17trampoline_kernelINS0_14default_configENS1_33run_length_encode_config_selectorIjjNS0_4plusIjEEEEZZNS1_33reduce_by_key_impl_wrapped_configILNS1_25lookback_scan_determinismE0ES3_S7_PKjNS0_17constant_iteratorIjlEEPjPlSF_S6_NS0_8equal_toIjEEEE10hipError_tPvRmT2_T3_mT4_T5_T6_T7_T8_P12ihipStream_tbENKUlT_T0_E_clISt17integral_constantIbLb0EESY_IbLb1EEEEDaSU_SV_EUlSU_E_NS1_11comp_targetILNS1_3genE2ELNS1_11target_archE906ELNS1_3gpuE6ELNS1_3repE0EEENS1_30default_config_static_selectorELNS0_4arch9wavefront6targetE0EEEvT1_
                                        ; -- End function
	.set _ZN7rocprim17ROCPRIM_400000_NS6detail17trampoline_kernelINS0_14default_configENS1_33run_length_encode_config_selectorIjjNS0_4plusIjEEEEZZNS1_33reduce_by_key_impl_wrapped_configILNS1_25lookback_scan_determinismE0ES3_S7_PKjNS0_17constant_iteratorIjlEEPjPlSF_S6_NS0_8equal_toIjEEEE10hipError_tPvRmT2_T3_mT4_T5_T6_T7_T8_P12ihipStream_tbENKUlT_T0_E_clISt17integral_constantIbLb0EESY_IbLb1EEEEDaSU_SV_EUlSU_E_NS1_11comp_targetILNS1_3genE2ELNS1_11target_archE906ELNS1_3gpuE6ELNS1_3repE0EEENS1_30default_config_static_selectorELNS0_4arch9wavefront6targetE0EEEvT1_.num_vgpr, 0
	.set _ZN7rocprim17ROCPRIM_400000_NS6detail17trampoline_kernelINS0_14default_configENS1_33run_length_encode_config_selectorIjjNS0_4plusIjEEEEZZNS1_33reduce_by_key_impl_wrapped_configILNS1_25lookback_scan_determinismE0ES3_S7_PKjNS0_17constant_iteratorIjlEEPjPlSF_S6_NS0_8equal_toIjEEEE10hipError_tPvRmT2_T3_mT4_T5_T6_T7_T8_P12ihipStream_tbENKUlT_T0_E_clISt17integral_constantIbLb0EESY_IbLb1EEEEDaSU_SV_EUlSU_E_NS1_11comp_targetILNS1_3genE2ELNS1_11target_archE906ELNS1_3gpuE6ELNS1_3repE0EEENS1_30default_config_static_selectorELNS0_4arch9wavefront6targetE0EEEvT1_.num_agpr, 0
	.set _ZN7rocprim17ROCPRIM_400000_NS6detail17trampoline_kernelINS0_14default_configENS1_33run_length_encode_config_selectorIjjNS0_4plusIjEEEEZZNS1_33reduce_by_key_impl_wrapped_configILNS1_25lookback_scan_determinismE0ES3_S7_PKjNS0_17constant_iteratorIjlEEPjPlSF_S6_NS0_8equal_toIjEEEE10hipError_tPvRmT2_T3_mT4_T5_T6_T7_T8_P12ihipStream_tbENKUlT_T0_E_clISt17integral_constantIbLb0EESY_IbLb1EEEEDaSU_SV_EUlSU_E_NS1_11comp_targetILNS1_3genE2ELNS1_11target_archE906ELNS1_3gpuE6ELNS1_3repE0EEENS1_30default_config_static_selectorELNS0_4arch9wavefront6targetE0EEEvT1_.numbered_sgpr, 0
	.set _ZN7rocprim17ROCPRIM_400000_NS6detail17trampoline_kernelINS0_14default_configENS1_33run_length_encode_config_selectorIjjNS0_4plusIjEEEEZZNS1_33reduce_by_key_impl_wrapped_configILNS1_25lookback_scan_determinismE0ES3_S7_PKjNS0_17constant_iteratorIjlEEPjPlSF_S6_NS0_8equal_toIjEEEE10hipError_tPvRmT2_T3_mT4_T5_T6_T7_T8_P12ihipStream_tbENKUlT_T0_E_clISt17integral_constantIbLb0EESY_IbLb1EEEEDaSU_SV_EUlSU_E_NS1_11comp_targetILNS1_3genE2ELNS1_11target_archE906ELNS1_3gpuE6ELNS1_3repE0EEENS1_30default_config_static_selectorELNS0_4arch9wavefront6targetE0EEEvT1_.num_named_barrier, 0
	.set _ZN7rocprim17ROCPRIM_400000_NS6detail17trampoline_kernelINS0_14default_configENS1_33run_length_encode_config_selectorIjjNS0_4plusIjEEEEZZNS1_33reduce_by_key_impl_wrapped_configILNS1_25lookback_scan_determinismE0ES3_S7_PKjNS0_17constant_iteratorIjlEEPjPlSF_S6_NS0_8equal_toIjEEEE10hipError_tPvRmT2_T3_mT4_T5_T6_T7_T8_P12ihipStream_tbENKUlT_T0_E_clISt17integral_constantIbLb0EESY_IbLb1EEEEDaSU_SV_EUlSU_E_NS1_11comp_targetILNS1_3genE2ELNS1_11target_archE906ELNS1_3gpuE6ELNS1_3repE0EEENS1_30default_config_static_selectorELNS0_4arch9wavefront6targetE0EEEvT1_.private_seg_size, 0
	.set _ZN7rocprim17ROCPRIM_400000_NS6detail17trampoline_kernelINS0_14default_configENS1_33run_length_encode_config_selectorIjjNS0_4plusIjEEEEZZNS1_33reduce_by_key_impl_wrapped_configILNS1_25lookback_scan_determinismE0ES3_S7_PKjNS0_17constant_iteratorIjlEEPjPlSF_S6_NS0_8equal_toIjEEEE10hipError_tPvRmT2_T3_mT4_T5_T6_T7_T8_P12ihipStream_tbENKUlT_T0_E_clISt17integral_constantIbLb0EESY_IbLb1EEEEDaSU_SV_EUlSU_E_NS1_11comp_targetILNS1_3genE2ELNS1_11target_archE906ELNS1_3gpuE6ELNS1_3repE0EEENS1_30default_config_static_selectorELNS0_4arch9wavefront6targetE0EEEvT1_.uses_vcc, 0
	.set _ZN7rocprim17ROCPRIM_400000_NS6detail17trampoline_kernelINS0_14default_configENS1_33run_length_encode_config_selectorIjjNS0_4plusIjEEEEZZNS1_33reduce_by_key_impl_wrapped_configILNS1_25lookback_scan_determinismE0ES3_S7_PKjNS0_17constant_iteratorIjlEEPjPlSF_S6_NS0_8equal_toIjEEEE10hipError_tPvRmT2_T3_mT4_T5_T6_T7_T8_P12ihipStream_tbENKUlT_T0_E_clISt17integral_constantIbLb0EESY_IbLb1EEEEDaSU_SV_EUlSU_E_NS1_11comp_targetILNS1_3genE2ELNS1_11target_archE906ELNS1_3gpuE6ELNS1_3repE0EEENS1_30default_config_static_selectorELNS0_4arch9wavefront6targetE0EEEvT1_.uses_flat_scratch, 0
	.set _ZN7rocprim17ROCPRIM_400000_NS6detail17trampoline_kernelINS0_14default_configENS1_33run_length_encode_config_selectorIjjNS0_4plusIjEEEEZZNS1_33reduce_by_key_impl_wrapped_configILNS1_25lookback_scan_determinismE0ES3_S7_PKjNS0_17constant_iteratorIjlEEPjPlSF_S6_NS0_8equal_toIjEEEE10hipError_tPvRmT2_T3_mT4_T5_T6_T7_T8_P12ihipStream_tbENKUlT_T0_E_clISt17integral_constantIbLb0EESY_IbLb1EEEEDaSU_SV_EUlSU_E_NS1_11comp_targetILNS1_3genE2ELNS1_11target_archE906ELNS1_3gpuE6ELNS1_3repE0EEENS1_30default_config_static_selectorELNS0_4arch9wavefront6targetE0EEEvT1_.has_dyn_sized_stack, 0
	.set _ZN7rocprim17ROCPRIM_400000_NS6detail17trampoline_kernelINS0_14default_configENS1_33run_length_encode_config_selectorIjjNS0_4plusIjEEEEZZNS1_33reduce_by_key_impl_wrapped_configILNS1_25lookback_scan_determinismE0ES3_S7_PKjNS0_17constant_iteratorIjlEEPjPlSF_S6_NS0_8equal_toIjEEEE10hipError_tPvRmT2_T3_mT4_T5_T6_T7_T8_P12ihipStream_tbENKUlT_T0_E_clISt17integral_constantIbLb0EESY_IbLb1EEEEDaSU_SV_EUlSU_E_NS1_11comp_targetILNS1_3genE2ELNS1_11target_archE906ELNS1_3gpuE6ELNS1_3repE0EEENS1_30default_config_static_selectorELNS0_4arch9wavefront6targetE0EEEvT1_.has_recursion, 0
	.set _ZN7rocprim17ROCPRIM_400000_NS6detail17trampoline_kernelINS0_14default_configENS1_33run_length_encode_config_selectorIjjNS0_4plusIjEEEEZZNS1_33reduce_by_key_impl_wrapped_configILNS1_25lookback_scan_determinismE0ES3_S7_PKjNS0_17constant_iteratorIjlEEPjPlSF_S6_NS0_8equal_toIjEEEE10hipError_tPvRmT2_T3_mT4_T5_T6_T7_T8_P12ihipStream_tbENKUlT_T0_E_clISt17integral_constantIbLb0EESY_IbLb1EEEEDaSU_SV_EUlSU_E_NS1_11comp_targetILNS1_3genE2ELNS1_11target_archE906ELNS1_3gpuE6ELNS1_3repE0EEENS1_30default_config_static_selectorELNS0_4arch9wavefront6targetE0EEEvT1_.has_indirect_call, 0
	.section	.AMDGPU.csdata,"",@progbits
; Kernel info:
; codeLenInByte = 0
; TotalNumSgprs: 0
; NumVgprs: 0
; ScratchSize: 0
; MemoryBound: 0
; FloatMode: 240
; IeeeMode: 1
; LDSByteSize: 0 bytes/workgroup (compile time only)
; SGPRBlocks: 0
; VGPRBlocks: 0
; NumSGPRsForWavesPerEU: 1
; NumVGPRsForWavesPerEU: 1
; NamedBarCnt: 0
; Occupancy: 16
; WaveLimiterHint : 0
; COMPUTE_PGM_RSRC2:SCRATCH_EN: 0
; COMPUTE_PGM_RSRC2:USER_SGPR: 2
; COMPUTE_PGM_RSRC2:TRAP_HANDLER: 0
; COMPUTE_PGM_RSRC2:TGID_X_EN: 1
; COMPUTE_PGM_RSRC2:TGID_Y_EN: 0
; COMPUTE_PGM_RSRC2:TGID_Z_EN: 0
; COMPUTE_PGM_RSRC2:TIDIG_COMP_CNT: 0
	.section	.text._ZN7rocprim17ROCPRIM_400000_NS6detail17trampoline_kernelINS0_14default_configENS1_33run_length_encode_config_selectorIjjNS0_4plusIjEEEEZZNS1_33reduce_by_key_impl_wrapped_configILNS1_25lookback_scan_determinismE0ES3_S7_PKjNS0_17constant_iteratorIjlEEPjPlSF_S6_NS0_8equal_toIjEEEE10hipError_tPvRmT2_T3_mT4_T5_T6_T7_T8_P12ihipStream_tbENKUlT_T0_E_clISt17integral_constantIbLb0EESY_IbLb1EEEEDaSU_SV_EUlSU_E_NS1_11comp_targetILNS1_3genE10ELNS1_11target_archE1201ELNS1_3gpuE5ELNS1_3repE0EEENS1_30default_config_static_selectorELNS0_4arch9wavefront6targetE0EEEvT1_,"axG",@progbits,_ZN7rocprim17ROCPRIM_400000_NS6detail17trampoline_kernelINS0_14default_configENS1_33run_length_encode_config_selectorIjjNS0_4plusIjEEEEZZNS1_33reduce_by_key_impl_wrapped_configILNS1_25lookback_scan_determinismE0ES3_S7_PKjNS0_17constant_iteratorIjlEEPjPlSF_S6_NS0_8equal_toIjEEEE10hipError_tPvRmT2_T3_mT4_T5_T6_T7_T8_P12ihipStream_tbENKUlT_T0_E_clISt17integral_constantIbLb0EESY_IbLb1EEEEDaSU_SV_EUlSU_E_NS1_11comp_targetILNS1_3genE10ELNS1_11target_archE1201ELNS1_3gpuE5ELNS1_3repE0EEENS1_30default_config_static_selectorELNS0_4arch9wavefront6targetE0EEEvT1_,comdat
	.protected	_ZN7rocprim17ROCPRIM_400000_NS6detail17trampoline_kernelINS0_14default_configENS1_33run_length_encode_config_selectorIjjNS0_4plusIjEEEEZZNS1_33reduce_by_key_impl_wrapped_configILNS1_25lookback_scan_determinismE0ES3_S7_PKjNS0_17constant_iteratorIjlEEPjPlSF_S6_NS0_8equal_toIjEEEE10hipError_tPvRmT2_T3_mT4_T5_T6_T7_T8_P12ihipStream_tbENKUlT_T0_E_clISt17integral_constantIbLb0EESY_IbLb1EEEEDaSU_SV_EUlSU_E_NS1_11comp_targetILNS1_3genE10ELNS1_11target_archE1201ELNS1_3gpuE5ELNS1_3repE0EEENS1_30default_config_static_selectorELNS0_4arch9wavefront6targetE0EEEvT1_ ; -- Begin function _ZN7rocprim17ROCPRIM_400000_NS6detail17trampoline_kernelINS0_14default_configENS1_33run_length_encode_config_selectorIjjNS0_4plusIjEEEEZZNS1_33reduce_by_key_impl_wrapped_configILNS1_25lookback_scan_determinismE0ES3_S7_PKjNS0_17constant_iteratorIjlEEPjPlSF_S6_NS0_8equal_toIjEEEE10hipError_tPvRmT2_T3_mT4_T5_T6_T7_T8_P12ihipStream_tbENKUlT_T0_E_clISt17integral_constantIbLb0EESY_IbLb1EEEEDaSU_SV_EUlSU_E_NS1_11comp_targetILNS1_3genE10ELNS1_11target_archE1201ELNS1_3gpuE5ELNS1_3repE0EEENS1_30default_config_static_selectorELNS0_4arch9wavefront6targetE0EEEvT1_
	.globl	_ZN7rocprim17ROCPRIM_400000_NS6detail17trampoline_kernelINS0_14default_configENS1_33run_length_encode_config_selectorIjjNS0_4plusIjEEEEZZNS1_33reduce_by_key_impl_wrapped_configILNS1_25lookback_scan_determinismE0ES3_S7_PKjNS0_17constant_iteratorIjlEEPjPlSF_S6_NS0_8equal_toIjEEEE10hipError_tPvRmT2_T3_mT4_T5_T6_T7_T8_P12ihipStream_tbENKUlT_T0_E_clISt17integral_constantIbLb0EESY_IbLb1EEEEDaSU_SV_EUlSU_E_NS1_11comp_targetILNS1_3genE10ELNS1_11target_archE1201ELNS1_3gpuE5ELNS1_3repE0EEENS1_30default_config_static_selectorELNS0_4arch9wavefront6targetE0EEEvT1_
	.p2align	8
	.type	_ZN7rocprim17ROCPRIM_400000_NS6detail17trampoline_kernelINS0_14default_configENS1_33run_length_encode_config_selectorIjjNS0_4plusIjEEEEZZNS1_33reduce_by_key_impl_wrapped_configILNS1_25lookback_scan_determinismE0ES3_S7_PKjNS0_17constant_iteratorIjlEEPjPlSF_S6_NS0_8equal_toIjEEEE10hipError_tPvRmT2_T3_mT4_T5_T6_T7_T8_P12ihipStream_tbENKUlT_T0_E_clISt17integral_constantIbLb0EESY_IbLb1EEEEDaSU_SV_EUlSU_E_NS1_11comp_targetILNS1_3genE10ELNS1_11target_archE1201ELNS1_3gpuE5ELNS1_3repE0EEENS1_30default_config_static_selectorELNS0_4arch9wavefront6targetE0EEEvT1_,@function
_ZN7rocprim17ROCPRIM_400000_NS6detail17trampoline_kernelINS0_14default_configENS1_33run_length_encode_config_selectorIjjNS0_4plusIjEEEEZZNS1_33reduce_by_key_impl_wrapped_configILNS1_25lookback_scan_determinismE0ES3_S7_PKjNS0_17constant_iteratorIjlEEPjPlSF_S6_NS0_8equal_toIjEEEE10hipError_tPvRmT2_T3_mT4_T5_T6_T7_T8_P12ihipStream_tbENKUlT_T0_E_clISt17integral_constantIbLb0EESY_IbLb1EEEEDaSU_SV_EUlSU_E_NS1_11comp_targetILNS1_3genE10ELNS1_11target_archE1201ELNS1_3gpuE5ELNS1_3repE0EEENS1_30default_config_static_selectorELNS0_4arch9wavefront6targetE0EEEvT1_: ; @_ZN7rocprim17ROCPRIM_400000_NS6detail17trampoline_kernelINS0_14default_configENS1_33run_length_encode_config_selectorIjjNS0_4plusIjEEEEZZNS1_33reduce_by_key_impl_wrapped_configILNS1_25lookback_scan_determinismE0ES3_S7_PKjNS0_17constant_iteratorIjlEEPjPlSF_S6_NS0_8equal_toIjEEEE10hipError_tPvRmT2_T3_mT4_T5_T6_T7_T8_P12ihipStream_tbENKUlT_T0_E_clISt17integral_constantIbLb0EESY_IbLb1EEEEDaSU_SV_EUlSU_E_NS1_11comp_targetILNS1_3genE10ELNS1_11target_archE1201ELNS1_3gpuE5ELNS1_3repE0EEENS1_30default_config_static_selectorELNS0_4arch9wavefront6targetE0EEEvT1_
; %bb.0:
	.section	.rodata,"a",@progbits
	.p2align	6, 0x0
	.amdhsa_kernel _ZN7rocprim17ROCPRIM_400000_NS6detail17trampoline_kernelINS0_14default_configENS1_33run_length_encode_config_selectorIjjNS0_4plusIjEEEEZZNS1_33reduce_by_key_impl_wrapped_configILNS1_25lookback_scan_determinismE0ES3_S7_PKjNS0_17constant_iteratorIjlEEPjPlSF_S6_NS0_8equal_toIjEEEE10hipError_tPvRmT2_T3_mT4_T5_T6_T7_T8_P12ihipStream_tbENKUlT_T0_E_clISt17integral_constantIbLb0EESY_IbLb1EEEEDaSU_SV_EUlSU_E_NS1_11comp_targetILNS1_3genE10ELNS1_11target_archE1201ELNS1_3gpuE5ELNS1_3repE0EEENS1_30default_config_static_selectorELNS0_4arch9wavefront6targetE0EEEvT1_
		.amdhsa_group_segment_fixed_size 0
		.amdhsa_private_segment_fixed_size 0
		.amdhsa_kernarg_size 128
		.amdhsa_user_sgpr_count 2
		.amdhsa_user_sgpr_dispatch_ptr 0
		.amdhsa_user_sgpr_queue_ptr 0
		.amdhsa_user_sgpr_kernarg_segment_ptr 1
		.amdhsa_user_sgpr_dispatch_id 0
		.amdhsa_user_sgpr_kernarg_preload_length 0
		.amdhsa_user_sgpr_kernarg_preload_offset 0
		.amdhsa_user_sgpr_private_segment_size 0
		.amdhsa_wavefront_size32 1
		.amdhsa_uses_dynamic_stack 0
		.amdhsa_enable_private_segment 0
		.amdhsa_system_sgpr_workgroup_id_x 1
		.amdhsa_system_sgpr_workgroup_id_y 0
		.amdhsa_system_sgpr_workgroup_id_z 0
		.amdhsa_system_sgpr_workgroup_info 0
		.amdhsa_system_vgpr_workitem_id 0
		.amdhsa_next_free_vgpr 1
		.amdhsa_next_free_sgpr 1
		.amdhsa_named_barrier_count 0
		.amdhsa_reserve_vcc 0
		.amdhsa_float_round_mode_32 0
		.amdhsa_float_round_mode_16_64 0
		.amdhsa_float_denorm_mode_32 3
		.amdhsa_float_denorm_mode_16_64 3
		.amdhsa_fp16_overflow 0
		.amdhsa_memory_ordered 1
		.amdhsa_forward_progress 1
		.amdhsa_inst_pref_size 0
		.amdhsa_round_robin_scheduling 0
		.amdhsa_exception_fp_ieee_invalid_op 0
		.amdhsa_exception_fp_denorm_src 0
		.amdhsa_exception_fp_ieee_div_zero 0
		.amdhsa_exception_fp_ieee_overflow 0
		.amdhsa_exception_fp_ieee_underflow 0
		.amdhsa_exception_fp_ieee_inexact 0
		.amdhsa_exception_int_div_zero 0
	.end_amdhsa_kernel
	.section	.text._ZN7rocprim17ROCPRIM_400000_NS6detail17trampoline_kernelINS0_14default_configENS1_33run_length_encode_config_selectorIjjNS0_4plusIjEEEEZZNS1_33reduce_by_key_impl_wrapped_configILNS1_25lookback_scan_determinismE0ES3_S7_PKjNS0_17constant_iteratorIjlEEPjPlSF_S6_NS0_8equal_toIjEEEE10hipError_tPvRmT2_T3_mT4_T5_T6_T7_T8_P12ihipStream_tbENKUlT_T0_E_clISt17integral_constantIbLb0EESY_IbLb1EEEEDaSU_SV_EUlSU_E_NS1_11comp_targetILNS1_3genE10ELNS1_11target_archE1201ELNS1_3gpuE5ELNS1_3repE0EEENS1_30default_config_static_selectorELNS0_4arch9wavefront6targetE0EEEvT1_,"axG",@progbits,_ZN7rocprim17ROCPRIM_400000_NS6detail17trampoline_kernelINS0_14default_configENS1_33run_length_encode_config_selectorIjjNS0_4plusIjEEEEZZNS1_33reduce_by_key_impl_wrapped_configILNS1_25lookback_scan_determinismE0ES3_S7_PKjNS0_17constant_iteratorIjlEEPjPlSF_S6_NS0_8equal_toIjEEEE10hipError_tPvRmT2_T3_mT4_T5_T6_T7_T8_P12ihipStream_tbENKUlT_T0_E_clISt17integral_constantIbLb0EESY_IbLb1EEEEDaSU_SV_EUlSU_E_NS1_11comp_targetILNS1_3genE10ELNS1_11target_archE1201ELNS1_3gpuE5ELNS1_3repE0EEENS1_30default_config_static_selectorELNS0_4arch9wavefront6targetE0EEEvT1_,comdat
.Lfunc_end681:
	.size	_ZN7rocprim17ROCPRIM_400000_NS6detail17trampoline_kernelINS0_14default_configENS1_33run_length_encode_config_selectorIjjNS0_4plusIjEEEEZZNS1_33reduce_by_key_impl_wrapped_configILNS1_25lookback_scan_determinismE0ES3_S7_PKjNS0_17constant_iteratorIjlEEPjPlSF_S6_NS0_8equal_toIjEEEE10hipError_tPvRmT2_T3_mT4_T5_T6_T7_T8_P12ihipStream_tbENKUlT_T0_E_clISt17integral_constantIbLb0EESY_IbLb1EEEEDaSU_SV_EUlSU_E_NS1_11comp_targetILNS1_3genE10ELNS1_11target_archE1201ELNS1_3gpuE5ELNS1_3repE0EEENS1_30default_config_static_selectorELNS0_4arch9wavefront6targetE0EEEvT1_, .Lfunc_end681-_ZN7rocprim17ROCPRIM_400000_NS6detail17trampoline_kernelINS0_14default_configENS1_33run_length_encode_config_selectorIjjNS0_4plusIjEEEEZZNS1_33reduce_by_key_impl_wrapped_configILNS1_25lookback_scan_determinismE0ES3_S7_PKjNS0_17constant_iteratorIjlEEPjPlSF_S6_NS0_8equal_toIjEEEE10hipError_tPvRmT2_T3_mT4_T5_T6_T7_T8_P12ihipStream_tbENKUlT_T0_E_clISt17integral_constantIbLb0EESY_IbLb1EEEEDaSU_SV_EUlSU_E_NS1_11comp_targetILNS1_3genE10ELNS1_11target_archE1201ELNS1_3gpuE5ELNS1_3repE0EEENS1_30default_config_static_selectorELNS0_4arch9wavefront6targetE0EEEvT1_
                                        ; -- End function
	.set _ZN7rocprim17ROCPRIM_400000_NS6detail17trampoline_kernelINS0_14default_configENS1_33run_length_encode_config_selectorIjjNS0_4plusIjEEEEZZNS1_33reduce_by_key_impl_wrapped_configILNS1_25lookback_scan_determinismE0ES3_S7_PKjNS0_17constant_iteratorIjlEEPjPlSF_S6_NS0_8equal_toIjEEEE10hipError_tPvRmT2_T3_mT4_T5_T6_T7_T8_P12ihipStream_tbENKUlT_T0_E_clISt17integral_constantIbLb0EESY_IbLb1EEEEDaSU_SV_EUlSU_E_NS1_11comp_targetILNS1_3genE10ELNS1_11target_archE1201ELNS1_3gpuE5ELNS1_3repE0EEENS1_30default_config_static_selectorELNS0_4arch9wavefront6targetE0EEEvT1_.num_vgpr, 0
	.set _ZN7rocprim17ROCPRIM_400000_NS6detail17trampoline_kernelINS0_14default_configENS1_33run_length_encode_config_selectorIjjNS0_4plusIjEEEEZZNS1_33reduce_by_key_impl_wrapped_configILNS1_25lookback_scan_determinismE0ES3_S7_PKjNS0_17constant_iteratorIjlEEPjPlSF_S6_NS0_8equal_toIjEEEE10hipError_tPvRmT2_T3_mT4_T5_T6_T7_T8_P12ihipStream_tbENKUlT_T0_E_clISt17integral_constantIbLb0EESY_IbLb1EEEEDaSU_SV_EUlSU_E_NS1_11comp_targetILNS1_3genE10ELNS1_11target_archE1201ELNS1_3gpuE5ELNS1_3repE0EEENS1_30default_config_static_selectorELNS0_4arch9wavefront6targetE0EEEvT1_.num_agpr, 0
	.set _ZN7rocprim17ROCPRIM_400000_NS6detail17trampoline_kernelINS0_14default_configENS1_33run_length_encode_config_selectorIjjNS0_4plusIjEEEEZZNS1_33reduce_by_key_impl_wrapped_configILNS1_25lookback_scan_determinismE0ES3_S7_PKjNS0_17constant_iteratorIjlEEPjPlSF_S6_NS0_8equal_toIjEEEE10hipError_tPvRmT2_T3_mT4_T5_T6_T7_T8_P12ihipStream_tbENKUlT_T0_E_clISt17integral_constantIbLb0EESY_IbLb1EEEEDaSU_SV_EUlSU_E_NS1_11comp_targetILNS1_3genE10ELNS1_11target_archE1201ELNS1_3gpuE5ELNS1_3repE0EEENS1_30default_config_static_selectorELNS0_4arch9wavefront6targetE0EEEvT1_.numbered_sgpr, 0
	.set _ZN7rocprim17ROCPRIM_400000_NS6detail17trampoline_kernelINS0_14default_configENS1_33run_length_encode_config_selectorIjjNS0_4plusIjEEEEZZNS1_33reduce_by_key_impl_wrapped_configILNS1_25lookback_scan_determinismE0ES3_S7_PKjNS0_17constant_iteratorIjlEEPjPlSF_S6_NS0_8equal_toIjEEEE10hipError_tPvRmT2_T3_mT4_T5_T6_T7_T8_P12ihipStream_tbENKUlT_T0_E_clISt17integral_constantIbLb0EESY_IbLb1EEEEDaSU_SV_EUlSU_E_NS1_11comp_targetILNS1_3genE10ELNS1_11target_archE1201ELNS1_3gpuE5ELNS1_3repE0EEENS1_30default_config_static_selectorELNS0_4arch9wavefront6targetE0EEEvT1_.num_named_barrier, 0
	.set _ZN7rocprim17ROCPRIM_400000_NS6detail17trampoline_kernelINS0_14default_configENS1_33run_length_encode_config_selectorIjjNS0_4plusIjEEEEZZNS1_33reduce_by_key_impl_wrapped_configILNS1_25lookback_scan_determinismE0ES3_S7_PKjNS0_17constant_iteratorIjlEEPjPlSF_S6_NS0_8equal_toIjEEEE10hipError_tPvRmT2_T3_mT4_T5_T6_T7_T8_P12ihipStream_tbENKUlT_T0_E_clISt17integral_constantIbLb0EESY_IbLb1EEEEDaSU_SV_EUlSU_E_NS1_11comp_targetILNS1_3genE10ELNS1_11target_archE1201ELNS1_3gpuE5ELNS1_3repE0EEENS1_30default_config_static_selectorELNS0_4arch9wavefront6targetE0EEEvT1_.private_seg_size, 0
	.set _ZN7rocprim17ROCPRIM_400000_NS6detail17trampoline_kernelINS0_14default_configENS1_33run_length_encode_config_selectorIjjNS0_4plusIjEEEEZZNS1_33reduce_by_key_impl_wrapped_configILNS1_25lookback_scan_determinismE0ES3_S7_PKjNS0_17constant_iteratorIjlEEPjPlSF_S6_NS0_8equal_toIjEEEE10hipError_tPvRmT2_T3_mT4_T5_T6_T7_T8_P12ihipStream_tbENKUlT_T0_E_clISt17integral_constantIbLb0EESY_IbLb1EEEEDaSU_SV_EUlSU_E_NS1_11comp_targetILNS1_3genE10ELNS1_11target_archE1201ELNS1_3gpuE5ELNS1_3repE0EEENS1_30default_config_static_selectorELNS0_4arch9wavefront6targetE0EEEvT1_.uses_vcc, 0
	.set _ZN7rocprim17ROCPRIM_400000_NS6detail17trampoline_kernelINS0_14default_configENS1_33run_length_encode_config_selectorIjjNS0_4plusIjEEEEZZNS1_33reduce_by_key_impl_wrapped_configILNS1_25lookback_scan_determinismE0ES3_S7_PKjNS0_17constant_iteratorIjlEEPjPlSF_S6_NS0_8equal_toIjEEEE10hipError_tPvRmT2_T3_mT4_T5_T6_T7_T8_P12ihipStream_tbENKUlT_T0_E_clISt17integral_constantIbLb0EESY_IbLb1EEEEDaSU_SV_EUlSU_E_NS1_11comp_targetILNS1_3genE10ELNS1_11target_archE1201ELNS1_3gpuE5ELNS1_3repE0EEENS1_30default_config_static_selectorELNS0_4arch9wavefront6targetE0EEEvT1_.uses_flat_scratch, 0
	.set _ZN7rocprim17ROCPRIM_400000_NS6detail17trampoline_kernelINS0_14default_configENS1_33run_length_encode_config_selectorIjjNS0_4plusIjEEEEZZNS1_33reduce_by_key_impl_wrapped_configILNS1_25lookback_scan_determinismE0ES3_S7_PKjNS0_17constant_iteratorIjlEEPjPlSF_S6_NS0_8equal_toIjEEEE10hipError_tPvRmT2_T3_mT4_T5_T6_T7_T8_P12ihipStream_tbENKUlT_T0_E_clISt17integral_constantIbLb0EESY_IbLb1EEEEDaSU_SV_EUlSU_E_NS1_11comp_targetILNS1_3genE10ELNS1_11target_archE1201ELNS1_3gpuE5ELNS1_3repE0EEENS1_30default_config_static_selectorELNS0_4arch9wavefront6targetE0EEEvT1_.has_dyn_sized_stack, 0
	.set _ZN7rocprim17ROCPRIM_400000_NS6detail17trampoline_kernelINS0_14default_configENS1_33run_length_encode_config_selectorIjjNS0_4plusIjEEEEZZNS1_33reduce_by_key_impl_wrapped_configILNS1_25lookback_scan_determinismE0ES3_S7_PKjNS0_17constant_iteratorIjlEEPjPlSF_S6_NS0_8equal_toIjEEEE10hipError_tPvRmT2_T3_mT4_T5_T6_T7_T8_P12ihipStream_tbENKUlT_T0_E_clISt17integral_constantIbLb0EESY_IbLb1EEEEDaSU_SV_EUlSU_E_NS1_11comp_targetILNS1_3genE10ELNS1_11target_archE1201ELNS1_3gpuE5ELNS1_3repE0EEENS1_30default_config_static_selectorELNS0_4arch9wavefront6targetE0EEEvT1_.has_recursion, 0
	.set _ZN7rocprim17ROCPRIM_400000_NS6detail17trampoline_kernelINS0_14default_configENS1_33run_length_encode_config_selectorIjjNS0_4plusIjEEEEZZNS1_33reduce_by_key_impl_wrapped_configILNS1_25lookback_scan_determinismE0ES3_S7_PKjNS0_17constant_iteratorIjlEEPjPlSF_S6_NS0_8equal_toIjEEEE10hipError_tPvRmT2_T3_mT4_T5_T6_T7_T8_P12ihipStream_tbENKUlT_T0_E_clISt17integral_constantIbLb0EESY_IbLb1EEEEDaSU_SV_EUlSU_E_NS1_11comp_targetILNS1_3genE10ELNS1_11target_archE1201ELNS1_3gpuE5ELNS1_3repE0EEENS1_30default_config_static_selectorELNS0_4arch9wavefront6targetE0EEEvT1_.has_indirect_call, 0
	.section	.AMDGPU.csdata,"",@progbits
; Kernel info:
; codeLenInByte = 0
; TotalNumSgprs: 0
; NumVgprs: 0
; ScratchSize: 0
; MemoryBound: 0
; FloatMode: 240
; IeeeMode: 1
; LDSByteSize: 0 bytes/workgroup (compile time only)
; SGPRBlocks: 0
; VGPRBlocks: 0
; NumSGPRsForWavesPerEU: 1
; NumVGPRsForWavesPerEU: 1
; NamedBarCnt: 0
; Occupancy: 16
; WaveLimiterHint : 0
; COMPUTE_PGM_RSRC2:SCRATCH_EN: 0
; COMPUTE_PGM_RSRC2:USER_SGPR: 2
; COMPUTE_PGM_RSRC2:TRAP_HANDLER: 0
; COMPUTE_PGM_RSRC2:TGID_X_EN: 1
; COMPUTE_PGM_RSRC2:TGID_Y_EN: 0
; COMPUTE_PGM_RSRC2:TGID_Z_EN: 0
; COMPUTE_PGM_RSRC2:TIDIG_COMP_CNT: 0
	.section	.text._ZN7rocprim17ROCPRIM_400000_NS6detail17trampoline_kernelINS0_14default_configENS1_33run_length_encode_config_selectorIjjNS0_4plusIjEEEEZZNS1_33reduce_by_key_impl_wrapped_configILNS1_25lookback_scan_determinismE0ES3_S7_PKjNS0_17constant_iteratorIjlEEPjPlSF_S6_NS0_8equal_toIjEEEE10hipError_tPvRmT2_T3_mT4_T5_T6_T7_T8_P12ihipStream_tbENKUlT_T0_E_clISt17integral_constantIbLb0EESY_IbLb1EEEEDaSU_SV_EUlSU_E_NS1_11comp_targetILNS1_3genE10ELNS1_11target_archE1200ELNS1_3gpuE4ELNS1_3repE0EEENS1_30default_config_static_selectorELNS0_4arch9wavefront6targetE0EEEvT1_,"axG",@progbits,_ZN7rocprim17ROCPRIM_400000_NS6detail17trampoline_kernelINS0_14default_configENS1_33run_length_encode_config_selectorIjjNS0_4plusIjEEEEZZNS1_33reduce_by_key_impl_wrapped_configILNS1_25lookback_scan_determinismE0ES3_S7_PKjNS0_17constant_iteratorIjlEEPjPlSF_S6_NS0_8equal_toIjEEEE10hipError_tPvRmT2_T3_mT4_T5_T6_T7_T8_P12ihipStream_tbENKUlT_T0_E_clISt17integral_constantIbLb0EESY_IbLb1EEEEDaSU_SV_EUlSU_E_NS1_11comp_targetILNS1_3genE10ELNS1_11target_archE1200ELNS1_3gpuE4ELNS1_3repE0EEENS1_30default_config_static_selectorELNS0_4arch9wavefront6targetE0EEEvT1_,comdat
	.protected	_ZN7rocprim17ROCPRIM_400000_NS6detail17trampoline_kernelINS0_14default_configENS1_33run_length_encode_config_selectorIjjNS0_4plusIjEEEEZZNS1_33reduce_by_key_impl_wrapped_configILNS1_25lookback_scan_determinismE0ES3_S7_PKjNS0_17constant_iteratorIjlEEPjPlSF_S6_NS0_8equal_toIjEEEE10hipError_tPvRmT2_T3_mT4_T5_T6_T7_T8_P12ihipStream_tbENKUlT_T0_E_clISt17integral_constantIbLb0EESY_IbLb1EEEEDaSU_SV_EUlSU_E_NS1_11comp_targetILNS1_3genE10ELNS1_11target_archE1200ELNS1_3gpuE4ELNS1_3repE0EEENS1_30default_config_static_selectorELNS0_4arch9wavefront6targetE0EEEvT1_ ; -- Begin function _ZN7rocprim17ROCPRIM_400000_NS6detail17trampoline_kernelINS0_14default_configENS1_33run_length_encode_config_selectorIjjNS0_4plusIjEEEEZZNS1_33reduce_by_key_impl_wrapped_configILNS1_25lookback_scan_determinismE0ES3_S7_PKjNS0_17constant_iteratorIjlEEPjPlSF_S6_NS0_8equal_toIjEEEE10hipError_tPvRmT2_T3_mT4_T5_T6_T7_T8_P12ihipStream_tbENKUlT_T0_E_clISt17integral_constantIbLb0EESY_IbLb1EEEEDaSU_SV_EUlSU_E_NS1_11comp_targetILNS1_3genE10ELNS1_11target_archE1200ELNS1_3gpuE4ELNS1_3repE0EEENS1_30default_config_static_selectorELNS0_4arch9wavefront6targetE0EEEvT1_
	.globl	_ZN7rocprim17ROCPRIM_400000_NS6detail17trampoline_kernelINS0_14default_configENS1_33run_length_encode_config_selectorIjjNS0_4plusIjEEEEZZNS1_33reduce_by_key_impl_wrapped_configILNS1_25lookback_scan_determinismE0ES3_S7_PKjNS0_17constant_iteratorIjlEEPjPlSF_S6_NS0_8equal_toIjEEEE10hipError_tPvRmT2_T3_mT4_T5_T6_T7_T8_P12ihipStream_tbENKUlT_T0_E_clISt17integral_constantIbLb0EESY_IbLb1EEEEDaSU_SV_EUlSU_E_NS1_11comp_targetILNS1_3genE10ELNS1_11target_archE1200ELNS1_3gpuE4ELNS1_3repE0EEENS1_30default_config_static_selectorELNS0_4arch9wavefront6targetE0EEEvT1_
	.p2align	8
	.type	_ZN7rocprim17ROCPRIM_400000_NS6detail17trampoline_kernelINS0_14default_configENS1_33run_length_encode_config_selectorIjjNS0_4plusIjEEEEZZNS1_33reduce_by_key_impl_wrapped_configILNS1_25lookback_scan_determinismE0ES3_S7_PKjNS0_17constant_iteratorIjlEEPjPlSF_S6_NS0_8equal_toIjEEEE10hipError_tPvRmT2_T3_mT4_T5_T6_T7_T8_P12ihipStream_tbENKUlT_T0_E_clISt17integral_constantIbLb0EESY_IbLb1EEEEDaSU_SV_EUlSU_E_NS1_11comp_targetILNS1_3genE10ELNS1_11target_archE1200ELNS1_3gpuE4ELNS1_3repE0EEENS1_30default_config_static_selectorELNS0_4arch9wavefront6targetE0EEEvT1_,@function
_ZN7rocprim17ROCPRIM_400000_NS6detail17trampoline_kernelINS0_14default_configENS1_33run_length_encode_config_selectorIjjNS0_4plusIjEEEEZZNS1_33reduce_by_key_impl_wrapped_configILNS1_25lookback_scan_determinismE0ES3_S7_PKjNS0_17constant_iteratorIjlEEPjPlSF_S6_NS0_8equal_toIjEEEE10hipError_tPvRmT2_T3_mT4_T5_T6_T7_T8_P12ihipStream_tbENKUlT_T0_E_clISt17integral_constantIbLb0EESY_IbLb1EEEEDaSU_SV_EUlSU_E_NS1_11comp_targetILNS1_3genE10ELNS1_11target_archE1200ELNS1_3gpuE4ELNS1_3repE0EEENS1_30default_config_static_selectorELNS0_4arch9wavefront6targetE0EEEvT1_: ; @_ZN7rocprim17ROCPRIM_400000_NS6detail17trampoline_kernelINS0_14default_configENS1_33run_length_encode_config_selectorIjjNS0_4plusIjEEEEZZNS1_33reduce_by_key_impl_wrapped_configILNS1_25lookback_scan_determinismE0ES3_S7_PKjNS0_17constant_iteratorIjlEEPjPlSF_S6_NS0_8equal_toIjEEEE10hipError_tPvRmT2_T3_mT4_T5_T6_T7_T8_P12ihipStream_tbENKUlT_T0_E_clISt17integral_constantIbLb0EESY_IbLb1EEEEDaSU_SV_EUlSU_E_NS1_11comp_targetILNS1_3genE10ELNS1_11target_archE1200ELNS1_3gpuE4ELNS1_3repE0EEENS1_30default_config_static_selectorELNS0_4arch9wavefront6targetE0EEEvT1_
; %bb.0:
	.section	.rodata,"a",@progbits
	.p2align	6, 0x0
	.amdhsa_kernel _ZN7rocprim17ROCPRIM_400000_NS6detail17trampoline_kernelINS0_14default_configENS1_33run_length_encode_config_selectorIjjNS0_4plusIjEEEEZZNS1_33reduce_by_key_impl_wrapped_configILNS1_25lookback_scan_determinismE0ES3_S7_PKjNS0_17constant_iteratorIjlEEPjPlSF_S6_NS0_8equal_toIjEEEE10hipError_tPvRmT2_T3_mT4_T5_T6_T7_T8_P12ihipStream_tbENKUlT_T0_E_clISt17integral_constantIbLb0EESY_IbLb1EEEEDaSU_SV_EUlSU_E_NS1_11comp_targetILNS1_3genE10ELNS1_11target_archE1200ELNS1_3gpuE4ELNS1_3repE0EEENS1_30default_config_static_selectorELNS0_4arch9wavefront6targetE0EEEvT1_
		.amdhsa_group_segment_fixed_size 0
		.amdhsa_private_segment_fixed_size 0
		.amdhsa_kernarg_size 128
		.amdhsa_user_sgpr_count 2
		.amdhsa_user_sgpr_dispatch_ptr 0
		.amdhsa_user_sgpr_queue_ptr 0
		.amdhsa_user_sgpr_kernarg_segment_ptr 1
		.amdhsa_user_sgpr_dispatch_id 0
		.amdhsa_user_sgpr_kernarg_preload_length 0
		.amdhsa_user_sgpr_kernarg_preload_offset 0
		.amdhsa_user_sgpr_private_segment_size 0
		.amdhsa_wavefront_size32 1
		.amdhsa_uses_dynamic_stack 0
		.amdhsa_enable_private_segment 0
		.amdhsa_system_sgpr_workgroup_id_x 1
		.amdhsa_system_sgpr_workgroup_id_y 0
		.amdhsa_system_sgpr_workgroup_id_z 0
		.amdhsa_system_sgpr_workgroup_info 0
		.amdhsa_system_vgpr_workitem_id 0
		.amdhsa_next_free_vgpr 1
		.amdhsa_next_free_sgpr 1
		.amdhsa_named_barrier_count 0
		.amdhsa_reserve_vcc 0
		.amdhsa_float_round_mode_32 0
		.amdhsa_float_round_mode_16_64 0
		.amdhsa_float_denorm_mode_32 3
		.amdhsa_float_denorm_mode_16_64 3
		.amdhsa_fp16_overflow 0
		.amdhsa_memory_ordered 1
		.amdhsa_forward_progress 1
		.amdhsa_inst_pref_size 0
		.amdhsa_round_robin_scheduling 0
		.amdhsa_exception_fp_ieee_invalid_op 0
		.amdhsa_exception_fp_denorm_src 0
		.amdhsa_exception_fp_ieee_div_zero 0
		.amdhsa_exception_fp_ieee_overflow 0
		.amdhsa_exception_fp_ieee_underflow 0
		.amdhsa_exception_fp_ieee_inexact 0
		.amdhsa_exception_int_div_zero 0
	.end_amdhsa_kernel
	.section	.text._ZN7rocprim17ROCPRIM_400000_NS6detail17trampoline_kernelINS0_14default_configENS1_33run_length_encode_config_selectorIjjNS0_4plusIjEEEEZZNS1_33reduce_by_key_impl_wrapped_configILNS1_25lookback_scan_determinismE0ES3_S7_PKjNS0_17constant_iteratorIjlEEPjPlSF_S6_NS0_8equal_toIjEEEE10hipError_tPvRmT2_T3_mT4_T5_T6_T7_T8_P12ihipStream_tbENKUlT_T0_E_clISt17integral_constantIbLb0EESY_IbLb1EEEEDaSU_SV_EUlSU_E_NS1_11comp_targetILNS1_3genE10ELNS1_11target_archE1200ELNS1_3gpuE4ELNS1_3repE0EEENS1_30default_config_static_selectorELNS0_4arch9wavefront6targetE0EEEvT1_,"axG",@progbits,_ZN7rocprim17ROCPRIM_400000_NS6detail17trampoline_kernelINS0_14default_configENS1_33run_length_encode_config_selectorIjjNS0_4plusIjEEEEZZNS1_33reduce_by_key_impl_wrapped_configILNS1_25lookback_scan_determinismE0ES3_S7_PKjNS0_17constant_iteratorIjlEEPjPlSF_S6_NS0_8equal_toIjEEEE10hipError_tPvRmT2_T3_mT4_T5_T6_T7_T8_P12ihipStream_tbENKUlT_T0_E_clISt17integral_constantIbLb0EESY_IbLb1EEEEDaSU_SV_EUlSU_E_NS1_11comp_targetILNS1_3genE10ELNS1_11target_archE1200ELNS1_3gpuE4ELNS1_3repE0EEENS1_30default_config_static_selectorELNS0_4arch9wavefront6targetE0EEEvT1_,comdat
.Lfunc_end682:
	.size	_ZN7rocprim17ROCPRIM_400000_NS6detail17trampoline_kernelINS0_14default_configENS1_33run_length_encode_config_selectorIjjNS0_4plusIjEEEEZZNS1_33reduce_by_key_impl_wrapped_configILNS1_25lookback_scan_determinismE0ES3_S7_PKjNS0_17constant_iteratorIjlEEPjPlSF_S6_NS0_8equal_toIjEEEE10hipError_tPvRmT2_T3_mT4_T5_T6_T7_T8_P12ihipStream_tbENKUlT_T0_E_clISt17integral_constantIbLb0EESY_IbLb1EEEEDaSU_SV_EUlSU_E_NS1_11comp_targetILNS1_3genE10ELNS1_11target_archE1200ELNS1_3gpuE4ELNS1_3repE0EEENS1_30default_config_static_selectorELNS0_4arch9wavefront6targetE0EEEvT1_, .Lfunc_end682-_ZN7rocprim17ROCPRIM_400000_NS6detail17trampoline_kernelINS0_14default_configENS1_33run_length_encode_config_selectorIjjNS0_4plusIjEEEEZZNS1_33reduce_by_key_impl_wrapped_configILNS1_25lookback_scan_determinismE0ES3_S7_PKjNS0_17constant_iteratorIjlEEPjPlSF_S6_NS0_8equal_toIjEEEE10hipError_tPvRmT2_T3_mT4_T5_T6_T7_T8_P12ihipStream_tbENKUlT_T0_E_clISt17integral_constantIbLb0EESY_IbLb1EEEEDaSU_SV_EUlSU_E_NS1_11comp_targetILNS1_3genE10ELNS1_11target_archE1200ELNS1_3gpuE4ELNS1_3repE0EEENS1_30default_config_static_selectorELNS0_4arch9wavefront6targetE0EEEvT1_
                                        ; -- End function
	.set _ZN7rocprim17ROCPRIM_400000_NS6detail17trampoline_kernelINS0_14default_configENS1_33run_length_encode_config_selectorIjjNS0_4plusIjEEEEZZNS1_33reduce_by_key_impl_wrapped_configILNS1_25lookback_scan_determinismE0ES3_S7_PKjNS0_17constant_iteratorIjlEEPjPlSF_S6_NS0_8equal_toIjEEEE10hipError_tPvRmT2_T3_mT4_T5_T6_T7_T8_P12ihipStream_tbENKUlT_T0_E_clISt17integral_constantIbLb0EESY_IbLb1EEEEDaSU_SV_EUlSU_E_NS1_11comp_targetILNS1_3genE10ELNS1_11target_archE1200ELNS1_3gpuE4ELNS1_3repE0EEENS1_30default_config_static_selectorELNS0_4arch9wavefront6targetE0EEEvT1_.num_vgpr, 0
	.set _ZN7rocprim17ROCPRIM_400000_NS6detail17trampoline_kernelINS0_14default_configENS1_33run_length_encode_config_selectorIjjNS0_4plusIjEEEEZZNS1_33reduce_by_key_impl_wrapped_configILNS1_25lookback_scan_determinismE0ES3_S7_PKjNS0_17constant_iteratorIjlEEPjPlSF_S6_NS0_8equal_toIjEEEE10hipError_tPvRmT2_T3_mT4_T5_T6_T7_T8_P12ihipStream_tbENKUlT_T0_E_clISt17integral_constantIbLb0EESY_IbLb1EEEEDaSU_SV_EUlSU_E_NS1_11comp_targetILNS1_3genE10ELNS1_11target_archE1200ELNS1_3gpuE4ELNS1_3repE0EEENS1_30default_config_static_selectorELNS0_4arch9wavefront6targetE0EEEvT1_.num_agpr, 0
	.set _ZN7rocprim17ROCPRIM_400000_NS6detail17trampoline_kernelINS0_14default_configENS1_33run_length_encode_config_selectorIjjNS0_4plusIjEEEEZZNS1_33reduce_by_key_impl_wrapped_configILNS1_25lookback_scan_determinismE0ES3_S7_PKjNS0_17constant_iteratorIjlEEPjPlSF_S6_NS0_8equal_toIjEEEE10hipError_tPvRmT2_T3_mT4_T5_T6_T7_T8_P12ihipStream_tbENKUlT_T0_E_clISt17integral_constantIbLb0EESY_IbLb1EEEEDaSU_SV_EUlSU_E_NS1_11comp_targetILNS1_3genE10ELNS1_11target_archE1200ELNS1_3gpuE4ELNS1_3repE0EEENS1_30default_config_static_selectorELNS0_4arch9wavefront6targetE0EEEvT1_.numbered_sgpr, 0
	.set _ZN7rocprim17ROCPRIM_400000_NS6detail17trampoline_kernelINS0_14default_configENS1_33run_length_encode_config_selectorIjjNS0_4plusIjEEEEZZNS1_33reduce_by_key_impl_wrapped_configILNS1_25lookback_scan_determinismE0ES3_S7_PKjNS0_17constant_iteratorIjlEEPjPlSF_S6_NS0_8equal_toIjEEEE10hipError_tPvRmT2_T3_mT4_T5_T6_T7_T8_P12ihipStream_tbENKUlT_T0_E_clISt17integral_constantIbLb0EESY_IbLb1EEEEDaSU_SV_EUlSU_E_NS1_11comp_targetILNS1_3genE10ELNS1_11target_archE1200ELNS1_3gpuE4ELNS1_3repE0EEENS1_30default_config_static_selectorELNS0_4arch9wavefront6targetE0EEEvT1_.num_named_barrier, 0
	.set _ZN7rocprim17ROCPRIM_400000_NS6detail17trampoline_kernelINS0_14default_configENS1_33run_length_encode_config_selectorIjjNS0_4plusIjEEEEZZNS1_33reduce_by_key_impl_wrapped_configILNS1_25lookback_scan_determinismE0ES3_S7_PKjNS0_17constant_iteratorIjlEEPjPlSF_S6_NS0_8equal_toIjEEEE10hipError_tPvRmT2_T3_mT4_T5_T6_T7_T8_P12ihipStream_tbENKUlT_T0_E_clISt17integral_constantIbLb0EESY_IbLb1EEEEDaSU_SV_EUlSU_E_NS1_11comp_targetILNS1_3genE10ELNS1_11target_archE1200ELNS1_3gpuE4ELNS1_3repE0EEENS1_30default_config_static_selectorELNS0_4arch9wavefront6targetE0EEEvT1_.private_seg_size, 0
	.set _ZN7rocprim17ROCPRIM_400000_NS6detail17trampoline_kernelINS0_14default_configENS1_33run_length_encode_config_selectorIjjNS0_4plusIjEEEEZZNS1_33reduce_by_key_impl_wrapped_configILNS1_25lookback_scan_determinismE0ES3_S7_PKjNS0_17constant_iteratorIjlEEPjPlSF_S6_NS0_8equal_toIjEEEE10hipError_tPvRmT2_T3_mT4_T5_T6_T7_T8_P12ihipStream_tbENKUlT_T0_E_clISt17integral_constantIbLb0EESY_IbLb1EEEEDaSU_SV_EUlSU_E_NS1_11comp_targetILNS1_3genE10ELNS1_11target_archE1200ELNS1_3gpuE4ELNS1_3repE0EEENS1_30default_config_static_selectorELNS0_4arch9wavefront6targetE0EEEvT1_.uses_vcc, 0
	.set _ZN7rocprim17ROCPRIM_400000_NS6detail17trampoline_kernelINS0_14default_configENS1_33run_length_encode_config_selectorIjjNS0_4plusIjEEEEZZNS1_33reduce_by_key_impl_wrapped_configILNS1_25lookback_scan_determinismE0ES3_S7_PKjNS0_17constant_iteratorIjlEEPjPlSF_S6_NS0_8equal_toIjEEEE10hipError_tPvRmT2_T3_mT4_T5_T6_T7_T8_P12ihipStream_tbENKUlT_T0_E_clISt17integral_constantIbLb0EESY_IbLb1EEEEDaSU_SV_EUlSU_E_NS1_11comp_targetILNS1_3genE10ELNS1_11target_archE1200ELNS1_3gpuE4ELNS1_3repE0EEENS1_30default_config_static_selectorELNS0_4arch9wavefront6targetE0EEEvT1_.uses_flat_scratch, 0
	.set _ZN7rocprim17ROCPRIM_400000_NS6detail17trampoline_kernelINS0_14default_configENS1_33run_length_encode_config_selectorIjjNS0_4plusIjEEEEZZNS1_33reduce_by_key_impl_wrapped_configILNS1_25lookback_scan_determinismE0ES3_S7_PKjNS0_17constant_iteratorIjlEEPjPlSF_S6_NS0_8equal_toIjEEEE10hipError_tPvRmT2_T3_mT4_T5_T6_T7_T8_P12ihipStream_tbENKUlT_T0_E_clISt17integral_constantIbLb0EESY_IbLb1EEEEDaSU_SV_EUlSU_E_NS1_11comp_targetILNS1_3genE10ELNS1_11target_archE1200ELNS1_3gpuE4ELNS1_3repE0EEENS1_30default_config_static_selectorELNS0_4arch9wavefront6targetE0EEEvT1_.has_dyn_sized_stack, 0
	.set _ZN7rocprim17ROCPRIM_400000_NS6detail17trampoline_kernelINS0_14default_configENS1_33run_length_encode_config_selectorIjjNS0_4plusIjEEEEZZNS1_33reduce_by_key_impl_wrapped_configILNS1_25lookback_scan_determinismE0ES3_S7_PKjNS0_17constant_iteratorIjlEEPjPlSF_S6_NS0_8equal_toIjEEEE10hipError_tPvRmT2_T3_mT4_T5_T6_T7_T8_P12ihipStream_tbENKUlT_T0_E_clISt17integral_constantIbLb0EESY_IbLb1EEEEDaSU_SV_EUlSU_E_NS1_11comp_targetILNS1_3genE10ELNS1_11target_archE1200ELNS1_3gpuE4ELNS1_3repE0EEENS1_30default_config_static_selectorELNS0_4arch9wavefront6targetE0EEEvT1_.has_recursion, 0
	.set _ZN7rocprim17ROCPRIM_400000_NS6detail17trampoline_kernelINS0_14default_configENS1_33run_length_encode_config_selectorIjjNS0_4plusIjEEEEZZNS1_33reduce_by_key_impl_wrapped_configILNS1_25lookback_scan_determinismE0ES3_S7_PKjNS0_17constant_iteratorIjlEEPjPlSF_S6_NS0_8equal_toIjEEEE10hipError_tPvRmT2_T3_mT4_T5_T6_T7_T8_P12ihipStream_tbENKUlT_T0_E_clISt17integral_constantIbLb0EESY_IbLb1EEEEDaSU_SV_EUlSU_E_NS1_11comp_targetILNS1_3genE10ELNS1_11target_archE1200ELNS1_3gpuE4ELNS1_3repE0EEENS1_30default_config_static_selectorELNS0_4arch9wavefront6targetE0EEEvT1_.has_indirect_call, 0
	.section	.AMDGPU.csdata,"",@progbits
; Kernel info:
; codeLenInByte = 0
; TotalNumSgprs: 0
; NumVgprs: 0
; ScratchSize: 0
; MemoryBound: 0
; FloatMode: 240
; IeeeMode: 1
; LDSByteSize: 0 bytes/workgroup (compile time only)
; SGPRBlocks: 0
; VGPRBlocks: 0
; NumSGPRsForWavesPerEU: 1
; NumVGPRsForWavesPerEU: 1
; NamedBarCnt: 0
; Occupancy: 16
; WaveLimiterHint : 0
; COMPUTE_PGM_RSRC2:SCRATCH_EN: 0
; COMPUTE_PGM_RSRC2:USER_SGPR: 2
; COMPUTE_PGM_RSRC2:TRAP_HANDLER: 0
; COMPUTE_PGM_RSRC2:TGID_X_EN: 1
; COMPUTE_PGM_RSRC2:TGID_Y_EN: 0
; COMPUTE_PGM_RSRC2:TGID_Z_EN: 0
; COMPUTE_PGM_RSRC2:TIDIG_COMP_CNT: 0
	.section	.text._ZN7rocprim17ROCPRIM_400000_NS6detail17trampoline_kernelINS0_14default_configENS1_33run_length_encode_config_selectorIjjNS0_4plusIjEEEEZZNS1_33reduce_by_key_impl_wrapped_configILNS1_25lookback_scan_determinismE0ES3_S7_PKjNS0_17constant_iteratorIjlEEPjPlSF_S6_NS0_8equal_toIjEEEE10hipError_tPvRmT2_T3_mT4_T5_T6_T7_T8_P12ihipStream_tbENKUlT_T0_E_clISt17integral_constantIbLb0EESY_IbLb1EEEEDaSU_SV_EUlSU_E_NS1_11comp_targetILNS1_3genE9ELNS1_11target_archE1100ELNS1_3gpuE3ELNS1_3repE0EEENS1_30default_config_static_selectorELNS0_4arch9wavefront6targetE0EEEvT1_,"axG",@progbits,_ZN7rocprim17ROCPRIM_400000_NS6detail17trampoline_kernelINS0_14default_configENS1_33run_length_encode_config_selectorIjjNS0_4plusIjEEEEZZNS1_33reduce_by_key_impl_wrapped_configILNS1_25lookback_scan_determinismE0ES3_S7_PKjNS0_17constant_iteratorIjlEEPjPlSF_S6_NS0_8equal_toIjEEEE10hipError_tPvRmT2_T3_mT4_T5_T6_T7_T8_P12ihipStream_tbENKUlT_T0_E_clISt17integral_constantIbLb0EESY_IbLb1EEEEDaSU_SV_EUlSU_E_NS1_11comp_targetILNS1_3genE9ELNS1_11target_archE1100ELNS1_3gpuE3ELNS1_3repE0EEENS1_30default_config_static_selectorELNS0_4arch9wavefront6targetE0EEEvT1_,comdat
	.protected	_ZN7rocprim17ROCPRIM_400000_NS6detail17trampoline_kernelINS0_14default_configENS1_33run_length_encode_config_selectorIjjNS0_4plusIjEEEEZZNS1_33reduce_by_key_impl_wrapped_configILNS1_25lookback_scan_determinismE0ES3_S7_PKjNS0_17constant_iteratorIjlEEPjPlSF_S6_NS0_8equal_toIjEEEE10hipError_tPvRmT2_T3_mT4_T5_T6_T7_T8_P12ihipStream_tbENKUlT_T0_E_clISt17integral_constantIbLb0EESY_IbLb1EEEEDaSU_SV_EUlSU_E_NS1_11comp_targetILNS1_3genE9ELNS1_11target_archE1100ELNS1_3gpuE3ELNS1_3repE0EEENS1_30default_config_static_selectorELNS0_4arch9wavefront6targetE0EEEvT1_ ; -- Begin function _ZN7rocprim17ROCPRIM_400000_NS6detail17trampoline_kernelINS0_14default_configENS1_33run_length_encode_config_selectorIjjNS0_4plusIjEEEEZZNS1_33reduce_by_key_impl_wrapped_configILNS1_25lookback_scan_determinismE0ES3_S7_PKjNS0_17constant_iteratorIjlEEPjPlSF_S6_NS0_8equal_toIjEEEE10hipError_tPvRmT2_T3_mT4_T5_T6_T7_T8_P12ihipStream_tbENKUlT_T0_E_clISt17integral_constantIbLb0EESY_IbLb1EEEEDaSU_SV_EUlSU_E_NS1_11comp_targetILNS1_3genE9ELNS1_11target_archE1100ELNS1_3gpuE3ELNS1_3repE0EEENS1_30default_config_static_selectorELNS0_4arch9wavefront6targetE0EEEvT1_
	.globl	_ZN7rocprim17ROCPRIM_400000_NS6detail17trampoline_kernelINS0_14default_configENS1_33run_length_encode_config_selectorIjjNS0_4plusIjEEEEZZNS1_33reduce_by_key_impl_wrapped_configILNS1_25lookback_scan_determinismE0ES3_S7_PKjNS0_17constant_iteratorIjlEEPjPlSF_S6_NS0_8equal_toIjEEEE10hipError_tPvRmT2_T3_mT4_T5_T6_T7_T8_P12ihipStream_tbENKUlT_T0_E_clISt17integral_constantIbLb0EESY_IbLb1EEEEDaSU_SV_EUlSU_E_NS1_11comp_targetILNS1_3genE9ELNS1_11target_archE1100ELNS1_3gpuE3ELNS1_3repE0EEENS1_30default_config_static_selectorELNS0_4arch9wavefront6targetE0EEEvT1_
	.p2align	8
	.type	_ZN7rocprim17ROCPRIM_400000_NS6detail17trampoline_kernelINS0_14default_configENS1_33run_length_encode_config_selectorIjjNS0_4plusIjEEEEZZNS1_33reduce_by_key_impl_wrapped_configILNS1_25lookback_scan_determinismE0ES3_S7_PKjNS0_17constant_iteratorIjlEEPjPlSF_S6_NS0_8equal_toIjEEEE10hipError_tPvRmT2_T3_mT4_T5_T6_T7_T8_P12ihipStream_tbENKUlT_T0_E_clISt17integral_constantIbLb0EESY_IbLb1EEEEDaSU_SV_EUlSU_E_NS1_11comp_targetILNS1_3genE9ELNS1_11target_archE1100ELNS1_3gpuE3ELNS1_3repE0EEENS1_30default_config_static_selectorELNS0_4arch9wavefront6targetE0EEEvT1_,@function
_ZN7rocprim17ROCPRIM_400000_NS6detail17trampoline_kernelINS0_14default_configENS1_33run_length_encode_config_selectorIjjNS0_4plusIjEEEEZZNS1_33reduce_by_key_impl_wrapped_configILNS1_25lookback_scan_determinismE0ES3_S7_PKjNS0_17constant_iteratorIjlEEPjPlSF_S6_NS0_8equal_toIjEEEE10hipError_tPvRmT2_T3_mT4_T5_T6_T7_T8_P12ihipStream_tbENKUlT_T0_E_clISt17integral_constantIbLb0EESY_IbLb1EEEEDaSU_SV_EUlSU_E_NS1_11comp_targetILNS1_3genE9ELNS1_11target_archE1100ELNS1_3gpuE3ELNS1_3repE0EEENS1_30default_config_static_selectorELNS0_4arch9wavefront6targetE0EEEvT1_: ; @_ZN7rocprim17ROCPRIM_400000_NS6detail17trampoline_kernelINS0_14default_configENS1_33run_length_encode_config_selectorIjjNS0_4plusIjEEEEZZNS1_33reduce_by_key_impl_wrapped_configILNS1_25lookback_scan_determinismE0ES3_S7_PKjNS0_17constant_iteratorIjlEEPjPlSF_S6_NS0_8equal_toIjEEEE10hipError_tPvRmT2_T3_mT4_T5_T6_T7_T8_P12ihipStream_tbENKUlT_T0_E_clISt17integral_constantIbLb0EESY_IbLb1EEEEDaSU_SV_EUlSU_E_NS1_11comp_targetILNS1_3genE9ELNS1_11target_archE1100ELNS1_3gpuE3ELNS1_3repE0EEENS1_30default_config_static_selectorELNS0_4arch9wavefront6targetE0EEEvT1_
; %bb.0:
	.section	.rodata,"a",@progbits
	.p2align	6, 0x0
	.amdhsa_kernel _ZN7rocprim17ROCPRIM_400000_NS6detail17trampoline_kernelINS0_14default_configENS1_33run_length_encode_config_selectorIjjNS0_4plusIjEEEEZZNS1_33reduce_by_key_impl_wrapped_configILNS1_25lookback_scan_determinismE0ES3_S7_PKjNS0_17constant_iteratorIjlEEPjPlSF_S6_NS0_8equal_toIjEEEE10hipError_tPvRmT2_T3_mT4_T5_T6_T7_T8_P12ihipStream_tbENKUlT_T0_E_clISt17integral_constantIbLb0EESY_IbLb1EEEEDaSU_SV_EUlSU_E_NS1_11comp_targetILNS1_3genE9ELNS1_11target_archE1100ELNS1_3gpuE3ELNS1_3repE0EEENS1_30default_config_static_selectorELNS0_4arch9wavefront6targetE0EEEvT1_
		.amdhsa_group_segment_fixed_size 0
		.amdhsa_private_segment_fixed_size 0
		.amdhsa_kernarg_size 128
		.amdhsa_user_sgpr_count 2
		.amdhsa_user_sgpr_dispatch_ptr 0
		.amdhsa_user_sgpr_queue_ptr 0
		.amdhsa_user_sgpr_kernarg_segment_ptr 1
		.amdhsa_user_sgpr_dispatch_id 0
		.amdhsa_user_sgpr_kernarg_preload_length 0
		.amdhsa_user_sgpr_kernarg_preload_offset 0
		.amdhsa_user_sgpr_private_segment_size 0
		.amdhsa_wavefront_size32 1
		.amdhsa_uses_dynamic_stack 0
		.amdhsa_enable_private_segment 0
		.amdhsa_system_sgpr_workgroup_id_x 1
		.amdhsa_system_sgpr_workgroup_id_y 0
		.amdhsa_system_sgpr_workgroup_id_z 0
		.amdhsa_system_sgpr_workgroup_info 0
		.amdhsa_system_vgpr_workitem_id 0
		.amdhsa_next_free_vgpr 1
		.amdhsa_next_free_sgpr 1
		.amdhsa_named_barrier_count 0
		.amdhsa_reserve_vcc 0
		.amdhsa_float_round_mode_32 0
		.amdhsa_float_round_mode_16_64 0
		.amdhsa_float_denorm_mode_32 3
		.amdhsa_float_denorm_mode_16_64 3
		.amdhsa_fp16_overflow 0
		.amdhsa_memory_ordered 1
		.amdhsa_forward_progress 1
		.amdhsa_inst_pref_size 0
		.amdhsa_round_robin_scheduling 0
		.amdhsa_exception_fp_ieee_invalid_op 0
		.amdhsa_exception_fp_denorm_src 0
		.amdhsa_exception_fp_ieee_div_zero 0
		.amdhsa_exception_fp_ieee_overflow 0
		.amdhsa_exception_fp_ieee_underflow 0
		.amdhsa_exception_fp_ieee_inexact 0
		.amdhsa_exception_int_div_zero 0
	.end_amdhsa_kernel
	.section	.text._ZN7rocprim17ROCPRIM_400000_NS6detail17trampoline_kernelINS0_14default_configENS1_33run_length_encode_config_selectorIjjNS0_4plusIjEEEEZZNS1_33reduce_by_key_impl_wrapped_configILNS1_25lookback_scan_determinismE0ES3_S7_PKjNS0_17constant_iteratorIjlEEPjPlSF_S6_NS0_8equal_toIjEEEE10hipError_tPvRmT2_T3_mT4_T5_T6_T7_T8_P12ihipStream_tbENKUlT_T0_E_clISt17integral_constantIbLb0EESY_IbLb1EEEEDaSU_SV_EUlSU_E_NS1_11comp_targetILNS1_3genE9ELNS1_11target_archE1100ELNS1_3gpuE3ELNS1_3repE0EEENS1_30default_config_static_selectorELNS0_4arch9wavefront6targetE0EEEvT1_,"axG",@progbits,_ZN7rocprim17ROCPRIM_400000_NS6detail17trampoline_kernelINS0_14default_configENS1_33run_length_encode_config_selectorIjjNS0_4plusIjEEEEZZNS1_33reduce_by_key_impl_wrapped_configILNS1_25lookback_scan_determinismE0ES3_S7_PKjNS0_17constant_iteratorIjlEEPjPlSF_S6_NS0_8equal_toIjEEEE10hipError_tPvRmT2_T3_mT4_T5_T6_T7_T8_P12ihipStream_tbENKUlT_T0_E_clISt17integral_constantIbLb0EESY_IbLb1EEEEDaSU_SV_EUlSU_E_NS1_11comp_targetILNS1_3genE9ELNS1_11target_archE1100ELNS1_3gpuE3ELNS1_3repE0EEENS1_30default_config_static_selectorELNS0_4arch9wavefront6targetE0EEEvT1_,comdat
.Lfunc_end683:
	.size	_ZN7rocprim17ROCPRIM_400000_NS6detail17trampoline_kernelINS0_14default_configENS1_33run_length_encode_config_selectorIjjNS0_4plusIjEEEEZZNS1_33reduce_by_key_impl_wrapped_configILNS1_25lookback_scan_determinismE0ES3_S7_PKjNS0_17constant_iteratorIjlEEPjPlSF_S6_NS0_8equal_toIjEEEE10hipError_tPvRmT2_T3_mT4_T5_T6_T7_T8_P12ihipStream_tbENKUlT_T0_E_clISt17integral_constantIbLb0EESY_IbLb1EEEEDaSU_SV_EUlSU_E_NS1_11comp_targetILNS1_3genE9ELNS1_11target_archE1100ELNS1_3gpuE3ELNS1_3repE0EEENS1_30default_config_static_selectorELNS0_4arch9wavefront6targetE0EEEvT1_, .Lfunc_end683-_ZN7rocprim17ROCPRIM_400000_NS6detail17trampoline_kernelINS0_14default_configENS1_33run_length_encode_config_selectorIjjNS0_4plusIjEEEEZZNS1_33reduce_by_key_impl_wrapped_configILNS1_25lookback_scan_determinismE0ES3_S7_PKjNS0_17constant_iteratorIjlEEPjPlSF_S6_NS0_8equal_toIjEEEE10hipError_tPvRmT2_T3_mT4_T5_T6_T7_T8_P12ihipStream_tbENKUlT_T0_E_clISt17integral_constantIbLb0EESY_IbLb1EEEEDaSU_SV_EUlSU_E_NS1_11comp_targetILNS1_3genE9ELNS1_11target_archE1100ELNS1_3gpuE3ELNS1_3repE0EEENS1_30default_config_static_selectorELNS0_4arch9wavefront6targetE0EEEvT1_
                                        ; -- End function
	.set _ZN7rocprim17ROCPRIM_400000_NS6detail17trampoline_kernelINS0_14default_configENS1_33run_length_encode_config_selectorIjjNS0_4plusIjEEEEZZNS1_33reduce_by_key_impl_wrapped_configILNS1_25lookback_scan_determinismE0ES3_S7_PKjNS0_17constant_iteratorIjlEEPjPlSF_S6_NS0_8equal_toIjEEEE10hipError_tPvRmT2_T3_mT4_T5_T6_T7_T8_P12ihipStream_tbENKUlT_T0_E_clISt17integral_constantIbLb0EESY_IbLb1EEEEDaSU_SV_EUlSU_E_NS1_11comp_targetILNS1_3genE9ELNS1_11target_archE1100ELNS1_3gpuE3ELNS1_3repE0EEENS1_30default_config_static_selectorELNS0_4arch9wavefront6targetE0EEEvT1_.num_vgpr, 0
	.set _ZN7rocprim17ROCPRIM_400000_NS6detail17trampoline_kernelINS0_14default_configENS1_33run_length_encode_config_selectorIjjNS0_4plusIjEEEEZZNS1_33reduce_by_key_impl_wrapped_configILNS1_25lookback_scan_determinismE0ES3_S7_PKjNS0_17constant_iteratorIjlEEPjPlSF_S6_NS0_8equal_toIjEEEE10hipError_tPvRmT2_T3_mT4_T5_T6_T7_T8_P12ihipStream_tbENKUlT_T0_E_clISt17integral_constantIbLb0EESY_IbLb1EEEEDaSU_SV_EUlSU_E_NS1_11comp_targetILNS1_3genE9ELNS1_11target_archE1100ELNS1_3gpuE3ELNS1_3repE0EEENS1_30default_config_static_selectorELNS0_4arch9wavefront6targetE0EEEvT1_.num_agpr, 0
	.set _ZN7rocprim17ROCPRIM_400000_NS6detail17trampoline_kernelINS0_14default_configENS1_33run_length_encode_config_selectorIjjNS0_4plusIjEEEEZZNS1_33reduce_by_key_impl_wrapped_configILNS1_25lookback_scan_determinismE0ES3_S7_PKjNS0_17constant_iteratorIjlEEPjPlSF_S6_NS0_8equal_toIjEEEE10hipError_tPvRmT2_T3_mT4_T5_T6_T7_T8_P12ihipStream_tbENKUlT_T0_E_clISt17integral_constantIbLb0EESY_IbLb1EEEEDaSU_SV_EUlSU_E_NS1_11comp_targetILNS1_3genE9ELNS1_11target_archE1100ELNS1_3gpuE3ELNS1_3repE0EEENS1_30default_config_static_selectorELNS0_4arch9wavefront6targetE0EEEvT1_.numbered_sgpr, 0
	.set _ZN7rocprim17ROCPRIM_400000_NS6detail17trampoline_kernelINS0_14default_configENS1_33run_length_encode_config_selectorIjjNS0_4plusIjEEEEZZNS1_33reduce_by_key_impl_wrapped_configILNS1_25lookback_scan_determinismE0ES3_S7_PKjNS0_17constant_iteratorIjlEEPjPlSF_S6_NS0_8equal_toIjEEEE10hipError_tPvRmT2_T3_mT4_T5_T6_T7_T8_P12ihipStream_tbENKUlT_T0_E_clISt17integral_constantIbLb0EESY_IbLb1EEEEDaSU_SV_EUlSU_E_NS1_11comp_targetILNS1_3genE9ELNS1_11target_archE1100ELNS1_3gpuE3ELNS1_3repE0EEENS1_30default_config_static_selectorELNS0_4arch9wavefront6targetE0EEEvT1_.num_named_barrier, 0
	.set _ZN7rocprim17ROCPRIM_400000_NS6detail17trampoline_kernelINS0_14default_configENS1_33run_length_encode_config_selectorIjjNS0_4plusIjEEEEZZNS1_33reduce_by_key_impl_wrapped_configILNS1_25lookback_scan_determinismE0ES3_S7_PKjNS0_17constant_iteratorIjlEEPjPlSF_S6_NS0_8equal_toIjEEEE10hipError_tPvRmT2_T3_mT4_T5_T6_T7_T8_P12ihipStream_tbENKUlT_T0_E_clISt17integral_constantIbLb0EESY_IbLb1EEEEDaSU_SV_EUlSU_E_NS1_11comp_targetILNS1_3genE9ELNS1_11target_archE1100ELNS1_3gpuE3ELNS1_3repE0EEENS1_30default_config_static_selectorELNS0_4arch9wavefront6targetE0EEEvT1_.private_seg_size, 0
	.set _ZN7rocprim17ROCPRIM_400000_NS6detail17trampoline_kernelINS0_14default_configENS1_33run_length_encode_config_selectorIjjNS0_4plusIjEEEEZZNS1_33reduce_by_key_impl_wrapped_configILNS1_25lookback_scan_determinismE0ES3_S7_PKjNS0_17constant_iteratorIjlEEPjPlSF_S6_NS0_8equal_toIjEEEE10hipError_tPvRmT2_T3_mT4_T5_T6_T7_T8_P12ihipStream_tbENKUlT_T0_E_clISt17integral_constantIbLb0EESY_IbLb1EEEEDaSU_SV_EUlSU_E_NS1_11comp_targetILNS1_3genE9ELNS1_11target_archE1100ELNS1_3gpuE3ELNS1_3repE0EEENS1_30default_config_static_selectorELNS0_4arch9wavefront6targetE0EEEvT1_.uses_vcc, 0
	.set _ZN7rocprim17ROCPRIM_400000_NS6detail17trampoline_kernelINS0_14default_configENS1_33run_length_encode_config_selectorIjjNS0_4plusIjEEEEZZNS1_33reduce_by_key_impl_wrapped_configILNS1_25lookback_scan_determinismE0ES3_S7_PKjNS0_17constant_iteratorIjlEEPjPlSF_S6_NS0_8equal_toIjEEEE10hipError_tPvRmT2_T3_mT4_T5_T6_T7_T8_P12ihipStream_tbENKUlT_T0_E_clISt17integral_constantIbLb0EESY_IbLb1EEEEDaSU_SV_EUlSU_E_NS1_11comp_targetILNS1_3genE9ELNS1_11target_archE1100ELNS1_3gpuE3ELNS1_3repE0EEENS1_30default_config_static_selectorELNS0_4arch9wavefront6targetE0EEEvT1_.uses_flat_scratch, 0
	.set _ZN7rocprim17ROCPRIM_400000_NS6detail17trampoline_kernelINS0_14default_configENS1_33run_length_encode_config_selectorIjjNS0_4plusIjEEEEZZNS1_33reduce_by_key_impl_wrapped_configILNS1_25lookback_scan_determinismE0ES3_S7_PKjNS0_17constant_iteratorIjlEEPjPlSF_S6_NS0_8equal_toIjEEEE10hipError_tPvRmT2_T3_mT4_T5_T6_T7_T8_P12ihipStream_tbENKUlT_T0_E_clISt17integral_constantIbLb0EESY_IbLb1EEEEDaSU_SV_EUlSU_E_NS1_11comp_targetILNS1_3genE9ELNS1_11target_archE1100ELNS1_3gpuE3ELNS1_3repE0EEENS1_30default_config_static_selectorELNS0_4arch9wavefront6targetE0EEEvT1_.has_dyn_sized_stack, 0
	.set _ZN7rocprim17ROCPRIM_400000_NS6detail17trampoline_kernelINS0_14default_configENS1_33run_length_encode_config_selectorIjjNS0_4plusIjEEEEZZNS1_33reduce_by_key_impl_wrapped_configILNS1_25lookback_scan_determinismE0ES3_S7_PKjNS0_17constant_iteratorIjlEEPjPlSF_S6_NS0_8equal_toIjEEEE10hipError_tPvRmT2_T3_mT4_T5_T6_T7_T8_P12ihipStream_tbENKUlT_T0_E_clISt17integral_constantIbLb0EESY_IbLb1EEEEDaSU_SV_EUlSU_E_NS1_11comp_targetILNS1_3genE9ELNS1_11target_archE1100ELNS1_3gpuE3ELNS1_3repE0EEENS1_30default_config_static_selectorELNS0_4arch9wavefront6targetE0EEEvT1_.has_recursion, 0
	.set _ZN7rocprim17ROCPRIM_400000_NS6detail17trampoline_kernelINS0_14default_configENS1_33run_length_encode_config_selectorIjjNS0_4plusIjEEEEZZNS1_33reduce_by_key_impl_wrapped_configILNS1_25lookback_scan_determinismE0ES3_S7_PKjNS0_17constant_iteratorIjlEEPjPlSF_S6_NS0_8equal_toIjEEEE10hipError_tPvRmT2_T3_mT4_T5_T6_T7_T8_P12ihipStream_tbENKUlT_T0_E_clISt17integral_constantIbLb0EESY_IbLb1EEEEDaSU_SV_EUlSU_E_NS1_11comp_targetILNS1_3genE9ELNS1_11target_archE1100ELNS1_3gpuE3ELNS1_3repE0EEENS1_30default_config_static_selectorELNS0_4arch9wavefront6targetE0EEEvT1_.has_indirect_call, 0
	.section	.AMDGPU.csdata,"",@progbits
; Kernel info:
; codeLenInByte = 0
; TotalNumSgprs: 0
; NumVgprs: 0
; ScratchSize: 0
; MemoryBound: 0
; FloatMode: 240
; IeeeMode: 1
; LDSByteSize: 0 bytes/workgroup (compile time only)
; SGPRBlocks: 0
; VGPRBlocks: 0
; NumSGPRsForWavesPerEU: 1
; NumVGPRsForWavesPerEU: 1
; NamedBarCnt: 0
; Occupancy: 16
; WaveLimiterHint : 0
; COMPUTE_PGM_RSRC2:SCRATCH_EN: 0
; COMPUTE_PGM_RSRC2:USER_SGPR: 2
; COMPUTE_PGM_RSRC2:TRAP_HANDLER: 0
; COMPUTE_PGM_RSRC2:TGID_X_EN: 1
; COMPUTE_PGM_RSRC2:TGID_Y_EN: 0
; COMPUTE_PGM_RSRC2:TGID_Z_EN: 0
; COMPUTE_PGM_RSRC2:TIDIG_COMP_CNT: 0
	.section	.text._ZN7rocprim17ROCPRIM_400000_NS6detail17trampoline_kernelINS0_14default_configENS1_33run_length_encode_config_selectorIjjNS0_4plusIjEEEEZZNS1_33reduce_by_key_impl_wrapped_configILNS1_25lookback_scan_determinismE0ES3_S7_PKjNS0_17constant_iteratorIjlEEPjPlSF_S6_NS0_8equal_toIjEEEE10hipError_tPvRmT2_T3_mT4_T5_T6_T7_T8_P12ihipStream_tbENKUlT_T0_E_clISt17integral_constantIbLb0EESY_IbLb1EEEEDaSU_SV_EUlSU_E_NS1_11comp_targetILNS1_3genE8ELNS1_11target_archE1030ELNS1_3gpuE2ELNS1_3repE0EEENS1_30default_config_static_selectorELNS0_4arch9wavefront6targetE0EEEvT1_,"axG",@progbits,_ZN7rocprim17ROCPRIM_400000_NS6detail17trampoline_kernelINS0_14default_configENS1_33run_length_encode_config_selectorIjjNS0_4plusIjEEEEZZNS1_33reduce_by_key_impl_wrapped_configILNS1_25lookback_scan_determinismE0ES3_S7_PKjNS0_17constant_iteratorIjlEEPjPlSF_S6_NS0_8equal_toIjEEEE10hipError_tPvRmT2_T3_mT4_T5_T6_T7_T8_P12ihipStream_tbENKUlT_T0_E_clISt17integral_constantIbLb0EESY_IbLb1EEEEDaSU_SV_EUlSU_E_NS1_11comp_targetILNS1_3genE8ELNS1_11target_archE1030ELNS1_3gpuE2ELNS1_3repE0EEENS1_30default_config_static_selectorELNS0_4arch9wavefront6targetE0EEEvT1_,comdat
	.protected	_ZN7rocprim17ROCPRIM_400000_NS6detail17trampoline_kernelINS0_14default_configENS1_33run_length_encode_config_selectorIjjNS0_4plusIjEEEEZZNS1_33reduce_by_key_impl_wrapped_configILNS1_25lookback_scan_determinismE0ES3_S7_PKjNS0_17constant_iteratorIjlEEPjPlSF_S6_NS0_8equal_toIjEEEE10hipError_tPvRmT2_T3_mT4_T5_T6_T7_T8_P12ihipStream_tbENKUlT_T0_E_clISt17integral_constantIbLb0EESY_IbLb1EEEEDaSU_SV_EUlSU_E_NS1_11comp_targetILNS1_3genE8ELNS1_11target_archE1030ELNS1_3gpuE2ELNS1_3repE0EEENS1_30default_config_static_selectorELNS0_4arch9wavefront6targetE0EEEvT1_ ; -- Begin function _ZN7rocprim17ROCPRIM_400000_NS6detail17trampoline_kernelINS0_14default_configENS1_33run_length_encode_config_selectorIjjNS0_4plusIjEEEEZZNS1_33reduce_by_key_impl_wrapped_configILNS1_25lookback_scan_determinismE0ES3_S7_PKjNS0_17constant_iteratorIjlEEPjPlSF_S6_NS0_8equal_toIjEEEE10hipError_tPvRmT2_T3_mT4_T5_T6_T7_T8_P12ihipStream_tbENKUlT_T0_E_clISt17integral_constantIbLb0EESY_IbLb1EEEEDaSU_SV_EUlSU_E_NS1_11comp_targetILNS1_3genE8ELNS1_11target_archE1030ELNS1_3gpuE2ELNS1_3repE0EEENS1_30default_config_static_selectorELNS0_4arch9wavefront6targetE0EEEvT1_
	.globl	_ZN7rocprim17ROCPRIM_400000_NS6detail17trampoline_kernelINS0_14default_configENS1_33run_length_encode_config_selectorIjjNS0_4plusIjEEEEZZNS1_33reduce_by_key_impl_wrapped_configILNS1_25lookback_scan_determinismE0ES3_S7_PKjNS0_17constant_iteratorIjlEEPjPlSF_S6_NS0_8equal_toIjEEEE10hipError_tPvRmT2_T3_mT4_T5_T6_T7_T8_P12ihipStream_tbENKUlT_T0_E_clISt17integral_constantIbLb0EESY_IbLb1EEEEDaSU_SV_EUlSU_E_NS1_11comp_targetILNS1_3genE8ELNS1_11target_archE1030ELNS1_3gpuE2ELNS1_3repE0EEENS1_30default_config_static_selectorELNS0_4arch9wavefront6targetE0EEEvT1_
	.p2align	8
	.type	_ZN7rocprim17ROCPRIM_400000_NS6detail17trampoline_kernelINS0_14default_configENS1_33run_length_encode_config_selectorIjjNS0_4plusIjEEEEZZNS1_33reduce_by_key_impl_wrapped_configILNS1_25lookback_scan_determinismE0ES3_S7_PKjNS0_17constant_iteratorIjlEEPjPlSF_S6_NS0_8equal_toIjEEEE10hipError_tPvRmT2_T3_mT4_T5_T6_T7_T8_P12ihipStream_tbENKUlT_T0_E_clISt17integral_constantIbLb0EESY_IbLb1EEEEDaSU_SV_EUlSU_E_NS1_11comp_targetILNS1_3genE8ELNS1_11target_archE1030ELNS1_3gpuE2ELNS1_3repE0EEENS1_30default_config_static_selectorELNS0_4arch9wavefront6targetE0EEEvT1_,@function
_ZN7rocprim17ROCPRIM_400000_NS6detail17trampoline_kernelINS0_14default_configENS1_33run_length_encode_config_selectorIjjNS0_4plusIjEEEEZZNS1_33reduce_by_key_impl_wrapped_configILNS1_25lookback_scan_determinismE0ES3_S7_PKjNS0_17constant_iteratorIjlEEPjPlSF_S6_NS0_8equal_toIjEEEE10hipError_tPvRmT2_T3_mT4_T5_T6_T7_T8_P12ihipStream_tbENKUlT_T0_E_clISt17integral_constantIbLb0EESY_IbLb1EEEEDaSU_SV_EUlSU_E_NS1_11comp_targetILNS1_3genE8ELNS1_11target_archE1030ELNS1_3gpuE2ELNS1_3repE0EEENS1_30default_config_static_selectorELNS0_4arch9wavefront6targetE0EEEvT1_: ; @_ZN7rocprim17ROCPRIM_400000_NS6detail17trampoline_kernelINS0_14default_configENS1_33run_length_encode_config_selectorIjjNS0_4plusIjEEEEZZNS1_33reduce_by_key_impl_wrapped_configILNS1_25lookback_scan_determinismE0ES3_S7_PKjNS0_17constant_iteratorIjlEEPjPlSF_S6_NS0_8equal_toIjEEEE10hipError_tPvRmT2_T3_mT4_T5_T6_T7_T8_P12ihipStream_tbENKUlT_T0_E_clISt17integral_constantIbLb0EESY_IbLb1EEEEDaSU_SV_EUlSU_E_NS1_11comp_targetILNS1_3genE8ELNS1_11target_archE1030ELNS1_3gpuE2ELNS1_3repE0EEENS1_30default_config_static_selectorELNS0_4arch9wavefront6targetE0EEEvT1_
; %bb.0:
	.section	.rodata,"a",@progbits
	.p2align	6, 0x0
	.amdhsa_kernel _ZN7rocprim17ROCPRIM_400000_NS6detail17trampoline_kernelINS0_14default_configENS1_33run_length_encode_config_selectorIjjNS0_4plusIjEEEEZZNS1_33reduce_by_key_impl_wrapped_configILNS1_25lookback_scan_determinismE0ES3_S7_PKjNS0_17constant_iteratorIjlEEPjPlSF_S6_NS0_8equal_toIjEEEE10hipError_tPvRmT2_T3_mT4_T5_T6_T7_T8_P12ihipStream_tbENKUlT_T0_E_clISt17integral_constantIbLb0EESY_IbLb1EEEEDaSU_SV_EUlSU_E_NS1_11comp_targetILNS1_3genE8ELNS1_11target_archE1030ELNS1_3gpuE2ELNS1_3repE0EEENS1_30default_config_static_selectorELNS0_4arch9wavefront6targetE0EEEvT1_
		.amdhsa_group_segment_fixed_size 0
		.amdhsa_private_segment_fixed_size 0
		.amdhsa_kernarg_size 128
		.amdhsa_user_sgpr_count 2
		.amdhsa_user_sgpr_dispatch_ptr 0
		.amdhsa_user_sgpr_queue_ptr 0
		.amdhsa_user_sgpr_kernarg_segment_ptr 1
		.amdhsa_user_sgpr_dispatch_id 0
		.amdhsa_user_sgpr_kernarg_preload_length 0
		.amdhsa_user_sgpr_kernarg_preload_offset 0
		.amdhsa_user_sgpr_private_segment_size 0
		.amdhsa_wavefront_size32 1
		.amdhsa_uses_dynamic_stack 0
		.amdhsa_enable_private_segment 0
		.amdhsa_system_sgpr_workgroup_id_x 1
		.amdhsa_system_sgpr_workgroup_id_y 0
		.amdhsa_system_sgpr_workgroup_id_z 0
		.amdhsa_system_sgpr_workgroup_info 0
		.amdhsa_system_vgpr_workitem_id 0
		.amdhsa_next_free_vgpr 1
		.amdhsa_next_free_sgpr 1
		.amdhsa_named_barrier_count 0
		.amdhsa_reserve_vcc 0
		.amdhsa_float_round_mode_32 0
		.amdhsa_float_round_mode_16_64 0
		.amdhsa_float_denorm_mode_32 3
		.amdhsa_float_denorm_mode_16_64 3
		.amdhsa_fp16_overflow 0
		.amdhsa_memory_ordered 1
		.amdhsa_forward_progress 1
		.amdhsa_inst_pref_size 0
		.amdhsa_round_robin_scheduling 0
		.amdhsa_exception_fp_ieee_invalid_op 0
		.amdhsa_exception_fp_denorm_src 0
		.amdhsa_exception_fp_ieee_div_zero 0
		.amdhsa_exception_fp_ieee_overflow 0
		.amdhsa_exception_fp_ieee_underflow 0
		.amdhsa_exception_fp_ieee_inexact 0
		.amdhsa_exception_int_div_zero 0
	.end_amdhsa_kernel
	.section	.text._ZN7rocprim17ROCPRIM_400000_NS6detail17trampoline_kernelINS0_14default_configENS1_33run_length_encode_config_selectorIjjNS0_4plusIjEEEEZZNS1_33reduce_by_key_impl_wrapped_configILNS1_25lookback_scan_determinismE0ES3_S7_PKjNS0_17constant_iteratorIjlEEPjPlSF_S6_NS0_8equal_toIjEEEE10hipError_tPvRmT2_T3_mT4_T5_T6_T7_T8_P12ihipStream_tbENKUlT_T0_E_clISt17integral_constantIbLb0EESY_IbLb1EEEEDaSU_SV_EUlSU_E_NS1_11comp_targetILNS1_3genE8ELNS1_11target_archE1030ELNS1_3gpuE2ELNS1_3repE0EEENS1_30default_config_static_selectorELNS0_4arch9wavefront6targetE0EEEvT1_,"axG",@progbits,_ZN7rocprim17ROCPRIM_400000_NS6detail17trampoline_kernelINS0_14default_configENS1_33run_length_encode_config_selectorIjjNS0_4plusIjEEEEZZNS1_33reduce_by_key_impl_wrapped_configILNS1_25lookback_scan_determinismE0ES3_S7_PKjNS0_17constant_iteratorIjlEEPjPlSF_S6_NS0_8equal_toIjEEEE10hipError_tPvRmT2_T3_mT4_T5_T6_T7_T8_P12ihipStream_tbENKUlT_T0_E_clISt17integral_constantIbLb0EESY_IbLb1EEEEDaSU_SV_EUlSU_E_NS1_11comp_targetILNS1_3genE8ELNS1_11target_archE1030ELNS1_3gpuE2ELNS1_3repE0EEENS1_30default_config_static_selectorELNS0_4arch9wavefront6targetE0EEEvT1_,comdat
.Lfunc_end684:
	.size	_ZN7rocprim17ROCPRIM_400000_NS6detail17trampoline_kernelINS0_14default_configENS1_33run_length_encode_config_selectorIjjNS0_4plusIjEEEEZZNS1_33reduce_by_key_impl_wrapped_configILNS1_25lookback_scan_determinismE0ES3_S7_PKjNS0_17constant_iteratorIjlEEPjPlSF_S6_NS0_8equal_toIjEEEE10hipError_tPvRmT2_T3_mT4_T5_T6_T7_T8_P12ihipStream_tbENKUlT_T0_E_clISt17integral_constantIbLb0EESY_IbLb1EEEEDaSU_SV_EUlSU_E_NS1_11comp_targetILNS1_3genE8ELNS1_11target_archE1030ELNS1_3gpuE2ELNS1_3repE0EEENS1_30default_config_static_selectorELNS0_4arch9wavefront6targetE0EEEvT1_, .Lfunc_end684-_ZN7rocprim17ROCPRIM_400000_NS6detail17trampoline_kernelINS0_14default_configENS1_33run_length_encode_config_selectorIjjNS0_4plusIjEEEEZZNS1_33reduce_by_key_impl_wrapped_configILNS1_25lookback_scan_determinismE0ES3_S7_PKjNS0_17constant_iteratorIjlEEPjPlSF_S6_NS0_8equal_toIjEEEE10hipError_tPvRmT2_T3_mT4_T5_T6_T7_T8_P12ihipStream_tbENKUlT_T0_E_clISt17integral_constantIbLb0EESY_IbLb1EEEEDaSU_SV_EUlSU_E_NS1_11comp_targetILNS1_3genE8ELNS1_11target_archE1030ELNS1_3gpuE2ELNS1_3repE0EEENS1_30default_config_static_selectorELNS0_4arch9wavefront6targetE0EEEvT1_
                                        ; -- End function
	.set _ZN7rocprim17ROCPRIM_400000_NS6detail17trampoline_kernelINS0_14default_configENS1_33run_length_encode_config_selectorIjjNS0_4plusIjEEEEZZNS1_33reduce_by_key_impl_wrapped_configILNS1_25lookback_scan_determinismE0ES3_S7_PKjNS0_17constant_iteratorIjlEEPjPlSF_S6_NS0_8equal_toIjEEEE10hipError_tPvRmT2_T3_mT4_T5_T6_T7_T8_P12ihipStream_tbENKUlT_T0_E_clISt17integral_constantIbLb0EESY_IbLb1EEEEDaSU_SV_EUlSU_E_NS1_11comp_targetILNS1_3genE8ELNS1_11target_archE1030ELNS1_3gpuE2ELNS1_3repE0EEENS1_30default_config_static_selectorELNS0_4arch9wavefront6targetE0EEEvT1_.num_vgpr, 0
	.set _ZN7rocprim17ROCPRIM_400000_NS6detail17trampoline_kernelINS0_14default_configENS1_33run_length_encode_config_selectorIjjNS0_4plusIjEEEEZZNS1_33reduce_by_key_impl_wrapped_configILNS1_25lookback_scan_determinismE0ES3_S7_PKjNS0_17constant_iteratorIjlEEPjPlSF_S6_NS0_8equal_toIjEEEE10hipError_tPvRmT2_T3_mT4_T5_T6_T7_T8_P12ihipStream_tbENKUlT_T0_E_clISt17integral_constantIbLb0EESY_IbLb1EEEEDaSU_SV_EUlSU_E_NS1_11comp_targetILNS1_3genE8ELNS1_11target_archE1030ELNS1_3gpuE2ELNS1_3repE0EEENS1_30default_config_static_selectorELNS0_4arch9wavefront6targetE0EEEvT1_.num_agpr, 0
	.set _ZN7rocprim17ROCPRIM_400000_NS6detail17trampoline_kernelINS0_14default_configENS1_33run_length_encode_config_selectorIjjNS0_4plusIjEEEEZZNS1_33reduce_by_key_impl_wrapped_configILNS1_25lookback_scan_determinismE0ES3_S7_PKjNS0_17constant_iteratorIjlEEPjPlSF_S6_NS0_8equal_toIjEEEE10hipError_tPvRmT2_T3_mT4_T5_T6_T7_T8_P12ihipStream_tbENKUlT_T0_E_clISt17integral_constantIbLb0EESY_IbLb1EEEEDaSU_SV_EUlSU_E_NS1_11comp_targetILNS1_3genE8ELNS1_11target_archE1030ELNS1_3gpuE2ELNS1_3repE0EEENS1_30default_config_static_selectorELNS0_4arch9wavefront6targetE0EEEvT1_.numbered_sgpr, 0
	.set _ZN7rocprim17ROCPRIM_400000_NS6detail17trampoline_kernelINS0_14default_configENS1_33run_length_encode_config_selectorIjjNS0_4plusIjEEEEZZNS1_33reduce_by_key_impl_wrapped_configILNS1_25lookback_scan_determinismE0ES3_S7_PKjNS0_17constant_iteratorIjlEEPjPlSF_S6_NS0_8equal_toIjEEEE10hipError_tPvRmT2_T3_mT4_T5_T6_T7_T8_P12ihipStream_tbENKUlT_T0_E_clISt17integral_constantIbLb0EESY_IbLb1EEEEDaSU_SV_EUlSU_E_NS1_11comp_targetILNS1_3genE8ELNS1_11target_archE1030ELNS1_3gpuE2ELNS1_3repE0EEENS1_30default_config_static_selectorELNS0_4arch9wavefront6targetE0EEEvT1_.num_named_barrier, 0
	.set _ZN7rocprim17ROCPRIM_400000_NS6detail17trampoline_kernelINS0_14default_configENS1_33run_length_encode_config_selectorIjjNS0_4plusIjEEEEZZNS1_33reduce_by_key_impl_wrapped_configILNS1_25lookback_scan_determinismE0ES3_S7_PKjNS0_17constant_iteratorIjlEEPjPlSF_S6_NS0_8equal_toIjEEEE10hipError_tPvRmT2_T3_mT4_T5_T6_T7_T8_P12ihipStream_tbENKUlT_T0_E_clISt17integral_constantIbLb0EESY_IbLb1EEEEDaSU_SV_EUlSU_E_NS1_11comp_targetILNS1_3genE8ELNS1_11target_archE1030ELNS1_3gpuE2ELNS1_3repE0EEENS1_30default_config_static_selectorELNS0_4arch9wavefront6targetE0EEEvT1_.private_seg_size, 0
	.set _ZN7rocprim17ROCPRIM_400000_NS6detail17trampoline_kernelINS0_14default_configENS1_33run_length_encode_config_selectorIjjNS0_4plusIjEEEEZZNS1_33reduce_by_key_impl_wrapped_configILNS1_25lookback_scan_determinismE0ES3_S7_PKjNS0_17constant_iteratorIjlEEPjPlSF_S6_NS0_8equal_toIjEEEE10hipError_tPvRmT2_T3_mT4_T5_T6_T7_T8_P12ihipStream_tbENKUlT_T0_E_clISt17integral_constantIbLb0EESY_IbLb1EEEEDaSU_SV_EUlSU_E_NS1_11comp_targetILNS1_3genE8ELNS1_11target_archE1030ELNS1_3gpuE2ELNS1_3repE0EEENS1_30default_config_static_selectorELNS0_4arch9wavefront6targetE0EEEvT1_.uses_vcc, 0
	.set _ZN7rocprim17ROCPRIM_400000_NS6detail17trampoline_kernelINS0_14default_configENS1_33run_length_encode_config_selectorIjjNS0_4plusIjEEEEZZNS1_33reduce_by_key_impl_wrapped_configILNS1_25lookback_scan_determinismE0ES3_S7_PKjNS0_17constant_iteratorIjlEEPjPlSF_S6_NS0_8equal_toIjEEEE10hipError_tPvRmT2_T3_mT4_T5_T6_T7_T8_P12ihipStream_tbENKUlT_T0_E_clISt17integral_constantIbLb0EESY_IbLb1EEEEDaSU_SV_EUlSU_E_NS1_11comp_targetILNS1_3genE8ELNS1_11target_archE1030ELNS1_3gpuE2ELNS1_3repE0EEENS1_30default_config_static_selectorELNS0_4arch9wavefront6targetE0EEEvT1_.uses_flat_scratch, 0
	.set _ZN7rocprim17ROCPRIM_400000_NS6detail17trampoline_kernelINS0_14default_configENS1_33run_length_encode_config_selectorIjjNS0_4plusIjEEEEZZNS1_33reduce_by_key_impl_wrapped_configILNS1_25lookback_scan_determinismE0ES3_S7_PKjNS0_17constant_iteratorIjlEEPjPlSF_S6_NS0_8equal_toIjEEEE10hipError_tPvRmT2_T3_mT4_T5_T6_T7_T8_P12ihipStream_tbENKUlT_T0_E_clISt17integral_constantIbLb0EESY_IbLb1EEEEDaSU_SV_EUlSU_E_NS1_11comp_targetILNS1_3genE8ELNS1_11target_archE1030ELNS1_3gpuE2ELNS1_3repE0EEENS1_30default_config_static_selectorELNS0_4arch9wavefront6targetE0EEEvT1_.has_dyn_sized_stack, 0
	.set _ZN7rocprim17ROCPRIM_400000_NS6detail17trampoline_kernelINS0_14default_configENS1_33run_length_encode_config_selectorIjjNS0_4plusIjEEEEZZNS1_33reduce_by_key_impl_wrapped_configILNS1_25lookback_scan_determinismE0ES3_S7_PKjNS0_17constant_iteratorIjlEEPjPlSF_S6_NS0_8equal_toIjEEEE10hipError_tPvRmT2_T3_mT4_T5_T6_T7_T8_P12ihipStream_tbENKUlT_T0_E_clISt17integral_constantIbLb0EESY_IbLb1EEEEDaSU_SV_EUlSU_E_NS1_11comp_targetILNS1_3genE8ELNS1_11target_archE1030ELNS1_3gpuE2ELNS1_3repE0EEENS1_30default_config_static_selectorELNS0_4arch9wavefront6targetE0EEEvT1_.has_recursion, 0
	.set _ZN7rocprim17ROCPRIM_400000_NS6detail17trampoline_kernelINS0_14default_configENS1_33run_length_encode_config_selectorIjjNS0_4plusIjEEEEZZNS1_33reduce_by_key_impl_wrapped_configILNS1_25lookback_scan_determinismE0ES3_S7_PKjNS0_17constant_iteratorIjlEEPjPlSF_S6_NS0_8equal_toIjEEEE10hipError_tPvRmT2_T3_mT4_T5_T6_T7_T8_P12ihipStream_tbENKUlT_T0_E_clISt17integral_constantIbLb0EESY_IbLb1EEEEDaSU_SV_EUlSU_E_NS1_11comp_targetILNS1_3genE8ELNS1_11target_archE1030ELNS1_3gpuE2ELNS1_3repE0EEENS1_30default_config_static_selectorELNS0_4arch9wavefront6targetE0EEEvT1_.has_indirect_call, 0
	.section	.AMDGPU.csdata,"",@progbits
; Kernel info:
; codeLenInByte = 0
; TotalNumSgprs: 0
; NumVgprs: 0
; ScratchSize: 0
; MemoryBound: 0
; FloatMode: 240
; IeeeMode: 1
; LDSByteSize: 0 bytes/workgroup (compile time only)
; SGPRBlocks: 0
; VGPRBlocks: 0
; NumSGPRsForWavesPerEU: 1
; NumVGPRsForWavesPerEU: 1
; NamedBarCnt: 0
; Occupancy: 16
; WaveLimiterHint : 0
; COMPUTE_PGM_RSRC2:SCRATCH_EN: 0
; COMPUTE_PGM_RSRC2:USER_SGPR: 2
; COMPUTE_PGM_RSRC2:TRAP_HANDLER: 0
; COMPUTE_PGM_RSRC2:TGID_X_EN: 1
; COMPUTE_PGM_RSRC2:TGID_Y_EN: 0
; COMPUTE_PGM_RSRC2:TGID_Z_EN: 0
; COMPUTE_PGM_RSRC2:TIDIG_COMP_CNT: 0
	.section	.text._ZN2at6native8internal12_GLOBAL__N_126adjacent_difference_kernelIPKmEEvlT_Pi,"axG",@progbits,_ZN2at6native8internal12_GLOBAL__N_126adjacent_difference_kernelIPKmEEvlT_Pi,comdat
	.globl	_ZN2at6native8internal12_GLOBAL__N_126adjacent_difference_kernelIPKmEEvlT_Pi ; -- Begin function _ZN2at6native8internal12_GLOBAL__N_126adjacent_difference_kernelIPKmEEvlT_Pi
	.p2align	8
	.type	_ZN2at6native8internal12_GLOBAL__N_126adjacent_difference_kernelIPKmEEvlT_Pi,@function
_ZN2at6native8internal12_GLOBAL__N_126adjacent_difference_kernelIPKmEEvlT_Pi: ; @_ZN2at6native8internal12_GLOBAL__N_126adjacent_difference_kernelIPKmEEvlT_Pi
; %bb.0:
	s_clause 0x1
	s_load_b32 s2, s[0:1], 0x24
	s_load_b128 s[4:7], s[0:1], 0x0
	s_bfe_u32 s9, ttmp6, 0x4000c
	s_and_b32 s8, ttmp6, 15
	s_add_co_i32 s9, s9, 1
	s_getreg_b32 s10, hwreg(HW_REG_IB_STS2, 6, 4)
	s_mul_i32 s9, ttmp9, s9
	s_mov_b32 s3, 0
	s_add_co_i32 s8, s8, s9
	s_cmp_eq_u32 s10, 0
	v_mov_b32_e32 v1, 0
	s_mov_b32 s15, s3
	s_cselect_b32 s14, ttmp9, s8
	s_mov_b32 s13, s3
	s_wait_kmcnt 0x0
	s_and_b32 s12, s2, 0xffff
	s_mov_b32 s2, exec_lo
	s_mul_u64 s[8:9], s[12:13], s[14:15]
	s_delay_alu instid0(SALU_CYCLE_1) | instskip(NEXT) | instid1(VALU_DEP_1)
	v_add_nc_u64_e32 v[4:5], s[8:9], v[0:1]
	v_cmpx_gt_i64_e64 s[4:5], v[4:5]
	s_cbranch_execz .LBB685_5
; %bb.1:
	s_add_nc_u64 s[16:17], s[0:1], 24
	v_dual_mov_b32 v2, v1 :: v_dual_mov_b32 v3, v4
	s_load_b32 s2, s[16:17], 0x0
	s_load_b64 s[10:11], s[0:1], 0x10
	v_mov_b64_e32 v[4:5], v[0:1]
	s_mul_i32 s13, s14, s12
	s_wait_xcnt 0x0
	s_mov_b32 s0, s3
	s_wait_kmcnt 0x0
	s_mul_i32 s2, s2, s12
	s_mov_b32 s12, s3
	s_mov_b32 s1, s2
	s_branch .LBB685_3
.LBB685_2:                              ;   in Loop: Header=BB685_3 Depth=1
	s_or_b32 exec_lo, exec_lo, s14
	v_add_nc_u64_e32 v[4:5], s[2:3], v[4:5]
	v_ashrrev_i64 v[8:9], 30, v[2:3]
	v_add_nc_u64_e32 v[2:3], s[0:1], v[2:3]
	s_delay_alu instid0(VALU_DEP_3) | instskip(NEXT) | instid1(VALU_DEP_1)
	v_add_nc_u64_e32 v[6:7], s[8:9], v[4:5]
	v_cmp_le_i64_e32 vcc_lo, s[4:5], v[6:7]
	s_delay_alu instid0(VALU_DEP_4)
	v_add_nc_u64_e32 v[6:7], s[10:11], v[8:9]
	s_or_b32 s12, vcc_lo, s12
	global_store_b32 v[6:7], v0, off
	s_wait_xcnt 0x0
	s_and_not1_b32 exec_lo, exec_lo, s12
	s_cbranch_execz .LBB685_5
.LBB685_3:                              ; =>This Inner Loop Header: Depth=1
	v_dual_add_nc_u32 v6, s13, v4 :: v_dual_mov_b32 v0, 0
	s_mov_b32 s14, exec_lo
	s_delay_alu instid0(VALU_DEP_1)
	v_cmpx_lt_i32_e32 0, v6
	s_cbranch_execz .LBB685_2
; %bb.4:                                ;   in Loop: Header=BB685_3 Depth=1
	v_add_nc_u32_e32 v8, s8, v4
	s_delay_alu instid0(VALU_DEP_1) | instskip(NEXT) | instid1(VALU_DEP_1)
	v_and_b32_e32 v0, 0x7fffffff, v8
	v_lshl_add_u64 v[6:7], v[0:1], 3, s[6:7]
	v_add_nc_u32_e32 v0, -1, v8
	s_clause 0x1
	global_load_b64 v[8:9], v[6:7], off
	global_load_b64 v[10:11], v0, s[6:7] scale_offset
	s_wait_loadcnt 0x0
	v_cmp_ne_u64_e32 vcc_lo, v[8:9], v[10:11]
	s_wait_xcnt 0x0
	v_cndmask_b32_e64 v0, 0, 1, vcc_lo
	s_branch .LBB685_2
.LBB685_5:
	s_endpgm
	.section	.rodata,"a",@progbits
	.p2align	6, 0x0
	.amdhsa_kernel _ZN2at6native8internal12_GLOBAL__N_126adjacent_difference_kernelIPKmEEvlT_Pi
		.amdhsa_group_segment_fixed_size 0
		.amdhsa_private_segment_fixed_size 0
		.amdhsa_kernarg_size 280
		.amdhsa_user_sgpr_count 2
		.amdhsa_user_sgpr_dispatch_ptr 0
		.amdhsa_user_sgpr_queue_ptr 0
		.amdhsa_user_sgpr_kernarg_segment_ptr 1
		.amdhsa_user_sgpr_dispatch_id 0
		.amdhsa_user_sgpr_kernarg_preload_length 0
		.amdhsa_user_sgpr_kernarg_preload_offset 0
		.amdhsa_user_sgpr_private_segment_size 0
		.amdhsa_wavefront_size32 1
		.amdhsa_uses_dynamic_stack 0
		.amdhsa_enable_private_segment 0
		.amdhsa_system_sgpr_workgroup_id_x 1
		.amdhsa_system_sgpr_workgroup_id_y 0
		.amdhsa_system_sgpr_workgroup_id_z 0
		.amdhsa_system_sgpr_workgroup_info 0
		.amdhsa_system_vgpr_workitem_id 0
		.amdhsa_next_free_vgpr 12
		.amdhsa_next_free_sgpr 18
		.amdhsa_named_barrier_count 0
		.amdhsa_reserve_vcc 1
		.amdhsa_float_round_mode_32 0
		.amdhsa_float_round_mode_16_64 0
		.amdhsa_float_denorm_mode_32 3
		.amdhsa_float_denorm_mode_16_64 3
		.amdhsa_fp16_overflow 0
		.amdhsa_memory_ordered 1
		.amdhsa_forward_progress 1
		.amdhsa_inst_pref_size 3
		.amdhsa_round_robin_scheduling 0
		.amdhsa_exception_fp_ieee_invalid_op 0
		.amdhsa_exception_fp_denorm_src 0
		.amdhsa_exception_fp_ieee_div_zero 0
		.amdhsa_exception_fp_ieee_overflow 0
		.amdhsa_exception_fp_ieee_underflow 0
		.amdhsa_exception_fp_ieee_inexact 0
		.amdhsa_exception_int_div_zero 0
	.end_amdhsa_kernel
	.section	.text._ZN2at6native8internal12_GLOBAL__N_126adjacent_difference_kernelIPKmEEvlT_Pi,"axG",@progbits,_ZN2at6native8internal12_GLOBAL__N_126adjacent_difference_kernelIPKmEEvlT_Pi,comdat
.Lfunc_end685:
	.size	_ZN2at6native8internal12_GLOBAL__N_126adjacent_difference_kernelIPKmEEvlT_Pi, .Lfunc_end685-_ZN2at6native8internal12_GLOBAL__N_126adjacent_difference_kernelIPKmEEvlT_Pi
                                        ; -- End function
	.set _ZN2at6native8internal12_GLOBAL__N_126adjacent_difference_kernelIPKmEEvlT_Pi.num_vgpr, 12
	.set _ZN2at6native8internal12_GLOBAL__N_126adjacent_difference_kernelIPKmEEvlT_Pi.num_agpr, 0
	.set _ZN2at6native8internal12_GLOBAL__N_126adjacent_difference_kernelIPKmEEvlT_Pi.numbered_sgpr, 18
	.set _ZN2at6native8internal12_GLOBAL__N_126adjacent_difference_kernelIPKmEEvlT_Pi.num_named_barrier, 0
	.set _ZN2at6native8internal12_GLOBAL__N_126adjacent_difference_kernelIPKmEEvlT_Pi.private_seg_size, 0
	.set _ZN2at6native8internal12_GLOBAL__N_126adjacent_difference_kernelIPKmEEvlT_Pi.uses_vcc, 1
	.set _ZN2at6native8internal12_GLOBAL__N_126adjacent_difference_kernelIPKmEEvlT_Pi.uses_flat_scratch, 0
	.set _ZN2at6native8internal12_GLOBAL__N_126adjacent_difference_kernelIPKmEEvlT_Pi.has_dyn_sized_stack, 0
	.set _ZN2at6native8internal12_GLOBAL__N_126adjacent_difference_kernelIPKmEEvlT_Pi.has_recursion, 0
	.set _ZN2at6native8internal12_GLOBAL__N_126adjacent_difference_kernelIPKmEEvlT_Pi.has_indirect_call, 0
	.section	.AMDGPU.csdata,"",@progbits
; Kernel info:
; codeLenInByte = 356
; TotalNumSgprs: 20
; NumVgprs: 12
; ScratchSize: 0
; MemoryBound: 0
; FloatMode: 240
; IeeeMode: 1
; LDSByteSize: 0 bytes/workgroup (compile time only)
; SGPRBlocks: 0
; VGPRBlocks: 0
; NumSGPRsForWavesPerEU: 20
; NumVGPRsForWavesPerEU: 12
; NamedBarCnt: 0
; Occupancy: 16
; WaveLimiterHint : 0
; COMPUTE_PGM_RSRC2:SCRATCH_EN: 0
; COMPUTE_PGM_RSRC2:USER_SGPR: 2
; COMPUTE_PGM_RSRC2:TRAP_HANDLER: 0
; COMPUTE_PGM_RSRC2:TGID_X_EN: 1
; COMPUTE_PGM_RSRC2:TGID_Y_EN: 0
; COMPUTE_PGM_RSRC2:TGID_Z_EN: 0
; COMPUTE_PGM_RSRC2:TIDIG_COMP_CNT: 0
	.section	.text._ZN7rocprim17ROCPRIM_400000_NS6detail17trampoline_kernelINS0_14default_configENS1_25partition_config_selectorILNS1_17partition_subalgoE8EmNS0_10empty_typeEbEEZZNS1_14partition_implILS5_8ELb0ES3_jPKmPS6_PKS6_NS0_5tupleIJPmS6_EEENSE_IJSB_SB_EEENS0_18inequality_wrapperIN6hipcub16HIPCUB_304000_NS8EqualityEEEPlJS6_EEE10hipError_tPvRmT3_T4_T5_T6_T7_T9_mT8_P12ihipStream_tbDpT10_ENKUlT_T0_E_clISt17integral_constantIbLb0EES17_EEDaS12_S13_EUlS12_E_NS1_11comp_targetILNS1_3genE0ELNS1_11target_archE4294967295ELNS1_3gpuE0ELNS1_3repE0EEENS1_30default_config_static_selectorELNS0_4arch9wavefront6targetE0EEEvT1_,"axG",@progbits,_ZN7rocprim17ROCPRIM_400000_NS6detail17trampoline_kernelINS0_14default_configENS1_25partition_config_selectorILNS1_17partition_subalgoE8EmNS0_10empty_typeEbEEZZNS1_14partition_implILS5_8ELb0ES3_jPKmPS6_PKS6_NS0_5tupleIJPmS6_EEENSE_IJSB_SB_EEENS0_18inequality_wrapperIN6hipcub16HIPCUB_304000_NS8EqualityEEEPlJS6_EEE10hipError_tPvRmT3_T4_T5_T6_T7_T9_mT8_P12ihipStream_tbDpT10_ENKUlT_T0_E_clISt17integral_constantIbLb0EES17_EEDaS12_S13_EUlS12_E_NS1_11comp_targetILNS1_3genE0ELNS1_11target_archE4294967295ELNS1_3gpuE0ELNS1_3repE0EEENS1_30default_config_static_selectorELNS0_4arch9wavefront6targetE0EEEvT1_,comdat
	.protected	_ZN7rocprim17ROCPRIM_400000_NS6detail17trampoline_kernelINS0_14default_configENS1_25partition_config_selectorILNS1_17partition_subalgoE8EmNS0_10empty_typeEbEEZZNS1_14partition_implILS5_8ELb0ES3_jPKmPS6_PKS6_NS0_5tupleIJPmS6_EEENSE_IJSB_SB_EEENS0_18inequality_wrapperIN6hipcub16HIPCUB_304000_NS8EqualityEEEPlJS6_EEE10hipError_tPvRmT3_T4_T5_T6_T7_T9_mT8_P12ihipStream_tbDpT10_ENKUlT_T0_E_clISt17integral_constantIbLb0EES17_EEDaS12_S13_EUlS12_E_NS1_11comp_targetILNS1_3genE0ELNS1_11target_archE4294967295ELNS1_3gpuE0ELNS1_3repE0EEENS1_30default_config_static_selectorELNS0_4arch9wavefront6targetE0EEEvT1_ ; -- Begin function _ZN7rocprim17ROCPRIM_400000_NS6detail17trampoline_kernelINS0_14default_configENS1_25partition_config_selectorILNS1_17partition_subalgoE8EmNS0_10empty_typeEbEEZZNS1_14partition_implILS5_8ELb0ES3_jPKmPS6_PKS6_NS0_5tupleIJPmS6_EEENSE_IJSB_SB_EEENS0_18inequality_wrapperIN6hipcub16HIPCUB_304000_NS8EqualityEEEPlJS6_EEE10hipError_tPvRmT3_T4_T5_T6_T7_T9_mT8_P12ihipStream_tbDpT10_ENKUlT_T0_E_clISt17integral_constantIbLb0EES17_EEDaS12_S13_EUlS12_E_NS1_11comp_targetILNS1_3genE0ELNS1_11target_archE4294967295ELNS1_3gpuE0ELNS1_3repE0EEENS1_30default_config_static_selectorELNS0_4arch9wavefront6targetE0EEEvT1_
	.globl	_ZN7rocprim17ROCPRIM_400000_NS6detail17trampoline_kernelINS0_14default_configENS1_25partition_config_selectorILNS1_17partition_subalgoE8EmNS0_10empty_typeEbEEZZNS1_14partition_implILS5_8ELb0ES3_jPKmPS6_PKS6_NS0_5tupleIJPmS6_EEENSE_IJSB_SB_EEENS0_18inequality_wrapperIN6hipcub16HIPCUB_304000_NS8EqualityEEEPlJS6_EEE10hipError_tPvRmT3_T4_T5_T6_T7_T9_mT8_P12ihipStream_tbDpT10_ENKUlT_T0_E_clISt17integral_constantIbLb0EES17_EEDaS12_S13_EUlS12_E_NS1_11comp_targetILNS1_3genE0ELNS1_11target_archE4294967295ELNS1_3gpuE0ELNS1_3repE0EEENS1_30default_config_static_selectorELNS0_4arch9wavefront6targetE0EEEvT1_
	.p2align	8
	.type	_ZN7rocprim17ROCPRIM_400000_NS6detail17trampoline_kernelINS0_14default_configENS1_25partition_config_selectorILNS1_17partition_subalgoE8EmNS0_10empty_typeEbEEZZNS1_14partition_implILS5_8ELb0ES3_jPKmPS6_PKS6_NS0_5tupleIJPmS6_EEENSE_IJSB_SB_EEENS0_18inequality_wrapperIN6hipcub16HIPCUB_304000_NS8EqualityEEEPlJS6_EEE10hipError_tPvRmT3_T4_T5_T6_T7_T9_mT8_P12ihipStream_tbDpT10_ENKUlT_T0_E_clISt17integral_constantIbLb0EES17_EEDaS12_S13_EUlS12_E_NS1_11comp_targetILNS1_3genE0ELNS1_11target_archE4294967295ELNS1_3gpuE0ELNS1_3repE0EEENS1_30default_config_static_selectorELNS0_4arch9wavefront6targetE0EEEvT1_,@function
_ZN7rocprim17ROCPRIM_400000_NS6detail17trampoline_kernelINS0_14default_configENS1_25partition_config_selectorILNS1_17partition_subalgoE8EmNS0_10empty_typeEbEEZZNS1_14partition_implILS5_8ELb0ES3_jPKmPS6_PKS6_NS0_5tupleIJPmS6_EEENSE_IJSB_SB_EEENS0_18inequality_wrapperIN6hipcub16HIPCUB_304000_NS8EqualityEEEPlJS6_EEE10hipError_tPvRmT3_T4_T5_T6_T7_T9_mT8_P12ihipStream_tbDpT10_ENKUlT_T0_E_clISt17integral_constantIbLb0EES17_EEDaS12_S13_EUlS12_E_NS1_11comp_targetILNS1_3genE0ELNS1_11target_archE4294967295ELNS1_3gpuE0ELNS1_3repE0EEENS1_30default_config_static_selectorELNS0_4arch9wavefront6targetE0EEEvT1_: ; @_ZN7rocprim17ROCPRIM_400000_NS6detail17trampoline_kernelINS0_14default_configENS1_25partition_config_selectorILNS1_17partition_subalgoE8EmNS0_10empty_typeEbEEZZNS1_14partition_implILS5_8ELb0ES3_jPKmPS6_PKS6_NS0_5tupleIJPmS6_EEENSE_IJSB_SB_EEENS0_18inequality_wrapperIN6hipcub16HIPCUB_304000_NS8EqualityEEEPlJS6_EEE10hipError_tPvRmT3_T4_T5_T6_T7_T9_mT8_P12ihipStream_tbDpT10_ENKUlT_T0_E_clISt17integral_constantIbLb0EES17_EEDaS12_S13_EUlS12_E_NS1_11comp_targetILNS1_3genE0ELNS1_11target_archE4294967295ELNS1_3gpuE0ELNS1_3repE0EEENS1_30default_config_static_selectorELNS0_4arch9wavefront6targetE0EEEvT1_
; %bb.0:
	s_clause 0x3
	s_load_b128 s[4:7], s[0:1], 0x8
	s_load_b128 s[12:15], s[0:1], 0x40
	s_load_b32 s9, s[0:1], 0x68
	s_load_b64 s[2:3], s[0:1], 0x50
	s_bfe_u32 s8, ttmp6, 0x4000c
	s_and_b32 s10, ttmp6, 15
	s_add_co_i32 s11, s8, 1
	s_mov_b32 s17, 0
	s_mul_i32 s11, ttmp9, s11
	s_getreg_b32 s18, hwreg(HW_REG_IB_STS2, 6, 4)
	s_add_co_i32 s19, s10, s11
	s_mov_b32 s21, s17
	v_dual_mov_b32 v1, v0 :: v_dual_lshlrev_b32 v22, 3, v0
	s_mov_b32 s8, -1
	s_wait_kmcnt 0x0
	s_lshl_b64 s[22:23], s[6:7], 3
	s_load_b64 s[10:11], s[14:15], 0x0
	s_mul_i32 s16, s9, 0xe00
	s_cmp_eq_u32 s18, 0
	s_wait_xcnt 0x0
	s_add_nc_u64 s[14:15], s[6:7], s[16:17]
	s_cselect_b32 s18, ttmp9, s19
	s_add_co_i32 s16, s16, s6
	v_cmp_le_u64_e64 s15, s[2:3], s[14:15]
	s_add_co_i32 s9, s9, -1
	s_sub_co_i32 s14, s2, s16
	s_cmp_eq_u32 s18, s9
	s_mul_i32 s20, s18, 0xe00
	s_cselect_b32 s16, -1, 0
	s_add_nc_u64 s[2:3], s[4:5], s[22:23]
	s_and_b32 s9, s16, s15
	s_lshl_b64 s[4:5], s[20:21], 3
	s_xor_b32 s17, s9, -1
	s_add_nc_u64 s[2:3], s[2:3], s[4:5]
	s_and_b32 vcc_lo, exec_lo, s17
	s_cbranch_vccz .LBB686_2
; %bb.1:
	s_clause 0x6
	global_load_b64 v[2:3], v0, s[2:3] scale_offset
	global_load_b64 v[4:5], v0, s[2:3] offset:4096 scale_offset
	global_load_b64 v[6:7], v0, s[2:3] offset:8192 scale_offset
	;; [unrolled: 1-line block ×6, first 2 shown]
	v_lshlrev_b32_e32 v16, 3, v0
	s_mov_b32 s8, 0
	s_wait_loadcnt 0x5
	ds_store_2addr_stride64_b64 v16, v[2:3], v[4:5] offset1:8
	s_wait_loadcnt 0x3
	ds_store_2addr_stride64_b64 v16, v[6:7], v[8:9] offset0:16 offset1:24
	s_wait_loadcnt 0x1
	ds_store_2addr_stride64_b64 v16, v[10:11], v[12:13] offset0:32 offset1:40
	s_wait_loadcnt 0x0
	ds_store_b64 v16, v[14:15] offset:24576
	s_wait_dscnt 0x0
	s_barrier_signal -1
	s_barrier_wait -1
.LBB686_2:
	s_and_not1_b32 vcc_lo, exec_lo, s8
	s_add_co_i32 s8, s14, 0xe00
	s_cbranch_vccnz .LBB686_18
; %bb.3:
	v_mov_b32_e32 v2, 0
	s_mov_b32 s4, exec_lo
	s_delay_alu instid0(VALU_DEP_1)
	v_dual_mov_b32 v3, v2 :: v_dual_mov_b32 v4, v2
	v_dual_mov_b32 v5, v2 :: v_dual_mov_b32 v6, v2
	;; [unrolled: 1-line block ×6, first 2 shown]
	v_mov_b32_e32 v15, v2
	v_cmpx_gt_u32_e64 s8, v0
	s_cbranch_execz .LBB686_5
; %bb.4:
	global_load_b64 v[4:5], v0, s[2:3] scale_offset
	v_dual_mov_b32 v6, v2 :: v_dual_mov_b32 v7, v2
	v_dual_mov_b32 v8, v2 :: v_dual_mov_b32 v9, v2
	;; [unrolled: 1-line block ×6, first 2 shown]
	s_wait_loadcnt 0x0
	v_mov_b64_e32 v[2:3], v[4:5]
	v_mov_b64_e32 v[4:5], v[6:7]
	;; [unrolled: 1-line block ×8, first 2 shown]
.LBB686_5:
	s_or_b32 exec_lo, exec_lo, s4
	v_or_b32_e32 v16, 0x200, v0
	s_mov_b32 s4, exec_lo
	s_delay_alu instid0(VALU_DEP_1)
	v_cmpx_gt_u32_e64 s8, v16
	s_cbranch_execz .LBB686_7
; %bb.6:
	global_load_b64 v[4:5], v0, s[2:3] offset:4096 scale_offset
.LBB686_7:
	s_wait_xcnt 0x0
	s_or_b32 exec_lo, exec_lo, s4
	v_or_b32_e32 v16, 0x400, v0
	s_mov_b32 s4, exec_lo
	s_delay_alu instid0(VALU_DEP_1)
	v_cmpx_gt_u32_e64 s8, v16
	s_cbranch_execz .LBB686_9
; %bb.8:
	global_load_b64 v[6:7], v0, s[2:3] offset:8192 scale_offset
.LBB686_9:
	s_wait_xcnt 0x0
	;; [unrolled: 10-line block ×6, first 2 shown]
	s_or_b32 exec_lo, exec_lo, s4
	v_lshlrev_b32_e32 v16, 3, v0
	s_wait_loadcnt 0x0
	ds_store_2addr_stride64_b64 v16, v[2:3], v[4:5] offset1:8
	ds_store_2addr_stride64_b64 v16, v[6:7], v[8:9] offset0:16 offset1:24
	ds_store_2addr_stride64_b64 v16, v[10:11], v[12:13] offset0:32 offset1:40
	ds_store_b64 v16, v[14:15] offset:24576
	s_wait_dscnt 0x0
	s_barrier_signal -1
	s_barrier_wait -1
.LBB686_18:
	v_mul_u32_u24_e32 v28, 7, v0
	s_cmp_lg_u32 s18, 0
	s_mov_b32 s14, 0
	s_cselect_b32 s19, -1, 0
	s_delay_alu instid0(VALU_DEP_1)
	v_lshlrev_b32_e32 v30, 3, v28
	s_cmp_lg_u64 s[6:7], 0
	ds_load_2addr_b64 v[10:13], v30 offset0:2 offset1:3
	ds_load_2addr_b64 v[6:9], v30 offset0:3 offset1:4
	ds_load_2addr_b64 v[14:17], v30 offset1:1
	ds_load_2addr_b64 v[18:21], v30 offset0:1 offset1:2
	ds_load_2addr_b64 v[2:5], v30 offset0:5 offset1:6
	s_cselect_b32 s4, -1, 0
	s_wait_dscnt 0x0
	s_or_b32 s4, s19, s4
	s_barrier_signal -1
	s_and_b32 vcc_lo, exec_lo, s4
	s_barrier_wait -1
	s_cbranch_vccz .LBB686_23
; %bb.19:
	s_add_nc_u64 s[2:3], s[2:3], -8
	v_lshlrev_b32_e32 v26, 3, v0
	s_load_b64 s[2:3], s[2:3], 0x0
	s_and_b32 vcc_lo, exec_lo, s17
	ds_store_b64 v26, v[4:5]
	s_cbranch_vccz .LBB686_25
; %bb.20:
	s_wait_kmcnt 0x0
	v_mov_b64_e32 v[24:25], s[2:3]
	s_mov_b32 s5, 0
	s_mov_b32 s4, exec_lo
	s_wait_dscnt 0x0
	s_barrier_signal -1
	s_barrier_wait -1
	v_cmpx_ne_u32_e32 0, v0
; %bb.21:
	v_add_nc_u32_e32 v23, -8, v26
	ds_load_b64 v[24:25], v23
; %bb.22:
	s_or_b32 exec_lo, exec_lo, s4
	v_cmp_ne_u64_e32 vcc_lo, v[10:11], v[12:13]
	s_wait_dscnt 0x0
	v_cmp_ne_u64_e64 s4, v[24:25], v[14:15]
	v_cndmask_b32_e64 v23, 0, 1, vcc_lo
	v_cmp_ne_u64_e32 vcc_lo, v[16:17], v[10:11]
	s_delay_alu instid0(VALU_DEP_2) | instskip(SKIP_2) | instid1(VALU_DEP_2)
	v_lshlrev_b16 v23, 8, v23
	v_cndmask_b32_e64 v27, 0, 1, vcc_lo
	v_cmp_ne_u64_e32 vcc_lo, v[14:15], v[16:17]
	v_or_b32_e32 v27, v27, v23
	v_cndmask_b32_e64 v29, 0, 1, vcc_lo
	v_cmp_ne_u64_e32 vcc_lo, v[2:3], v[4:5]
	s_delay_alu instid0(VALU_DEP_3) | instskip(NEXT) | instid1(VALU_DEP_3)
	v_lshlrev_b32_e32 v31, 16, v27
	v_lshlrev_b16 v29, 8, v29
	v_cndmask_b32_e64 v23, 0, 1, vcc_lo
	v_cmp_ne_u64_e32 vcc_lo, v[8:9], v[2:3]
	s_delay_alu instid0(VALU_DEP_3) | instskip(NEXT) | instid1(VALU_DEP_1)
	v_and_b32_e32 v29, 0xffff, v29
	v_or_b32_e32 v29, v29, v31
	v_cndmask_b32_e64 v27, 0, 1, vcc_lo
	v_cmp_ne_u64_e32 vcc_lo, v[12:13], v[8:9]
	v_cndmask_b32_e64 v33, 0, 1, vcc_lo
	s_and_b32 vcc_lo, exec_lo, s5
	s_cbranch_vccnz .LBB686_26
	s_branch .LBB686_29
.LBB686_23:
                                        ; implicit-def: $sgpr4
                                        ; implicit-def: $vgpr23
                                        ; implicit-def: $vgpr27
                                        ; implicit-def: $vgpr33
                                        ; implicit-def: $vgpr29
	s_branch .LBB686_30
.LBB686_24:
                                        ; implicit-def: $vgpr24
                                        ; implicit-def: $vgpr32
                                        ; implicit-def: $vgpr31
                                        ; implicit-def: $vgpr26
	s_branch .LBB686_38
.LBB686_25:
                                        ; implicit-def: $sgpr4
                                        ; implicit-def: $vgpr23
                                        ; implicit-def: $vgpr27
                                        ; implicit-def: $vgpr33
                                        ; implicit-def: $vgpr29
	s_cbranch_execz .LBB686_29
.LBB686_26:
	s_wait_kmcnt 0x0
	v_mov_b64_e32 v[24:25], s[2:3]
	s_mov_b32 s2, exec_lo
	s_wait_dscnt 0x0
	s_barrier_signal -1
	s_barrier_wait -1
	v_cmpx_ne_u32_e32 0, v0
; %bb.27:
	v_add_nc_u32_e32 v23, -8, v26
	ds_load_b64 v[24:25], v23
; %bb.28:
	s_or_b32 exec_lo, exec_lo, s2
	v_dual_add_nc_u32 v23, 6, v28 :: v_dual_add_nc_u32 v26, 5, v28
	v_cmp_ne_u64_e32 vcc_lo, v[2:3], v[4:5]
	v_dual_add_nc_u32 v27, 3, v28 :: v_dual_add_nc_u32 v29, 2, v28
	s_delay_alu instid0(VALU_DEP_3) | instskip(SKIP_2) | instid1(VALU_DEP_4)
	v_cmp_gt_u32_e64 s2, s8, v23
	v_cmp_ne_u64_e64 s3, v[10:11], v[12:13]
	v_cmp_ne_u64_e64 s4, v[16:17], v[10:11]
	v_cmp_gt_u32_e64 s5, s8, v27
	v_add_nc_u32_e32 v27, 1, v28
	s_and_b32 s2, s2, vcc_lo
	v_cmp_gt_u32_e32 vcc_lo, s8, v29
	v_cndmask_b32_e64 v23, 0, 1, s2
	v_cmp_ne_u64_e64 s2, v[14:15], v[16:17]
	s_and_b32 s3, s5, s3
	v_cmp_ne_u64_e64 s5, v[8:9], v[2:3]
	v_cndmask_b32_e64 v29, 0, 1, s3
	s_and_b32 s4, vcc_lo, s4
	v_cmp_gt_u32_e32 vcc_lo, s8, v26
	v_add_nc_u32_e32 v26, 4, v28
	v_cmp_gt_u32_e64 s3, s8, v27
	v_cndmask_b32_e64 v27, 0, 1, s4
	v_lshlrev_b16 v29, 8, v29
	v_cmp_gt_u32_e64 s4, s8, v28
	s_and_b32 s2, s3, s2
	s_and_b32 s3, vcc_lo, s5
	v_cndmask_b32_e64 v31, 0, 1, s2
	v_or_b32_e32 v29, v27, v29
	v_cmp_ne_u64_e64 s2, v[12:13], v[8:9]
	v_cmp_gt_u32_e32 vcc_lo, s8, v26
	v_cndmask_b32_e64 v27, 0, 1, s3
	v_lshlrev_b16 v31, 8, v31
	v_lshlrev_b32_e32 v26, 16, v29
	s_wait_dscnt 0x0
	v_cmp_ne_u64_e64 s3, v[24:25], v[14:15]
	s_and_b32 s2, vcc_lo, s2
	v_and_b32_e32 v29, 0xffff, v31
	v_cndmask_b32_e64 v33, 0, 1, s2
	s_and_b32 s4, s4, s3
	s_delay_alu instid0(VALU_DEP_2)
	v_or_b32_e32 v29, v29, v26
.LBB686_29:
	s_wait_kmcnt 0x0
	s_mov_b32 s14, -1
	s_cbranch_execnz .LBB686_24
.LBB686_30:
	v_cmp_ne_u64_e64 s2, v[2:3], v[4:5]
	v_mad_i32_i24 v34, 0xffffffd0, v0, v30
	s_and_b32 vcc_lo, exec_lo, s17
	ds_store_b64 v34, v[4:5]
	s_cbranch_vccz .LBB686_34
; %bb.31:
	v_cmp_ne_u64_e32 vcc_lo, v[8:9], v[2:3]
	v_cndmask_b32_e64 v23, 0, 1, s2
	v_mov_b32_e32 v24, 1
	s_mov_b32 s2, 0
	s_mov_b32 s3, exec_lo
	s_wait_dscnt 0x0
	s_barrier_signal -1
	v_cndmask_b32_e64 v27, 0, 1, vcc_lo
	v_cmp_ne_u64_e32 vcc_lo, v[12:13], v[8:9]
	s_barrier_wait -1
                                        ; implicit-def: $sgpr4
                                        ; implicit-def: $vgpr29
	v_cndmask_b32_e64 v25, 0, 1, vcc_lo
	v_cmp_ne_u64_e32 vcc_lo, v[14:15], v[16:17]
	v_cndmask_b32_e64 v32, 0, 1, vcc_lo
	v_cmp_ne_u64_e32 vcc_lo, v[16:17], v[10:11]
	;; [unrolled: 2-line block ×3, first 2 shown]
	v_cndmask_b32_e64 v26, 0, 1, vcc_lo
	v_cmpx_ne_u32_e32 0, v0
	s_xor_b32 s3, exec_lo, s3
	s_cbranch_execz .LBB686_33
; %bb.32:
	v_lshlrev_b16 v33, 8, v32
	v_add_nc_u32_e32 v29, -8, v34
	s_or_b32 s14, s14, exec_lo
	s_delay_alu instid0(VALU_DEP_2) | instskip(SKIP_3) | instid1(VALU_DEP_2)
	v_or_b32_e32 v33, 1, v33
	ds_load_b64 v[36:37], v29
	v_lshlrev_b16 v29, 8, v26
	v_and_b32_e32 v33, 0xffff, v33
	v_or_b32_e32 v29, v31, v29
	s_delay_alu instid0(VALU_DEP_1) | instskip(NEXT) | instid1(VALU_DEP_1)
	v_lshlrev_b32_e32 v29, 16, v29
	v_or_b32_e32 v29, v33, v29
	s_wait_dscnt 0x0
	v_cmp_ne_u64_e64 s4, v[36:37], v[14:15]
	s_delay_alu instid0(VALU_DEP_2)
	v_perm_b32 v29, v29, v29, 0x3020104
.LBB686_33:
	s_or_b32 exec_lo, exec_lo, s3
	v_mov_b32_e32 v33, v25
	s_and_b32 vcc_lo, exec_lo, s2
	s_cbranch_vccnz .LBB686_35
	s_branch .LBB686_38
.LBB686_34:
                                        ; implicit-def: $sgpr4
                                        ; implicit-def: $vgpr23
                                        ; implicit-def: $vgpr27
                                        ; implicit-def: $vgpr33
                                        ; implicit-def: $vgpr29
                                        ; implicit-def: $vgpr24
                                        ; implicit-def: $vgpr32
                                        ; implicit-def: $vgpr31
                                        ; implicit-def: $vgpr26
	s_cbranch_execz .LBB686_38
.LBB686_35:
	v_dual_add_nc_u32 v23, 4, v28 :: v_dual_add_nc_u32 v24, 6, v28
	v_cmp_ne_u64_e32 vcc_lo, v[12:13], v[8:9]
	v_dual_add_nc_u32 v25, 5, v28 :: v_dual_add_nc_u32 v26, 3, v28
	s_delay_alu instid0(VALU_DEP_3)
	v_cmp_gt_u32_e64 s2, s8, v23
	v_add_nc_u32_e32 v23, 2, v28
	v_cmp_ne_u64_e64 s3, v[16:17], v[20:21]
	v_cmp_ne_u64_e64 s4, v[10:11], v[6:7]
	v_add_nc_u32_e32 v7, 1, v28
	s_and_b32 s2, s2, vcc_lo
	v_cmp_gt_u32_e32 vcc_lo, s8, v26
	v_cmp_gt_u32_e64 s6, s8, v23
	v_cndmask_b32_e64 v20, 0, 1, s2
	v_cmp_ne_u64_e64 s2, v[2:3], v[4:5]
	v_cmp_gt_u32_e64 s7, s8, v25
	s_and_b32 s4, vcc_lo, s4
	s_and_b32 s3, s6, s3
	v_lshlrev_b16 v6, 8, v20
	v_cndmask_b32_e64 v25, 0, 1, s4
	v_cndmask_b32_e64 v21, 0, 1, s3
	v_cmp_gt_u32_e64 s5, s8, v24
	v_cmp_ne_u64_e32 vcc_lo, v[8:9], v[2:3]
	v_cmp_ne_u64_e64 s3, v[14:15], v[18:19]
	v_dual_mov_b32 v24, 1 :: v_dual_bitop2_b32 v26, v25, v6 bitop3:0x54
	v_lshlrev_b16 v6, 8, v21
	s_and_b32 s2, s5, s2
	s_wait_dscnt 0x0
	v_cndmask_b32_e64 v23, 0, 1, s2
	v_cmp_gt_u32_e64 s2, s8, v7
	v_lshlrev_b32_e32 v7, 16, v26
	v_and_b32_e32 v18, 0xffff, v6
	s_and_b32 s4, s7, vcc_lo
	s_barrier_signal -1
	s_and_b32 s2, s2, s3
	v_cndmask_b32_e64 v27, 0, 1, s4
	v_cndmask_b32_e64 v19, 0, 1, s2
	v_or_b32_e32 v18, v18, v7
	s_mov_b32 s3, exec_lo
	s_barrier_wait -1
                                        ; implicit-def: $sgpr4
                                        ; implicit-def: $vgpr33
                                        ; implicit-def: $vgpr29
	v_cmpx_ne_u32_e32 0, v0
	s_cbranch_execz .LBB686_37
; %bb.36:
	v_lshlrev_b16 v25, 8, v25
	v_add_nc_u32_e32 v31, -8, v34
	v_lshlrev_b16 v29, 8, v19
	v_cmp_gt_u32_e64 s2, s8, v28
	s_or_b32 s14, s14, exec_lo
	v_lshrrev_b32_e32 v25, 8, v25
	ds_load_b64 v[32:33], v31
	v_lshlrev_b16 v31, 8, v27
	v_lshrrev_b32_e32 v29, 8, v29
	v_lshlrev_b16 v25, 8, v25
	s_delay_alu instid0(VALU_DEP_3) | instskip(NEXT) | instid1(VALU_DEP_3)
	v_or_b32_e32 v20, v20, v31
	v_lshlrev_b16 v29, 8, v29
	s_delay_alu instid0(VALU_DEP_3) | instskip(NEXT) | instid1(VALU_DEP_3)
	v_or_b32_e32 v21, v21, v25
	v_and_b32_e32 v20, 0xffff, v20
	s_delay_alu instid0(VALU_DEP_3) | instskip(NEXT) | instid1(VALU_DEP_3)
	v_or_b32_e32 v25, 1, v29
	v_lshlrev_b32_e32 v21, 16, v21
	s_delay_alu instid0(VALU_DEP_2) | instskip(SKIP_3) | instid1(VALU_DEP_3)
	v_and_b32_e32 v25, 0xffff, v25
	s_wait_dscnt 0x0
	v_cmp_ne_u64_e32 vcc_lo, v[32:33], v[14:15]
	v_lshl_or_b32 v33, v23, 16, v20
	v_or_b32_e32 v21, v25, v21
	s_delay_alu instid0(VALU_DEP_1)
	v_perm_b32 v29, v21, v21, 0x3020104
	s_and_b32 s4, s2, vcc_lo
.LBB686_37:
	s_or_b32 exec_lo, exec_lo, s3
	v_dual_lshrrev_b32 v25, 24, v7 :: v_dual_bitop2_b32 v32, v19, v6 bitop3:0x54
	v_lshrrev_b32_e32 v31, 8, v18
.LBB686_38:
	s_and_saveexec_b32 s2, s14
; %bb.39:
	v_dual_lshrrev_b32 v26, 24, v29 :: v_dual_lshrrev_b32 v31, 16, v29
	v_dual_mov_b32 v25, v33 :: v_dual_lshrrev_b32 v32, 8, v29
	v_cndmask_b32_e64 v24, 0, 1, s4
; %bb.40:
	s_or_b32 exec_lo, exec_lo, s2
	s_load_b64 s[14:15], s[0:1], 0x60
	s_and_not1_b32 vcc_lo, exec_lo, s9
	s_cbranch_vccnz .LBB686_44
; %bb.41:
	v_perm_b32 v6, v24, v32, 0xc0c0004
	v_perm_b32 v7, v31, v26, 0xc0c0004
	v_cmp_gt_u32_e32 vcc_lo, s8, v28
	v_and_b32_e32 v19, 0xff, v23
	v_perm_b32 v20, v25, v27, 0xc0c0004
	v_add_nc_u32_e32 v18, 1, v28
	v_lshl_or_b32 v6, v7, 16, v6
	s_delay_alu instid0(VALU_DEP_1) | instskip(NEXT) | instid1(VALU_DEP_3)
	v_dual_add_nc_u32 v21, 4, v28 :: v_dual_cndmask_b32 v7, 0, v6, vcc_lo
	v_cmp_gt_u32_e32 vcc_lo, s8, v18
	v_dual_lshlrev_b32 v18, 16, v19 :: v_dual_add_nc_u32 v19, 2, v28
	s_delay_alu instid0(VALU_DEP_3) | instskip(NEXT) | instid1(VALU_DEP_2)
	v_and_b32_e32 v7, 0xff, v7
	v_or_b32_e32 v23, v20, v18
	v_bitop3_b32 v18, v20, 0xffff00, v18 bitop3:0xc8
	s_delay_alu instid0(VALU_DEP_3) | instskip(SKIP_2) | instid1(VALU_DEP_3)
	v_cndmask_b32_e32 v7, v7, v6, vcc_lo
	v_cmp_gt_u32_e32 vcc_lo, s8, v19
	v_add_nc_u32_e32 v19, 5, v28
	v_and_b32_e32 v7, 0xffff, v7
	s_delay_alu instid0(VALU_DEP_2) | instskip(NEXT) | instid1(VALU_DEP_2)
	v_cmp_gt_u32_e64 s2, s8, v19
	v_cndmask_b32_e32 v7, v7, v6, vcc_lo
	v_cmp_gt_u32_e32 vcc_lo, s8, v21
	v_cndmask_b32_e32 v18, v18, v23, vcc_lo
	s_delay_alu instid0(VALU_DEP_3) | instskip(SKIP_2) | instid1(VALU_DEP_3)
	v_and_b32_e32 v7, 0xffffff, v7
	v_add_nc_u32_e32 v20, 3, v28
	s_or_b32 vcc_lo, s2, vcc_lo
	v_and_b32_e32 v18, 0xffff00ff, v18
	s_delay_alu instid0(VALU_DEP_2) | instskip(NEXT) | instid1(VALU_DEP_1)
	v_cmp_gt_u32_e64 s3, s8, v20
	v_dual_cndmask_b32 v7, v7, v6, s3 :: v_dual_cndmask_b32 v25, v18, v23, s2
	s_mov_b32 s2, exec_lo
	s_delay_alu instid0(VALU_DEP_1) | instskip(NEXT) | instid1(VALU_DEP_2)
	v_dual_cndmask_b32 v24, v7, v6, vcc_lo :: v_dual_add_nc_u32 v6, 6, v28
	v_lshrrev_b32_e32 v23, 16, v25
	s_delay_alu instid0(VALU_DEP_2)
	v_lshrrev_b64 v[26:27], 24, v[24:25]
	v_dual_lshrrev_b32 v31, 16, v24 :: v_dual_lshrrev_b32 v32, 8, v24
	v_lshrrev_b32_e32 v27, 8, v25
	v_cmpx_le_u32_e64 s8, v6
; %bb.42:
	v_mov_b32_e32 v23, 0
; %bb.43:
	s_or_b32 exec_lo, exec_lo, s2
.LBB686_44:
	v_and_b32_e32 v33, 0xff, v24
	v_and_b32_e32 v34, 0xff, v32
	;; [unrolled: 1-line block ×5, first 2 shown]
	v_mbcnt_lo_u32_b32 v39, -1, 0
	v_and_b32_e32 v38, 0xff, v27
	v_add3_u32 v6, v34, v33, v35
	v_and_b32_e32 v7, 0xff, v23
	s_delay_alu instid0(VALU_DEP_4) | instskip(SKIP_1) | instid1(VALU_DEP_3)
	v_dual_lshrrev_b32 v40, 5, v0 :: v_dual_bitop2_b32 v18, 15, v39 bitop3:0x40
	s_and_b32 vcc_lo, exec_lo, s19
	v_add3_u32 v6, v6, v36, v37
	s_mov_b32 s8, -1
	s_wait_dscnt 0x0
	v_cmp_eq_u32_e64 s2, 0, v18
	v_cmp_lt_u32_e64 s4, 1, v18
	v_add3_u32 v41, v6, v38, v7
	v_and_b32_e32 v6, 16, v39
	v_or_b32_e32 v7, 31, v0
	v_cmp_lt_u32_e64 s5, 3, v18
	v_cmp_lt_u32_e64 s3, 7, v18
	s_barrier_signal -1
	v_cmp_eq_u32_e64 s7, 0, v6
	v_cmp_eq_u32_e64 s6, v0, v7
	s_barrier_wait -1
	s_cbranch_vccz .LBB686_66
; %bb.45:
	v_mov_b32_dpp v6, v41 row_shr:1 row_mask:0xf bank_mask:0xf
	s_delay_alu instid0(VALU_DEP_1) | instskip(NEXT) | instid1(VALU_DEP_1)
	v_cndmask_b32_e64 v6, v6, 0, s2
	v_add_nc_u32_e32 v6, v6, v41
	s_delay_alu instid0(VALU_DEP_1) | instskip(NEXT) | instid1(VALU_DEP_1)
	v_mov_b32_dpp v7, v6 row_shr:2 row_mask:0xf bank_mask:0xf
	v_cndmask_b32_e64 v7, 0, v7, s4
	s_delay_alu instid0(VALU_DEP_1) | instskip(NEXT) | instid1(VALU_DEP_1)
	v_add_nc_u32_e32 v6, v6, v7
	v_mov_b32_dpp v7, v6 row_shr:4 row_mask:0xf bank_mask:0xf
	s_delay_alu instid0(VALU_DEP_1) | instskip(NEXT) | instid1(VALU_DEP_1)
	v_cndmask_b32_e64 v7, 0, v7, s5
	v_add_nc_u32_e32 v6, v6, v7
	s_delay_alu instid0(VALU_DEP_1) | instskip(NEXT) | instid1(VALU_DEP_1)
	v_mov_b32_dpp v7, v6 row_shr:8 row_mask:0xf bank_mask:0xf
	v_cndmask_b32_e64 v7, 0, v7, s3
	s_delay_alu instid0(VALU_DEP_1) | instskip(SKIP_3) | instid1(VALU_DEP_1)
	v_add_nc_u32_e32 v6, v6, v7
	ds_swizzle_b32 v7, v6 offset:swizzle(BROADCAST,32,15)
	s_wait_dscnt 0x0
	v_cndmask_b32_e64 v7, v7, 0, s7
	v_add_nc_u32_e32 v6, v6, v7
	s_and_saveexec_b32 s8, s6
; %bb.46:
	v_lshlrev_b32_e32 v7, 2, v40
	ds_store_b32 v7, v6
; %bb.47:
	s_or_b32 exec_lo, exec_lo, s8
	s_delay_alu instid0(SALU_CYCLE_1)
	s_mov_b32 s8, exec_lo
	s_wait_dscnt 0x0
	s_barrier_signal -1
	s_barrier_wait -1
	v_cmpx_gt_u32_e32 16, v0
	s_cbranch_execz .LBB686_49
; %bb.48:
	v_lshlrev_b32_e32 v7, 2, v0
	ds_load_b32 v18, v7
	s_wait_dscnt 0x0
	v_mov_b32_dpp v19, v18 row_shr:1 row_mask:0xf bank_mask:0xf
	s_delay_alu instid0(VALU_DEP_1) | instskip(NEXT) | instid1(VALU_DEP_1)
	v_cndmask_b32_e64 v19, v19, 0, s2
	v_add_nc_u32_e32 v18, v19, v18
	s_delay_alu instid0(VALU_DEP_1) | instskip(NEXT) | instid1(VALU_DEP_1)
	v_mov_b32_dpp v19, v18 row_shr:2 row_mask:0xf bank_mask:0xf
	v_cndmask_b32_e64 v19, 0, v19, s4
	s_delay_alu instid0(VALU_DEP_1) | instskip(NEXT) | instid1(VALU_DEP_1)
	v_add_nc_u32_e32 v18, v18, v19
	v_mov_b32_dpp v19, v18 row_shr:4 row_mask:0xf bank_mask:0xf
	s_delay_alu instid0(VALU_DEP_1) | instskip(NEXT) | instid1(VALU_DEP_1)
	v_cndmask_b32_e64 v19, 0, v19, s5
	v_add_nc_u32_e32 v18, v18, v19
	s_delay_alu instid0(VALU_DEP_1) | instskip(NEXT) | instid1(VALU_DEP_1)
	v_mov_b32_dpp v19, v18 row_shr:8 row_mask:0xf bank_mask:0xf
	v_cndmask_b32_e64 v19, 0, v19, s3
	s_delay_alu instid0(VALU_DEP_1)
	v_add_nc_u32_e32 v18, v18, v19
	ds_store_b32 v7, v18
.LBB686_49:
	s_or_b32 exec_lo, exec_lo, s8
	s_delay_alu instid0(SALU_CYCLE_1)
	s_mov_b32 s9, exec_lo
	v_cmp_gt_u32_e32 vcc_lo, 32, v0
	s_wait_dscnt 0x0
	s_barrier_signal -1
	s_barrier_wait -1
                                        ; implicit-def: $vgpr42
	v_cmpx_lt_u32_e32 31, v0
	s_cbranch_execz .LBB686_51
; %bb.50:
	v_lshl_add_u32 v7, v40, 2, -4
	ds_load_b32 v42, v7
	s_wait_dscnt 0x0
	v_add_nc_u32_e32 v6, v42, v6
.LBB686_51:
	s_or_b32 exec_lo, exec_lo, s9
	v_sub_co_u32 v7, s8, v39, 1
	s_delay_alu instid0(VALU_DEP_1) | instskip(NEXT) | instid1(VALU_DEP_1)
	v_cmp_gt_i32_e64 s9, 0, v7
	v_cndmask_b32_e64 v7, v7, v39, s9
	s_delay_alu instid0(VALU_DEP_1)
	v_lshlrev_b32_e32 v7, 2, v7
	ds_bpermute_b32 v43, v7, v6
	s_and_saveexec_b32 s9, vcc_lo
	s_cbranch_execz .LBB686_71
; %bb.52:
	v_mov_b32_e32 v29, 0
	ds_load_b32 v6, v29 offset:60
	s_and_saveexec_b32 s19, s8
	s_cbranch_execz .LBB686_54
; %bb.53:
	s_add_co_i32 s20, s18, 32
	s_delay_alu instid0(SALU_CYCLE_1)
	v_dual_mov_b32 v7, 1 :: v_dual_mov_b32 v18, s20
	s_wait_xcnt 0x0
	s_wait_dscnt 0x0
	s_wait_kmcnt 0x0
	global_store_b64 v18, v[6:7], s[14:15] scale_offset scope:SCOPE_DEV
.LBB686_54:
	s_wait_xcnt 0x0
	s_or_b32 exec_lo, exec_lo, s19
	v_xad_u32 v18, v39, -1, s18
	s_mov_b32 s20, 0
	s_mov_b32 s19, exec_lo
	s_delay_alu instid0(VALU_DEP_1)
	v_add_nc_u32_e32 v28, 32, v18
	s_wait_kmcnt 0x0
	global_load_b64 v[20:21], v28, s[14:15] scale_offset scope:SCOPE_DEV
	s_wait_loadcnt 0x0
	v_and_b32_e32 v7, 0xff, v21
	s_wait_xcnt 0x0
	s_delay_alu instid0(VALU_DEP_1)
	v_cmpx_eq_u16_e32 0, v7
	s_cbranch_execz .LBB686_58
; %bb.55:
	v_lshl_add_u64 v[28:29], v[28:29], 3, s[14:15]
.LBB686_56:                             ; =>This Inner Loop Header: Depth=1
	global_load_b64 v[20:21], v[28:29], off scope:SCOPE_DEV
	s_wait_loadcnt 0x0
	v_and_b32_e32 v7, 0xff, v21
	s_delay_alu instid0(VALU_DEP_1)
	v_cmp_ne_u16_e32 vcc_lo, 0, v7
	s_or_b32 s20, vcc_lo, s20
	s_wait_xcnt 0x0
	s_and_not1_b32 exec_lo, exec_lo, s20
	s_cbranch_execnz .LBB686_56
; %bb.57:
	s_or_b32 exec_lo, exec_lo, s20
.LBB686_58:
	s_delay_alu instid0(SALU_CYCLE_1)
	s_or_b32 exec_lo, exec_lo, s19
	v_cmp_ne_u32_e32 vcc_lo, 31, v39
	v_lshlrev_b32_e64 v45, v39, -1
	v_lshl_or_b32 v52, v39, 2, 64
	v_dual_add_nc_u32 v51, 8, v39 :: v_dual_add_nc_u32 v53, 16, v39
	v_add_co_ci_u32_e64 v7, null, 0, v39, vcc_lo
	s_delay_alu instid0(VALU_DEP_1)
	v_lshlrev_b32_e32 v44, 2, v7
	v_and_b32_e32 v7, 0xff, v21
	ds_bpermute_b32 v19, v44, v20
	v_cmp_eq_u16_e32 vcc_lo, 2, v7
	v_and_or_b32 v7, vcc_lo, v45, 0x80000000
	v_cmp_gt_u32_e32 vcc_lo, 30, v39
	s_delay_alu instid0(VALU_DEP_2) | instskip(SKIP_1) | instid1(VALU_DEP_2)
	v_ctz_i32_b32_e32 v7, v7
	v_cndmask_b32_e64 v28, 0, 2, vcc_lo
	v_cmp_lt_u32_e32 vcc_lo, v39, v7
	s_delay_alu instid0(VALU_DEP_2) | instskip(SKIP_3) | instid1(VALU_DEP_2)
	v_add_lshl_u32 v46, v28, v39, 2
	s_wait_dscnt 0x0
	v_cndmask_b32_e32 v19, 0, v19, vcc_lo
	v_cmp_gt_u32_e32 vcc_lo, 28, v39
	v_dual_add_nc_u32 v19, v19, v20 :: v_dual_add_nc_u32 v47, 2, v39
	v_cndmask_b32_e64 v28, 0, 4, vcc_lo
	ds_bpermute_b32 v20, v46, v19
	v_cmp_le_u32_e32 vcc_lo, v47, v7
	v_add_lshl_u32 v48, v28, v39, 2
	s_wait_dscnt 0x0
	v_cndmask_b32_e32 v20, 0, v20, vcc_lo
	v_cmp_gt_u32_e32 vcc_lo, 24, v39
	s_delay_alu instid0(VALU_DEP_2) | instskip(SKIP_4) | instid1(VALU_DEP_2)
	v_add_nc_u32_e32 v19, v19, v20
	v_cndmask_b32_e64 v28, 0, 8, vcc_lo
	ds_bpermute_b32 v20, v48, v19
	v_add_nc_u32_e32 v49, 4, v39
	v_add_lshl_u32 v50, v28, v39, 2
	v_cmp_le_u32_e32 vcc_lo, v49, v7
	s_wait_dscnt 0x0
	v_cndmask_b32_e32 v20, 0, v20, vcc_lo
	v_cmp_le_u32_e32 vcc_lo, v51, v7
	s_delay_alu instid0(VALU_DEP_2) | instskip(SKIP_4) | instid1(VALU_DEP_2)
	v_add_nc_u32_e32 v19, v19, v20
	ds_bpermute_b32 v20, v50, v19
	s_wait_dscnt 0x0
	v_cndmask_b32_e32 v20, 0, v20, vcc_lo
	v_cmp_le_u32_e32 vcc_lo, v53, v7
	v_add_nc_u32_e32 v19, v19, v20
	ds_bpermute_b32 v20, v52, v19
	s_wait_dscnt 0x0
	v_cndmask_b32_e32 v7, 0, v20, vcc_lo
	s_delay_alu instid0(VALU_DEP_1)
	v_dual_mov_b32 v19, 0 :: v_dual_add_nc_u32 v20, v19, v7
	s_branch .LBB686_61
.LBB686_59:                             ;   in Loop: Header=BB686_61 Depth=1
	s_or_b32 exec_lo, exec_lo, s19
	v_and_b32_e32 v28, 0xff, v21
	ds_bpermute_b32 v29, v44, v20
	v_subrev_nc_u32_e32 v18, 32, v18
	s_mov_b32 s19, 0
	v_cmp_eq_u16_e32 vcc_lo, 2, v28
	v_and_or_b32 v28, vcc_lo, v45, 0x80000000
	s_delay_alu instid0(VALU_DEP_1) | instskip(NEXT) | instid1(VALU_DEP_1)
	v_ctz_i32_b32_e32 v28, v28
	v_cmp_lt_u32_e32 vcc_lo, v39, v28
	s_wait_dscnt 0x0
	v_cndmask_b32_e32 v29, 0, v29, vcc_lo
	v_cmp_le_u32_e32 vcc_lo, v47, v28
	s_delay_alu instid0(VALU_DEP_2) | instskip(SKIP_4) | instid1(VALU_DEP_2)
	v_add_nc_u32_e32 v20, v29, v20
	ds_bpermute_b32 v29, v46, v20
	s_wait_dscnt 0x0
	v_cndmask_b32_e32 v29, 0, v29, vcc_lo
	v_cmp_le_u32_e32 vcc_lo, v49, v28
	v_add_nc_u32_e32 v20, v20, v29
	ds_bpermute_b32 v29, v48, v20
	s_wait_dscnt 0x0
	v_cndmask_b32_e32 v29, 0, v29, vcc_lo
	v_cmp_le_u32_e32 vcc_lo, v51, v28
	s_delay_alu instid0(VALU_DEP_2) | instskip(SKIP_4) | instid1(VALU_DEP_2)
	v_add_nc_u32_e32 v20, v20, v29
	ds_bpermute_b32 v29, v50, v20
	s_wait_dscnt 0x0
	v_cndmask_b32_e32 v29, 0, v29, vcc_lo
	v_cmp_le_u32_e32 vcc_lo, v53, v28
	v_add_nc_u32_e32 v20, v20, v29
	ds_bpermute_b32 v29, v52, v20
	s_wait_dscnt 0x0
	v_cndmask_b32_e32 v28, 0, v29, vcc_lo
	s_delay_alu instid0(VALU_DEP_1)
	v_add3_u32 v20, v28, v7, v20
.LBB686_60:                             ;   in Loop: Header=BB686_61 Depth=1
	s_and_b32 vcc_lo, exec_lo, s19
	s_cbranch_vccnz .LBB686_67
.LBB686_61:                             ; =>This Loop Header: Depth=1
                                        ;     Child Loop BB686_64 Depth 2
	v_and_b32_e32 v7, 0xff, v21
	s_mov_b32 s19, -1
                                        ; implicit-def: $vgpr21
	s_delay_alu instid0(VALU_DEP_1)
	v_cmp_ne_u16_e32 vcc_lo, 2, v7
	v_mov_b32_e32 v7, v20
                                        ; implicit-def: $vgpr20
	s_cmp_lg_u32 vcc_lo, exec_lo
	s_cbranch_scc1 .LBB686_60
; %bb.62:                               ;   in Loop: Header=BB686_61 Depth=1
	global_load_b64 v[20:21], v18, s[14:15] scale_offset scope:SCOPE_DEV
	s_mov_b32 s19, exec_lo
	s_wait_loadcnt 0x0
	v_and_b32_e32 v28, 0xff, v21
	s_wait_xcnt 0x0
	s_delay_alu instid0(VALU_DEP_1)
	v_cmpx_eq_u16_e32 0, v28
	s_cbranch_execz .LBB686_59
; %bb.63:                               ;   in Loop: Header=BB686_61 Depth=1
	v_lshl_add_u64 v[28:29], v[18:19], 3, s[14:15]
	s_mov_b32 s20, 0
.LBB686_64:                             ;   Parent Loop BB686_61 Depth=1
                                        ; =>  This Inner Loop Header: Depth=2
	global_load_b64 v[20:21], v[28:29], off scope:SCOPE_DEV
	s_wait_loadcnt 0x0
	v_and_b32_e32 v54, 0xff, v21
	s_delay_alu instid0(VALU_DEP_1)
	v_cmp_ne_u16_e32 vcc_lo, 0, v54
	s_or_b32 s20, vcc_lo, s20
	s_wait_xcnt 0x0
	s_and_not1_b32 exec_lo, exec_lo, s20
	s_cbranch_execnz .LBB686_64
; %bb.65:                               ;   in Loop: Header=BB686_61 Depth=1
	s_or_b32 exec_lo, exec_lo, s20
	s_branch .LBB686_59
.LBB686_66:
                                        ; implicit-def: $vgpr18
                                        ; implicit-def: $vgpr6
                                        ; implicit-def: $vgpr19
                                        ; implicit-def: $vgpr20
                                        ; implicit-def: $vgpr21
                                        ; implicit-def: $vgpr28
                                        ; implicit-def: $vgpr29
                                        ; implicit-def: $vgpr42
                                        ; implicit-def: $vgpr43
	s_and_b32 vcc_lo, exec_lo, s8
	s_cbranch_vccnz .LBB686_72
	s_branch .LBB686_81
.LBB686_67:
	s_and_saveexec_b32 s19, s8
	s_cbranch_execz .LBB686_69
; %bb.68:
	s_add_co_i32 s18, s18, 32
	v_dual_mov_b32 v19, 2 :: v_dual_add_nc_u32 v18, v7, v6
	v_dual_mov_b32 v20, s18 :: v_dual_mov_b32 v21, 0
	global_store_b64 v20, v[18:19], s[14:15] scale_offset scope:SCOPE_DEV
	ds_store_b64 v21, v[6:7] offset:28672
.LBB686_69:
	s_wait_xcnt 0x0
	s_or_b32 exec_lo, exec_lo, s19
	v_cmp_eq_u32_e32 vcc_lo, 0, v0
	s_and_b32 exec_lo, exec_lo, vcc_lo
; %bb.70:
	v_mov_b32_e32 v6, 0
	ds_store_b32 v6, v7 offset:60
.LBB686_71:
	s_or_b32 exec_lo, exec_lo, s9
	s_wait_dscnt 0x0
	v_dual_mov_b32 v6, 0 :: v_dual_cndmask_b32 v18, v43, v42, s8
	s_wait_storecnt 0x0
	s_barrier_signal -1
	s_barrier_wait -1
	ds_load_b32 v7, v6 offset:60
	v_cmp_ne_u32_e32 vcc_lo, 0, v0
	s_wait_dscnt 0x0
	s_barrier_signal -1
	s_barrier_wait -1
	v_cndmask_b32_e32 v18, 0, v18, vcc_lo
	s_delay_alu instid0(VALU_DEP_1) | instskip(SKIP_2) | instid1(VALU_DEP_1)
	v_add_nc_u32_e32 v43, v7, v18
	ds_load_b64 v[6:7], v6 offset:28672
	v_add_nc_u32_e32 v42, v43, v33
	v_add_nc_u32_e32 v29, v42, v34
	s_delay_alu instid0(VALU_DEP_1) | instskip(SKIP_1) | instid1(VALU_DEP_1)
	v_add_nc_u32_e32 v28, v29, v35
	s_wait_dscnt 0x0
	v_dual_mov_b32 v18, v7 :: v_dual_add_nc_u32 v21, v28, v36
	s_delay_alu instid0(VALU_DEP_1) | instskip(NEXT) | instid1(VALU_DEP_1)
	v_add_nc_u32_e32 v20, v21, v37
	v_add_nc_u32_e32 v19, v20, v38
	s_branch .LBB686_81
.LBB686_72:
	v_mov_b32_dpp v6, v41 row_shr:1 row_mask:0xf bank_mask:0xf
	s_delay_alu instid0(VALU_DEP_1) | instskip(NEXT) | instid1(VALU_DEP_1)
	v_cndmask_b32_e64 v6, v6, 0, s2
	v_add_nc_u32_e32 v6, v6, v41
	s_delay_alu instid0(VALU_DEP_1) | instskip(NEXT) | instid1(VALU_DEP_1)
	v_mov_b32_dpp v7, v6 row_shr:2 row_mask:0xf bank_mask:0xf
	v_cndmask_b32_e64 v7, 0, v7, s4
	s_delay_alu instid0(VALU_DEP_1) | instskip(NEXT) | instid1(VALU_DEP_1)
	v_add_nc_u32_e32 v6, v6, v7
	v_mov_b32_dpp v7, v6 row_shr:4 row_mask:0xf bank_mask:0xf
	s_delay_alu instid0(VALU_DEP_1) | instskip(NEXT) | instid1(VALU_DEP_1)
	v_cndmask_b32_e64 v7, 0, v7, s5
	v_add_nc_u32_e32 v6, v6, v7
	s_delay_alu instid0(VALU_DEP_1) | instskip(NEXT) | instid1(VALU_DEP_1)
	v_mov_b32_dpp v7, v6 row_shr:8 row_mask:0xf bank_mask:0xf
	v_cndmask_b32_e64 v7, 0, v7, s3
	s_delay_alu instid0(VALU_DEP_1) | instskip(SKIP_3) | instid1(VALU_DEP_1)
	v_add_nc_u32_e32 v6, v6, v7
	ds_swizzle_b32 v7, v6 offset:swizzle(BROADCAST,32,15)
	s_wait_dscnt 0x0
	v_cndmask_b32_e64 v7, v7, 0, s7
	v_add_nc_u32_e32 v6, v6, v7
	s_and_saveexec_b32 s7, s6
; %bb.73:
	v_lshlrev_b32_e32 v7, 2, v40
	ds_store_b32 v7, v6
; %bb.74:
	s_or_b32 exec_lo, exec_lo, s7
	s_delay_alu instid0(SALU_CYCLE_1)
	s_mov_b32 s6, exec_lo
	s_wait_dscnt 0x0
	s_barrier_signal -1
	s_barrier_wait -1
	v_cmpx_gt_u32_e32 16, v0
	s_cbranch_execz .LBB686_76
; %bb.75:
	v_mad_i32_i24 v7, 0xffffffcc, v0, v30
	ds_load_b32 v18, v7
	s_wait_dscnt 0x0
	v_mov_b32_dpp v19, v18 row_shr:1 row_mask:0xf bank_mask:0xf
	s_delay_alu instid0(VALU_DEP_1) | instskip(NEXT) | instid1(VALU_DEP_1)
	v_cndmask_b32_e64 v19, v19, 0, s2
	v_add_nc_u32_e32 v18, v19, v18
	s_delay_alu instid0(VALU_DEP_1) | instskip(NEXT) | instid1(VALU_DEP_1)
	v_mov_b32_dpp v19, v18 row_shr:2 row_mask:0xf bank_mask:0xf
	v_cndmask_b32_e64 v19, 0, v19, s4
	s_delay_alu instid0(VALU_DEP_1) | instskip(NEXT) | instid1(VALU_DEP_1)
	v_add_nc_u32_e32 v18, v18, v19
	v_mov_b32_dpp v19, v18 row_shr:4 row_mask:0xf bank_mask:0xf
	s_delay_alu instid0(VALU_DEP_1) | instskip(NEXT) | instid1(VALU_DEP_1)
	v_cndmask_b32_e64 v19, 0, v19, s5
	v_add_nc_u32_e32 v18, v18, v19
	s_delay_alu instid0(VALU_DEP_1) | instskip(NEXT) | instid1(VALU_DEP_1)
	v_mov_b32_dpp v19, v18 row_shr:8 row_mask:0xf bank_mask:0xf
	v_cndmask_b32_e64 v19, 0, v19, s3
	s_delay_alu instid0(VALU_DEP_1)
	v_add_nc_u32_e32 v18, v18, v19
	ds_store_b32 v7, v18
.LBB686_76:
	s_or_b32 exec_lo, exec_lo, s6
	v_dual_mov_b32 v7, 0 :: v_dual_mov_b32 v18, 0
	s_mov_b32 s2, exec_lo
	s_wait_dscnt 0x0
	s_barrier_signal -1
	s_barrier_wait -1
	v_cmpx_lt_u32_e32 31, v0
; %bb.77:
	v_lshl_add_u32 v18, v40, 2, -4
	ds_load_b32 v18, v18
; %bb.78:
	s_or_b32 exec_lo, exec_lo, s2
	v_sub_co_u32 v19, vcc_lo, v39, 1
	s_wait_dscnt 0x0
	v_add_nc_u32_e32 v6, v18, v6
	s_delay_alu instid0(VALU_DEP_2) | instskip(NEXT) | instid1(VALU_DEP_1)
	v_cmp_gt_i32_e64 s2, 0, v19
	v_cndmask_b32_e64 v19, v19, v39, s2
	v_cmp_eq_u32_e64 s2, 0, v0
	s_delay_alu instid0(VALU_DEP_2)
	v_lshlrev_b32_e32 v19, 2, v19
	ds_bpermute_b32 v19, v19, v6
	ds_load_b32 v6, v7 offset:60
	s_and_saveexec_b32 s3, s2
	s_cbranch_execz .LBB686_80
; %bb.79:
	v_dual_mov_b32 v20, 0 :: v_dual_mov_b32 v7, 2
	s_wait_xcnt 0x0
	s_wait_dscnt 0x0
	s_wait_kmcnt 0x0
	global_store_b64 v20, v[6:7], s[14:15] offset:256 scope:SCOPE_DEV
.LBB686_80:
	s_wait_xcnt 0x0
	s_or_b32 exec_lo, exec_lo, s3
	s_wait_dscnt 0x1
	v_cndmask_b32_e32 v7, v19, v18, vcc_lo
	s_wait_storecnt_dscnt 0x0
	s_barrier_signal -1
	s_barrier_wait -1
	s_delay_alu instid0(VALU_DEP_1) | instskip(NEXT) | instid1(VALU_DEP_1)
	v_cndmask_b32_e64 v43, v7, 0, s2
	v_dual_mov_b32 v18, 0 :: v_dual_add_nc_u32 v42, v43, v33
	s_delay_alu instid0(VALU_DEP_1) | instskip(NEXT) | instid1(VALU_DEP_1)
	v_add_nc_u32_e32 v29, v42, v34
	v_add_nc_u32_e32 v28, v29, v35
	s_delay_alu instid0(VALU_DEP_1) | instskip(NEXT) | instid1(VALU_DEP_1)
	v_add_nc_u32_e32 v21, v28, v36
	v_add_nc_u32_e32 v20, v21, v37
	s_delay_alu instid0(VALU_DEP_1)
	v_add_nc_u32_e32 v19, v20, v38
.LBB686_81:
	s_load_b64 s[2:3], s[0:1], 0x28
	v_and_b32_e32 v7, 1, v24
	v_cmp_gt_u32_e32 vcc_lo, 0x201, v6
	s_wait_xcnt 0x0
	s_mov_b32 s1, -1
	s_delay_alu instid0(VALU_DEP_2)
	v_cmp_eq_u32_e64 s0, 1, v7
	s_cbranch_vccnz .LBB686_85
; %bb.82:
	s_and_b32 vcc_lo, exec_lo, s1
	s_cbranch_vccnz .LBB686_100
.LBB686_83:
	v_cmp_eq_u32_e32 vcc_lo, 0, v0
	s_and_b32 s0, vcc_lo, s16
	s_delay_alu instid0(SALU_CYCLE_1)
	s_and_saveexec_b32 s1, s0
	s_cbranch_execnz .LBB686_117
.LBB686_84:
	s_endpgm
.LBB686_85:
	v_add_nc_u32_e32 v24, v18, v6
	s_wait_kmcnt 0x0
	s_lshl_b64 s[4:5], s[10:11], 3
	s_delay_alu instid0(SALU_CYCLE_1) | instskip(NEXT) | instid1(VALU_DEP_1)
	s_add_nc_u64 s[4:5], s[2:3], s[4:5]
	v_cmp_lt_u32_e32 vcc_lo, v43, v24
	s_or_b32 s1, s17, vcc_lo
	s_delay_alu instid0(SALU_CYCLE_1) | instskip(NEXT) | instid1(SALU_CYCLE_1)
	s_and_b32 s1, s1, s0
	s_and_saveexec_b32 s0, s1
	s_cbranch_execz .LBB686_87
; %bb.86:
	global_store_b64 v43, v[14:15], s[4:5] scale_offset
.LBB686_87:
	s_wait_xcnt 0x0
	s_or_b32 exec_lo, exec_lo, s0
	v_and_b32_e32 v30, 1, v32
	v_cmp_lt_u32_e32 vcc_lo, v42, v24
	s_delay_alu instid0(VALU_DEP_2) | instskip(SKIP_1) | instid1(SALU_CYCLE_1)
	v_cmp_eq_u32_e64 s0, 1, v30
	s_or_b32 s1, s17, vcc_lo
	s_and_b32 s1, s1, s0
	s_delay_alu instid0(SALU_CYCLE_1)
	s_and_saveexec_b32 s0, s1
	s_cbranch_execz .LBB686_89
; %bb.88:
	global_store_b64 v42, v[16:17], s[4:5] scale_offset
.LBB686_89:
	s_wait_xcnt 0x0
	s_or_b32 exec_lo, exec_lo, s0
	v_and_b32_e32 v30, 1, v31
	v_cmp_lt_u32_e32 vcc_lo, v29, v24
	s_delay_alu instid0(VALU_DEP_2) | instskip(SKIP_1) | instid1(SALU_CYCLE_1)
	v_cmp_eq_u32_e64 s0, 1, v30
	s_or_b32 s1, s17, vcc_lo
	s_and_b32 s1, s1, s0
	s_delay_alu instid0(SALU_CYCLE_1)
	;; [unrolled: 14-line block ×6, first 2 shown]
	s_and_saveexec_b32 s0, s1
	s_cbranch_execz .LBB686_99
; %bb.98:
	global_store_b64 v19, v[4:5], s[4:5] scale_offset
.LBB686_99:
	s_wait_xcnt 0x0
	s_or_b32 exec_lo, exec_lo, s0
	s_branch .LBB686_83
.LBB686_100:
	s_mov_b32 s0, exec_lo
	v_cmpx_eq_u32_e32 1, v7
; %bb.101:
	v_sub_nc_u32_e32 v7, v43, v18
	s_delay_alu instid0(VALU_DEP_1)
	v_lshlrev_b32_e32 v7, 3, v7
	ds_store_b64 v7, v[14:15]
; %bb.102:
	s_or_b32 exec_lo, exec_lo, s0
	v_and_b32_e32 v7, 1, v32
	s_mov_b32 s0, exec_lo
	s_delay_alu instid0(VALU_DEP_1)
	v_cmpx_eq_u32_e32 1, v7
; %bb.103:
	v_sub_nc_u32_e32 v7, v42, v18
	s_delay_alu instid0(VALU_DEP_1)
	v_lshlrev_b32_e32 v7, 3, v7
	ds_store_b64 v7, v[16:17]
; %bb.104:
	s_or_b32 exec_lo, exec_lo, s0
	v_and_b32_e32 v7, 1, v31
	s_mov_b32 s0, exec_lo
	s_delay_alu instid0(VALU_DEP_1)
	;; [unrolled: 11-line block ×6, first 2 shown]
	v_cmpx_eq_u32_e32 1, v2
; %bb.113:
	v_sub_nc_u32_e32 v2, v19, v18
	s_delay_alu instid0(VALU_DEP_1)
	v_lshlrev_b32_e32 v2, 3, v2
	ds_store_b64 v2, v[4:5]
; %bb.114:
	s_or_b32 exec_lo, exec_lo, s0
	v_mov_b32_e32 v19, 0
	s_wait_kmcnt 0x0
	s_lshl_b64 s[0:1], s[10:11], 3
	s_wait_storecnt_dscnt 0x0
	s_barrier_signal -1
	s_barrier_wait -1
	v_lshlrev_b64_e32 v[2:3], 3, v[18:19]
	v_mov_b32_e32 v23, v19
	s_delay_alu instid0(VALU_DEP_2) | instskip(SKIP_1) | instid1(VALU_DEP_1)
	v_add_nc_u64_e32 v[2:3], s[0:1], v[2:3]
	s_mov_b32 s0, 0
	v_add_nc_u64_e32 v[2:3], s[2:3], v[2:3]
	s_delay_alu instid0(VALU_DEP_1)
	v_add_nc_u64_e32 v[2:3], v[2:3], v[22:23]
.LBB686_115:                            ; =>This Inner Loop Header: Depth=1
	ds_load_b64 v[4:5], v22
	v_add_nc_u32_e32 v1, 0x200, v1
	v_add_nc_u32_e32 v22, 0x1000, v22
	s_delay_alu instid0(VALU_DEP_2)
	v_cmp_ge_u32_e32 vcc_lo, v1, v6
	s_or_b32 s0, vcc_lo, s0
	s_wait_dscnt 0x0
	global_store_b64 v[2:3], v[4:5], off
	s_wait_xcnt 0x0
	v_add_nc_u64_e32 v[2:3], 0x1000, v[2:3]
	s_and_not1_b32 exec_lo, exec_lo, s0
	s_cbranch_execnz .LBB686_115
; %bb.116:
	s_or_b32 exec_lo, exec_lo, s0
	v_cmp_eq_u32_e32 vcc_lo, 0, v0
	s_and_b32 s0, vcc_lo, s16
	s_delay_alu instid0(SALU_CYCLE_1)
	s_and_saveexec_b32 s1, s0
	s_cbranch_execz .LBB686_84
.LBB686_117:
	v_mov_b32_e32 v7, 0
	s_wait_kmcnt 0x0
	s_delay_alu instid0(VALU_DEP_1) | instskip(SKIP_1) | instid1(VALU_DEP_1)
	v_add_nc_u64_e32 v[0:1], s[10:11], v[6:7]
	v_mov_b32_e32 v19, v7
	v_add_nc_u64_e32 v[0:1], v[0:1], v[18:19]
	global_store_b64 v7, v[0:1], s[12:13]
	s_endpgm
	.section	.rodata,"a",@progbits
	.p2align	6, 0x0
	.amdhsa_kernel _ZN7rocprim17ROCPRIM_400000_NS6detail17trampoline_kernelINS0_14default_configENS1_25partition_config_selectorILNS1_17partition_subalgoE8EmNS0_10empty_typeEbEEZZNS1_14partition_implILS5_8ELb0ES3_jPKmPS6_PKS6_NS0_5tupleIJPmS6_EEENSE_IJSB_SB_EEENS0_18inequality_wrapperIN6hipcub16HIPCUB_304000_NS8EqualityEEEPlJS6_EEE10hipError_tPvRmT3_T4_T5_T6_T7_T9_mT8_P12ihipStream_tbDpT10_ENKUlT_T0_E_clISt17integral_constantIbLb0EES17_EEDaS12_S13_EUlS12_E_NS1_11comp_targetILNS1_3genE0ELNS1_11target_archE4294967295ELNS1_3gpuE0ELNS1_3repE0EEENS1_30default_config_static_selectorELNS0_4arch9wavefront6targetE0EEEvT1_
		.amdhsa_group_segment_fixed_size 28680
		.amdhsa_private_segment_fixed_size 0
		.amdhsa_kernarg_size 112
		.amdhsa_user_sgpr_count 2
		.amdhsa_user_sgpr_dispatch_ptr 0
		.amdhsa_user_sgpr_queue_ptr 0
		.amdhsa_user_sgpr_kernarg_segment_ptr 1
		.amdhsa_user_sgpr_dispatch_id 0
		.amdhsa_user_sgpr_kernarg_preload_length 0
		.amdhsa_user_sgpr_kernarg_preload_offset 0
		.amdhsa_user_sgpr_private_segment_size 0
		.amdhsa_wavefront_size32 1
		.amdhsa_uses_dynamic_stack 0
		.amdhsa_enable_private_segment 0
		.amdhsa_system_sgpr_workgroup_id_x 1
		.amdhsa_system_sgpr_workgroup_id_y 0
		.amdhsa_system_sgpr_workgroup_id_z 0
		.amdhsa_system_sgpr_workgroup_info 0
		.amdhsa_system_vgpr_workitem_id 0
		.amdhsa_next_free_vgpr 55
		.amdhsa_next_free_sgpr 24
		.amdhsa_named_barrier_count 0
		.amdhsa_reserve_vcc 1
		.amdhsa_float_round_mode_32 0
		.amdhsa_float_round_mode_16_64 0
		.amdhsa_float_denorm_mode_32 3
		.amdhsa_float_denorm_mode_16_64 3
		.amdhsa_fp16_overflow 0
		.amdhsa_memory_ordered 1
		.amdhsa_forward_progress 1
		.amdhsa_inst_pref_size 45
		.amdhsa_round_robin_scheduling 0
		.amdhsa_exception_fp_ieee_invalid_op 0
		.amdhsa_exception_fp_denorm_src 0
		.amdhsa_exception_fp_ieee_div_zero 0
		.amdhsa_exception_fp_ieee_overflow 0
		.amdhsa_exception_fp_ieee_underflow 0
		.amdhsa_exception_fp_ieee_inexact 0
		.amdhsa_exception_int_div_zero 0
	.end_amdhsa_kernel
	.section	.text._ZN7rocprim17ROCPRIM_400000_NS6detail17trampoline_kernelINS0_14default_configENS1_25partition_config_selectorILNS1_17partition_subalgoE8EmNS0_10empty_typeEbEEZZNS1_14partition_implILS5_8ELb0ES3_jPKmPS6_PKS6_NS0_5tupleIJPmS6_EEENSE_IJSB_SB_EEENS0_18inequality_wrapperIN6hipcub16HIPCUB_304000_NS8EqualityEEEPlJS6_EEE10hipError_tPvRmT3_T4_T5_T6_T7_T9_mT8_P12ihipStream_tbDpT10_ENKUlT_T0_E_clISt17integral_constantIbLb0EES17_EEDaS12_S13_EUlS12_E_NS1_11comp_targetILNS1_3genE0ELNS1_11target_archE4294967295ELNS1_3gpuE0ELNS1_3repE0EEENS1_30default_config_static_selectorELNS0_4arch9wavefront6targetE0EEEvT1_,"axG",@progbits,_ZN7rocprim17ROCPRIM_400000_NS6detail17trampoline_kernelINS0_14default_configENS1_25partition_config_selectorILNS1_17partition_subalgoE8EmNS0_10empty_typeEbEEZZNS1_14partition_implILS5_8ELb0ES3_jPKmPS6_PKS6_NS0_5tupleIJPmS6_EEENSE_IJSB_SB_EEENS0_18inequality_wrapperIN6hipcub16HIPCUB_304000_NS8EqualityEEEPlJS6_EEE10hipError_tPvRmT3_T4_T5_T6_T7_T9_mT8_P12ihipStream_tbDpT10_ENKUlT_T0_E_clISt17integral_constantIbLb0EES17_EEDaS12_S13_EUlS12_E_NS1_11comp_targetILNS1_3genE0ELNS1_11target_archE4294967295ELNS1_3gpuE0ELNS1_3repE0EEENS1_30default_config_static_selectorELNS0_4arch9wavefront6targetE0EEEvT1_,comdat
.Lfunc_end686:
	.size	_ZN7rocprim17ROCPRIM_400000_NS6detail17trampoline_kernelINS0_14default_configENS1_25partition_config_selectorILNS1_17partition_subalgoE8EmNS0_10empty_typeEbEEZZNS1_14partition_implILS5_8ELb0ES3_jPKmPS6_PKS6_NS0_5tupleIJPmS6_EEENSE_IJSB_SB_EEENS0_18inequality_wrapperIN6hipcub16HIPCUB_304000_NS8EqualityEEEPlJS6_EEE10hipError_tPvRmT3_T4_T5_T6_T7_T9_mT8_P12ihipStream_tbDpT10_ENKUlT_T0_E_clISt17integral_constantIbLb0EES17_EEDaS12_S13_EUlS12_E_NS1_11comp_targetILNS1_3genE0ELNS1_11target_archE4294967295ELNS1_3gpuE0ELNS1_3repE0EEENS1_30default_config_static_selectorELNS0_4arch9wavefront6targetE0EEEvT1_, .Lfunc_end686-_ZN7rocprim17ROCPRIM_400000_NS6detail17trampoline_kernelINS0_14default_configENS1_25partition_config_selectorILNS1_17partition_subalgoE8EmNS0_10empty_typeEbEEZZNS1_14partition_implILS5_8ELb0ES3_jPKmPS6_PKS6_NS0_5tupleIJPmS6_EEENSE_IJSB_SB_EEENS0_18inequality_wrapperIN6hipcub16HIPCUB_304000_NS8EqualityEEEPlJS6_EEE10hipError_tPvRmT3_T4_T5_T6_T7_T9_mT8_P12ihipStream_tbDpT10_ENKUlT_T0_E_clISt17integral_constantIbLb0EES17_EEDaS12_S13_EUlS12_E_NS1_11comp_targetILNS1_3genE0ELNS1_11target_archE4294967295ELNS1_3gpuE0ELNS1_3repE0EEENS1_30default_config_static_selectorELNS0_4arch9wavefront6targetE0EEEvT1_
                                        ; -- End function
	.set _ZN7rocprim17ROCPRIM_400000_NS6detail17trampoline_kernelINS0_14default_configENS1_25partition_config_selectorILNS1_17partition_subalgoE8EmNS0_10empty_typeEbEEZZNS1_14partition_implILS5_8ELb0ES3_jPKmPS6_PKS6_NS0_5tupleIJPmS6_EEENSE_IJSB_SB_EEENS0_18inequality_wrapperIN6hipcub16HIPCUB_304000_NS8EqualityEEEPlJS6_EEE10hipError_tPvRmT3_T4_T5_T6_T7_T9_mT8_P12ihipStream_tbDpT10_ENKUlT_T0_E_clISt17integral_constantIbLb0EES17_EEDaS12_S13_EUlS12_E_NS1_11comp_targetILNS1_3genE0ELNS1_11target_archE4294967295ELNS1_3gpuE0ELNS1_3repE0EEENS1_30default_config_static_selectorELNS0_4arch9wavefront6targetE0EEEvT1_.num_vgpr, 55
	.set _ZN7rocprim17ROCPRIM_400000_NS6detail17trampoline_kernelINS0_14default_configENS1_25partition_config_selectorILNS1_17partition_subalgoE8EmNS0_10empty_typeEbEEZZNS1_14partition_implILS5_8ELb0ES3_jPKmPS6_PKS6_NS0_5tupleIJPmS6_EEENSE_IJSB_SB_EEENS0_18inequality_wrapperIN6hipcub16HIPCUB_304000_NS8EqualityEEEPlJS6_EEE10hipError_tPvRmT3_T4_T5_T6_T7_T9_mT8_P12ihipStream_tbDpT10_ENKUlT_T0_E_clISt17integral_constantIbLb0EES17_EEDaS12_S13_EUlS12_E_NS1_11comp_targetILNS1_3genE0ELNS1_11target_archE4294967295ELNS1_3gpuE0ELNS1_3repE0EEENS1_30default_config_static_selectorELNS0_4arch9wavefront6targetE0EEEvT1_.num_agpr, 0
	.set _ZN7rocprim17ROCPRIM_400000_NS6detail17trampoline_kernelINS0_14default_configENS1_25partition_config_selectorILNS1_17partition_subalgoE8EmNS0_10empty_typeEbEEZZNS1_14partition_implILS5_8ELb0ES3_jPKmPS6_PKS6_NS0_5tupleIJPmS6_EEENSE_IJSB_SB_EEENS0_18inequality_wrapperIN6hipcub16HIPCUB_304000_NS8EqualityEEEPlJS6_EEE10hipError_tPvRmT3_T4_T5_T6_T7_T9_mT8_P12ihipStream_tbDpT10_ENKUlT_T0_E_clISt17integral_constantIbLb0EES17_EEDaS12_S13_EUlS12_E_NS1_11comp_targetILNS1_3genE0ELNS1_11target_archE4294967295ELNS1_3gpuE0ELNS1_3repE0EEENS1_30default_config_static_selectorELNS0_4arch9wavefront6targetE0EEEvT1_.numbered_sgpr, 24
	.set _ZN7rocprim17ROCPRIM_400000_NS6detail17trampoline_kernelINS0_14default_configENS1_25partition_config_selectorILNS1_17partition_subalgoE8EmNS0_10empty_typeEbEEZZNS1_14partition_implILS5_8ELb0ES3_jPKmPS6_PKS6_NS0_5tupleIJPmS6_EEENSE_IJSB_SB_EEENS0_18inequality_wrapperIN6hipcub16HIPCUB_304000_NS8EqualityEEEPlJS6_EEE10hipError_tPvRmT3_T4_T5_T6_T7_T9_mT8_P12ihipStream_tbDpT10_ENKUlT_T0_E_clISt17integral_constantIbLb0EES17_EEDaS12_S13_EUlS12_E_NS1_11comp_targetILNS1_3genE0ELNS1_11target_archE4294967295ELNS1_3gpuE0ELNS1_3repE0EEENS1_30default_config_static_selectorELNS0_4arch9wavefront6targetE0EEEvT1_.num_named_barrier, 0
	.set _ZN7rocprim17ROCPRIM_400000_NS6detail17trampoline_kernelINS0_14default_configENS1_25partition_config_selectorILNS1_17partition_subalgoE8EmNS0_10empty_typeEbEEZZNS1_14partition_implILS5_8ELb0ES3_jPKmPS6_PKS6_NS0_5tupleIJPmS6_EEENSE_IJSB_SB_EEENS0_18inequality_wrapperIN6hipcub16HIPCUB_304000_NS8EqualityEEEPlJS6_EEE10hipError_tPvRmT3_T4_T5_T6_T7_T9_mT8_P12ihipStream_tbDpT10_ENKUlT_T0_E_clISt17integral_constantIbLb0EES17_EEDaS12_S13_EUlS12_E_NS1_11comp_targetILNS1_3genE0ELNS1_11target_archE4294967295ELNS1_3gpuE0ELNS1_3repE0EEENS1_30default_config_static_selectorELNS0_4arch9wavefront6targetE0EEEvT1_.private_seg_size, 0
	.set _ZN7rocprim17ROCPRIM_400000_NS6detail17trampoline_kernelINS0_14default_configENS1_25partition_config_selectorILNS1_17partition_subalgoE8EmNS0_10empty_typeEbEEZZNS1_14partition_implILS5_8ELb0ES3_jPKmPS6_PKS6_NS0_5tupleIJPmS6_EEENSE_IJSB_SB_EEENS0_18inequality_wrapperIN6hipcub16HIPCUB_304000_NS8EqualityEEEPlJS6_EEE10hipError_tPvRmT3_T4_T5_T6_T7_T9_mT8_P12ihipStream_tbDpT10_ENKUlT_T0_E_clISt17integral_constantIbLb0EES17_EEDaS12_S13_EUlS12_E_NS1_11comp_targetILNS1_3genE0ELNS1_11target_archE4294967295ELNS1_3gpuE0ELNS1_3repE0EEENS1_30default_config_static_selectorELNS0_4arch9wavefront6targetE0EEEvT1_.uses_vcc, 1
	.set _ZN7rocprim17ROCPRIM_400000_NS6detail17trampoline_kernelINS0_14default_configENS1_25partition_config_selectorILNS1_17partition_subalgoE8EmNS0_10empty_typeEbEEZZNS1_14partition_implILS5_8ELb0ES3_jPKmPS6_PKS6_NS0_5tupleIJPmS6_EEENSE_IJSB_SB_EEENS0_18inequality_wrapperIN6hipcub16HIPCUB_304000_NS8EqualityEEEPlJS6_EEE10hipError_tPvRmT3_T4_T5_T6_T7_T9_mT8_P12ihipStream_tbDpT10_ENKUlT_T0_E_clISt17integral_constantIbLb0EES17_EEDaS12_S13_EUlS12_E_NS1_11comp_targetILNS1_3genE0ELNS1_11target_archE4294967295ELNS1_3gpuE0ELNS1_3repE0EEENS1_30default_config_static_selectorELNS0_4arch9wavefront6targetE0EEEvT1_.uses_flat_scratch, 0
	.set _ZN7rocprim17ROCPRIM_400000_NS6detail17trampoline_kernelINS0_14default_configENS1_25partition_config_selectorILNS1_17partition_subalgoE8EmNS0_10empty_typeEbEEZZNS1_14partition_implILS5_8ELb0ES3_jPKmPS6_PKS6_NS0_5tupleIJPmS6_EEENSE_IJSB_SB_EEENS0_18inequality_wrapperIN6hipcub16HIPCUB_304000_NS8EqualityEEEPlJS6_EEE10hipError_tPvRmT3_T4_T5_T6_T7_T9_mT8_P12ihipStream_tbDpT10_ENKUlT_T0_E_clISt17integral_constantIbLb0EES17_EEDaS12_S13_EUlS12_E_NS1_11comp_targetILNS1_3genE0ELNS1_11target_archE4294967295ELNS1_3gpuE0ELNS1_3repE0EEENS1_30default_config_static_selectorELNS0_4arch9wavefront6targetE0EEEvT1_.has_dyn_sized_stack, 0
	.set _ZN7rocprim17ROCPRIM_400000_NS6detail17trampoline_kernelINS0_14default_configENS1_25partition_config_selectorILNS1_17partition_subalgoE8EmNS0_10empty_typeEbEEZZNS1_14partition_implILS5_8ELb0ES3_jPKmPS6_PKS6_NS0_5tupleIJPmS6_EEENSE_IJSB_SB_EEENS0_18inequality_wrapperIN6hipcub16HIPCUB_304000_NS8EqualityEEEPlJS6_EEE10hipError_tPvRmT3_T4_T5_T6_T7_T9_mT8_P12ihipStream_tbDpT10_ENKUlT_T0_E_clISt17integral_constantIbLb0EES17_EEDaS12_S13_EUlS12_E_NS1_11comp_targetILNS1_3genE0ELNS1_11target_archE4294967295ELNS1_3gpuE0ELNS1_3repE0EEENS1_30default_config_static_selectorELNS0_4arch9wavefront6targetE0EEEvT1_.has_recursion, 0
	.set _ZN7rocprim17ROCPRIM_400000_NS6detail17trampoline_kernelINS0_14default_configENS1_25partition_config_selectorILNS1_17partition_subalgoE8EmNS0_10empty_typeEbEEZZNS1_14partition_implILS5_8ELb0ES3_jPKmPS6_PKS6_NS0_5tupleIJPmS6_EEENSE_IJSB_SB_EEENS0_18inequality_wrapperIN6hipcub16HIPCUB_304000_NS8EqualityEEEPlJS6_EEE10hipError_tPvRmT3_T4_T5_T6_T7_T9_mT8_P12ihipStream_tbDpT10_ENKUlT_T0_E_clISt17integral_constantIbLb0EES17_EEDaS12_S13_EUlS12_E_NS1_11comp_targetILNS1_3genE0ELNS1_11target_archE4294967295ELNS1_3gpuE0ELNS1_3repE0EEENS1_30default_config_static_selectorELNS0_4arch9wavefront6targetE0EEEvT1_.has_indirect_call, 0
	.section	.AMDGPU.csdata,"",@progbits
; Kernel info:
; codeLenInByte = 5720
; TotalNumSgprs: 26
; NumVgprs: 55
; ScratchSize: 0
; MemoryBound: 0
; FloatMode: 240
; IeeeMode: 1
; LDSByteSize: 28680 bytes/workgroup (compile time only)
; SGPRBlocks: 0
; VGPRBlocks: 3
; NumSGPRsForWavesPerEU: 26
; NumVGPRsForWavesPerEU: 55
; NamedBarCnt: 0
; Occupancy: 16
; WaveLimiterHint : 1
; COMPUTE_PGM_RSRC2:SCRATCH_EN: 0
; COMPUTE_PGM_RSRC2:USER_SGPR: 2
; COMPUTE_PGM_RSRC2:TRAP_HANDLER: 0
; COMPUTE_PGM_RSRC2:TGID_X_EN: 1
; COMPUTE_PGM_RSRC2:TGID_Y_EN: 0
; COMPUTE_PGM_RSRC2:TGID_Z_EN: 0
; COMPUTE_PGM_RSRC2:TIDIG_COMP_CNT: 0
	.section	.text._ZN7rocprim17ROCPRIM_400000_NS6detail17trampoline_kernelINS0_14default_configENS1_25partition_config_selectorILNS1_17partition_subalgoE8EmNS0_10empty_typeEbEEZZNS1_14partition_implILS5_8ELb0ES3_jPKmPS6_PKS6_NS0_5tupleIJPmS6_EEENSE_IJSB_SB_EEENS0_18inequality_wrapperIN6hipcub16HIPCUB_304000_NS8EqualityEEEPlJS6_EEE10hipError_tPvRmT3_T4_T5_T6_T7_T9_mT8_P12ihipStream_tbDpT10_ENKUlT_T0_E_clISt17integral_constantIbLb0EES17_EEDaS12_S13_EUlS12_E_NS1_11comp_targetILNS1_3genE5ELNS1_11target_archE942ELNS1_3gpuE9ELNS1_3repE0EEENS1_30default_config_static_selectorELNS0_4arch9wavefront6targetE0EEEvT1_,"axG",@progbits,_ZN7rocprim17ROCPRIM_400000_NS6detail17trampoline_kernelINS0_14default_configENS1_25partition_config_selectorILNS1_17partition_subalgoE8EmNS0_10empty_typeEbEEZZNS1_14partition_implILS5_8ELb0ES3_jPKmPS6_PKS6_NS0_5tupleIJPmS6_EEENSE_IJSB_SB_EEENS0_18inequality_wrapperIN6hipcub16HIPCUB_304000_NS8EqualityEEEPlJS6_EEE10hipError_tPvRmT3_T4_T5_T6_T7_T9_mT8_P12ihipStream_tbDpT10_ENKUlT_T0_E_clISt17integral_constantIbLb0EES17_EEDaS12_S13_EUlS12_E_NS1_11comp_targetILNS1_3genE5ELNS1_11target_archE942ELNS1_3gpuE9ELNS1_3repE0EEENS1_30default_config_static_selectorELNS0_4arch9wavefront6targetE0EEEvT1_,comdat
	.protected	_ZN7rocprim17ROCPRIM_400000_NS6detail17trampoline_kernelINS0_14default_configENS1_25partition_config_selectorILNS1_17partition_subalgoE8EmNS0_10empty_typeEbEEZZNS1_14partition_implILS5_8ELb0ES3_jPKmPS6_PKS6_NS0_5tupleIJPmS6_EEENSE_IJSB_SB_EEENS0_18inequality_wrapperIN6hipcub16HIPCUB_304000_NS8EqualityEEEPlJS6_EEE10hipError_tPvRmT3_T4_T5_T6_T7_T9_mT8_P12ihipStream_tbDpT10_ENKUlT_T0_E_clISt17integral_constantIbLb0EES17_EEDaS12_S13_EUlS12_E_NS1_11comp_targetILNS1_3genE5ELNS1_11target_archE942ELNS1_3gpuE9ELNS1_3repE0EEENS1_30default_config_static_selectorELNS0_4arch9wavefront6targetE0EEEvT1_ ; -- Begin function _ZN7rocprim17ROCPRIM_400000_NS6detail17trampoline_kernelINS0_14default_configENS1_25partition_config_selectorILNS1_17partition_subalgoE8EmNS0_10empty_typeEbEEZZNS1_14partition_implILS5_8ELb0ES3_jPKmPS6_PKS6_NS0_5tupleIJPmS6_EEENSE_IJSB_SB_EEENS0_18inequality_wrapperIN6hipcub16HIPCUB_304000_NS8EqualityEEEPlJS6_EEE10hipError_tPvRmT3_T4_T5_T6_T7_T9_mT8_P12ihipStream_tbDpT10_ENKUlT_T0_E_clISt17integral_constantIbLb0EES17_EEDaS12_S13_EUlS12_E_NS1_11comp_targetILNS1_3genE5ELNS1_11target_archE942ELNS1_3gpuE9ELNS1_3repE0EEENS1_30default_config_static_selectorELNS0_4arch9wavefront6targetE0EEEvT1_
	.globl	_ZN7rocprim17ROCPRIM_400000_NS6detail17trampoline_kernelINS0_14default_configENS1_25partition_config_selectorILNS1_17partition_subalgoE8EmNS0_10empty_typeEbEEZZNS1_14partition_implILS5_8ELb0ES3_jPKmPS6_PKS6_NS0_5tupleIJPmS6_EEENSE_IJSB_SB_EEENS0_18inequality_wrapperIN6hipcub16HIPCUB_304000_NS8EqualityEEEPlJS6_EEE10hipError_tPvRmT3_T4_T5_T6_T7_T9_mT8_P12ihipStream_tbDpT10_ENKUlT_T0_E_clISt17integral_constantIbLb0EES17_EEDaS12_S13_EUlS12_E_NS1_11comp_targetILNS1_3genE5ELNS1_11target_archE942ELNS1_3gpuE9ELNS1_3repE0EEENS1_30default_config_static_selectorELNS0_4arch9wavefront6targetE0EEEvT1_
	.p2align	8
	.type	_ZN7rocprim17ROCPRIM_400000_NS6detail17trampoline_kernelINS0_14default_configENS1_25partition_config_selectorILNS1_17partition_subalgoE8EmNS0_10empty_typeEbEEZZNS1_14partition_implILS5_8ELb0ES3_jPKmPS6_PKS6_NS0_5tupleIJPmS6_EEENSE_IJSB_SB_EEENS0_18inequality_wrapperIN6hipcub16HIPCUB_304000_NS8EqualityEEEPlJS6_EEE10hipError_tPvRmT3_T4_T5_T6_T7_T9_mT8_P12ihipStream_tbDpT10_ENKUlT_T0_E_clISt17integral_constantIbLb0EES17_EEDaS12_S13_EUlS12_E_NS1_11comp_targetILNS1_3genE5ELNS1_11target_archE942ELNS1_3gpuE9ELNS1_3repE0EEENS1_30default_config_static_selectorELNS0_4arch9wavefront6targetE0EEEvT1_,@function
_ZN7rocprim17ROCPRIM_400000_NS6detail17trampoline_kernelINS0_14default_configENS1_25partition_config_selectorILNS1_17partition_subalgoE8EmNS0_10empty_typeEbEEZZNS1_14partition_implILS5_8ELb0ES3_jPKmPS6_PKS6_NS0_5tupleIJPmS6_EEENSE_IJSB_SB_EEENS0_18inequality_wrapperIN6hipcub16HIPCUB_304000_NS8EqualityEEEPlJS6_EEE10hipError_tPvRmT3_T4_T5_T6_T7_T9_mT8_P12ihipStream_tbDpT10_ENKUlT_T0_E_clISt17integral_constantIbLb0EES17_EEDaS12_S13_EUlS12_E_NS1_11comp_targetILNS1_3genE5ELNS1_11target_archE942ELNS1_3gpuE9ELNS1_3repE0EEENS1_30default_config_static_selectorELNS0_4arch9wavefront6targetE0EEEvT1_: ; @_ZN7rocprim17ROCPRIM_400000_NS6detail17trampoline_kernelINS0_14default_configENS1_25partition_config_selectorILNS1_17partition_subalgoE8EmNS0_10empty_typeEbEEZZNS1_14partition_implILS5_8ELb0ES3_jPKmPS6_PKS6_NS0_5tupleIJPmS6_EEENSE_IJSB_SB_EEENS0_18inequality_wrapperIN6hipcub16HIPCUB_304000_NS8EqualityEEEPlJS6_EEE10hipError_tPvRmT3_T4_T5_T6_T7_T9_mT8_P12ihipStream_tbDpT10_ENKUlT_T0_E_clISt17integral_constantIbLb0EES17_EEDaS12_S13_EUlS12_E_NS1_11comp_targetILNS1_3genE5ELNS1_11target_archE942ELNS1_3gpuE9ELNS1_3repE0EEENS1_30default_config_static_selectorELNS0_4arch9wavefront6targetE0EEEvT1_
; %bb.0:
	.section	.rodata,"a",@progbits
	.p2align	6, 0x0
	.amdhsa_kernel _ZN7rocprim17ROCPRIM_400000_NS6detail17trampoline_kernelINS0_14default_configENS1_25partition_config_selectorILNS1_17partition_subalgoE8EmNS0_10empty_typeEbEEZZNS1_14partition_implILS5_8ELb0ES3_jPKmPS6_PKS6_NS0_5tupleIJPmS6_EEENSE_IJSB_SB_EEENS0_18inequality_wrapperIN6hipcub16HIPCUB_304000_NS8EqualityEEEPlJS6_EEE10hipError_tPvRmT3_T4_T5_T6_T7_T9_mT8_P12ihipStream_tbDpT10_ENKUlT_T0_E_clISt17integral_constantIbLb0EES17_EEDaS12_S13_EUlS12_E_NS1_11comp_targetILNS1_3genE5ELNS1_11target_archE942ELNS1_3gpuE9ELNS1_3repE0EEENS1_30default_config_static_selectorELNS0_4arch9wavefront6targetE0EEEvT1_
		.amdhsa_group_segment_fixed_size 0
		.amdhsa_private_segment_fixed_size 0
		.amdhsa_kernarg_size 112
		.amdhsa_user_sgpr_count 2
		.amdhsa_user_sgpr_dispatch_ptr 0
		.amdhsa_user_sgpr_queue_ptr 0
		.amdhsa_user_sgpr_kernarg_segment_ptr 1
		.amdhsa_user_sgpr_dispatch_id 0
		.amdhsa_user_sgpr_kernarg_preload_length 0
		.amdhsa_user_sgpr_kernarg_preload_offset 0
		.amdhsa_user_sgpr_private_segment_size 0
		.amdhsa_wavefront_size32 1
		.amdhsa_uses_dynamic_stack 0
		.amdhsa_enable_private_segment 0
		.amdhsa_system_sgpr_workgroup_id_x 1
		.amdhsa_system_sgpr_workgroup_id_y 0
		.amdhsa_system_sgpr_workgroup_id_z 0
		.amdhsa_system_sgpr_workgroup_info 0
		.amdhsa_system_vgpr_workitem_id 0
		.amdhsa_next_free_vgpr 1
		.amdhsa_next_free_sgpr 1
		.amdhsa_named_barrier_count 0
		.amdhsa_reserve_vcc 0
		.amdhsa_float_round_mode_32 0
		.amdhsa_float_round_mode_16_64 0
		.amdhsa_float_denorm_mode_32 3
		.amdhsa_float_denorm_mode_16_64 3
		.amdhsa_fp16_overflow 0
		.amdhsa_memory_ordered 1
		.amdhsa_forward_progress 1
		.amdhsa_inst_pref_size 0
		.amdhsa_round_robin_scheduling 0
		.amdhsa_exception_fp_ieee_invalid_op 0
		.amdhsa_exception_fp_denorm_src 0
		.amdhsa_exception_fp_ieee_div_zero 0
		.amdhsa_exception_fp_ieee_overflow 0
		.amdhsa_exception_fp_ieee_underflow 0
		.amdhsa_exception_fp_ieee_inexact 0
		.amdhsa_exception_int_div_zero 0
	.end_amdhsa_kernel
	.section	.text._ZN7rocprim17ROCPRIM_400000_NS6detail17trampoline_kernelINS0_14default_configENS1_25partition_config_selectorILNS1_17partition_subalgoE8EmNS0_10empty_typeEbEEZZNS1_14partition_implILS5_8ELb0ES3_jPKmPS6_PKS6_NS0_5tupleIJPmS6_EEENSE_IJSB_SB_EEENS0_18inequality_wrapperIN6hipcub16HIPCUB_304000_NS8EqualityEEEPlJS6_EEE10hipError_tPvRmT3_T4_T5_T6_T7_T9_mT8_P12ihipStream_tbDpT10_ENKUlT_T0_E_clISt17integral_constantIbLb0EES17_EEDaS12_S13_EUlS12_E_NS1_11comp_targetILNS1_3genE5ELNS1_11target_archE942ELNS1_3gpuE9ELNS1_3repE0EEENS1_30default_config_static_selectorELNS0_4arch9wavefront6targetE0EEEvT1_,"axG",@progbits,_ZN7rocprim17ROCPRIM_400000_NS6detail17trampoline_kernelINS0_14default_configENS1_25partition_config_selectorILNS1_17partition_subalgoE8EmNS0_10empty_typeEbEEZZNS1_14partition_implILS5_8ELb0ES3_jPKmPS6_PKS6_NS0_5tupleIJPmS6_EEENSE_IJSB_SB_EEENS0_18inequality_wrapperIN6hipcub16HIPCUB_304000_NS8EqualityEEEPlJS6_EEE10hipError_tPvRmT3_T4_T5_T6_T7_T9_mT8_P12ihipStream_tbDpT10_ENKUlT_T0_E_clISt17integral_constantIbLb0EES17_EEDaS12_S13_EUlS12_E_NS1_11comp_targetILNS1_3genE5ELNS1_11target_archE942ELNS1_3gpuE9ELNS1_3repE0EEENS1_30default_config_static_selectorELNS0_4arch9wavefront6targetE0EEEvT1_,comdat
.Lfunc_end687:
	.size	_ZN7rocprim17ROCPRIM_400000_NS6detail17trampoline_kernelINS0_14default_configENS1_25partition_config_selectorILNS1_17partition_subalgoE8EmNS0_10empty_typeEbEEZZNS1_14partition_implILS5_8ELb0ES3_jPKmPS6_PKS6_NS0_5tupleIJPmS6_EEENSE_IJSB_SB_EEENS0_18inequality_wrapperIN6hipcub16HIPCUB_304000_NS8EqualityEEEPlJS6_EEE10hipError_tPvRmT3_T4_T5_T6_T7_T9_mT8_P12ihipStream_tbDpT10_ENKUlT_T0_E_clISt17integral_constantIbLb0EES17_EEDaS12_S13_EUlS12_E_NS1_11comp_targetILNS1_3genE5ELNS1_11target_archE942ELNS1_3gpuE9ELNS1_3repE0EEENS1_30default_config_static_selectorELNS0_4arch9wavefront6targetE0EEEvT1_, .Lfunc_end687-_ZN7rocprim17ROCPRIM_400000_NS6detail17trampoline_kernelINS0_14default_configENS1_25partition_config_selectorILNS1_17partition_subalgoE8EmNS0_10empty_typeEbEEZZNS1_14partition_implILS5_8ELb0ES3_jPKmPS6_PKS6_NS0_5tupleIJPmS6_EEENSE_IJSB_SB_EEENS0_18inequality_wrapperIN6hipcub16HIPCUB_304000_NS8EqualityEEEPlJS6_EEE10hipError_tPvRmT3_T4_T5_T6_T7_T9_mT8_P12ihipStream_tbDpT10_ENKUlT_T0_E_clISt17integral_constantIbLb0EES17_EEDaS12_S13_EUlS12_E_NS1_11comp_targetILNS1_3genE5ELNS1_11target_archE942ELNS1_3gpuE9ELNS1_3repE0EEENS1_30default_config_static_selectorELNS0_4arch9wavefront6targetE0EEEvT1_
                                        ; -- End function
	.set _ZN7rocprim17ROCPRIM_400000_NS6detail17trampoline_kernelINS0_14default_configENS1_25partition_config_selectorILNS1_17partition_subalgoE8EmNS0_10empty_typeEbEEZZNS1_14partition_implILS5_8ELb0ES3_jPKmPS6_PKS6_NS0_5tupleIJPmS6_EEENSE_IJSB_SB_EEENS0_18inequality_wrapperIN6hipcub16HIPCUB_304000_NS8EqualityEEEPlJS6_EEE10hipError_tPvRmT3_T4_T5_T6_T7_T9_mT8_P12ihipStream_tbDpT10_ENKUlT_T0_E_clISt17integral_constantIbLb0EES17_EEDaS12_S13_EUlS12_E_NS1_11comp_targetILNS1_3genE5ELNS1_11target_archE942ELNS1_3gpuE9ELNS1_3repE0EEENS1_30default_config_static_selectorELNS0_4arch9wavefront6targetE0EEEvT1_.num_vgpr, 0
	.set _ZN7rocprim17ROCPRIM_400000_NS6detail17trampoline_kernelINS0_14default_configENS1_25partition_config_selectorILNS1_17partition_subalgoE8EmNS0_10empty_typeEbEEZZNS1_14partition_implILS5_8ELb0ES3_jPKmPS6_PKS6_NS0_5tupleIJPmS6_EEENSE_IJSB_SB_EEENS0_18inequality_wrapperIN6hipcub16HIPCUB_304000_NS8EqualityEEEPlJS6_EEE10hipError_tPvRmT3_T4_T5_T6_T7_T9_mT8_P12ihipStream_tbDpT10_ENKUlT_T0_E_clISt17integral_constantIbLb0EES17_EEDaS12_S13_EUlS12_E_NS1_11comp_targetILNS1_3genE5ELNS1_11target_archE942ELNS1_3gpuE9ELNS1_3repE0EEENS1_30default_config_static_selectorELNS0_4arch9wavefront6targetE0EEEvT1_.num_agpr, 0
	.set _ZN7rocprim17ROCPRIM_400000_NS6detail17trampoline_kernelINS0_14default_configENS1_25partition_config_selectorILNS1_17partition_subalgoE8EmNS0_10empty_typeEbEEZZNS1_14partition_implILS5_8ELb0ES3_jPKmPS6_PKS6_NS0_5tupleIJPmS6_EEENSE_IJSB_SB_EEENS0_18inequality_wrapperIN6hipcub16HIPCUB_304000_NS8EqualityEEEPlJS6_EEE10hipError_tPvRmT3_T4_T5_T6_T7_T9_mT8_P12ihipStream_tbDpT10_ENKUlT_T0_E_clISt17integral_constantIbLb0EES17_EEDaS12_S13_EUlS12_E_NS1_11comp_targetILNS1_3genE5ELNS1_11target_archE942ELNS1_3gpuE9ELNS1_3repE0EEENS1_30default_config_static_selectorELNS0_4arch9wavefront6targetE0EEEvT1_.numbered_sgpr, 0
	.set _ZN7rocprim17ROCPRIM_400000_NS6detail17trampoline_kernelINS0_14default_configENS1_25partition_config_selectorILNS1_17partition_subalgoE8EmNS0_10empty_typeEbEEZZNS1_14partition_implILS5_8ELb0ES3_jPKmPS6_PKS6_NS0_5tupleIJPmS6_EEENSE_IJSB_SB_EEENS0_18inequality_wrapperIN6hipcub16HIPCUB_304000_NS8EqualityEEEPlJS6_EEE10hipError_tPvRmT3_T4_T5_T6_T7_T9_mT8_P12ihipStream_tbDpT10_ENKUlT_T0_E_clISt17integral_constantIbLb0EES17_EEDaS12_S13_EUlS12_E_NS1_11comp_targetILNS1_3genE5ELNS1_11target_archE942ELNS1_3gpuE9ELNS1_3repE0EEENS1_30default_config_static_selectorELNS0_4arch9wavefront6targetE0EEEvT1_.num_named_barrier, 0
	.set _ZN7rocprim17ROCPRIM_400000_NS6detail17trampoline_kernelINS0_14default_configENS1_25partition_config_selectorILNS1_17partition_subalgoE8EmNS0_10empty_typeEbEEZZNS1_14partition_implILS5_8ELb0ES3_jPKmPS6_PKS6_NS0_5tupleIJPmS6_EEENSE_IJSB_SB_EEENS0_18inequality_wrapperIN6hipcub16HIPCUB_304000_NS8EqualityEEEPlJS6_EEE10hipError_tPvRmT3_T4_T5_T6_T7_T9_mT8_P12ihipStream_tbDpT10_ENKUlT_T0_E_clISt17integral_constantIbLb0EES17_EEDaS12_S13_EUlS12_E_NS1_11comp_targetILNS1_3genE5ELNS1_11target_archE942ELNS1_3gpuE9ELNS1_3repE0EEENS1_30default_config_static_selectorELNS0_4arch9wavefront6targetE0EEEvT1_.private_seg_size, 0
	.set _ZN7rocprim17ROCPRIM_400000_NS6detail17trampoline_kernelINS0_14default_configENS1_25partition_config_selectorILNS1_17partition_subalgoE8EmNS0_10empty_typeEbEEZZNS1_14partition_implILS5_8ELb0ES3_jPKmPS6_PKS6_NS0_5tupleIJPmS6_EEENSE_IJSB_SB_EEENS0_18inequality_wrapperIN6hipcub16HIPCUB_304000_NS8EqualityEEEPlJS6_EEE10hipError_tPvRmT3_T4_T5_T6_T7_T9_mT8_P12ihipStream_tbDpT10_ENKUlT_T0_E_clISt17integral_constantIbLb0EES17_EEDaS12_S13_EUlS12_E_NS1_11comp_targetILNS1_3genE5ELNS1_11target_archE942ELNS1_3gpuE9ELNS1_3repE0EEENS1_30default_config_static_selectorELNS0_4arch9wavefront6targetE0EEEvT1_.uses_vcc, 0
	.set _ZN7rocprim17ROCPRIM_400000_NS6detail17trampoline_kernelINS0_14default_configENS1_25partition_config_selectorILNS1_17partition_subalgoE8EmNS0_10empty_typeEbEEZZNS1_14partition_implILS5_8ELb0ES3_jPKmPS6_PKS6_NS0_5tupleIJPmS6_EEENSE_IJSB_SB_EEENS0_18inequality_wrapperIN6hipcub16HIPCUB_304000_NS8EqualityEEEPlJS6_EEE10hipError_tPvRmT3_T4_T5_T6_T7_T9_mT8_P12ihipStream_tbDpT10_ENKUlT_T0_E_clISt17integral_constantIbLb0EES17_EEDaS12_S13_EUlS12_E_NS1_11comp_targetILNS1_3genE5ELNS1_11target_archE942ELNS1_3gpuE9ELNS1_3repE0EEENS1_30default_config_static_selectorELNS0_4arch9wavefront6targetE0EEEvT1_.uses_flat_scratch, 0
	.set _ZN7rocprim17ROCPRIM_400000_NS6detail17trampoline_kernelINS0_14default_configENS1_25partition_config_selectorILNS1_17partition_subalgoE8EmNS0_10empty_typeEbEEZZNS1_14partition_implILS5_8ELb0ES3_jPKmPS6_PKS6_NS0_5tupleIJPmS6_EEENSE_IJSB_SB_EEENS0_18inequality_wrapperIN6hipcub16HIPCUB_304000_NS8EqualityEEEPlJS6_EEE10hipError_tPvRmT3_T4_T5_T6_T7_T9_mT8_P12ihipStream_tbDpT10_ENKUlT_T0_E_clISt17integral_constantIbLb0EES17_EEDaS12_S13_EUlS12_E_NS1_11comp_targetILNS1_3genE5ELNS1_11target_archE942ELNS1_3gpuE9ELNS1_3repE0EEENS1_30default_config_static_selectorELNS0_4arch9wavefront6targetE0EEEvT1_.has_dyn_sized_stack, 0
	.set _ZN7rocprim17ROCPRIM_400000_NS6detail17trampoline_kernelINS0_14default_configENS1_25partition_config_selectorILNS1_17partition_subalgoE8EmNS0_10empty_typeEbEEZZNS1_14partition_implILS5_8ELb0ES3_jPKmPS6_PKS6_NS0_5tupleIJPmS6_EEENSE_IJSB_SB_EEENS0_18inequality_wrapperIN6hipcub16HIPCUB_304000_NS8EqualityEEEPlJS6_EEE10hipError_tPvRmT3_T4_T5_T6_T7_T9_mT8_P12ihipStream_tbDpT10_ENKUlT_T0_E_clISt17integral_constantIbLb0EES17_EEDaS12_S13_EUlS12_E_NS1_11comp_targetILNS1_3genE5ELNS1_11target_archE942ELNS1_3gpuE9ELNS1_3repE0EEENS1_30default_config_static_selectorELNS0_4arch9wavefront6targetE0EEEvT1_.has_recursion, 0
	.set _ZN7rocprim17ROCPRIM_400000_NS6detail17trampoline_kernelINS0_14default_configENS1_25partition_config_selectorILNS1_17partition_subalgoE8EmNS0_10empty_typeEbEEZZNS1_14partition_implILS5_8ELb0ES3_jPKmPS6_PKS6_NS0_5tupleIJPmS6_EEENSE_IJSB_SB_EEENS0_18inequality_wrapperIN6hipcub16HIPCUB_304000_NS8EqualityEEEPlJS6_EEE10hipError_tPvRmT3_T4_T5_T6_T7_T9_mT8_P12ihipStream_tbDpT10_ENKUlT_T0_E_clISt17integral_constantIbLb0EES17_EEDaS12_S13_EUlS12_E_NS1_11comp_targetILNS1_3genE5ELNS1_11target_archE942ELNS1_3gpuE9ELNS1_3repE0EEENS1_30default_config_static_selectorELNS0_4arch9wavefront6targetE0EEEvT1_.has_indirect_call, 0
	.section	.AMDGPU.csdata,"",@progbits
; Kernel info:
; codeLenInByte = 0
; TotalNumSgprs: 0
; NumVgprs: 0
; ScratchSize: 0
; MemoryBound: 0
; FloatMode: 240
; IeeeMode: 1
; LDSByteSize: 0 bytes/workgroup (compile time only)
; SGPRBlocks: 0
; VGPRBlocks: 0
; NumSGPRsForWavesPerEU: 1
; NumVGPRsForWavesPerEU: 1
; NamedBarCnt: 0
; Occupancy: 16
; WaveLimiterHint : 0
; COMPUTE_PGM_RSRC2:SCRATCH_EN: 0
; COMPUTE_PGM_RSRC2:USER_SGPR: 2
; COMPUTE_PGM_RSRC2:TRAP_HANDLER: 0
; COMPUTE_PGM_RSRC2:TGID_X_EN: 1
; COMPUTE_PGM_RSRC2:TGID_Y_EN: 0
; COMPUTE_PGM_RSRC2:TGID_Z_EN: 0
; COMPUTE_PGM_RSRC2:TIDIG_COMP_CNT: 0
	.section	.text._ZN7rocprim17ROCPRIM_400000_NS6detail17trampoline_kernelINS0_14default_configENS1_25partition_config_selectorILNS1_17partition_subalgoE8EmNS0_10empty_typeEbEEZZNS1_14partition_implILS5_8ELb0ES3_jPKmPS6_PKS6_NS0_5tupleIJPmS6_EEENSE_IJSB_SB_EEENS0_18inequality_wrapperIN6hipcub16HIPCUB_304000_NS8EqualityEEEPlJS6_EEE10hipError_tPvRmT3_T4_T5_T6_T7_T9_mT8_P12ihipStream_tbDpT10_ENKUlT_T0_E_clISt17integral_constantIbLb0EES17_EEDaS12_S13_EUlS12_E_NS1_11comp_targetILNS1_3genE4ELNS1_11target_archE910ELNS1_3gpuE8ELNS1_3repE0EEENS1_30default_config_static_selectorELNS0_4arch9wavefront6targetE0EEEvT1_,"axG",@progbits,_ZN7rocprim17ROCPRIM_400000_NS6detail17trampoline_kernelINS0_14default_configENS1_25partition_config_selectorILNS1_17partition_subalgoE8EmNS0_10empty_typeEbEEZZNS1_14partition_implILS5_8ELb0ES3_jPKmPS6_PKS6_NS0_5tupleIJPmS6_EEENSE_IJSB_SB_EEENS0_18inequality_wrapperIN6hipcub16HIPCUB_304000_NS8EqualityEEEPlJS6_EEE10hipError_tPvRmT3_T4_T5_T6_T7_T9_mT8_P12ihipStream_tbDpT10_ENKUlT_T0_E_clISt17integral_constantIbLb0EES17_EEDaS12_S13_EUlS12_E_NS1_11comp_targetILNS1_3genE4ELNS1_11target_archE910ELNS1_3gpuE8ELNS1_3repE0EEENS1_30default_config_static_selectorELNS0_4arch9wavefront6targetE0EEEvT1_,comdat
	.protected	_ZN7rocprim17ROCPRIM_400000_NS6detail17trampoline_kernelINS0_14default_configENS1_25partition_config_selectorILNS1_17partition_subalgoE8EmNS0_10empty_typeEbEEZZNS1_14partition_implILS5_8ELb0ES3_jPKmPS6_PKS6_NS0_5tupleIJPmS6_EEENSE_IJSB_SB_EEENS0_18inequality_wrapperIN6hipcub16HIPCUB_304000_NS8EqualityEEEPlJS6_EEE10hipError_tPvRmT3_T4_T5_T6_T7_T9_mT8_P12ihipStream_tbDpT10_ENKUlT_T0_E_clISt17integral_constantIbLb0EES17_EEDaS12_S13_EUlS12_E_NS1_11comp_targetILNS1_3genE4ELNS1_11target_archE910ELNS1_3gpuE8ELNS1_3repE0EEENS1_30default_config_static_selectorELNS0_4arch9wavefront6targetE0EEEvT1_ ; -- Begin function _ZN7rocprim17ROCPRIM_400000_NS6detail17trampoline_kernelINS0_14default_configENS1_25partition_config_selectorILNS1_17partition_subalgoE8EmNS0_10empty_typeEbEEZZNS1_14partition_implILS5_8ELb0ES3_jPKmPS6_PKS6_NS0_5tupleIJPmS6_EEENSE_IJSB_SB_EEENS0_18inequality_wrapperIN6hipcub16HIPCUB_304000_NS8EqualityEEEPlJS6_EEE10hipError_tPvRmT3_T4_T5_T6_T7_T9_mT8_P12ihipStream_tbDpT10_ENKUlT_T0_E_clISt17integral_constantIbLb0EES17_EEDaS12_S13_EUlS12_E_NS1_11comp_targetILNS1_3genE4ELNS1_11target_archE910ELNS1_3gpuE8ELNS1_3repE0EEENS1_30default_config_static_selectorELNS0_4arch9wavefront6targetE0EEEvT1_
	.globl	_ZN7rocprim17ROCPRIM_400000_NS6detail17trampoline_kernelINS0_14default_configENS1_25partition_config_selectorILNS1_17partition_subalgoE8EmNS0_10empty_typeEbEEZZNS1_14partition_implILS5_8ELb0ES3_jPKmPS6_PKS6_NS0_5tupleIJPmS6_EEENSE_IJSB_SB_EEENS0_18inequality_wrapperIN6hipcub16HIPCUB_304000_NS8EqualityEEEPlJS6_EEE10hipError_tPvRmT3_T4_T5_T6_T7_T9_mT8_P12ihipStream_tbDpT10_ENKUlT_T0_E_clISt17integral_constantIbLb0EES17_EEDaS12_S13_EUlS12_E_NS1_11comp_targetILNS1_3genE4ELNS1_11target_archE910ELNS1_3gpuE8ELNS1_3repE0EEENS1_30default_config_static_selectorELNS0_4arch9wavefront6targetE0EEEvT1_
	.p2align	8
	.type	_ZN7rocprim17ROCPRIM_400000_NS6detail17trampoline_kernelINS0_14default_configENS1_25partition_config_selectorILNS1_17partition_subalgoE8EmNS0_10empty_typeEbEEZZNS1_14partition_implILS5_8ELb0ES3_jPKmPS6_PKS6_NS0_5tupleIJPmS6_EEENSE_IJSB_SB_EEENS0_18inequality_wrapperIN6hipcub16HIPCUB_304000_NS8EqualityEEEPlJS6_EEE10hipError_tPvRmT3_T4_T5_T6_T7_T9_mT8_P12ihipStream_tbDpT10_ENKUlT_T0_E_clISt17integral_constantIbLb0EES17_EEDaS12_S13_EUlS12_E_NS1_11comp_targetILNS1_3genE4ELNS1_11target_archE910ELNS1_3gpuE8ELNS1_3repE0EEENS1_30default_config_static_selectorELNS0_4arch9wavefront6targetE0EEEvT1_,@function
_ZN7rocprim17ROCPRIM_400000_NS6detail17trampoline_kernelINS0_14default_configENS1_25partition_config_selectorILNS1_17partition_subalgoE8EmNS0_10empty_typeEbEEZZNS1_14partition_implILS5_8ELb0ES3_jPKmPS6_PKS6_NS0_5tupleIJPmS6_EEENSE_IJSB_SB_EEENS0_18inequality_wrapperIN6hipcub16HIPCUB_304000_NS8EqualityEEEPlJS6_EEE10hipError_tPvRmT3_T4_T5_T6_T7_T9_mT8_P12ihipStream_tbDpT10_ENKUlT_T0_E_clISt17integral_constantIbLb0EES17_EEDaS12_S13_EUlS12_E_NS1_11comp_targetILNS1_3genE4ELNS1_11target_archE910ELNS1_3gpuE8ELNS1_3repE0EEENS1_30default_config_static_selectorELNS0_4arch9wavefront6targetE0EEEvT1_: ; @_ZN7rocprim17ROCPRIM_400000_NS6detail17trampoline_kernelINS0_14default_configENS1_25partition_config_selectorILNS1_17partition_subalgoE8EmNS0_10empty_typeEbEEZZNS1_14partition_implILS5_8ELb0ES3_jPKmPS6_PKS6_NS0_5tupleIJPmS6_EEENSE_IJSB_SB_EEENS0_18inequality_wrapperIN6hipcub16HIPCUB_304000_NS8EqualityEEEPlJS6_EEE10hipError_tPvRmT3_T4_T5_T6_T7_T9_mT8_P12ihipStream_tbDpT10_ENKUlT_T0_E_clISt17integral_constantIbLb0EES17_EEDaS12_S13_EUlS12_E_NS1_11comp_targetILNS1_3genE4ELNS1_11target_archE910ELNS1_3gpuE8ELNS1_3repE0EEENS1_30default_config_static_selectorELNS0_4arch9wavefront6targetE0EEEvT1_
; %bb.0:
	.section	.rodata,"a",@progbits
	.p2align	6, 0x0
	.amdhsa_kernel _ZN7rocprim17ROCPRIM_400000_NS6detail17trampoline_kernelINS0_14default_configENS1_25partition_config_selectorILNS1_17partition_subalgoE8EmNS0_10empty_typeEbEEZZNS1_14partition_implILS5_8ELb0ES3_jPKmPS6_PKS6_NS0_5tupleIJPmS6_EEENSE_IJSB_SB_EEENS0_18inequality_wrapperIN6hipcub16HIPCUB_304000_NS8EqualityEEEPlJS6_EEE10hipError_tPvRmT3_T4_T5_T6_T7_T9_mT8_P12ihipStream_tbDpT10_ENKUlT_T0_E_clISt17integral_constantIbLb0EES17_EEDaS12_S13_EUlS12_E_NS1_11comp_targetILNS1_3genE4ELNS1_11target_archE910ELNS1_3gpuE8ELNS1_3repE0EEENS1_30default_config_static_selectorELNS0_4arch9wavefront6targetE0EEEvT1_
		.amdhsa_group_segment_fixed_size 0
		.amdhsa_private_segment_fixed_size 0
		.amdhsa_kernarg_size 112
		.amdhsa_user_sgpr_count 2
		.amdhsa_user_sgpr_dispatch_ptr 0
		.amdhsa_user_sgpr_queue_ptr 0
		.amdhsa_user_sgpr_kernarg_segment_ptr 1
		.amdhsa_user_sgpr_dispatch_id 0
		.amdhsa_user_sgpr_kernarg_preload_length 0
		.amdhsa_user_sgpr_kernarg_preload_offset 0
		.amdhsa_user_sgpr_private_segment_size 0
		.amdhsa_wavefront_size32 1
		.amdhsa_uses_dynamic_stack 0
		.amdhsa_enable_private_segment 0
		.amdhsa_system_sgpr_workgroup_id_x 1
		.amdhsa_system_sgpr_workgroup_id_y 0
		.amdhsa_system_sgpr_workgroup_id_z 0
		.amdhsa_system_sgpr_workgroup_info 0
		.amdhsa_system_vgpr_workitem_id 0
		.amdhsa_next_free_vgpr 1
		.amdhsa_next_free_sgpr 1
		.amdhsa_named_barrier_count 0
		.amdhsa_reserve_vcc 0
		.amdhsa_float_round_mode_32 0
		.amdhsa_float_round_mode_16_64 0
		.amdhsa_float_denorm_mode_32 3
		.amdhsa_float_denorm_mode_16_64 3
		.amdhsa_fp16_overflow 0
		.amdhsa_memory_ordered 1
		.amdhsa_forward_progress 1
		.amdhsa_inst_pref_size 0
		.amdhsa_round_robin_scheduling 0
		.amdhsa_exception_fp_ieee_invalid_op 0
		.amdhsa_exception_fp_denorm_src 0
		.amdhsa_exception_fp_ieee_div_zero 0
		.amdhsa_exception_fp_ieee_overflow 0
		.amdhsa_exception_fp_ieee_underflow 0
		.amdhsa_exception_fp_ieee_inexact 0
		.amdhsa_exception_int_div_zero 0
	.end_amdhsa_kernel
	.section	.text._ZN7rocprim17ROCPRIM_400000_NS6detail17trampoline_kernelINS0_14default_configENS1_25partition_config_selectorILNS1_17partition_subalgoE8EmNS0_10empty_typeEbEEZZNS1_14partition_implILS5_8ELb0ES3_jPKmPS6_PKS6_NS0_5tupleIJPmS6_EEENSE_IJSB_SB_EEENS0_18inequality_wrapperIN6hipcub16HIPCUB_304000_NS8EqualityEEEPlJS6_EEE10hipError_tPvRmT3_T4_T5_T6_T7_T9_mT8_P12ihipStream_tbDpT10_ENKUlT_T0_E_clISt17integral_constantIbLb0EES17_EEDaS12_S13_EUlS12_E_NS1_11comp_targetILNS1_3genE4ELNS1_11target_archE910ELNS1_3gpuE8ELNS1_3repE0EEENS1_30default_config_static_selectorELNS0_4arch9wavefront6targetE0EEEvT1_,"axG",@progbits,_ZN7rocprim17ROCPRIM_400000_NS6detail17trampoline_kernelINS0_14default_configENS1_25partition_config_selectorILNS1_17partition_subalgoE8EmNS0_10empty_typeEbEEZZNS1_14partition_implILS5_8ELb0ES3_jPKmPS6_PKS6_NS0_5tupleIJPmS6_EEENSE_IJSB_SB_EEENS0_18inequality_wrapperIN6hipcub16HIPCUB_304000_NS8EqualityEEEPlJS6_EEE10hipError_tPvRmT3_T4_T5_T6_T7_T9_mT8_P12ihipStream_tbDpT10_ENKUlT_T0_E_clISt17integral_constantIbLb0EES17_EEDaS12_S13_EUlS12_E_NS1_11comp_targetILNS1_3genE4ELNS1_11target_archE910ELNS1_3gpuE8ELNS1_3repE0EEENS1_30default_config_static_selectorELNS0_4arch9wavefront6targetE0EEEvT1_,comdat
.Lfunc_end688:
	.size	_ZN7rocprim17ROCPRIM_400000_NS6detail17trampoline_kernelINS0_14default_configENS1_25partition_config_selectorILNS1_17partition_subalgoE8EmNS0_10empty_typeEbEEZZNS1_14partition_implILS5_8ELb0ES3_jPKmPS6_PKS6_NS0_5tupleIJPmS6_EEENSE_IJSB_SB_EEENS0_18inequality_wrapperIN6hipcub16HIPCUB_304000_NS8EqualityEEEPlJS6_EEE10hipError_tPvRmT3_T4_T5_T6_T7_T9_mT8_P12ihipStream_tbDpT10_ENKUlT_T0_E_clISt17integral_constantIbLb0EES17_EEDaS12_S13_EUlS12_E_NS1_11comp_targetILNS1_3genE4ELNS1_11target_archE910ELNS1_3gpuE8ELNS1_3repE0EEENS1_30default_config_static_selectorELNS0_4arch9wavefront6targetE0EEEvT1_, .Lfunc_end688-_ZN7rocprim17ROCPRIM_400000_NS6detail17trampoline_kernelINS0_14default_configENS1_25partition_config_selectorILNS1_17partition_subalgoE8EmNS0_10empty_typeEbEEZZNS1_14partition_implILS5_8ELb0ES3_jPKmPS6_PKS6_NS0_5tupleIJPmS6_EEENSE_IJSB_SB_EEENS0_18inequality_wrapperIN6hipcub16HIPCUB_304000_NS8EqualityEEEPlJS6_EEE10hipError_tPvRmT3_T4_T5_T6_T7_T9_mT8_P12ihipStream_tbDpT10_ENKUlT_T0_E_clISt17integral_constantIbLb0EES17_EEDaS12_S13_EUlS12_E_NS1_11comp_targetILNS1_3genE4ELNS1_11target_archE910ELNS1_3gpuE8ELNS1_3repE0EEENS1_30default_config_static_selectorELNS0_4arch9wavefront6targetE0EEEvT1_
                                        ; -- End function
	.set _ZN7rocprim17ROCPRIM_400000_NS6detail17trampoline_kernelINS0_14default_configENS1_25partition_config_selectorILNS1_17partition_subalgoE8EmNS0_10empty_typeEbEEZZNS1_14partition_implILS5_8ELb0ES3_jPKmPS6_PKS6_NS0_5tupleIJPmS6_EEENSE_IJSB_SB_EEENS0_18inequality_wrapperIN6hipcub16HIPCUB_304000_NS8EqualityEEEPlJS6_EEE10hipError_tPvRmT3_T4_T5_T6_T7_T9_mT8_P12ihipStream_tbDpT10_ENKUlT_T0_E_clISt17integral_constantIbLb0EES17_EEDaS12_S13_EUlS12_E_NS1_11comp_targetILNS1_3genE4ELNS1_11target_archE910ELNS1_3gpuE8ELNS1_3repE0EEENS1_30default_config_static_selectorELNS0_4arch9wavefront6targetE0EEEvT1_.num_vgpr, 0
	.set _ZN7rocprim17ROCPRIM_400000_NS6detail17trampoline_kernelINS0_14default_configENS1_25partition_config_selectorILNS1_17partition_subalgoE8EmNS0_10empty_typeEbEEZZNS1_14partition_implILS5_8ELb0ES3_jPKmPS6_PKS6_NS0_5tupleIJPmS6_EEENSE_IJSB_SB_EEENS0_18inequality_wrapperIN6hipcub16HIPCUB_304000_NS8EqualityEEEPlJS6_EEE10hipError_tPvRmT3_T4_T5_T6_T7_T9_mT8_P12ihipStream_tbDpT10_ENKUlT_T0_E_clISt17integral_constantIbLb0EES17_EEDaS12_S13_EUlS12_E_NS1_11comp_targetILNS1_3genE4ELNS1_11target_archE910ELNS1_3gpuE8ELNS1_3repE0EEENS1_30default_config_static_selectorELNS0_4arch9wavefront6targetE0EEEvT1_.num_agpr, 0
	.set _ZN7rocprim17ROCPRIM_400000_NS6detail17trampoline_kernelINS0_14default_configENS1_25partition_config_selectorILNS1_17partition_subalgoE8EmNS0_10empty_typeEbEEZZNS1_14partition_implILS5_8ELb0ES3_jPKmPS6_PKS6_NS0_5tupleIJPmS6_EEENSE_IJSB_SB_EEENS0_18inequality_wrapperIN6hipcub16HIPCUB_304000_NS8EqualityEEEPlJS6_EEE10hipError_tPvRmT3_T4_T5_T6_T7_T9_mT8_P12ihipStream_tbDpT10_ENKUlT_T0_E_clISt17integral_constantIbLb0EES17_EEDaS12_S13_EUlS12_E_NS1_11comp_targetILNS1_3genE4ELNS1_11target_archE910ELNS1_3gpuE8ELNS1_3repE0EEENS1_30default_config_static_selectorELNS0_4arch9wavefront6targetE0EEEvT1_.numbered_sgpr, 0
	.set _ZN7rocprim17ROCPRIM_400000_NS6detail17trampoline_kernelINS0_14default_configENS1_25partition_config_selectorILNS1_17partition_subalgoE8EmNS0_10empty_typeEbEEZZNS1_14partition_implILS5_8ELb0ES3_jPKmPS6_PKS6_NS0_5tupleIJPmS6_EEENSE_IJSB_SB_EEENS0_18inequality_wrapperIN6hipcub16HIPCUB_304000_NS8EqualityEEEPlJS6_EEE10hipError_tPvRmT3_T4_T5_T6_T7_T9_mT8_P12ihipStream_tbDpT10_ENKUlT_T0_E_clISt17integral_constantIbLb0EES17_EEDaS12_S13_EUlS12_E_NS1_11comp_targetILNS1_3genE4ELNS1_11target_archE910ELNS1_3gpuE8ELNS1_3repE0EEENS1_30default_config_static_selectorELNS0_4arch9wavefront6targetE0EEEvT1_.num_named_barrier, 0
	.set _ZN7rocprim17ROCPRIM_400000_NS6detail17trampoline_kernelINS0_14default_configENS1_25partition_config_selectorILNS1_17partition_subalgoE8EmNS0_10empty_typeEbEEZZNS1_14partition_implILS5_8ELb0ES3_jPKmPS6_PKS6_NS0_5tupleIJPmS6_EEENSE_IJSB_SB_EEENS0_18inequality_wrapperIN6hipcub16HIPCUB_304000_NS8EqualityEEEPlJS6_EEE10hipError_tPvRmT3_T4_T5_T6_T7_T9_mT8_P12ihipStream_tbDpT10_ENKUlT_T0_E_clISt17integral_constantIbLb0EES17_EEDaS12_S13_EUlS12_E_NS1_11comp_targetILNS1_3genE4ELNS1_11target_archE910ELNS1_3gpuE8ELNS1_3repE0EEENS1_30default_config_static_selectorELNS0_4arch9wavefront6targetE0EEEvT1_.private_seg_size, 0
	.set _ZN7rocprim17ROCPRIM_400000_NS6detail17trampoline_kernelINS0_14default_configENS1_25partition_config_selectorILNS1_17partition_subalgoE8EmNS0_10empty_typeEbEEZZNS1_14partition_implILS5_8ELb0ES3_jPKmPS6_PKS6_NS0_5tupleIJPmS6_EEENSE_IJSB_SB_EEENS0_18inequality_wrapperIN6hipcub16HIPCUB_304000_NS8EqualityEEEPlJS6_EEE10hipError_tPvRmT3_T4_T5_T6_T7_T9_mT8_P12ihipStream_tbDpT10_ENKUlT_T0_E_clISt17integral_constantIbLb0EES17_EEDaS12_S13_EUlS12_E_NS1_11comp_targetILNS1_3genE4ELNS1_11target_archE910ELNS1_3gpuE8ELNS1_3repE0EEENS1_30default_config_static_selectorELNS0_4arch9wavefront6targetE0EEEvT1_.uses_vcc, 0
	.set _ZN7rocprim17ROCPRIM_400000_NS6detail17trampoline_kernelINS0_14default_configENS1_25partition_config_selectorILNS1_17partition_subalgoE8EmNS0_10empty_typeEbEEZZNS1_14partition_implILS5_8ELb0ES3_jPKmPS6_PKS6_NS0_5tupleIJPmS6_EEENSE_IJSB_SB_EEENS0_18inequality_wrapperIN6hipcub16HIPCUB_304000_NS8EqualityEEEPlJS6_EEE10hipError_tPvRmT3_T4_T5_T6_T7_T9_mT8_P12ihipStream_tbDpT10_ENKUlT_T0_E_clISt17integral_constantIbLb0EES17_EEDaS12_S13_EUlS12_E_NS1_11comp_targetILNS1_3genE4ELNS1_11target_archE910ELNS1_3gpuE8ELNS1_3repE0EEENS1_30default_config_static_selectorELNS0_4arch9wavefront6targetE0EEEvT1_.uses_flat_scratch, 0
	.set _ZN7rocprim17ROCPRIM_400000_NS6detail17trampoline_kernelINS0_14default_configENS1_25partition_config_selectorILNS1_17partition_subalgoE8EmNS0_10empty_typeEbEEZZNS1_14partition_implILS5_8ELb0ES3_jPKmPS6_PKS6_NS0_5tupleIJPmS6_EEENSE_IJSB_SB_EEENS0_18inequality_wrapperIN6hipcub16HIPCUB_304000_NS8EqualityEEEPlJS6_EEE10hipError_tPvRmT3_T4_T5_T6_T7_T9_mT8_P12ihipStream_tbDpT10_ENKUlT_T0_E_clISt17integral_constantIbLb0EES17_EEDaS12_S13_EUlS12_E_NS1_11comp_targetILNS1_3genE4ELNS1_11target_archE910ELNS1_3gpuE8ELNS1_3repE0EEENS1_30default_config_static_selectorELNS0_4arch9wavefront6targetE0EEEvT1_.has_dyn_sized_stack, 0
	.set _ZN7rocprim17ROCPRIM_400000_NS6detail17trampoline_kernelINS0_14default_configENS1_25partition_config_selectorILNS1_17partition_subalgoE8EmNS0_10empty_typeEbEEZZNS1_14partition_implILS5_8ELb0ES3_jPKmPS6_PKS6_NS0_5tupleIJPmS6_EEENSE_IJSB_SB_EEENS0_18inequality_wrapperIN6hipcub16HIPCUB_304000_NS8EqualityEEEPlJS6_EEE10hipError_tPvRmT3_T4_T5_T6_T7_T9_mT8_P12ihipStream_tbDpT10_ENKUlT_T0_E_clISt17integral_constantIbLb0EES17_EEDaS12_S13_EUlS12_E_NS1_11comp_targetILNS1_3genE4ELNS1_11target_archE910ELNS1_3gpuE8ELNS1_3repE0EEENS1_30default_config_static_selectorELNS0_4arch9wavefront6targetE0EEEvT1_.has_recursion, 0
	.set _ZN7rocprim17ROCPRIM_400000_NS6detail17trampoline_kernelINS0_14default_configENS1_25partition_config_selectorILNS1_17partition_subalgoE8EmNS0_10empty_typeEbEEZZNS1_14partition_implILS5_8ELb0ES3_jPKmPS6_PKS6_NS0_5tupleIJPmS6_EEENSE_IJSB_SB_EEENS0_18inequality_wrapperIN6hipcub16HIPCUB_304000_NS8EqualityEEEPlJS6_EEE10hipError_tPvRmT3_T4_T5_T6_T7_T9_mT8_P12ihipStream_tbDpT10_ENKUlT_T0_E_clISt17integral_constantIbLb0EES17_EEDaS12_S13_EUlS12_E_NS1_11comp_targetILNS1_3genE4ELNS1_11target_archE910ELNS1_3gpuE8ELNS1_3repE0EEENS1_30default_config_static_selectorELNS0_4arch9wavefront6targetE0EEEvT1_.has_indirect_call, 0
	.section	.AMDGPU.csdata,"",@progbits
; Kernel info:
; codeLenInByte = 0
; TotalNumSgprs: 0
; NumVgprs: 0
; ScratchSize: 0
; MemoryBound: 0
; FloatMode: 240
; IeeeMode: 1
; LDSByteSize: 0 bytes/workgroup (compile time only)
; SGPRBlocks: 0
; VGPRBlocks: 0
; NumSGPRsForWavesPerEU: 1
; NumVGPRsForWavesPerEU: 1
; NamedBarCnt: 0
; Occupancy: 16
; WaveLimiterHint : 0
; COMPUTE_PGM_RSRC2:SCRATCH_EN: 0
; COMPUTE_PGM_RSRC2:USER_SGPR: 2
; COMPUTE_PGM_RSRC2:TRAP_HANDLER: 0
; COMPUTE_PGM_RSRC2:TGID_X_EN: 1
; COMPUTE_PGM_RSRC2:TGID_Y_EN: 0
; COMPUTE_PGM_RSRC2:TGID_Z_EN: 0
; COMPUTE_PGM_RSRC2:TIDIG_COMP_CNT: 0
	.section	.text._ZN7rocprim17ROCPRIM_400000_NS6detail17trampoline_kernelINS0_14default_configENS1_25partition_config_selectorILNS1_17partition_subalgoE8EmNS0_10empty_typeEbEEZZNS1_14partition_implILS5_8ELb0ES3_jPKmPS6_PKS6_NS0_5tupleIJPmS6_EEENSE_IJSB_SB_EEENS0_18inequality_wrapperIN6hipcub16HIPCUB_304000_NS8EqualityEEEPlJS6_EEE10hipError_tPvRmT3_T4_T5_T6_T7_T9_mT8_P12ihipStream_tbDpT10_ENKUlT_T0_E_clISt17integral_constantIbLb0EES17_EEDaS12_S13_EUlS12_E_NS1_11comp_targetILNS1_3genE3ELNS1_11target_archE908ELNS1_3gpuE7ELNS1_3repE0EEENS1_30default_config_static_selectorELNS0_4arch9wavefront6targetE0EEEvT1_,"axG",@progbits,_ZN7rocprim17ROCPRIM_400000_NS6detail17trampoline_kernelINS0_14default_configENS1_25partition_config_selectorILNS1_17partition_subalgoE8EmNS0_10empty_typeEbEEZZNS1_14partition_implILS5_8ELb0ES3_jPKmPS6_PKS6_NS0_5tupleIJPmS6_EEENSE_IJSB_SB_EEENS0_18inequality_wrapperIN6hipcub16HIPCUB_304000_NS8EqualityEEEPlJS6_EEE10hipError_tPvRmT3_T4_T5_T6_T7_T9_mT8_P12ihipStream_tbDpT10_ENKUlT_T0_E_clISt17integral_constantIbLb0EES17_EEDaS12_S13_EUlS12_E_NS1_11comp_targetILNS1_3genE3ELNS1_11target_archE908ELNS1_3gpuE7ELNS1_3repE0EEENS1_30default_config_static_selectorELNS0_4arch9wavefront6targetE0EEEvT1_,comdat
	.protected	_ZN7rocprim17ROCPRIM_400000_NS6detail17trampoline_kernelINS0_14default_configENS1_25partition_config_selectorILNS1_17partition_subalgoE8EmNS0_10empty_typeEbEEZZNS1_14partition_implILS5_8ELb0ES3_jPKmPS6_PKS6_NS0_5tupleIJPmS6_EEENSE_IJSB_SB_EEENS0_18inequality_wrapperIN6hipcub16HIPCUB_304000_NS8EqualityEEEPlJS6_EEE10hipError_tPvRmT3_T4_T5_T6_T7_T9_mT8_P12ihipStream_tbDpT10_ENKUlT_T0_E_clISt17integral_constantIbLb0EES17_EEDaS12_S13_EUlS12_E_NS1_11comp_targetILNS1_3genE3ELNS1_11target_archE908ELNS1_3gpuE7ELNS1_3repE0EEENS1_30default_config_static_selectorELNS0_4arch9wavefront6targetE0EEEvT1_ ; -- Begin function _ZN7rocprim17ROCPRIM_400000_NS6detail17trampoline_kernelINS0_14default_configENS1_25partition_config_selectorILNS1_17partition_subalgoE8EmNS0_10empty_typeEbEEZZNS1_14partition_implILS5_8ELb0ES3_jPKmPS6_PKS6_NS0_5tupleIJPmS6_EEENSE_IJSB_SB_EEENS0_18inequality_wrapperIN6hipcub16HIPCUB_304000_NS8EqualityEEEPlJS6_EEE10hipError_tPvRmT3_T4_T5_T6_T7_T9_mT8_P12ihipStream_tbDpT10_ENKUlT_T0_E_clISt17integral_constantIbLb0EES17_EEDaS12_S13_EUlS12_E_NS1_11comp_targetILNS1_3genE3ELNS1_11target_archE908ELNS1_3gpuE7ELNS1_3repE0EEENS1_30default_config_static_selectorELNS0_4arch9wavefront6targetE0EEEvT1_
	.globl	_ZN7rocprim17ROCPRIM_400000_NS6detail17trampoline_kernelINS0_14default_configENS1_25partition_config_selectorILNS1_17partition_subalgoE8EmNS0_10empty_typeEbEEZZNS1_14partition_implILS5_8ELb0ES3_jPKmPS6_PKS6_NS0_5tupleIJPmS6_EEENSE_IJSB_SB_EEENS0_18inequality_wrapperIN6hipcub16HIPCUB_304000_NS8EqualityEEEPlJS6_EEE10hipError_tPvRmT3_T4_T5_T6_T7_T9_mT8_P12ihipStream_tbDpT10_ENKUlT_T0_E_clISt17integral_constantIbLb0EES17_EEDaS12_S13_EUlS12_E_NS1_11comp_targetILNS1_3genE3ELNS1_11target_archE908ELNS1_3gpuE7ELNS1_3repE0EEENS1_30default_config_static_selectorELNS0_4arch9wavefront6targetE0EEEvT1_
	.p2align	8
	.type	_ZN7rocprim17ROCPRIM_400000_NS6detail17trampoline_kernelINS0_14default_configENS1_25partition_config_selectorILNS1_17partition_subalgoE8EmNS0_10empty_typeEbEEZZNS1_14partition_implILS5_8ELb0ES3_jPKmPS6_PKS6_NS0_5tupleIJPmS6_EEENSE_IJSB_SB_EEENS0_18inequality_wrapperIN6hipcub16HIPCUB_304000_NS8EqualityEEEPlJS6_EEE10hipError_tPvRmT3_T4_T5_T6_T7_T9_mT8_P12ihipStream_tbDpT10_ENKUlT_T0_E_clISt17integral_constantIbLb0EES17_EEDaS12_S13_EUlS12_E_NS1_11comp_targetILNS1_3genE3ELNS1_11target_archE908ELNS1_3gpuE7ELNS1_3repE0EEENS1_30default_config_static_selectorELNS0_4arch9wavefront6targetE0EEEvT1_,@function
_ZN7rocprim17ROCPRIM_400000_NS6detail17trampoline_kernelINS0_14default_configENS1_25partition_config_selectorILNS1_17partition_subalgoE8EmNS0_10empty_typeEbEEZZNS1_14partition_implILS5_8ELb0ES3_jPKmPS6_PKS6_NS0_5tupleIJPmS6_EEENSE_IJSB_SB_EEENS0_18inequality_wrapperIN6hipcub16HIPCUB_304000_NS8EqualityEEEPlJS6_EEE10hipError_tPvRmT3_T4_T5_T6_T7_T9_mT8_P12ihipStream_tbDpT10_ENKUlT_T0_E_clISt17integral_constantIbLb0EES17_EEDaS12_S13_EUlS12_E_NS1_11comp_targetILNS1_3genE3ELNS1_11target_archE908ELNS1_3gpuE7ELNS1_3repE0EEENS1_30default_config_static_selectorELNS0_4arch9wavefront6targetE0EEEvT1_: ; @_ZN7rocprim17ROCPRIM_400000_NS6detail17trampoline_kernelINS0_14default_configENS1_25partition_config_selectorILNS1_17partition_subalgoE8EmNS0_10empty_typeEbEEZZNS1_14partition_implILS5_8ELb0ES3_jPKmPS6_PKS6_NS0_5tupleIJPmS6_EEENSE_IJSB_SB_EEENS0_18inequality_wrapperIN6hipcub16HIPCUB_304000_NS8EqualityEEEPlJS6_EEE10hipError_tPvRmT3_T4_T5_T6_T7_T9_mT8_P12ihipStream_tbDpT10_ENKUlT_T0_E_clISt17integral_constantIbLb0EES17_EEDaS12_S13_EUlS12_E_NS1_11comp_targetILNS1_3genE3ELNS1_11target_archE908ELNS1_3gpuE7ELNS1_3repE0EEENS1_30default_config_static_selectorELNS0_4arch9wavefront6targetE0EEEvT1_
; %bb.0:
	.section	.rodata,"a",@progbits
	.p2align	6, 0x0
	.amdhsa_kernel _ZN7rocprim17ROCPRIM_400000_NS6detail17trampoline_kernelINS0_14default_configENS1_25partition_config_selectorILNS1_17partition_subalgoE8EmNS0_10empty_typeEbEEZZNS1_14partition_implILS5_8ELb0ES3_jPKmPS6_PKS6_NS0_5tupleIJPmS6_EEENSE_IJSB_SB_EEENS0_18inequality_wrapperIN6hipcub16HIPCUB_304000_NS8EqualityEEEPlJS6_EEE10hipError_tPvRmT3_T4_T5_T6_T7_T9_mT8_P12ihipStream_tbDpT10_ENKUlT_T0_E_clISt17integral_constantIbLb0EES17_EEDaS12_S13_EUlS12_E_NS1_11comp_targetILNS1_3genE3ELNS1_11target_archE908ELNS1_3gpuE7ELNS1_3repE0EEENS1_30default_config_static_selectorELNS0_4arch9wavefront6targetE0EEEvT1_
		.amdhsa_group_segment_fixed_size 0
		.amdhsa_private_segment_fixed_size 0
		.amdhsa_kernarg_size 112
		.amdhsa_user_sgpr_count 2
		.amdhsa_user_sgpr_dispatch_ptr 0
		.amdhsa_user_sgpr_queue_ptr 0
		.amdhsa_user_sgpr_kernarg_segment_ptr 1
		.amdhsa_user_sgpr_dispatch_id 0
		.amdhsa_user_sgpr_kernarg_preload_length 0
		.amdhsa_user_sgpr_kernarg_preload_offset 0
		.amdhsa_user_sgpr_private_segment_size 0
		.amdhsa_wavefront_size32 1
		.amdhsa_uses_dynamic_stack 0
		.amdhsa_enable_private_segment 0
		.amdhsa_system_sgpr_workgroup_id_x 1
		.amdhsa_system_sgpr_workgroup_id_y 0
		.amdhsa_system_sgpr_workgroup_id_z 0
		.amdhsa_system_sgpr_workgroup_info 0
		.amdhsa_system_vgpr_workitem_id 0
		.amdhsa_next_free_vgpr 1
		.amdhsa_next_free_sgpr 1
		.amdhsa_named_barrier_count 0
		.amdhsa_reserve_vcc 0
		.amdhsa_float_round_mode_32 0
		.amdhsa_float_round_mode_16_64 0
		.amdhsa_float_denorm_mode_32 3
		.amdhsa_float_denorm_mode_16_64 3
		.amdhsa_fp16_overflow 0
		.amdhsa_memory_ordered 1
		.amdhsa_forward_progress 1
		.amdhsa_inst_pref_size 0
		.amdhsa_round_robin_scheduling 0
		.amdhsa_exception_fp_ieee_invalid_op 0
		.amdhsa_exception_fp_denorm_src 0
		.amdhsa_exception_fp_ieee_div_zero 0
		.amdhsa_exception_fp_ieee_overflow 0
		.amdhsa_exception_fp_ieee_underflow 0
		.amdhsa_exception_fp_ieee_inexact 0
		.amdhsa_exception_int_div_zero 0
	.end_amdhsa_kernel
	.section	.text._ZN7rocprim17ROCPRIM_400000_NS6detail17trampoline_kernelINS0_14default_configENS1_25partition_config_selectorILNS1_17partition_subalgoE8EmNS0_10empty_typeEbEEZZNS1_14partition_implILS5_8ELb0ES3_jPKmPS6_PKS6_NS0_5tupleIJPmS6_EEENSE_IJSB_SB_EEENS0_18inequality_wrapperIN6hipcub16HIPCUB_304000_NS8EqualityEEEPlJS6_EEE10hipError_tPvRmT3_T4_T5_T6_T7_T9_mT8_P12ihipStream_tbDpT10_ENKUlT_T0_E_clISt17integral_constantIbLb0EES17_EEDaS12_S13_EUlS12_E_NS1_11comp_targetILNS1_3genE3ELNS1_11target_archE908ELNS1_3gpuE7ELNS1_3repE0EEENS1_30default_config_static_selectorELNS0_4arch9wavefront6targetE0EEEvT1_,"axG",@progbits,_ZN7rocprim17ROCPRIM_400000_NS6detail17trampoline_kernelINS0_14default_configENS1_25partition_config_selectorILNS1_17partition_subalgoE8EmNS0_10empty_typeEbEEZZNS1_14partition_implILS5_8ELb0ES3_jPKmPS6_PKS6_NS0_5tupleIJPmS6_EEENSE_IJSB_SB_EEENS0_18inequality_wrapperIN6hipcub16HIPCUB_304000_NS8EqualityEEEPlJS6_EEE10hipError_tPvRmT3_T4_T5_T6_T7_T9_mT8_P12ihipStream_tbDpT10_ENKUlT_T0_E_clISt17integral_constantIbLb0EES17_EEDaS12_S13_EUlS12_E_NS1_11comp_targetILNS1_3genE3ELNS1_11target_archE908ELNS1_3gpuE7ELNS1_3repE0EEENS1_30default_config_static_selectorELNS0_4arch9wavefront6targetE0EEEvT1_,comdat
.Lfunc_end689:
	.size	_ZN7rocprim17ROCPRIM_400000_NS6detail17trampoline_kernelINS0_14default_configENS1_25partition_config_selectorILNS1_17partition_subalgoE8EmNS0_10empty_typeEbEEZZNS1_14partition_implILS5_8ELb0ES3_jPKmPS6_PKS6_NS0_5tupleIJPmS6_EEENSE_IJSB_SB_EEENS0_18inequality_wrapperIN6hipcub16HIPCUB_304000_NS8EqualityEEEPlJS6_EEE10hipError_tPvRmT3_T4_T5_T6_T7_T9_mT8_P12ihipStream_tbDpT10_ENKUlT_T0_E_clISt17integral_constantIbLb0EES17_EEDaS12_S13_EUlS12_E_NS1_11comp_targetILNS1_3genE3ELNS1_11target_archE908ELNS1_3gpuE7ELNS1_3repE0EEENS1_30default_config_static_selectorELNS0_4arch9wavefront6targetE0EEEvT1_, .Lfunc_end689-_ZN7rocprim17ROCPRIM_400000_NS6detail17trampoline_kernelINS0_14default_configENS1_25partition_config_selectorILNS1_17partition_subalgoE8EmNS0_10empty_typeEbEEZZNS1_14partition_implILS5_8ELb0ES3_jPKmPS6_PKS6_NS0_5tupleIJPmS6_EEENSE_IJSB_SB_EEENS0_18inequality_wrapperIN6hipcub16HIPCUB_304000_NS8EqualityEEEPlJS6_EEE10hipError_tPvRmT3_T4_T5_T6_T7_T9_mT8_P12ihipStream_tbDpT10_ENKUlT_T0_E_clISt17integral_constantIbLb0EES17_EEDaS12_S13_EUlS12_E_NS1_11comp_targetILNS1_3genE3ELNS1_11target_archE908ELNS1_3gpuE7ELNS1_3repE0EEENS1_30default_config_static_selectorELNS0_4arch9wavefront6targetE0EEEvT1_
                                        ; -- End function
	.set _ZN7rocprim17ROCPRIM_400000_NS6detail17trampoline_kernelINS0_14default_configENS1_25partition_config_selectorILNS1_17partition_subalgoE8EmNS0_10empty_typeEbEEZZNS1_14partition_implILS5_8ELb0ES3_jPKmPS6_PKS6_NS0_5tupleIJPmS6_EEENSE_IJSB_SB_EEENS0_18inequality_wrapperIN6hipcub16HIPCUB_304000_NS8EqualityEEEPlJS6_EEE10hipError_tPvRmT3_T4_T5_T6_T7_T9_mT8_P12ihipStream_tbDpT10_ENKUlT_T0_E_clISt17integral_constantIbLb0EES17_EEDaS12_S13_EUlS12_E_NS1_11comp_targetILNS1_3genE3ELNS1_11target_archE908ELNS1_3gpuE7ELNS1_3repE0EEENS1_30default_config_static_selectorELNS0_4arch9wavefront6targetE0EEEvT1_.num_vgpr, 0
	.set _ZN7rocprim17ROCPRIM_400000_NS6detail17trampoline_kernelINS0_14default_configENS1_25partition_config_selectorILNS1_17partition_subalgoE8EmNS0_10empty_typeEbEEZZNS1_14partition_implILS5_8ELb0ES3_jPKmPS6_PKS6_NS0_5tupleIJPmS6_EEENSE_IJSB_SB_EEENS0_18inequality_wrapperIN6hipcub16HIPCUB_304000_NS8EqualityEEEPlJS6_EEE10hipError_tPvRmT3_T4_T5_T6_T7_T9_mT8_P12ihipStream_tbDpT10_ENKUlT_T0_E_clISt17integral_constantIbLb0EES17_EEDaS12_S13_EUlS12_E_NS1_11comp_targetILNS1_3genE3ELNS1_11target_archE908ELNS1_3gpuE7ELNS1_3repE0EEENS1_30default_config_static_selectorELNS0_4arch9wavefront6targetE0EEEvT1_.num_agpr, 0
	.set _ZN7rocprim17ROCPRIM_400000_NS6detail17trampoline_kernelINS0_14default_configENS1_25partition_config_selectorILNS1_17partition_subalgoE8EmNS0_10empty_typeEbEEZZNS1_14partition_implILS5_8ELb0ES3_jPKmPS6_PKS6_NS0_5tupleIJPmS6_EEENSE_IJSB_SB_EEENS0_18inequality_wrapperIN6hipcub16HIPCUB_304000_NS8EqualityEEEPlJS6_EEE10hipError_tPvRmT3_T4_T5_T6_T7_T9_mT8_P12ihipStream_tbDpT10_ENKUlT_T0_E_clISt17integral_constantIbLb0EES17_EEDaS12_S13_EUlS12_E_NS1_11comp_targetILNS1_3genE3ELNS1_11target_archE908ELNS1_3gpuE7ELNS1_3repE0EEENS1_30default_config_static_selectorELNS0_4arch9wavefront6targetE0EEEvT1_.numbered_sgpr, 0
	.set _ZN7rocprim17ROCPRIM_400000_NS6detail17trampoline_kernelINS0_14default_configENS1_25partition_config_selectorILNS1_17partition_subalgoE8EmNS0_10empty_typeEbEEZZNS1_14partition_implILS5_8ELb0ES3_jPKmPS6_PKS6_NS0_5tupleIJPmS6_EEENSE_IJSB_SB_EEENS0_18inequality_wrapperIN6hipcub16HIPCUB_304000_NS8EqualityEEEPlJS6_EEE10hipError_tPvRmT3_T4_T5_T6_T7_T9_mT8_P12ihipStream_tbDpT10_ENKUlT_T0_E_clISt17integral_constantIbLb0EES17_EEDaS12_S13_EUlS12_E_NS1_11comp_targetILNS1_3genE3ELNS1_11target_archE908ELNS1_3gpuE7ELNS1_3repE0EEENS1_30default_config_static_selectorELNS0_4arch9wavefront6targetE0EEEvT1_.num_named_barrier, 0
	.set _ZN7rocprim17ROCPRIM_400000_NS6detail17trampoline_kernelINS0_14default_configENS1_25partition_config_selectorILNS1_17partition_subalgoE8EmNS0_10empty_typeEbEEZZNS1_14partition_implILS5_8ELb0ES3_jPKmPS6_PKS6_NS0_5tupleIJPmS6_EEENSE_IJSB_SB_EEENS0_18inequality_wrapperIN6hipcub16HIPCUB_304000_NS8EqualityEEEPlJS6_EEE10hipError_tPvRmT3_T4_T5_T6_T7_T9_mT8_P12ihipStream_tbDpT10_ENKUlT_T0_E_clISt17integral_constantIbLb0EES17_EEDaS12_S13_EUlS12_E_NS1_11comp_targetILNS1_3genE3ELNS1_11target_archE908ELNS1_3gpuE7ELNS1_3repE0EEENS1_30default_config_static_selectorELNS0_4arch9wavefront6targetE0EEEvT1_.private_seg_size, 0
	.set _ZN7rocprim17ROCPRIM_400000_NS6detail17trampoline_kernelINS0_14default_configENS1_25partition_config_selectorILNS1_17partition_subalgoE8EmNS0_10empty_typeEbEEZZNS1_14partition_implILS5_8ELb0ES3_jPKmPS6_PKS6_NS0_5tupleIJPmS6_EEENSE_IJSB_SB_EEENS0_18inequality_wrapperIN6hipcub16HIPCUB_304000_NS8EqualityEEEPlJS6_EEE10hipError_tPvRmT3_T4_T5_T6_T7_T9_mT8_P12ihipStream_tbDpT10_ENKUlT_T0_E_clISt17integral_constantIbLb0EES17_EEDaS12_S13_EUlS12_E_NS1_11comp_targetILNS1_3genE3ELNS1_11target_archE908ELNS1_3gpuE7ELNS1_3repE0EEENS1_30default_config_static_selectorELNS0_4arch9wavefront6targetE0EEEvT1_.uses_vcc, 0
	.set _ZN7rocprim17ROCPRIM_400000_NS6detail17trampoline_kernelINS0_14default_configENS1_25partition_config_selectorILNS1_17partition_subalgoE8EmNS0_10empty_typeEbEEZZNS1_14partition_implILS5_8ELb0ES3_jPKmPS6_PKS6_NS0_5tupleIJPmS6_EEENSE_IJSB_SB_EEENS0_18inequality_wrapperIN6hipcub16HIPCUB_304000_NS8EqualityEEEPlJS6_EEE10hipError_tPvRmT3_T4_T5_T6_T7_T9_mT8_P12ihipStream_tbDpT10_ENKUlT_T0_E_clISt17integral_constantIbLb0EES17_EEDaS12_S13_EUlS12_E_NS1_11comp_targetILNS1_3genE3ELNS1_11target_archE908ELNS1_3gpuE7ELNS1_3repE0EEENS1_30default_config_static_selectorELNS0_4arch9wavefront6targetE0EEEvT1_.uses_flat_scratch, 0
	.set _ZN7rocprim17ROCPRIM_400000_NS6detail17trampoline_kernelINS0_14default_configENS1_25partition_config_selectorILNS1_17partition_subalgoE8EmNS0_10empty_typeEbEEZZNS1_14partition_implILS5_8ELb0ES3_jPKmPS6_PKS6_NS0_5tupleIJPmS6_EEENSE_IJSB_SB_EEENS0_18inequality_wrapperIN6hipcub16HIPCUB_304000_NS8EqualityEEEPlJS6_EEE10hipError_tPvRmT3_T4_T5_T6_T7_T9_mT8_P12ihipStream_tbDpT10_ENKUlT_T0_E_clISt17integral_constantIbLb0EES17_EEDaS12_S13_EUlS12_E_NS1_11comp_targetILNS1_3genE3ELNS1_11target_archE908ELNS1_3gpuE7ELNS1_3repE0EEENS1_30default_config_static_selectorELNS0_4arch9wavefront6targetE0EEEvT1_.has_dyn_sized_stack, 0
	.set _ZN7rocprim17ROCPRIM_400000_NS6detail17trampoline_kernelINS0_14default_configENS1_25partition_config_selectorILNS1_17partition_subalgoE8EmNS0_10empty_typeEbEEZZNS1_14partition_implILS5_8ELb0ES3_jPKmPS6_PKS6_NS0_5tupleIJPmS6_EEENSE_IJSB_SB_EEENS0_18inequality_wrapperIN6hipcub16HIPCUB_304000_NS8EqualityEEEPlJS6_EEE10hipError_tPvRmT3_T4_T5_T6_T7_T9_mT8_P12ihipStream_tbDpT10_ENKUlT_T0_E_clISt17integral_constantIbLb0EES17_EEDaS12_S13_EUlS12_E_NS1_11comp_targetILNS1_3genE3ELNS1_11target_archE908ELNS1_3gpuE7ELNS1_3repE0EEENS1_30default_config_static_selectorELNS0_4arch9wavefront6targetE0EEEvT1_.has_recursion, 0
	.set _ZN7rocprim17ROCPRIM_400000_NS6detail17trampoline_kernelINS0_14default_configENS1_25partition_config_selectorILNS1_17partition_subalgoE8EmNS0_10empty_typeEbEEZZNS1_14partition_implILS5_8ELb0ES3_jPKmPS6_PKS6_NS0_5tupleIJPmS6_EEENSE_IJSB_SB_EEENS0_18inequality_wrapperIN6hipcub16HIPCUB_304000_NS8EqualityEEEPlJS6_EEE10hipError_tPvRmT3_T4_T5_T6_T7_T9_mT8_P12ihipStream_tbDpT10_ENKUlT_T0_E_clISt17integral_constantIbLb0EES17_EEDaS12_S13_EUlS12_E_NS1_11comp_targetILNS1_3genE3ELNS1_11target_archE908ELNS1_3gpuE7ELNS1_3repE0EEENS1_30default_config_static_selectorELNS0_4arch9wavefront6targetE0EEEvT1_.has_indirect_call, 0
	.section	.AMDGPU.csdata,"",@progbits
; Kernel info:
; codeLenInByte = 0
; TotalNumSgprs: 0
; NumVgprs: 0
; ScratchSize: 0
; MemoryBound: 0
; FloatMode: 240
; IeeeMode: 1
; LDSByteSize: 0 bytes/workgroup (compile time only)
; SGPRBlocks: 0
; VGPRBlocks: 0
; NumSGPRsForWavesPerEU: 1
; NumVGPRsForWavesPerEU: 1
; NamedBarCnt: 0
; Occupancy: 16
; WaveLimiterHint : 0
; COMPUTE_PGM_RSRC2:SCRATCH_EN: 0
; COMPUTE_PGM_RSRC2:USER_SGPR: 2
; COMPUTE_PGM_RSRC2:TRAP_HANDLER: 0
; COMPUTE_PGM_RSRC2:TGID_X_EN: 1
; COMPUTE_PGM_RSRC2:TGID_Y_EN: 0
; COMPUTE_PGM_RSRC2:TGID_Z_EN: 0
; COMPUTE_PGM_RSRC2:TIDIG_COMP_CNT: 0
	.section	.text._ZN7rocprim17ROCPRIM_400000_NS6detail17trampoline_kernelINS0_14default_configENS1_25partition_config_selectorILNS1_17partition_subalgoE8EmNS0_10empty_typeEbEEZZNS1_14partition_implILS5_8ELb0ES3_jPKmPS6_PKS6_NS0_5tupleIJPmS6_EEENSE_IJSB_SB_EEENS0_18inequality_wrapperIN6hipcub16HIPCUB_304000_NS8EqualityEEEPlJS6_EEE10hipError_tPvRmT3_T4_T5_T6_T7_T9_mT8_P12ihipStream_tbDpT10_ENKUlT_T0_E_clISt17integral_constantIbLb0EES17_EEDaS12_S13_EUlS12_E_NS1_11comp_targetILNS1_3genE2ELNS1_11target_archE906ELNS1_3gpuE6ELNS1_3repE0EEENS1_30default_config_static_selectorELNS0_4arch9wavefront6targetE0EEEvT1_,"axG",@progbits,_ZN7rocprim17ROCPRIM_400000_NS6detail17trampoline_kernelINS0_14default_configENS1_25partition_config_selectorILNS1_17partition_subalgoE8EmNS0_10empty_typeEbEEZZNS1_14partition_implILS5_8ELb0ES3_jPKmPS6_PKS6_NS0_5tupleIJPmS6_EEENSE_IJSB_SB_EEENS0_18inequality_wrapperIN6hipcub16HIPCUB_304000_NS8EqualityEEEPlJS6_EEE10hipError_tPvRmT3_T4_T5_T6_T7_T9_mT8_P12ihipStream_tbDpT10_ENKUlT_T0_E_clISt17integral_constantIbLb0EES17_EEDaS12_S13_EUlS12_E_NS1_11comp_targetILNS1_3genE2ELNS1_11target_archE906ELNS1_3gpuE6ELNS1_3repE0EEENS1_30default_config_static_selectorELNS0_4arch9wavefront6targetE0EEEvT1_,comdat
	.protected	_ZN7rocprim17ROCPRIM_400000_NS6detail17trampoline_kernelINS0_14default_configENS1_25partition_config_selectorILNS1_17partition_subalgoE8EmNS0_10empty_typeEbEEZZNS1_14partition_implILS5_8ELb0ES3_jPKmPS6_PKS6_NS0_5tupleIJPmS6_EEENSE_IJSB_SB_EEENS0_18inequality_wrapperIN6hipcub16HIPCUB_304000_NS8EqualityEEEPlJS6_EEE10hipError_tPvRmT3_T4_T5_T6_T7_T9_mT8_P12ihipStream_tbDpT10_ENKUlT_T0_E_clISt17integral_constantIbLb0EES17_EEDaS12_S13_EUlS12_E_NS1_11comp_targetILNS1_3genE2ELNS1_11target_archE906ELNS1_3gpuE6ELNS1_3repE0EEENS1_30default_config_static_selectorELNS0_4arch9wavefront6targetE0EEEvT1_ ; -- Begin function _ZN7rocprim17ROCPRIM_400000_NS6detail17trampoline_kernelINS0_14default_configENS1_25partition_config_selectorILNS1_17partition_subalgoE8EmNS0_10empty_typeEbEEZZNS1_14partition_implILS5_8ELb0ES3_jPKmPS6_PKS6_NS0_5tupleIJPmS6_EEENSE_IJSB_SB_EEENS0_18inequality_wrapperIN6hipcub16HIPCUB_304000_NS8EqualityEEEPlJS6_EEE10hipError_tPvRmT3_T4_T5_T6_T7_T9_mT8_P12ihipStream_tbDpT10_ENKUlT_T0_E_clISt17integral_constantIbLb0EES17_EEDaS12_S13_EUlS12_E_NS1_11comp_targetILNS1_3genE2ELNS1_11target_archE906ELNS1_3gpuE6ELNS1_3repE0EEENS1_30default_config_static_selectorELNS0_4arch9wavefront6targetE0EEEvT1_
	.globl	_ZN7rocprim17ROCPRIM_400000_NS6detail17trampoline_kernelINS0_14default_configENS1_25partition_config_selectorILNS1_17partition_subalgoE8EmNS0_10empty_typeEbEEZZNS1_14partition_implILS5_8ELb0ES3_jPKmPS6_PKS6_NS0_5tupleIJPmS6_EEENSE_IJSB_SB_EEENS0_18inequality_wrapperIN6hipcub16HIPCUB_304000_NS8EqualityEEEPlJS6_EEE10hipError_tPvRmT3_T4_T5_T6_T7_T9_mT8_P12ihipStream_tbDpT10_ENKUlT_T0_E_clISt17integral_constantIbLb0EES17_EEDaS12_S13_EUlS12_E_NS1_11comp_targetILNS1_3genE2ELNS1_11target_archE906ELNS1_3gpuE6ELNS1_3repE0EEENS1_30default_config_static_selectorELNS0_4arch9wavefront6targetE0EEEvT1_
	.p2align	8
	.type	_ZN7rocprim17ROCPRIM_400000_NS6detail17trampoline_kernelINS0_14default_configENS1_25partition_config_selectorILNS1_17partition_subalgoE8EmNS0_10empty_typeEbEEZZNS1_14partition_implILS5_8ELb0ES3_jPKmPS6_PKS6_NS0_5tupleIJPmS6_EEENSE_IJSB_SB_EEENS0_18inequality_wrapperIN6hipcub16HIPCUB_304000_NS8EqualityEEEPlJS6_EEE10hipError_tPvRmT3_T4_T5_T6_T7_T9_mT8_P12ihipStream_tbDpT10_ENKUlT_T0_E_clISt17integral_constantIbLb0EES17_EEDaS12_S13_EUlS12_E_NS1_11comp_targetILNS1_3genE2ELNS1_11target_archE906ELNS1_3gpuE6ELNS1_3repE0EEENS1_30default_config_static_selectorELNS0_4arch9wavefront6targetE0EEEvT1_,@function
_ZN7rocprim17ROCPRIM_400000_NS6detail17trampoline_kernelINS0_14default_configENS1_25partition_config_selectorILNS1_17partition_subalgoE8EmNS0_10empty_typeEbEEZZNS1_14partition_implILS5_8ELb0ES3_jPKmPS6_PKS6_NS0_5tupleIJPmS6_EEENSE_IJSB_SB_EEENS0_18inequality_wrapperIN6hipcub16HIPCUB_304000_NS8EqualityEEEPlJS6_EEE10hipError_tPvRmT3_T4_T5_T6_T7_T9_mT8_P12ihipStream_tbDpT10_ENKUlT_T0_E_clISt17integral_constantIbLb0EES17_EEDaS12_S13_EUlS12_E_NS1_11comp_targetILNS1_3genE2ELNS1_11target_archE906ELNS1_3gpuE6ELNS1_3repE0EEENS1_30default_config_static_selectorELNS0_4arch9wavefront6targetE0EEEvT1_: ; @_ZN7rocprim17ROCPRIM_400000_NS6detail17trampoline_kernelINS0_14default_configENS1_25partition_config_selectorILNS1_17partition_subalgoE8EmNS0_10empty_typeEbEEZZNS1_14partition_implILS5_8ELb0ES3_jPKmPS6_PKS6_NS0_5tupleIJPmS6_EEENSE_IJSB_SB_EEENS0_18inequality_wrapperIN6hipcub16HIPCUB_304000_NS8EqualityEEEPlJS6_EEE10hipError_tPvRmT3_T4_T5_T6_T7_T9_mT8_P12ihipStream_tbDpT10_ENKUlT_T0_E_clISt17integral_constantIbLb0EES17_EEDaS12_S13_EUlS12_E_NS1_11comp_targetILNS1_3genE2ELNS1_11target_archE906ELNS1_3gpuE6ELNS1_3repE0EEENS1_30default_config_static_selectorELNS0_4arch9wavefront6targetE0EEEvT1_
; %bb.0:
	.section	.rodata,"a",@progbits
	.p2align	6, 0x0
	.amdhsa_kernel _ZN7rocprim17ROCPRIM_400000_NS6detail17trampoline_kernelINS0_14default_configENS1_25partition_config_selectorILNS1_17partition_subalgoE8EmNS0_10empty_typeEbEEZZNS1_14partition_implILS5_8ELb0ES3_jPKmPS6_PKS6_NS0_5tupleIJPmS6_EEENSE_IJSB_SB_EEENS0_18inequality_wrapperIN6hipcub16HIPCUB_304000_NS8EqualityEEEPlJS6_EEE10hipError_tPvRmT3_T4_T5_T6_T7_T9_mT8_P12ihipStream_tbDpT10_ENKUlT_T0_E_clISt17integral_constantIbLb0EES17_EEDaS12_S13_EUlS12_E_NS1_11comp_targetILNS1_3genE2ELNS1_11target_archE906ELNS1_3gpuE6ELNS1_3repE0EEENS1_30default_config_static_selectorELNS0_4arch9wavefront6targetE0EEEvT1_
		.amdhsa_group_segment_fixed_size 0
		.amdhsa_private_segment_fixed_size 0
		.amdhsa_kernarg_size 112
		.amdhsa_user_sgpr_count 2
		.amdhsa_user_sgpr_dispatch_ptr 0
		.amdhsa_user_sgpr_queue_ptr 0
		.amdhsa_user_sgpr_kernarg_segment_ptr 1
		.amdhsa_user_sgpr_dispatch_id 0
		.amdhsa_user_sgpr_kernarg_preload_length 0
		.amdhsa_user_sgpr_kernarg_preload_offset 0
		.amdhsa_user_sgpr_private_segment_size 0
		.amdhsa_wavefront_size32 1
		.amdhsa_uses_dynamic_stack 0
		.amdhsa_enable_private_segment 0
		.amdhsa_system_sgpr_workgroup_id_x 1
		.amdhsa_system_sgpr_workgroup_id_y 0
		.amdhsa_system_sgpr_workgroup_id_z 0
		.amdhsa_system_sgpr_workgroup_info 0
		.amdhsa_system_vgpr_workitem_id 0
		.amdhsa_next_free_vgpr 1
		.amdhsa_next_free_sgpr 1
		.amdhsa_named_barrier_count 0
		.amdhsa_reserve_vcc 0
		.amdhsa_float_round_mode_32 0
		.amdhsa_float_round_mode_16_64 0
		.amdhsa_float_denorm_mode_32 3
		.amdhsa_float_denorm_mode_16_64 3
		.amdhsa_fp16_overflow 0
		.amdhsa_memory_ordered 1
		.amdhsa_forward_progress 1
		.amdhsa_inst_pref_size 0
		.amdhsa_round_robin_scheduling 0
		.amdhsa_exception_fp_ieee_invalid_op 0
		.amdhsa_exception_fp_denorm_src 0
		.amdhsa_exception_fp_ieee_div_zero 0
		.amdhsa_exception_fp_ieee_overflow 0
		.amdhsa_exception_fp_ieee_underflow 0
		.amdhsa_exception_fp_ieee_inexact 0
		.amdhsa_exception_int_div_zero 0
	.end_amdhsa_kernel
	.section	.text._ZN7rocprim17ROCPRIM_400000_NS6detail17trampoline_kernelINS0_14default_configENS1_25partition_config_selectorILNS1_17partition_subalgoE8EmNS0_10empty_typeEbEEZZNS1_14partition_implILS5_8ELb0ES3_jPKmPS6_PKS6_NS0_5tupleIJPmS6_EEENSE_IJSB_SB_EEENS0_18inequality_wrapperIN6hipcub16HIPCUB_304000_NS8EqualityEEEPlJS6_EEE10hipError_tPvRmT3_T4_T5_T6_T7_T9_mT8_P12ihipStream_tbDpT10_ENKUlT_T0_E_clISt17integral_constantIbLb0EES17_EEDaS12_S13_EUlS12_E_NS1_11comp_targetILNS1_3genE2ELNS1_11target_archE906ELNS1_3gpuE6ELNS1_3repE0EEENS1_30default_config_static_selectorELNS0_4arch9wavefront6targetE0EEEvT1_,"axG",@progbits,_ZN7rocprim17ROCPRIM_400000_NS6detail17trampoline_kernelINS0_14default_configENS1_25partition_config_selectorILNS1_17partition_subalgoE8EmNS0_10empty_typeEbEEZZNS1_14partition_implILS5_8ELb0ES3_jPKmPS6_PKS6_NS0_5tupleIJPmS6_EEENSE_IJSB_SB_EEENS0_18inequality_wrapperIN6hipcub16HIPCUB_304000_NS8EqualityEEEPlJS6_EEE10hipError_tPvRmT3_T4_T5_T6_T7_T9_mT8_P12ihipStream_tbDpT10_ENKUlT_T0_E_clISt17integral_constantIbLb0EES17_EEDaS12_S13_EUlS12_E_NS1_11comp_targetILNS1_3genE2ELNS1_11target_archE906ELNS1_3gpuE6ELNS1_3repE0EEENS1_30default_config_static_selectorELNS0_4arch9wavefront6targetE0EEEvT1_,comdat
.Lfunc_end690:
	.size	_ZN7rocprim17ROCPRIM_400000_NS6detail17trampoline_kernelINS0_14default_configENS1_25partition_config_selectorILNS1_17partition_subalgoE8EmNS0_10empty_typeEbEEZZNS1_14partition_implILS5_8ELb0ES3_jPKmPS6_PKS6_NS0_5tupleIJPmS6_EEENSE_IJSB_SB_EEENS0_18inequality_wrapperIN6hipcub16HIPCUB_304000_NS8EqualityEEEPlJS6_EEE10hipError_tPvRmT3_T4_T5_T6_T7_T9_mT8_P12ihipStream_tbDpT10_ENKUlT_T0_E_clISt17integral_constantIbLb0EES17_EEDaS12_S13_EUlS12_E_NS1_11comp_targetILNS1_3genE2ELNS1_11target_archE906ELNS1_3gpuE6ELNS1_3repE0EEENS1_30default_config_static_selectorELNS0_4arch9wavefront6targetE0EEEvT1_, .Lfunc_end690-_ZN7rocprim17ROCPRIM_400000_NS6detail17trampoline_kernelINS0_14default_configENS1_25partition_config_selectorILNS1_17partition_subalgoE8EmNS0_10empty_typeEbEEZZNS1_14partition_implILS5_8ELb0ES3_jPKmPS6_PKS6_NS0_5tupleIJPmS6_EEENSE_IJSB_SB_EEENS0_18inequality_wrapperIN6hipcub16HIPCUB_304000_NS8EqualityEEEPlJS6_EEE10hipError_tPvRmT3_T4_T5_T6_T7_T9_mT8_P12ihipStream_tbDpT10_ENKUlT_T0_E_clISt17integral_constantIbLb0EES17_EEDaS12_S13_EUlS12_E_NS1_11comp_targetILNS1_3genE2ELNS1_11target_archE906ELNS1_3gpuE6ELNS1_3repE0EEENS1_30default_config_static_selectorELNS0_4arch9wavefront6targetE0EEEvT1_
                                        ; -- End function
	.set _ZN7rocprim17ROCPRIM_400000_NS6detail17trampoline_kernelINS0_14default_configENS1_25partition_config_selectorILNS1_17partition_subalgoE8EmNS0_10empty_typeEbEEZZNS1_14partition_implILS5_8ELb0ES3_jPKmPS6_PKS6_NS0_5tupleIJPmS6_EEENSE_IJSB_SB_EEENS0_18inequality_wrapperIN6hipcub16HIPCUB_304000_NS8EqualityEEEPlJS6_EEE10hipError_tPvRmT3_T4_T5_T6_T7_T9_mT8_P12ihipStream_tbDpT10_ENKUlT_T0_E_clISt17integral_constantIbLb0EES17_EEDaS12_S13_EUlS12_E_NS1_11comp_targetILNS1_3genE2ELNS1_11target_archE906ELNS1_3gpuE6ELNS1_3repE0EEENS1_30default_config_static_selectorELNS0_4arch9wavefront6targetE0EEEvT1_.num_vgpr, 0
	.set _ZN7rocprim17ROCPRIM_400000_NS6detail17trampoline_kernelINS0_14default_configENS1_25partition_config_selectorILNS1_17partition_subalgoE8EmNS0_10empty_typeEbEEZZNS1_14partition_implILS5_8ELb0ES3_jPKmPS6_PKS6_NS0_5tupleIJPmS6_EEENSE_IJSB_SB_EEENS0_18inequality_wrapperIN6hipcub16HIPCUB_304000_NS8EqualityEEEPlJS6_EEE10hipError_tPvRmT3_T4_T5_T6_T7_T9_mT8_P12ihipStream_tbDpT10_ENKUlT_T0_E_clISt17integral_constantIbLb0EES17_EEDaS12_S13_EUlS12_E_NS1_11comp_targetILNS1_3genE2ELNS1_11target_archE906ELNS1_3gpuE6ELNS1_3repE0EEENS1_30default_config_static_selectorELNS0_4arch9wavefront6targetE0EEEvT1_.num_agpr, 0
	.set _ZN7rocprim17ROCPRIM_400000_NS6detail17trampoline_kernelINS0_14default_configENS1_25partition_config_selectorILNS1_17partition_subalgoE8EmNS0_10empty_typeEbEEZZNS1_14partition_implILS5_8ELb0ES3_jPKmPS6_PKS6_NS0_5tupleIJPmS6_EEENSE_IJSB_SB_EEENS0_18inequality_wrapperIN6hipcub16HIPCUB_304000_NS8EqualityEEEPlJS6_EEE10hipError_tPvRmT3_T4_T5_T6_T7_T9_mT8_P12ihipStream_tbDpT10_ENKUlT_T0_E_clISt17integral_constantIbLb0EES17_EEDaS12_S13_EUlS12_E_NS1_11comp_targetILNS1_3genE2ELNS1_11target_archE906ELNS1_3gpuE6ELNS1_3repE0EEENS1_30default_config_static_selectorELNS0_4arch9wavefront6targetE0EEEvT1_.numbered_sgpr, 0
	.set _ZN7rocprim17ROCPRIM_400000_NS6detail17trampoline_kernelINS0_14default_configENS1_25partition_config_selectorILNS1_17partition_subalgoE8EmNS0_10empty_typeEbEEZZNS1_14partition_implILS5_8ELb0ES3_jPKmPS6_PKS6_NS0_5tupleIJPmS6_EEENSE_IJSB_SB_EEENS0_18inequality_wrapperIN6hipcub16HIPCUB_304000_NS8EqualityEEEPlJS6_EEE10hipError_tPvRmT3_T4_T5_T6_T7_T9_mT8_P12ihipStream_tbDpT10_ENKUlT_T0_E_clISt17integral_constantIbLb0EES17_EEDaS12_S13_EUlS12_E_NS1_11comp_targetILNS1_3genE2ELNS1_11target_archE906ELNS1_3gpuE6ELNS1_3repE0EEENS1_30default_config_static_selectorELNS0_4arch9wavefront6targetE0EEEvT1_.num_named_barrier, 0
	.set _ZN7rocprim17ROCPRIM_400000_NS6detail17trampoline_kernelINS0_14default_configENS1_25partition_config_selectorILNS1_17partition_subalgoE8EmNS0_10empty_typeEbEEZZNS1_14partition_implILS5_8ELb0ES3_jPKmPS6_PKS6_NS0_5tupleIJPmS6_EEENSE_IJSB_SB_EEENS0_18inequality_wrapperIN6hipcub16HIPCUB_304000_NS8EqualityEEEPlJS6_EEE10hipError_tPvRmT3_T4_T5_T6_T7_T9_mT8_P12ihipStream_tbDpT10_ENKUlT_T0_E_clISt17integral_constantIbLb0EES17_EEDaS12_S13_EUlS12_E_NS1_11comp_targetILNS1_3genE2ELNS1_11target_archE906ELNS1_3gpuE6ELNS1_3repE0EEENS1_30default_config_static_selectorELNS0_4arch9wavefront6targetE0EEEvT1_.private_seg_size, 0
	.set _ZN7rocprim17ROCPRIM_400000_NS6detail17trampoline_kernelINS0_14default_configENS1_25partition_config_selectorILNS1_17partition_subalgoE8EmNS0_10empty_typeEbEEZZNS1_14partition_implILS5_8ELb0ES3_jPKmPS6_PKS6_NS0_5tupleIJPmS6_EEENSE_IJSB_SB_EEENS0_18inequality_wrapperIN6hipcub16HIPCUB_304000_NS8EqualityEEEPlJS6_EEE10hipError_tPvRmT3_T4_T5_T6_T7_T9_mT8_P12ihipStream_tbDpT10_ENKUlT_T0_E_clISt17integral_constantIbLb0EES17_EEDaS12_S13_EUlS12_E_NS1_11comp_targetILNS1_3genE2ELNS1_11target_archE906ELNS1_3gpuE6ELNS1_3repE0EEENS1_30default_config_static_selectorELNS0_4arch9wavefront6targetE0EEEvT1_.uses_vcc, 0
	.set _ZN7rocprim17ROCPRIM_400000_NS6detail17trampoline_kernelINS0_14default_configENS1_25partition_config_selectorILNS1_17partition_subalgoE8EmNS0_10empty_typeEbEEZZNS1_14partition_implILS5_8ELb0ES3_jPKmPS6_PKS6_NS0_5tupleIJPmS6_EEENSE_IJSB_SB_EEENS0_18inequality_wrapperIN6hipcub16HIPCUB_304000_NS8EqualityEEEPlJS6_EEE10hipError_tPvRmT3_T4_T5_T6_T7_T9_mT8_P12ihipStream_tbDpT10_ENKUlT_T0_E_clISt17integral_constantIbLb0EES17_EEDaS12_S13_EUlS12_E_NS1_11comp_targetILNS1_3genE2ELNS1_11target_archE906ELNS1_3gpuE6ELNS1_3repE0EEENS1_30default_config_static_selectorELNS0_4arch9wavefront6targetE0EEEvT1_.uses_flat_scratch, 0
	.set _ZN7rocprim17ROCPRIM_400000_NS6detail17trampoline_kernelINS0_14default_configENS1_25partition_config_selectorILNS1_17partition_subalgoE8EmNS0_10empty_typeEbEEZZNS1_14partition_implILS5_8ELb0ES3_jPKmPS6_PKS6_NS0_5tupleIJPmS6_EEENSE_IJSB_SB_EEENS0_18inequality_wrapperIN6hipcub16HIPCUB_304000_NS8EqualityEEEPlJS6_EEE10hipError_tPvRmT3_T4_T5_T6_T7_T9_mT8_P12ihipStream_tbDpT10_ENKUlT_T0_E_clISt17integral_constantIbLb0EES17_EEDaS12_S13_EUlS12_E_NS1_11comp_targetILNS1_3genE2ELNS1_11target_archE906ELNS1_3gpuE6ELNS1_3repE0EEENS1_30default_config_static_selectorELNS0_4arch9wavefront6targetE0EEEvT1_.has_dyn_sized_stack, 0
	.set _ZN7rocprim17ROCPRIM_400000_NS6detail17trampoline_kernelINS0_14default_configENS1_25partition_config_selectorILNS1_17partition_subalgoE8EmNS0_10empty_typeEbEEZZNS1_14partition_implILS5_8ELb0ES3_jPKmPS6_PKS6_NS0_5tupleIJPmS6_EEENSE_IJSB_SB_EEENS0_18inequality_wrapperIN6hipcub16HIPCUB_304000_NS8EqualityEEEPlJS6_EEE10hipError_tPvRmT3_T4_T5_T6_T7_T9_mT8_P12ihipStream_tbDpT10_ENKUlT_T0_E_clISt17integral_constantIbLb0EES17_EEDaS12_S13_EUlS12_E_NS1_11comp_targetILNS1_3genE2ELNS1_11target_archE906ELNS1_3gpuE6ELNS1_3repE0EEENS1_30default_config_static_selectorELNS0_4arch9wavefront6targetE0EEEvT1_.has_recursion, 0
	.set _ZN7rocprim17ROCPRIM_400000_NS6detail17trampoline_kernelINS0_14default_configENS1_25partition_config_selectorILNS1_17partition_subalgoE8EmNS0_10empty_typeEbEEZZNS1_14partition_implILS5_8ELb0ES3_jPKmPS6_PKS6_NS0_5tupleIJPmS6_EEENSE_IJSB_SB_EEENS0_18inequality_wrapperIN6hipcub16HIPCUB_304000_NS8EqualityEEEPlJS6_EEE10hipError_tPvRmT3_T4_T5_T6_T7_T9_mT8_P12ihipStream_tbDpT10_ENKUlT_T0_E_clISt17integral_constantIbLb0EES17_EEDaS12_S13_EUlS12_E_NS1_11comp_targetILNS1_3genE2ELNS1_11target_archE906ELNS1_3gpuE6ELNS1_3repE0EEENS1_30default_config_static_selectorELNS0_4arch9wavefront6targetE0EEEvT1_.has_indirect_call, 0
	.section	.AMDGPU.csdata,"",@progbits
; Kernel info:
; codeLenInByte = 0
; TotalNumSgprs: 0
; NumVgprs: 0
; ScratchSize: 0
; MemoryBound: 0
; FloatMode: 240
; IeeeMode: 1
; LDSByteSize: 0 bytes/workgroup (compile time only)
; SGPRBlocks: 0
; VGPRBlocks: 0
; NumSGPRsForWavesPerEU: 1
; NumVGPRsForWavesPerEU: 1
; NamedBarCnt: 0
; Occupancy: 16
; WaveLimiterHint : 0
; COMPUTE_PGM_RSRC2:SCRATCH_EN: 0
; COMPUTE_PGM_RSRC2:USER_SGPR: 2
; COMPUTE_PGM_RSRC2:TRAP_HANDLER: 0
; COMPUTE_PGM_RSRC2:TGID_X_EN: 1
; COMPUTE_PGM_RSRC2:TGID_Y_EN: 0
; COMPUTE_PGM_RSRC2:TGID_Z_EN: 0
; COMPUTE_PGM_RSRC2:TIDIG_COMP_CNT: 0
	.section	.text._ZN7rocprim17ROCPRIM_400000_NS6detail17trampoline_kernelINS0_14default_configENS1_25partition_config_selectorILNS1_17partition_subalgoE8EmNS0_10empty_typeEbEEZZNS1_14partition_implILS5_8ELb0ES3_jPKmPS6_PKS6_NS0_5tupleIJPmS6_EEENSE_IJSB_SB_EEENS0_18inequality_wrapperIN6hipcub16HIPCUB_304000_NS8EqualityEEEPlJS6_EEE10hipError_tPvRmT3_T4_T5_T6_T7_T9_mT8_P12ihipStream_tbDpT10_ENKUlT_T0_E_clISt17integral_constantIbLb0EES17_EEDaS12_S13_EUlS12_E_NS1_11comp_targetILNS1_3genE10ELNS1_11target_archE1200ELNS1_3gpuE4ELNS1_3repE0EEENS1_30default_config_static_selectorELNS0_4arch9wavefront6targetE0EEEvT1_,"axG",@progbits,_ZN7rocprim17ROCPRIM_400000_NS6detail17trampoline_kernelINS0_14default_configENS1_25partition_config_selectorILNS1_17partition_subalgoE8EmNS0_10empty_typeEbEEZZNS1_14partition_implILS5_8ELb0ES3_jPKmPS6_PKS6_NS0_5tupleIJPmS6_EEENSE_IJSB_SB_EEENS0_18inequality_wrapperIN6hipcub16HIPCUB_304000_NS8EqualityEEEPlJS6_EEE10hipError_tPvRmT3_T4_T5_T6_T7_T9_mT8_P12ihipStream_tbDpT10_ENKUlT_T0_E_clISt17integral_constantIbLb0EES17_EEDaS12_S13_EUlS12_E_NS1_11comp_targetILNS1_3genE10ELNS1_11target_archE1200ELNS1_3gpuE4ELNS1_3repE0EEENS1_30default_config_static_selectorELNS0_4arch9wavefront6targetE0EEEvT1_,comdat
	.protected	_ZN7rocprim17ROCPRIM_400000_NS6detail17trampoline_kernelINS0_14default_configENS1_25partition_config_selectorILNS1_17partition_subalgoE8EmNS0_10empty_typeEbEEZZNS1_14partition_implILS5_8ELb0ES3_jPKmPS6_PKS6_NS0_5tupleIJPmS6_EEENSE_IJSB_SB_EEENS0_18inequality_wrapperIN6hipcub16HIPCUB_304000_NS8EqualityEEEPlJS6_EEE10hipError_tPvRmT3_T4_T5_T6_T7_T9_mT8_P12ihipStream_tbDpT10_ENKUlT_T0_E_clISt17integral_constantIbLb0EES17_EEDaS12_S13_EUlS12_E_NS1_11comp_targetILNS1_3genE10ELNS1_11target_archE1200ELNS1_3gpuE4ELNS1_3repE0EEENS1_30default_config_static_selectorELNS0_4arch9wavefront6targetE0EEEvT1_ ; -- Begin function _ZN7rocprim17ROCPRIM_400000_NS6detail17trampoline_kernelINS0_14default_configENS1_25partition_config_selectorILNS1_17partition_subalgoE8EmNS0_10empty_typeEbEEZZNS1_14partition_implILS5_8ELb0ES3_jPKmPS6_PKS6_NS0_5tupleIJPmS6_EEENSE_IJSB_SB_EEENS0_18inequality_wrapperIN6hipcub16HIPCUB_304000_NS8EqualityEEEPlJS6_EEE10hipError_tPvRmT3_T4_T5_T6_T7_T9_mT8_P12ihipStream_tbDpT10_ENKUlT_T0_E_clISt17integral_constantIbLb0EES17_EEDaS12_S13_EUlS12_E_NS1_11comp_targetILNS1_3genE10ELNS1_11target_archE1200ELNS1_3gpuE4ELNS1_3repE0EEENS1_30default_config_static_selectorELNS0_4arch9wavefront6targetE0EEEvT1_
	.globl	_ZN7rocprim17ROCPRIM_400000_NS6detail17trampoline_kernelINS0_14default_configENS1_25partition_config_selectorILNS1_17partition_subalgoE8EmNS0_10empty_typeEbEEZZNS1_14partition_implILS5_8ELb0ES3_jPKmPS6_PKS6_NS0_5tupleIJPmS6_EEENSE_IJSB_SB_EEENS0_18inequality_wrapperIN6hipcub16HIPCUB_304000_NS8EqualityEEEPlJS6_EEE10hipError_tPvRmT3_T4_T5_T6_T7_T9_mT8_P12ihipStream_tbDpT10_ENKUlT_T0_E_clISt17integral_constantIbLb0EES17_EEDaS12_S13_EUlS12_E_NS1_11comp_targetILNS1_3genE10ELNS1_11target_archE1200ELNS1_3gpuE4ELNS1_3repE0EEENS1_30default_config_static_selectorELNS0_4arch9wavefront6targetE0EEEvT1_
	.p2align	8
	.type	_ZN7rocprim17ROCPRIM_400000_NS6detail17trampoline_kernelINS0_14default_configENS1_25partition_config_selectorILNS1_17partition_subalgoE8EmNS0_10empty_typeEbEEZZNS1_14partition_implILS5_8ELb0ES3_jPKmPS6_PKS6_NS0_5tupleIJPmS6_EEENSE_IJSB_SB_EEENS0_18inequality_wrapperIN6hipcub16HIPCUB_304000_NS8EqualityEEEPlJS6_EEE10hipError_tPvRmT3_T4_T5_T6_T7_T9_mT8_P12ihipStream_tbDpT10_ENKUlT_T0_E_clISt17integral_constantIbLb0EES17_EEDaS12_S13_EUlS12_E_NS1_11comp_targetILNS1_3genE10ELNS1_11target_archE1200ELNS1_3gpuE4ELNS1_3repE0EEENS1_30default_config_static_selectorELNS0_4arch9wavefront6targetE0EEEvT1_,@function
_ZN7rocprim17ROCPRIM_400000_NS6detail17trampoline_kernelINS0_14default_configENS1_25partition_config_selectorILNS1_17partition_subalgoE8EmNS0_10empty_typeEbEEZZNS1_14partition_implILS5_8ELb0ES3_jPKmPS6_PKS6_NS0_5tupleIJPmS6_EEENSE_IJSB_SB_EEENS0_18inequality_wrapperIN6hipcub16HIPCUB_304000_NS8EqualityEEEPlJS6_EEE10hipError_tPvRmT3_T4_T5_T6_T7_T9_mT8_P12ihipStream_tbDpT10_ENKUlT_T0_E_clISt17integral_constantIbLb0EES17_EEDaS12_S13_EUlS12_E_NS1_11comp_targetILNS1_3genE10ELNS1_11target_archE1200ELNS1_3gpuE4ELNS1_3repE0EEENS1_30default_config_static_selectorELNS0_4arch9wavefront6targetE0EEEvT1_: ; @_ZN7rocprim17ROCPRIM_400000_NS6detail17trampoline_kernelINS0_14default_configENS1_25partition_config_selectorILNS1_17partition_subalgoE8EmNS0_10empty_typeEbEEZZNS1_14partition_implILS5_8ELb0ES3_jPKmPS6_PKS6_NS0_5tupleIJPmS6_EEENSE_IJSB_SB_EEENS0_18inequality_wrapperIN6hipcub16HIPCUB_304000_NS8EqualityEEEPlJS6_EEE10hipError_tPvRmT3_T4_T5_T6_T7_T9_mT8_P12ihipStream_tbDpT10_ENKUlT_T0_E_clISt17integral_constantIbLb0EES17_EEDaS12_S13_EUlS12_E_NS1_11comp_targetILNS1_3genE10ELNS1_11target_archE1200ELNS1_3gpuE4ELNS1_3repE0EEENS1_30default_config_static_selectorELNS0_4arch9wavefront6targetE0EEEvT1_
; %bb.0:
	.section	.rodata,"a",@progbits
	.p2align	6, 0x0
	.amdhsa_kernel _ZN7rocprim17ROCPRIM_400000_NS6detail17trampoline_kernelINS0_14default_configENS1_25partition_config_selectorILNS1_17partition_subalgoE8EmNS0_10empty_typeEbEEZZNS1_14partition_implILS5_8ELb0ES3_jPKmPS6_PKS6_NS0_5tupleIJPmS6_EEENSE_IJSB_SB_EEENS0_18inequality_wrapperIN6hipcub16HIPCUB_304000_NS8EqualityEEEPlJS6_EEE10hipError_tPvRmT3_T4_T5_T6_T7_T9_mT8_P12ihipStream_tbDpT10_ENKUlT_T0_E_clISt17integral_constantIbLb0EES17_EEDaS12_S13_EUlS12_E_NS1_11comp_targetILNS1_3genE10ELNS1_11target_archE1200ELNS1_3gpuE4ELNS1_3repE0EEENS1_30default_config_static_selectorELNS0_4arch9wavefront6targetE0EEEvT1_
		.amdhsa_group_segment_fixed_size 0
		.amdhsa_private_segment_fixed_size 0
		.amdhsa_kernarg_size 112
		.amdhsa_user_sgpr_count 2
		.amdhsa_user_sgpr_dispatch_ptr 0
		.amdhsa_user_sgpr_queue_ptr 0
		.amdhsa_user_sgpr_kernarg_segment_ptr 1
		.amdhsa_user_sgpr_dispatch_id 0
		.amdhsa_user_sgpr_kernarg_preload_length 0
		.amdhsa_user_sgpr_kernarg_preload_offset 0
		.amdhsa_user_sgpr_private_segment_size 0
		.amdhsa_wavefront_size32 1
		.amdhsa_uses_dynamic_stack 0
		.amdhsa_enable_private_segment 0
		.amdhsa_system_sgpr_workgroup_id_x 1
		.amdhsa_system_sgpr_workgroup_id_y 0
		.amdhsa_system_sgpr_workgroup_id_z 0
		.amdhsa_system_sgpr_workgroup_info 0
		.amdhsa_system_vgpr_workitem_id 0
		.amdhsa_next_free_vgpr 1
		.amdhsa_next_free_sgpr 1
		.amdhsa_named_barrier_count 0
		.amdhsa_reserve_vcc 0
		.amdhsa_float_round_mode_32 0
		.amdhsa_float_round_mode_16_64 0
		.amdhsa_float_denorm_mode_32 3
		.amdhsa_float_denorm_mode_16_64 3
		.amdhsa_fp16_overflow 0
		.amdhsa_memory_ordered 1
		.amdhsa_forward_progress 1
		.amdhsa_inst_pref_size 0
		.amdhsa_round_robin_scheduling 0
		.amdhsa_exception_fp_ieee_invalid_op 0
		.amdhsa_exception_fp_denorm_src 0
		.amdhsa_exception_fp_ieee_div_zero 0
		.amdhsa_exception_fp_ieee_overflow 0
		.amdhsa_exception_fp_ieee_underflow 0
		.amdhsa_exception_fp_ieee_inexact 0
		.amdhsa_exception_int_div_zero 0
	.end_amdhsa_kernel
	.section	.text._ZN7rocprim17ROCPRIM_400000_NS6detail17trampoline_kernelINS0_14default_configENS1_25partition_config_selectorILNS1_17partition_subalgoE8EmNS0_10empty_typeEbEEZZNS1_14partition_implILS5_8ELb0ES3_jPKmPS6_PKS6_NS0_5tupleIJPmS6_EEENSE_IJSB_SB_EEENS0_18inequality_wrapperIN6hipcub16HIPCUB_304000_NS8EqualityEEEPlJS6_EEE10hipError_tPvRmT3_T4_T5_T6_T7_T9_mT8_P12ihipStream_tbDpT10_ENKUlT_T0_E_clISt17integral_constantIbLb0EES17_EEDaS12_S13_EUlS12_E_NS1_11comp_targetILNS1_3genE10ELNS1_11target_archE1200ELNS1_3gpuE4ELNS1_3repE0EEENS1_30default_config_static_selectorELNS0_4arch9wavefront6targetE0EEEvT1_,"axG",@progbits,_ZN7rocprim17ROCPRIM_400000_NS6detail17trampoline_kernelINS0_14default_configENS1_25partition_config_selectorILNS1_17partition_subalgoE8EmNS0_10empty_typeEbEEZZNS1_14partition_implILS5_8ELb0ES3_jPKmPS6_PKS6_NS0_5tupleIJPmS6_EEENSE_IJSB_SB_EEENS0_18inequality_wrapperIN6hipcub16HIPCUB_304000_NS8EqualityEEEPlJS6_EEE10hipError_tPvRmT3_T4_T5_T6_T7_T9_mT8_P12ihipStream_tbDpT10_ENKUlT_T0_E_clISt17integral_constantIbLb0EES17_EEDaS12_S13_EUlS12_E_NS1_11comp_targetILNS1_3genE10ELNS1_11target_archE1200ELNS1_3gpuE4ELNS1_3repE0EEENS1_30default_config_static_selectorELNS0_4arch9wavefront6targetE0EEEvT1_,comdat
.Lfunc_end691:
	.size	_ZN7rocprim17ROCPRIM_400000_NS6detail17trampoline_kernelINS0_14default_configENS1_25partition_config_selectorILNS1_17partition_subalgoE8EmNS0_10empty_typeEbEEZZNS1_14partition_implILS5_8ELb0ES3_jPKmPS6_PKS6_NS0_5tupleIJPmS6_EEENSE_IJSB_SB_EEENS0_18inequality_wrapperIN6hipcub16HIPCUB_304000_NS8EqualityEEEPlJS6_EEE10hipError_tPvRmT3_T4_T5_T6_T7_T9_mT8_P12ihipStream_tbDpT10_ENKUlT_T0_E_clISt17integral_constantIbLb0EES17_EEDaS12_S13_EUlS12_E_NS1_11comp_targetILNS1_3genE10ELNS1_11target_archE1200ELNS1_3gpuE4ELNS1_3repE0EEENS1_30default_config_static_selectorELNS0_4arch9wavefront6targetE0EEEvT1_, .Lfunc_end691-_ZN7rocprim17ROCPRIM_400000_NS6detail17trampoline_kernelINS0_14default_configENS1_25partition_config_selectorILNS1_17partition_subalgoE8EmNS0_10empty_typeEbEEZZNS1_14partition_implILS5_8ELb0ES3_jPKmPS6_PKS6_NS0_5tupleIJPmS6_EEENSE_IJSB_SB_EEENS0_18inequality_wrapperIN6hipcub16HIPCUB_304000_NS8EqualityEEEPlJS6_EEE10hipError_tPvRmT3_T4_T5_T6_T7_T9_mT8_P12ihipStream_tbDpT10_ENKUlT_T0_E_clISt17integral_constantIbLb0EES17_EEDaS12_S13_EUlS12_E_NS1_11comp_targetILNS1_3genE10ELNS1_11target_archE1200ELNS1_3gpuE4ELNS1_3repE0EEENS1_30default_config_static_selectorELNS0_4arch9wavefront6targetE0EEEvT1_
                                        ; -- End function
	.set _ZN7rocprim17ROCPRIM_400000_NS6detail17trampoline_kernelINS0_14default_configENS1_25partition_config_selectorILNS1_17partition_subalgoE8EmNS0_10empty_typeEbEEZZNS1_14partition_implILS5_8ELb0ES3_jPKmPS6_PKS6_NS0_5tupleIJPmS6_EEENSE_IJSB_SB_EEENS0_18inequality_wrapperIN6hipcub16HIPCUB_304000_NS8EqualityEEEPlJS6_EEE10hipError_tPvRmT3_T4_T5_T6_T7_T9_mT8_P12ihipStream_tbDpT10_ENKUlT_T0_E_clISt17integral_constantIbLb0EES17_EEDaS12_S13_EUlS12_E_NS1_11comp_targetILNS1_3genE10ELNS1_11target_archE1200ELNS1_3gpuE4ELNS1_3repE0EEENS1_30default_config_static_selectorELNS0_4arch9wavefront6targetE0EEEvT1_.num_vgpr, 0
	.set _ZN7rocprim17ROCPRIM_400000_NS6detail17trampoline_kernelINS0_14default_configENS1_25partition_config_selectorILNS1_17partition_subalgoE8EmNS0_10empty_typeEbEEZZNS1_14partition_implILS5_8ELb0ES3_jPKmPS6_PKS6_NS0_5tupleIJPmS6_EEENSE_IJSB_SB_EEENS0_18inequality_wrapperIN6hipcub16HIPCUB_304000_NS8EqualityEEEPlJS6_EEE10hipError_tPvRmT3_T4_T5_T6_T7_T9_mT8_P12ihipStream_tbDpT10_ENKUlT_T0_E_clISt17integral_constantIbLb0EES17_EEDaS12_S13_EUlS12_E_NS1_11comp_targetILNS1_3genE10ELNS1_11target_archE1200ELNS1_3gpuE4ELNS1_3repE0EEENS1_30default_config_static_selectorELNS0_4arch9wavefront6targetE0EEEvT1_.num_agpr, 0
	.set _ZN7rocprim17ROCPRIM_400000_NS6detail17trampoline_kernelINS0_14default_configENS1_25partition_config_selectorILNS1_17partition_subalgoE8EmNS0_10empty_typeEbEEZZNS1_14partition_implILS5_8ELb0ES3_jPKmPS6_PKS6_NS0_5tupleIJPmS6_EEENSE_IJSB_SB_EEENS0_18inequality_wrapperIN6hipcub16HIPCUB_304000_NS8EqualityEEEPlJS6_EEE10hipError_tPvRmT3_T4_T5_T6_T7_T9_mT8_P12ihipStream_tbDpT10_ENKUlT_T0_E_clISt17integral_constantIbLb0EES17_EEDaS12_S13_EUlS12_E_NS1_11comp_targetILNS1_3genE10ELNS1_11target_archE1200ELNS1_3gpuE4ELNS1_3repE0EEENS1_30default_config_static_selectorELNS0_4arch9wavefront6targetE0EEEvT1_.numbered_sgpr, 0
	.set _ZN7rocprim17ROCPRIM_400000_NS6detail17trampoline_kernelINS0_14default_configENS1_25partition_config_selectorILNS1_17partition_subalgoE8EmNS0_10empty_typeEbEEZZNS1_14partition_implILS5_8ELb0ES3_jPKmPS6_PKS6_NS0_5tupleIJPmS6_EEENSE_IJSB_SB_EEENS0_18inequality_wrapperIN6hipcub16HIPCUB_304000_NS8EqualityEEEPlJS6_EEE10hipError_tPvRmT3_T4_T5_T6_T7_T9_mT8_P12ihipStream_tbDpT10_ENKUlT_T0_E_clISt17integral_constantIbLb0EES17_EEDaS12_S13_EUlS12_E_NS1_11comp_targetILNS1_3genE10ELNS1_11target_archE1200ELNS1_3gpuE4ELNS1_3repE0EEENS1_30default_config_static_selectorELNS0_4arch9wavefront6targetE0EEEvT1_.num_named_barrier, 0
	.set _ZN7rocprim17ROCPRIM_400000_NS6detail17trampoline_kernelINS0_14default_configENS1_25partition_config_selectorILNS1_17partition_subalgoE8EmNS0_10empty_typeEbEEZZNS1_14partition_implILS5_8ELb0ES3_jPKmPS6_PKS6_NS0_5tupleIJPmS6_EEENSE_IJSB_SB_EEENS0_18inequality_wrapperIN6hipcub16HIPCUB_304000_NS8EqualityEEEPlJS6_EEE10hipError_tPvRmT3_T4_T5_T6_T7_T9_mT8_P12ihipStream_tbDpT10_ENKUlT_T0_E_clISt17integral_constantIbLb0EES17_EEDaS12_S13_EUlS12_E_NS1_11comp_targetILNS1_3genE10ELNS1_11target_archE1200ELNS1_3gpuE4ELNS1_3repE0EEENS1_30default_config_static_selectorELNS0_4arch9wavefront6targetE0EEEvT1_.private_seg_size, 0
	.set _ZN7rocprim17ROCPRIM_400000_NS6detail17trampoline_kernelINS0_14default_configENS1_25partition_config_selectorILNS1_17partition_subalgoE8EmNS0_10empty_typeEbEEZZNS1_14partition_implILS5_8ELb0ES3_jPKmPS6_PKS6_NS0_5tupleIJPmS6_EEENSE_IJSB_SB_EEENS0_18inequality_wrapperIN6hipcub16HIPCUB_304000_NS8EqualityEEEPlJS6_EEE10hipError_tPvRmT3_T4_T5_T6_T7_T9_mT8_P12ihipStream_tbDpT10_ENKUlT_T0_E_clISt17integral_constantIbLb0EES17_EEDaS12_S13_EUlS12_E_NS1_11comp_targetILNS1_3genE10ELNS1_11target_archE1200ELNS1_3gpuE4ELNS1_3repE0EEENS1_30default_config_static_selectorELNS0_4arch9wavefront6targetE0EEEvT1_.uses_vcc, 0
	.set _ZN7rocprim17ROCPRIM_400000_NS6detail17trampoline_kernelINS0_14default_configENS1_25partition_config_selectorILNS1_17partition_subalgoE8EmNS0_10empty_typeEbEEZZNS1_14partition_implILS5_8ELb0ES3_jPKmPS6_PKS6_NS0_5tupleIJPmS6_EEENSE_IJSB_SB_EEENS0_18inequality_wrapperIN6hipcub16HIPCUB_304000_NS8EqualityEEEPlJS6_EEE10hipError_tPvRmT3_T4_T5_T6_T7_T9_mT8_P12ihipStream_tbDpT10_ENKUlT_T0_E_clISt17integral_constantIbLb0EES17_EEDaS12_S13_EUlS12_E_NS1_11comp_targetILNS1_3genE10ELNS1_11target_archE1200ELNS1_3gpuE4ELNS1_3repE0EEENS1_30default_config_static_selectorELNS0_4arch9wavefront6targetE0EEEvT1_.uses_flat_scratch, 0
	.set _ZN7rocprim17ROCPRIM_400000_NS6detail17trampoline_kernelINS0_14default_configENS1_25partition_config_selectorILNS1_17partition_subalgoE8EmNS0_10empty_typeEbEEZZNS1_14partition_implILS5_8ELb0ES3_jPKmPS6_PKS6_NS0_5tupleIJPmS6_EEENSE_IJSB_SB_EEENS0_18inequality_wrapperIN6hipcub16HIPCUB_304000_NS8EqualityEEEPlJS6_EEE10hipError_tPvRmT3_T4_T5_T6_T7_T9_mT8_P12ihipStream_tbDpT10_ENKUlT_T0_E_clISt17integral_constantIbLb0EES17_EEDaS12_S13_EUlS12_E_NS1_11comp_targetILNS1_3genE10ELNS1_11target_archE1200ELNS1_3gpuE4ELNS1_3repE0EEENS1_30default_config_static_selectorELNS0_4arch9wavefront6targetE0EEEvT1_.has_dyn_sized_stack, 0
	.set _ZN7rocprim17ROCPRIM_400000_NS6detail17trampoline_kernelINS0_14default_configENS1_25partition_config_selectorILNS1_17partition_subalgoE8EmNS0_10empty_typeEbEEZZNS1_14partition_implILS5_8ELb0ES3_jPKmPS6_PKS6_NS0_5tupleIJPmS6_EEENSE_IJSB_SB_EEENS0_18inequality_wrapperIN6hipcub16HIPCUB_304000_NS8EqualityEEEPlJS6_EEE10hipError_tPvRmT3_T4_T5_T6_T7_T9_mT8_P12ihipStream_tbDpT10_ENKUlT_T0_E_clISt17integral_constantIbLb0EES17_EEDaS12_S13_EUlS12_E_NS1_11comp_targetILNS1_3genE10ELNS1_11target_archE1200ELNS1_3gpuE4ELNS1_3repE0EEENS1_30default_config_static_selectorELNS0_4arch9wavefront6targetE0EEEvT1_.has_recursion, 0
	.set _ZN7rocprim17ROCPRIM_400000_NS6detail17trampoline_kernelINS0_14default_configENS1_25partition_config_selectorILNS1_17partition_subalgoE8EmNS0_10empty_typeEbEEZZNS1_14partition_implILS5_8ELb0ES3_jPKmPS6_PKS6_NS0_5tupleIJPmS6_EEENSE_IJSB_SB_EEENS0_18inequality_wrapperIN6hipcub16HIPCUB_304000_NS8EqualityEEEPlJS6_EEE10hipError_tPvRmT3_T4_T5_T6_T7_T9_mT8_P12ihipStream_tbDpT10_ENKUlT_T0_E_clISt17integral_constantIbLb0EES17_EEDaS12_S13_EUlS12_E_NS1_11comp_targetILNS1_3genE10ELNS1_11target_archE1200ELNS1_3gpuE4ELNS1_3repE0EEENS1_30default_config_static_selectorELNS0_4arch9wavefront6targetE0EEEvT1_.has_indirect_call, 0
	.section	.AMDGPU.csdata,"",@progbits
; Kernel info:
; codeLenInByte = 0
; TotalNumSgprs: 0
; NumVgprs: 0
; ScratchSize: 0
; MemoryBound: 0
; FloatMode: 240
; IeeeMode: 1
; LDSByteSize: 0 bytes/workgroup (compile time only)
; SGPRBlocks: 0
; VGPRBlocks: 0
; NumSGPRsForWavesPerEU: 1
; NumVGPRsForWavesPerEU: 1
; NamedBarCnt: 0
; Occupancy: 16
; WaveLimiterHint : 0
; COMPUTE_PGM_RSRC2:SCRATCH_EN: 0
; COMPUTE_PGM_RSRC2:USER_SGPR: 2
; COMPUTE_PGM_RSRC2:TRAP_HANDLER: 0
; COMPUTE_PGM_RSRC2:TGID_X_EN: 1
; COMPUTE_PGM_RSRC2:TGID_Y_EN: 0
; COMPUTE_PGM_RSRC2:TGID_Z_EN: 0
; COMPUTE_PGM_RSRC2:TIDIG_COMP_CNT: 0
	.section	.text._ZN7rocprim17ROCPRIM_400000_NS6detail17trampoline_kernelINS0_14default_configENS1_25partition_config_selectorILNS1_17partition_subalgoE8EmNS0_10empty_typeEbEEZZNS1_14partition_implILS5_8ELb0ES3_jPKmPS6_PKS6_NS0_5tupleIJPmS6_EEENSE_IJSB_SB_EEENS0_18inequality_wrapperIN6hipcub16HIPCUB_304000_NS8EqualityEEEPlJS6_EEE10hipError_tPvRmT3_T4_T5_T6_T7_T9_mT8_P12ihipStream_tbDpT10_ENKUlT_T0_E_clISt17integral_constantIbLb0EES17_EEDaS12_S13_EUlS12_E_NS1_11comp_targetILNS1_3genE9ELNS1_11target_archE1100ELNS1_3gpuE3ELNS1_3repE0EEENS1_30default_config_static_selectorELNS0_4arch9wavefront6targetE0EEEvT1_,"axG",@progbits,_ZN7rocprim17ROCPRIM_400000_NS6detail17trampoline_kernelINS0_14default_configENS1_25partition_config_selectorILNS1_17partition_subalgoE8EmNS0_10empty_typeEbEEZZNS1_14partition_implILS5_8ELb0ES3_jPKmPS6_PKS6_NS0_5tupleIJPmS6_EEENSE_IJSB_SB_EEENS0_18inequality_wrapperIN6hipcub16HIPCUB_304000_NS8EqualityEEEPlJS6_EEE10hipError_tPvRmT3_T4_T5_T6_T7_T9_mT8_P12ihipStream_tbDpT10_ENKUlT_T0_E_clISt17integral_constantIbLb0EES17_EEDaS12_S13_EUlS12_E_NS1_11comp_targetILNS1_3genE9ELNS1_11target_archE1100ELNS1_3gpuE3ELNS1_3repE0EEENS1_30default_config_static_selectorELNS0_4arch9wavefront6targetE0EEEvT1_,comdat
	.protected	_ZN7rocprim17ROCPRIM_400000_NS6detail17trampoline_kernelINS0_14default_configENS1_25partition_config_selectorILNS1_17partition_subalgoE8EmNS0_10empty_typeEbEEZZNS1_14partition_implILS5_8ELb0ES3_jPKmPS6_PKS6_NS0_5tupleIJPmS6_EEENSE_IJSB_SB_EEENS0_18inequality_wrapperIN6hipcub16HIPCUB_304000_NS8EqualityEEEPlJS6_EEE10hipError_tPvRmT3_T4_T5_T6_T7_T9_mT8_P12ihipStream_tbDpT10_ENKUlT_T0_E_clISt17integral_constantIbLb0EES17_EEDaS12_S13_EUlS12_E_NS1_11comp_targetILNS1_3genE9ELNS1_11target_archE1100ELNS1_3gpuE3ELNS1_3repE0EEENS1_30default_config_static_selectorELNS0_4arch9wavefront6targetE0EEEvT1_ ; -- Begin function _ZN7rocprim17ROCPRIM_400000_NS6detail17trampoline_kernelINS0_14default_configENS1_25partition_config_selectorILNS1_17partition_subalgoE8EmNS0_10empty_typeEbEEZZNS1_14partition_implILS5_8ELb0ES3_jPKmPS6_PKS6_NS0_5tupleIJPmS6_EEENSE_IJSB_SB_EEENS0_18inequality_wrapperIN6hipcub16HIPCUB_304000_NS8EqualityEEEPlJS6_EEE10hipError_tPvRmT3_T4_T5_T6_T7_T9_mT8_P12ihipStream_tbDpT10_ENKUlT_T0_E_clISt17integral_constantIbLb0EES17_EEDaS12_S13_EUlS12_E_NS1_11comp_targetILNS1_3genE9ELNS1_11target_archE1100ELNS1_3gpuE3ELNS1_3repE0EEENS1_30default_config_static_selectorELNS0_4arch9wavefront6targetE0EEEvT1_
	.globl	_ZN7rocprim17ROCPRIM_400000_NS6detail17trampoline_kernelINS0_14default_configENS1_25partition_config_selectorILNS1_17partition_subalgoE8EmNS0_10empty_typeEbEEZZNS1_14partition_implILS5_8ELb0ES3_jPKmPS6_PKS6_NS0_5tupleIJPmS6_EEENSE_IJSB_SB_EEENS0_18inequality_wrapperIN6hipcub16HIPCUB_304000_NS8EqualityEEEPlJS6_EEE10hipError_tPvRmT3_T4_T5_T6_T7_T9_mT8_P12ihipStream_tbDpT10_ENKUlT_T0_E_clISt17integral_constantIbLb0EES17_EEDaS12_S13_EUlS12_E_NS1_11comp_targetILNS1_3genE9ELNS1_11target_archE1100ELNS1_3gpuE3ELNS1_3repE0EEENS1_30default_config_static_selectorELNS0_4arch9wavefront6targetE0EEEvT1_
	.p2align	8
	.type	_ZN7rocprim17ROCPRIM_400000_NS6detail17trampoline_kernelINS0_14default_configENS1_25partition_config_selectorILNS1_17partition_subalgoE8EmNS0_10empty_typeEbEEZZNS1_14partition_implILS5_8ELb0ES3_jPKmPS6_PKS6_NS0_5tupleIJPmS6_EEENSE_IJSB_SB_EEENS0_18inequality_wrapperIN6hipcub16HIPCUB_304000_NS8EqualityEEEPlJS6_EEE10hipError_tPvRmT3_T4_T5_T6_T7_T9_mT8_P12ihipStream_tbDpT10_ENKUlT_T0_E_clISt17integral_constantIbLb0EES17_EEDaS12_S13_EUlS12_E_NS1_11comp_targetILNS1_3genE9ELNS1_11target_archE1100ELNS1_3gpuE3ELNS1_3repE0EEENS1_30default_config_static_selectorELNS0_4arch9wavefront6targetE0EEEvT1_,@function
_ZN7rocprim17ROCPRIM_400000_NS6detail17trampoline_kernelINS0_14default_configENS1_25partition_config_selectorILNS1_17partition_subalgoE8EmNS0_10empty_typeEbEEZZNS1_14partition_implILS5_8ELb0ES3_jPKmPS6_PKS6_NS0_5tupleIJPmS6_EEENSE_IJSB_SB_EEENS0_18inequality_wrapperIN6hipcub16HIPCUB_304000_NS8EqualityEEEPlJS6_EEE10hipError_tPvRmT3_T4_T5_T6_T7_T9_mT8_P12ihipStream_tbDpT10_ENKUlT_T0_E_clISt17integral_constantIbLb0EES17_EEDaS12_S13_EUlS12_E_NS1_11comp_targetILNS1_3genE9ELNS1_11target_archE1100ELNS1_3gpuE3ELNS1_3repE0EEENS1_30default_config_static_selectorELNS0_4arch9wavefront6targetE0EEEvT1_: ; @_ZN7rocprim17ROCPRIM_400000_NS6detail17trampoline_kernelINS0_14default_configENS1_25partition_config_selectorILNS1_17partition_subalgoE8EmNS0_10empty_typeEbEEZZNS1_14partition_implILS5_8ELb0ES3_jPKmPS6_PKS6_NS0_5tupleIJPmS6_EEENSE_IJSB_SB_EEENS0_18inequality_wrapperIN6hipcub16HIPCUB_304000_NS8EqualityEEEPlJS6_EEE10hipError_tPvRmT3_T4_T5_T6_T7_T9_mT8_P12ihipStream_tbDpT10_ENKUlT_T0_E_clISt17integral_constantIbLb0EES17_EEDaS12_S13_EUlS12_E_NS1_11comp_targetILNS1_3genE9ELNS1_11target_archE1100ELNS1_3gpuE3ELNS1_3repE0EEENS1_30default_config_static_selectorELNS0_4arch9wavefront6targetE0EEEvT1_
; %bb.0:
	.section	.rodata,"a",@progbits
	.p2align	6, 0x0
	.amdhsa_kernel _ZN7rocprim17ROCPRIM_400000_NS6detail17trampoline_kernelINS0_14default_configENS1_25partition_config_selectorILNS1_17partition_subalgoE8EmNS0_10empty_typeEbEEZZNS1_14partition_implILS5_8ELb0ES3_jPKmPS6_PKS6_NS0_5tupleIJPmS6_EEENSE_IJSB_SB_EEENS0_18inequality_wrapperIN6hipcub16HIPCUB_304000_NS8EqualityEEEPlJS6_EEE10hipError_tPvRmT3_T4_T5_T6_T7_T9_mT8_P12ihipStream_tbDpT10_ENKUlT_T0_E_clISt17integral_constantIbLb0EES17_EEDaS12_S13_EUlS12_E_NS1_11comp_targetILNS1_3genE9ELNS1_11target_archE1100ELNS1_3gpuE3ELNS1_3repE0EEENS1_30default_config_static_selectorELNS0_4arch9wavefront6targetE0EEEvT1_
		.amdhsa_group_segment_fixed_size 0
		.amdhsa_private_segment_fixed_size 0
		.amdhsa_kernarg_size 112
		.amdhsa_user_sgpr_count 2
		.amdhsa_user_sgpr_dispatch_ptr 0
		.amdhsa_user_sgpr_queue_ptr 0
		.amdhsa_user_sgpr_kernarg_segment_ptr 1
		.amdhsa_user_sgpr_dispatch_id 0
		.amdhsa_user_sgpr_kernarg_preload_length 0
		.amdhsa_user_sgpr_kernarg_preload_offset 0
		.amdhsa_user_sgpr_private_segment_size 0
		.amdhsa_wavefront_size32 1
		.amdhsa_uses_dynamic_stack 0
		.amdhsa_enable_private_segment 0
		.amdhsa_system_sgpr_workgroup_id_x 1
		.amdhsa_system_sgpr_workgroup_id_y 0
		.amdhsa_system_sgpr_workgroup_id_z 0
		.amdhsa_system_sgpr_workgroup_info 0
		.amdhsa_system_vgpr_workitem_id 0
		.amdhsa_next_free_vgpr 1
		.amdhsa_next_free_sgpr 1
		.amdhsa_named_barrier_count 0
		.amdhsa_reserve_vcc 0
		.amdhsa_float_round_mode_32 0
		.amdhsa_float_round_mode_16_64 0
		.amdhsa_float_denorm_mode_32 3
		.amdhsa_float_denorm_mode_16_64 3
		.amdhsa_fp16_overflow 0
		.amdhsa_memory_ordered 1
		.amdhsa_forward_progress 1
		.amdhsa_inst_pref_size 0
		.amdhsa_round_robin_scheduling 0
		.amdhsa_exception_fp_ieee_invalid_op 0
		.amdhsa_exception_fp_denorm_src 0
		.amdhsa_exception_fp_ieee_div_zero 0
		.amdhsa_exception_fp_ieee_overflow 0
		.amdhsa_exception_fp_ieee_underflow 0
		.amdhsa_exception_fp_ieee_inexact 0
		.amdhsa_exception_int_div_zero 0
	.end_amdhsa_kernel
	.section	.text._ZN7rocprim17ROCPRIM_400000_NS6detail17trampoline_kernelINS0_14default_configENS1_25partition_config_selectorILNS1_17partition_subalgoE8EmNS0_10empty_typeEbEEZZNS1_14partition_implILS5_8ELb0ES3_jPKmPS6_PKS6_NS0_5tupleIJPmS6_EEENSE_IJSB_SB_EEENS0_18inequality_wrapperIN6hipcub16HIPCUB_304000_NS8EqualityEEEPlJS6_EEE10hipError_tPvRmT3_T4_T5_T6_T7_T9_mT8_P12ihipStream_tbDpT10_ENKUlT_T0_E_clISt17integral_constantIbLb0EES17_EEDaS12_S13_EUlS12_E_NS1_11comp_targetILNS1_3genE9ELNS1_11target_archE1100ELNS1_3gpuE3ELNS1_3repE0EEENS1_30default_config_static_selectorELNS0_4arch9wavefront6targetE0EEEvT1_,"axG",@progbits,_ZN7rocprim17ROCPRIM_400000_NS6detail17trampoline_kernelINS0_14default_configENS1_25partition_config_selectorILNS1_17partition_subalgoE8EmNS0_10empty_typeEbEEZZNS1_14partition_implILS5_8ELb0ES3_jPKmPS6_PKS6_NS0_5tupleIJPmS6_EEENSE_IJSB_SB_EEENS0_18inequality_wrapperIN6hipcub16HIPCUB_304000_NS8EqualityEEEPlJS6_EEE10hipError_tPvRmT3_T4_T5_T6_T7_T9_mT8_P12ihipStream_tbDpT10_ENKUlT_T0_E_clISt17integral_constantIbLb0EES17_EEDaS12_S13_EUlS12_E_NS1_11comp_targetILNS1_3genE9ELNS1_11target_archE1100ELNS1_3gpuE3ELNS1_3repE0EEENS1_30default_config_static_selectorELNS0_4arch9wavefront6targetE0EEEvT1_,comdat
.Lfunc_end692:
	.size	_ZN7rocprim17ROCPRIM_400000_NS6detail17trampoline_kernelINS0_14default_configENS1_25partition_config_selectorILNS1_17partition_subalgoE8EmNS0_10empty_typeEbEEZZNS1_14partition_implILS5_8ELb0ES3_jPKmPS6_PKS6_NS0_5tupleIJPmS6_EEENSE_IJSB_SB_EEENS0_18inequality_wrapperIN6hipcub16HIPCUB_304000_NS8EqualityEEEPlJS6_EEE10hipError_tPvRmT3_T4_T5_T6_T7_T9_mT8_P12ihipStream_tbDpT10_ENKUlT_T0_E_clISt17integral_constantIbLb0EES17_EEDaS12_S13_EUlS12_E_NS1_11comp_targetILNS1_3genE9ELNS1_11target_archE1100ELNS1_3gpuE3ELNS1_3repE0EEENS1_30default_config_static_selectorELNS0_4arch9wavefront6targetE0EEEvT1_, .Lfunc_end692-_ZN7rocprim17ROCPRIM_400000_NS6detail17trampoline_kernelINS0_14default_configENS1_25partition_config_selectorILNS1_17partition_subalgoE8EmNS0_10empty_typeEbEEZZNS1_14partition_implILS5_8ELb0ES3_jPKmPS6_PKS6_NS0_5tupleIJPmS6_EEENSE_IJSB_SB_EEENS0_18inequality_wrapperIN6hipcub16HIPCUB_304000_NS8EqualityEEEPlJS6_EEE10hipError_tPvRmT3_T4_T5_T6_T7_T9_mT8_P12ihipStream_tbDpT10_ENKUlT_T0_E_clISt17integral_constantIbLb0EES17_EEDaS12_S13_EUlS12_E_NS1_11comp_targetILNS1_3genE9ELNS1_11target_archE1100ELNS1_3gpuE3ELNS1_3repE0EEENS1_30default_config_static_selectorELNS0_4arch9wavefront6targetE0EEEvT1_
                                        ; -- End function
	.set _ZN7rocprim17ROCPRIM_400000_NS6detail17trampoline_kernelINS0_14default_configENS1_25partition_config_selectorILNS1_17partition_subalgoE8EmNS0_10empty_typeEbEEZZNS1_14partition_implILS5_8ELb0ES3_jPKmPS6_PKS6_NS0_5tupleIJPmS6_EEENSE_IJSB_SB_EEENS0_18inequality_wrapperIN6hipcub16HIPCUB_304000_NS8EqualityEEEPlJS6_EEE10hipError_tPvRmT3_T4_T5_T6_T7_T9_mT8_P12ihipStream_tbDpT10_ENKUlT_T0_E_clISt17integral_constantIbLb0EES17_EEDaS12_S13_EUlS12_E_NS1_11comp_targetILNS1_3genE9ELNS1_11target_archE1100ELNS1_3gpuE3ELNS1_3repE0EEENS1_30default_config_static_selectorELNS0_4arch9wavefront6targetE0EEEvT1_.num_vgpr, 0
	.set _ZN7rocprim17ROCPRIM_400000_NS6detail17trampoline_kernelINS0_14default_configENS1_25partition_config_selectorILNS1_17partition_subalgoE8EmNS0_10empty_typeEbEEZZNS1_14partition_implILS5_8ELb0ES3_jPKmPS6_PKS6_NS0_5tupleIJPmS6_EEENSE_IJSB_SB_EEENS0_18inequality_wrapperIN6hipcub16HIPCUB_304000_NS8EqualityEEEPlJS6_EEE10hipError_tPvRmT3_T4_T5_T6_T7_T9_mT8_P12ihipStream_tbDpT10_ENKUlT_T0_E_clISt17integral_constantIbLb0EES17_EEDaS12_S13_EUlS12_E_NS1_11comp_targetILNS1_3genE9ELNS1_11target_archE1100ELNS1_3gpuE3ELNS1_3repE0EEENS1_30default_config_static_selectorELNS0_4arch9wavefront6targetE0EEEvT1_.num_agpr, 0
	.set _ZN7rocprim17ROCPRIM_400000_NS6detail17trampoline_kernelINS0_14default_configENS1_25partition_config_selectorILNS1_17partition_subalgoE8EmNS0_10empty_typeEbEEZZNS1_14partition_implILS5_8ELb0ES3_jPKmPS6_PKS6_NS0_5tupleIJPmS6_EEENSE_IJSB_SB_EEENS0_18inequality_wrapperIN6hipcub16HIPCUB_304000_NS8EqualityEEEPlJS6_EEE10hipError_tPvRmT3_T4_T5_T6_T7_T9_mT8_P12ihipStream_tbDpT10_ENKUlT_T0_E_clISt17integral_constantIbLb0EES17_EEDaS12_S13_EUlS12_E_NS1_11comp_targetILNS1_3genE9ELNS1_11target_archE1100ELNS1_3gpuE3ELNS1_3repE0EEENS1_30default_config_static_selectorELNS0_4arch9wavefront6targetE0EEEvT1_.numbered_sgpr, 0
	.set _ZN7rocprim17ROCPRIM_400000_NS6detail17trampoline_kernelINS0_14default_configENS1_25partition_config_selectorILNS1_17partition_subalgoE8EmNS0_10empty_typeEbEEZZNS1_14partition_implILS5_8ELb0ES3_jPKmPS6_PKS6_NS0_5tupleIJPmS6_EEENSE_IJSB_SB_EEENS0_18inequality_wrapperIN6hipcub16HIPCUB_304000_NS8EqualityEEEPlJS6_EEE10hipError_tPvRmT3_T4_T5_T6_T7_T9_mT8_P12ihipStream_tbDpT10_ENKUlT_T0_E_clISt17integral_constantIbLb0EES17_EEDaS12_S13_EUlS12_E_NS1_11comp_targetILNS1_3genE9ELNS1_11target_archE1100ELNS1_3gpuE3ELNS1_3repE0EEENS1_30default_config_static_selectorELNS0_4arch9wavefront6targetE0EEEvT1_.num_named_barrier, 0
	.set _ZN7rocprim17ROCPRIM_400000_NS6detail17trampoline_kernelINS0_14default_configENS1_25partition_config_selectorILNS1_17partition_subalgoE8EmNS0_10empty_typeEbEEZZNS1_14partition_implILS5_8ELb0ES3_jPKmPS6_PKS6_NS0_5tupleIJPmS6_EEENSE_IJSB_SB_EEENS0_18inequality_wrapperIN6hipcub16HIPCUB_304000_NS8EqualityEEEPlJS6_EEE10hipError_tPvRmT3_T4_T5_T6_T7_T9_mT8_P12ihipStream_tbDpT10_ENKUlT_T0_E_clISt17integral_constantIbLb0EES17_EEDaS12_S13_EUlS12_E_NS1_11comp_targetILNS1_3genE9ELNS1_11target_archE1100ELNS1_3gpuE3ELNS1_3repE0EEENS1_30default_config_static_selectorELNS0_4arch9wavefront6targetE0EEEvT1_.private_seg_size, 0
	.set _ZN7rocprim17ROCPRIM_400000_NS6detail17trampoline_kernelINS0_14default_configENS1_25partition_config_selectorILNS1_17partition_subalgoE8EmNS0_10empty_typeEbEEZZNS1_14partition_implILS5_8ELb0ES3_jPKmPS6_PKS6_NS0_5tupleIJPmS6_EEENSE_IJSB_SB_EEENS0_18inequality_wrapperIN6hipcub16HIPCUB_304000_NS8EqualityEEEPlJS6_EEE10hipError_tPvRmT3_T4_T5_T6_T7_T9_mT8_P12ihipStream_tbDpT10_ENKUlT_T0_E_clISt17integral_constantIbLb0EES17_EEDaS12_S13_EUlS12_E_NS1_11comp_targetILNS1_3genE9ELNS1_11target_archE1100ELNS1_3gpuE3ELNS1_3repE0EEENS1_30default_config_static_selectorELNS0_4arch9wavefront6targetE0EEEvT1_.uses_vcc, 0
	.set _ZN7rocprim17ROCPRIM_400000_NS6detail17trampoline_kernelINS0_14default_configENS1_25partition_config_selectorILNS1_17partition_subalgoE8EmNS0_10empty_typeEbEEZZNS1_14partition_implILS5_8ELb0ES3_jPKmPS6_PKS6_NS0_5tupleIJPmS6_EEENSE_IJSB_SB_EEENS0_18inequality_wrapperIN6hipcub16HIPCUB_304000_NS8EqualityEEEPlJS6_EEE10hipError_tPvRmT3_T4_T5_T6_T7_T9_mT8_P12ihipStream_tbDpT10_ENKUlT_T0_E_clISt17integral_constantIbLb0EES17_EEDaS12_S13_EUlS12_E_NS1_11comp_targetILNS1_3genE9ELNS1_11target_archE1100ELNS1_3gpuE3ELNS1_3repE0EEENS1_30default_config_static_selectorELNS0_4arch9wavefront6targetE0EEEvT1_.uses_flat_scratch, 0
	.set _ZN7rocprim17ROCPRIM_400000_NS6detail17trampoline_kernelINS0_14default_configENS1_25partition_config_selectorILNS1_17partition_subalgoE8EmNS0_10empty_typeEbEEZZNS1_14partition_implILS5_8ELb0ES3_jPKmPS6_PKS6_NS0_5tupleIJPmS6_EEENSE_IJSB_SB_EEENS0_18inequality_wrapperIN6hipcub16HIPCUB_304000_NS8EqualityEEEPlJS6_EEE10hipError_tPvRmT3_T4_T5_T6_T7_T9_mT8_P12ihipStream_tbDpT10_ENKUlT_T0_E_clISt17integral_constantIbLb0EES17_EEDaS12_S13_EUlS12_E_NS1_11comp_targetILNS1_3genE9ELNS1_11target_archE1100ELNS1_3gpuE3ELNS1_3repE0EEENS1_30default_config_static_selectorELNS0_4arch9wavefront6targetE0EEEvT1_.has_dyn_sized_stack, 0
	.set _ZN7rocprim17ROCPRIM_400000_NS6detail17trampoline_kernelINS0_14default_configENS1_25partition_config_selectorILNS1_17partition_subalgoE8EmNS0_10empty_typeEbEEZZNS1_14partition_implILS5_8ELb0ES3_jPKmPS6_PKS6_NS0_5tupleIJPmS6_EEENSE_IJSB_SB_EEENS0_18inequality_wrapperIN6hipcub16HIPCUB_304000_NS8EqualityEEEPlJS6_EEE10hipError_tPvRmT3_T4_T5_T6_T7_T9_mT8_P12ihipStream_tbDpT10_ENKUlT_T0_E_clISt17integral_constantIbLb0EES17_EEDaS12_S13_EUlS12_E_NS1_11comp_targetILNS1_3genE9ELNS1_11target_archE1100ELNS1_3gpuE3ELNS1_3repE0EEENS1_30default_config_static_selectorELNS0_4arch9wavefront6targetE0EEEvT1_.has_recursion, 0
	.set _ZN7rocprim17ROCPRIM_400000_NS6detail17trampoline_kernelINS0_14default_configENS1_25partition_config_selectorILNS1_17partition_subalgoE8EmNS0_10empty_typeEbEEZZNS1_14partition_implILS5_8ELb0ES3_jPKmPS6_PKS6_NS0_5tupleIJPmS6_EEENSE_IJSB_SB_EEENS0_18inequality_wrapperIN6hipcub16HIPCUB_304000_NS8EqualityEEEPlJS6_EEE10hipError_tPvRmT3_T4_T5_T6_T7_T9_mT8_P12ihipStream_tbDpT10_ENKUlT_T0_E_clISt17integral_constantIbLb0EES17_EEDaS12_S13_EUlS12_E_NS1_11comp_targetILNS1_3genE9ELNS1_11target_archE1100ELNS1_3gpuE3ELNS1_3repE0EEENS1_30default_config_static_selectorELNS0_4arch9wavefront6targetE0EEEvT1_.has_indirect_call, 0
	.section	.AMDGPU.csdata,"",@progbits
; Kernel info:
; codeLenInByte = 0
; TotalNumSgprs: 0
; NumVgprs: 0
; ScratchSize: 0
; MemoryBound: 0
; FloatMode: 240
; IeeeMode: 1
; LDSByteSize: 0 bytes/workgroup (compile time only)
; SGPRBlocks: 0
; VGPRBlocks: 0
; NumSGPRsForWavesPerEU: 1
; NumVGPRsForWavesPerEU: 1
; NamedBarCnt: 0
; Occupancy: 16
; WaveLimiterHint : 0
; COMPUTE_PGM_RSRC2:SCRATCH_EN: 0
; COMPUTE_PGM_RSRC2:USER_SGPR: 2
; COMPUTE_PGM_RSRC2:TRAP_HANDLER: 0
; COMPUTE_PGM_RSRC2:TGID_X_EN: 1
; COMPUTE_PGM_RSRC2:TGID_Y_EN: 0
; COMPUTE_PGM_RSRC2:TGID_Z_EN: 0
; COMPUTE_PGM_RSRC2:TIDIG_COMP_CNT: 0
	.section	.text._ZN7rocprim17ROCPRIM_400000_NS6detail17trampoline_kernelINS0_14default_configENS1_25partition_config_selectorILNS1_17partition_subalgoE8EmNS0_10empty_typeEbEEZZNS1_14partition_implILS5_8ELb0ES3_jPKmPS6_PKS6_NS0_5tupleIJPmS6_EEENSE_IJSB_SB_EEENS0_18inequality_wrapperIN6hipcub16HIPCUB_304000_NS8EqualityEEEPlJS6_EEE10hipError_tPvRmT3_T4_T5_T6_T7_T9_mT8_P12ihipStream_tbDpT10_ENKUlT_T0_E_clISt17integral_constantIbLb0EES17_EEDaS12_S13_EUlS12_E_NS1_11comp_targetILNS1_3genE8ELNS1_11target_archE1030ELNS1_3gpuE2ELNS1_3repE0EEENS1_30default_config_static_selectorELNS0_4arch9wavefront6targetE0EEEvT1_,"axG",@progbits,_ZN7rocprim17ROCPRIM_400000_NS6detail17trampoline_kernelINS0_14default_configENS1_25partition_config_selectorILNS1_17partition_subalgoE8EmNS0_10empty_typeEbEEZZNS1_14partition_implILS5_8ELb0ES3_jPKmPS6_PKS6_NS0_5tupleIJPmS6_EEENSE_IJSB_SB_EEENS0_18inequality_wrapperIN6hipcub16HIPCUB_304000_NS8EqualityEEEPlJS6_EEE10hipError_tPvRmT3_T4_T5_T6_T7_T9_mT8_P12ihipStream_tbDpT10_ENKUlT_T0_E_clISt17integral_constantIbLb0EES17_EEDaS12_S13_EUlS12_E_NS1_11comp_targetILNS1_3genE8ELNS1_11target_archE1030ELNS1_3gpuE2ELNS1_3repE0EEENS1_30default_config_static_selectorELNS0_4arch9wavefront6targetE0EEEvT1_,comdat
	.protected	_ZN7rocprim17ROCPRIM_400000_NS6detail17trampoline_kernelINS0_14default_configENS1_25partition_config_selectorILNS1_17partition_subalgoE8EmNS0_10empty_typeEbEEZZNS1_14partition_implILS5_8ELb0ES3_jPKmPS6_PKS6_NS0_5tupleIJPmS6_EEENSE_IJSB_SB_EEENS0_18inequality_wrapperIN6hipcub16HIPCUB_304000_NS8EqualityEEEPlJS6_EEE10hipError_tPvRmT3_T4_T5_T6_T7_T9_mT8_P12ihipStream_tbDpT10_ENKUlT_T0_E_clISt17integral_constantIbLb0EES17_EEDaS12_S13_EUlS12_E_NS1_11comp_targetILNS1_3genE8ELNS1_11target_archE1030ELNS1_3gpuE2ELNS1_3repE0EEENS1_30default_config_static_selectorELNS0_4arch9wavefront6targetE0EEEvT1_ ; -- Begin function _ZN7rocprim17ROCPRIM_400000_NS6detail17trampoline_kernelINS0_14default_configENS1_25partition_config_selectorILNS1_17partition_subalgoE8EmNS0_10empty_typeEbEEZZNS1_14partition_implILS5_8ELb0ES3_jPKmPS6_PKS6_NS0_5tupleIJPmS6_EEENSE_IJSB_SB_EEENS0_18inequality_wrapperIN6hipcub16HIPCUB_304000_NS8EqualityEEEPlJS6_EEE10hipError_tPvRmT3_T4_T5_T6_T7_T9_mT8_P12ihipStream_tbDpT10_ENKUlT_T0_E_clISt17integral_constantIbLb0EES17_EEDaS12_S13_EUlS12_E_NS1_11comp_targetILNS1_3genE8ELNS1_11target_archE1030ELNS1_3gpuE2ELNS1_3repE0EEENS1_30default_config_static_selectorELNS0_4arch9wavefront6targetE0EEEvT1_
	.globl	_ZN7rocprim17ROCPRIM_400000_NS6detail17trampoline_kernelINS0_14default_configENS1_25partition_config_selectorILNS1_17partition_subalgoE8EmNS0_10empty_typeEbEEZZNS1_14partition_implILS5_8ELb0ES3_jPKmPS6_PKS6_NS0_5tupleIJPmS6_EEENSE_IJSB_SB_EEENS0_18inequality_wrapperIN6hipcub16HIPCUB_304000_NS8EqualityEEEPlJS6_EEE10hipError_tPvRmT3_T4_T5_T6_T7_T9_mT8_P12ihipStream_tbDpT10_ENKUlT_T0_E_clISt17integral_constantIbLb0EES17_EEDaS12_S13_EUlS12_E_NS1_11comp_targetILNS1_3genE8ELNS1_11target_archE1030ELNS1_3gpuE2ELNS1_3repE0EEENS1_30default_config_static_selectorELNS0_4arch9wavefront6targetE0EEEvT1_
	.p2align	8
	.type	_ZN7rocprim17ROCPRIM_400000_NS6detail17trampoline_kernelINS0_14default_configENS1_25partition_config_selectorILNS1_17partition_subalgoE8EmNS0_10empty_typeEbEEZZNS1_14partition_implILS5_8ELb0ES3_jPKmPS6_PKS6_NS0_5tupleIJPmS6_EEENSE_IJSB_SB_EEENS0_18inequality_wrapperIN6hipcub16HIPCUB_304000_NS8EqualityEEEPlJS6_EEE10hipError_tPvRmT3_T4_T5_T6_T7_T9_mT8_P12ihipStream_tbDpT10_ENKUlT_T0_E_clISt17integral_constantIbLb0EES17_EEDaS12_S13_EUlS12_E_NS1_11comp_targetILNS1_3genE8ELNS1_11target_archE1030ELNS1_3gpuE2ELNS1_3repE0EEENS1_30default_config_static_selectorELNS0_4arch9wavefront6targetE0EEEvT1_,@function
_ZN7rocprim17ROCPRIM_400000_NS6detail17trampoline_kernelINS0_14default_configENS1_25partition_config_selectorILNS1_17partition_subalgoE8EmNS0_10empty_typeEbEEZZNS1_14partition_implILS5_8ELb0ES3_jPKmPS6_PKS6_NS0_5tupleIJPmS6_EEENSE_IJSB_SB_EEENS0_18inequality_wrapperIN6hipcub16HIPCUB_304000_NS8EqualityEEEPlJS6_EEE10hipError_tPvRmT3_T4_T5_T6_T7_T9_mT8_P12ihipStream_tbDpT10_ENKUlT_T0_E_clISt17integral_constantIbLb0EES17_EEDaS12_S13_EUlS12_E_NS1_11comp_targetILNS1_3genE8ELNS1_11target_archE1030ELNS1_3gpuE2ELNS1_3repE0EEENS1_30default_config_static_selectorELNS0_4arch9wavefront6targetE0EEEvT1_: ; @_ZN7rocprim17ROCPRIM_400000_NS6detail17trampoline_kernelINS0_14default_configENS1_25partition_config_selectorILNS1_17partition_subalgoE8EmNS0_10empty_typeEbEEZZNS1_14partition_implILS5_8ELb0ES3_jPKmPS6_PKS6_NS0_5tupleIJPmS6_EEENSE_IJSB_SB_EEENS0_18inequality_wrapperIN6hipcub16HIPCUB_304000_NS8EqualityEEEPlJS6_EEE10hipError_tPvRmT3_T4_T5_T6_T7_T9_mT8_P12ihipStream_tbDpT10_ENKUlT_T0_E_clISt17integral_constantIbLb0EES17_EEDaS12_S13_EUlS12_E_NS1_11comp_targetILNS1_3genE8ELNS1_11target_archE1030ELNS1_3gpuE2ELNS1_3repE0EEENS1_30default_config_static_selectorELNS0_4arch9wavefront6targetE0EEEvT1_
; %bb.0:
	.section	.rodata,"a",@progbits
	.p2align	6, 0x0
	.amdhsa_kernel _ZN7rocprim17ROCPRIM_400000_NS6detail17trampoline_kernelINS0_14default_configENS1_25partition_config_selectorILNS1_17partition_subalgoE8EmNS0_10empty_typeEbEEZZNS1_14partition_implILS5_8ELb0ES3_jPKmPS6_PKS6_NS0_5tupleIJPmS6_EEENSE_IJSB_SB_EEENS0_18inequality_wrapperIN6hipcub16HIPCUB_304000_NS8EqualityEEEPlJS6_EEE10hipError_tPvRmT3_T4_T5_T6_T7_T9_mT8_P12ihipStream_tbDpT10_ENKUlT_T0_E_clISt17integral_constantIbLb0EES17_EEDaS12_S13_EUlS12_E_NS1_11comp_targetILNS1_3genE8ELNS1_11target_archE1030ELNS1_3gpuE2ELNS1_3repE0EEENS1_30default_config_static_selectorELNS0_4arch9wavefront6targetE0EEEvT1_
		.amdhsa_group_segment_fixed_size 0
		.amdhsa_private_segment_fixed_size 0
		.amdhsa_kernarg_size 112
		.amdhsa_user_sgpr_count 2
		.amdhsa_user_sgpr_dispatch_ptr 0
		.amdhsa_user_sgpr_queue_ptr 0
		.amdhsa_user_sgpr_kernarg_segment_ptr 1
		.amdhsa_user_sgpr_dispatch_id 0
		.amdhsa_user_sgpr_kernarg_preload_length 0
		.amdhsa_user_sgpr_kernarg_preload_offset 0
		.amdhsa_user_sgpr_private_segment_size 0
		.amdhsa_wavefront_size32 1
		.amdhsa_uses_dynamic_stack 0
		.amdhsa_enable_private_segment 0
		.amdhsa_system_sgpr_workgroup_id_x 1
		.amdhsa_system_sgpr_workgroup_id_y 0
		.amdhsa_system_sgpr_workgroup_id_z 0
		.amdhsa_system_sgpr_workgroup_info 0
		.amdhsa_system_vgpr_workitem_id 0
		.amdhsa_next_free_vgpr 1
		.amdhsa_next_free_sgpr 1
		.amdhsa_named_barrier_count 0
		.amdhsa_reserve_vcc 0
		.amdhsa_float_round_mode_32 0
		.amdhsa_float_round_mode_16_64 0
		.amdhsa_float_denorm_mode_32 3
		.amdhsa_float_denorm_mode_16_64 3
		.amdhsa_fp16_overflow 0
		.amdhsa_memory_ordered 1
		.amdhsa_forward_progress 1
		.amdhsa_inst_pref_size 0
		.amdhsa_round_robin_scheduling 0
		.amdhsa_exception_fp_ieee_invalid_op 0
		.amdhsa_exception_fp_denorm_src 0
		.amdhsa_exception_fp_ieee_div_zero 0
		.amdhsa_exception_fp_ieee_overflow 0
		.amdhsa_exception_fp_ieee_underflow 0
		.amdhsa_exception_fp_ieee_inexact 0
		.amdhsa_exception_int_div_zero 0
	.end_amdhsa_kernel
	.section	.text._ZN7rocprim17ROCPRIM_400000_NS6detail17trampoline_kernelINS0_14default_configENS1_25partition_config_selectorILNS1_17partition_subalgoE8EmNS0_10empty_typeEbEEZZNS1_14partition_implILS5_8ELb0ES3_jPKmPS6_PKS6_NS0_5tupleIJPmS6_EEENSE_IJSB_SB_EEENS0_18inequality_wrapperIN6hipcub16HIPCUB_304000_NS8EqualityEEEPlJS6_EEE10hipError_tPvRmT3_T4_T5_T6_T7_T9_mT8_P12ihipStream_tbDpT10_ENKUlT_T0_E_clISt17integral_constantIbLb0EES17_EEDaS12_S13_EUlS12_E_NS1_11comp_targetILNS1_3genE8ELNS1_11target_archE1030ELNS1_3gpuE2ELNS1_3repE0EEENS1_30default_config_static_selectorELNS0_4arch9wavefront6targetE0EEEvT1_,"axG",@progbits,_ZN7rocprim17ROCPRIM_400000_NS6detail17trampoline_kernelINS0_14default_configENS1_25partition_config_selectorILNS1_17partition_subalgoE8EmNS0_10empty_typeEbEEZZNS1_14partition_implILS5_8ELb0ES3_jPKmPS6_PKS6_NS0_5tupleIJPmS6_EEENSE_IJSB_SB_EEENS0_18inequality_wrapperIN6hipcub16HIPCUB_304000_NS8EqualityEEEPlJS6_EEE10hipError_tPvRmT3_T4_T5_T6_T7_T9_mT8_P12ihipStream_tbDpT10_ENKUlT_T0_E_clISt17integral_constantIbLb0EES17_EEDaS12_S13_EUlS12_E_NS1_11comp_targetILNS1_3genE8ELNS1_11target_archE1030ELNS1_3gpuE2ELNS1_3repE0EEENS1_30default_config_static_selectorELNS0_4arch9wavefront6targetE0EEEvT1_,comdat
.Lfunc_end693:
	.size	_ZN7rocprim17ROCPRIM_400000_NS6detail17trampoline_kernelINS0_14default_configENS1_25partition_config_selectorILNS1_17partition_subalgoE8EmNS0_10empty_typeEbEEZZNS1_14partition_implILS5_8ELb0ES3_jPKmPS6_PKS6_NS0_5tupleIJPmS6_EEENSE_IJSB_SB_EEENS0_18inequality_wrapperIN6hipcub16HIPCUB_304000_NS8EqualityEEEPlJS6_EEE10hipError_tPvRmT3_T4_T5_T6_T7_T9_mT8_P12ihipStream_tbDpT10_ENKUlT_T0_E_clISt17integral_constantIbLb0EES17_EEDaS12_S13_EUlS12_E_NS1_11comp_targetILNS1_3genE8ELNS1_11target_archE1030ELNS1_3gpuE2ELNS1_3repE0EEENS1_30default_config_static_selectorELNS0_4arch9wavefront6targetE0EEEvT1_, .Lfunc_end693-_ZN7rocprim17ROCPRIM_400000_NS6detail17trampoline_kernelINS0_14default_configENS1_25partition_config_selectorILNS1_17partition_subalgoE8EmNS0_10empty_typeEbEEZZNS1_14partition_implILS5_8ELb0ES3_jPKmPS6_PKS6_NS0_5tupleIJPmS6_EEENSE_IJSB_SB_EEENS0_18inequality_wrapperIN6hipcub16HIPCUB_304000_NS8EqualityEEEPlJS6_EEE10hipError_tPvRmT3_T4_T5_T6_T7_T9_mT8_P12ihipStream_tbDpT10_ENKUlT_T0_E_clISt17integral_constantIbLb0EES17_EEDaS12_S13_EUlS12_E_NS1_11comp_targetILNS1_3genE8ELNS1_11target_archE1030ELNS1_3gpuE2ELNS1_3repE0EEENS1_30default_config_static_selectorELNS0_4arch9wavefront6targetE0EEEvT1_
                                        ; -- End function
	.set _ZN7rocprim17ROCPRIM_400000_NS6detail17trampoline_kernelINS0_14default_configENS1_25partition_config_selectorILNS1_17partition_subalgoE8EmNS0_10empty_typeEbEEZZNS1_14partition_implILS5_8ELb0ES3_jPKmPS6_PKS6_NS0_5tupleIJPmS6_EEENSE_IJSB_SB_EEENS0_18inequality_wrapperIN6hipcub16HIPCUB_304000_NS8EqualityEEEPlJS6_EEE10hipError_tPvRmT3_T4_T5_T6_T7_T9_mT8_P12ihipStream_tbDpT10_ENKUlT_T0_E_clISt17integral_constantIbLb0EES17_EEDaS12_S13_EUlS12_E_NS1_11comp_targetILNS1_3genE8ELNS1_11target_archE1030ELNS1_3gpuE2ELNS1_3repE0EEENS1_30default_config_static_selectorELNS0_4arch9wavefront6targetE0EEEvT1_.num_vgpr, 0
	.set _ZN7rocprim17ROCPRIM_400000_NS6detail17trampoline_kernelINS0_14default_configENS1_25partition_config_selectorILNS1_17partition_subalgoE8EmNS0_10empty_typeEbEEZZNS1_14partition_implILS5_8ELb0ES3_jPKmPS6_PKS6_NS0_5tupleIJPmS6_EEENSE_IJSB_SB_EEENS0_18inequality_wrapperIN6hipcub16HIPCUB_304000_NS8EqualityEEEPlJS6_EEE10hipError_tPvRmT3_T4_T5_T6_T7_T9_mT8_P12ihipStream_tbDpT10_ENKUlT_T0_E_clISt17integral_constantIbLb0EES17_EEDaS12_S13_EUlS12_E_NS1_11comp_targetILNS1_3genE8ELNS1_11target_archE1030ELNS1_3gpuE2ELNS1_3repE0EEENS1_30default_config_static_selectorELNS0_4arch9wavefront6targetE0EEEvT1_.num_agpr, 0
	.set _ZN7rocprim17ROCPRIM_400000_NS6detail17trampoline_kernelINS0_14default_configENS1_25partition_config_selectorILNS1_17partition_subalgoE8EmNS0_10empty_typeEbEEZZNS1_14partition_implILS5_8ELb0ES3_jPKmPS6_PKS6_NS0_5tupleIJPmS6_EEENSE_IJSB_SB_EEENS0_18inequality_wrapperIN6hipcub16HIPCUB_304000_NS8EqualityEEEPlJS6_EEE10hipError_tPvRmT3_T4_T5_T6_T7_T9_mT8_P12ihipStream_tbDpT10_ENKUlT_T0_E_clISt17integral_constantIbLb0EES17_EEDaS12_S13_EUlS12_E_NS1_11comp_targetILNS1_3genE8ELNS1_11target_archE1030ELNS1_3gpuE2ELNS1_3repE0EEENS1_30default_config_static_selectorELNS0_4arch9wavefront6targetE0EEEvT1_.numbered_sgpr, 0
	.set _ZN7rocprim17ROCPRIM_400000_NS6detail17trampoline_kernelINS0_14default_configENS1_25partition_config_selectorILNS1_17partition_subalgoE8EmNS0_10empty_typeEbEEZZNS1_14partition_implILS5_8ELb0ES3_jPKmPS6_PKS6_NS0_5tupleIJPmS6_EEENSE_IJSB_SB_EEENS0_18inequality_wrapperIN6hipcub16HIPCUB_304000_NS8EqualityEEEPlJS6_EEE10hipError_tPvRmT3_T4_T5_T6_T7_T9_mT8_P12ihipStream_tbDpT10_ENKUlT_T0_E_clISt17integral_constantIbLb0EES17_EEDaS12_S13_EUlS12_E_NS1_11comp_targetILNS1_3genE8ELNS1_11target_archE1030ELNS1_3gpuE2ELNS1_3repE0EEENS1_30default_config_static_selectorELNS0_4arch9wavefront6targetE0EEEvT1_.num_named_barrier, 0
	.set _ZN7rocprim17ROCPRIM_400000_NS6detail17trampoline_kernelINS0_14default_configENS1_25partition_config_selectorILNS1_17partition_subalgoE8EmNS0_10empty_typeEbEEZZNS1_14partition_implILS5_8ELb0ES3_jPKmPS6_PKS6_NS0_5tupleIJPmS6_EEENSE_IJSB_SB_EEENS0_18inequality_wrapperIN6hipcub16HIPCUB_304000_NS8EqualityEEEPlJS6_EEE10hipError_tPvRmT3_T4_T5_T6_T7_T9_mT8_P12ihipStream_tbDpT10_ENKUlT_T0_E_clISt17integral_constantIbLb0EES17_EEDaS12_S13_EUlS12_E_NS1_11comp_targetILNS1_3genE8ELNS1_11target_archE1030ELNS1_3gpuE2ELNS1_3repE0EEENS1_30default_config_static_selectorELNS0_4arch9wavefront6targetE0EEEvT1_.private_seg_size, 0
	.set _ZN7rocprim17ROCPRIM_400000_NS6detail17trampoline_kernelINS0_14default_configENS1_25partition_config_selectorILNS1_17partition_subalgoE8EmNS0_10empty_typeEbEEZZNS1_14partition_implILS5_8ELb0ES3_jPKmPS6_PKS6_NS0_5tupleIJPmS6_EEENSE_IJSB_SB_EEENS0_18inequality_wrapperIN6hipcub16HIPCUB_304000_NS8EqualityEEEPlJS6_EEE10hipError_tPvRmT3_T4_T5_T6_T7_T9_mT8_P12ihipStream_tbDpT10_ENKUlT_T0_E_clISt17integral_constantIbLb0EES17_EEDaS12_S13_EUlS12_E_NS1_11comp_targetILNS1_3genE8ELNS1_11target_archE1030ELNS1_3gpuE2ELNS1_3repE0EEENS1_30default_config_static_selectorELNS0_4arch9wavefront6targetE0EEEvT1_.uses_vcc, 0
	.set _ZN7rocprim17ROCPRIM_400000_NS6detail17trampoline_kernelINS0_14default_configENS1_25partition_config_selectorILNS1_17partition_subalgoE8EmNS0_10empty_typeEbEEZZNS1_14partition_implILS5_8ELb0ES3_jPKmPS6_PKS6_NS0_5tupleIJPmS6_EEENSE_IJSB_SB_EEENS0_18inequality_wrapperIN6hipcub16HIPCUB_304000_NS8EqualityEEEPlJS6_EEE10hipError_tPvRmT3_T4_T5_T6_T7_T9_mT8_P12ihipStream_tbDpT10_ENKUlT_T0_E_clISt17integral_constantIbLb0EES17_EEDaS12_S13_EUlS12_E_NS1_11comp_targetILNS1_3genE8ELNS1_11target_archE1030ELNS1_3gpuE2ELNS1_3repE0EEENS1_30default_config_static_selectorELNS0_4arch9wavefront6targetE0EEEvT1_.uses_flat_scratch, 0
	.set _ZN7rocprim17ROCPRIM_400000_NS6detail17trampoline_kernelINS0_14default_configENS1_25partition_config_selectorILNS1_17partition_subalgoE8EmNS0_10empty_typeEbEEZZNS1_14partition_implILS5_8ELb0ES3_jPKmPS6_PKS6_NS0_5tupleIJPmS6_EEENSE_IJSB_SB_EEENS0_18inequality_wrapperIN6hipcub16HIPCUB_304000_NS8EqualityEEEPlJS6_EEE10hipError_tPvRmT3_T4_T5_T6_T7_T9_mT8_P12ihipStream_tbDpT10_ENKUlT_T0_E_clISt17integral_constantIbLb0EES17_EEDaS12_S13_EUlS12_E_NS1_11comp_targetILNS1_3genE8ELNS1_11target_archE1030ELNS1_3gpuE2ELNS1_3repE0EEENS1_30default_config_static_selectorELNS0_4arch9wavefront6targetE0EEEvT1_.has_dyn_sized_stack, 0
	.set _ZN7rocprim17ROCPRIM_400000_NS6detail17trampoline_kernelINS0_14default_configENS1_25partition_config_selectorILNS1_17partition_subalgoE8EmNS0_10empty_typeEbEEZZNS1_14partition_implILS5_8ELb0ES3_jPKmPS6_PKS6_NS0_5tupleIJPmS6_EEENSE_IJSB_SB_EEENS0_18inequality_wrapperIN6hipcub16HIPCUB_304000_NS8EqualityEEEPlJS6_EEE10hipError_tPvRmT3_T4_T5_T6_T7_T9_mT8_P12ihipStream_tbDpT10_ENKUlT_T0_E_clISt17integral_constantIbLb0EES17_EEDaS12_S13_EUlS12_E_NS1_11comp_targetILNS1_3genE8ELNS1_11target_archE1030ELNS1_3gpuE2ELNS1_3repE0EEENS1_30default_config_static_selectorELNS0_4arch9wavefront6targetE0EEEvT1_.has_recursion, 0
	.set _ZN7rocprim17ROCPRIM_400000_NS6detail17trampoline_kernelINS0_14default_configENS1_25partition_config_selectorILNS1_17partition_subalgoE8EmNS0_10empty_typeEbEEZZNS1_14partition_implILS5_8ELb0ES3_jPKmPS6_PKS6_NS0_5tupleIJPmS6_EEENSE_IJSB_SB_EEENS0_18inequality_wrapperIN6hipcub16HIPCUB_304000_NS8EqualityEEEPlJS6_EEE10hipError_tPvRmT3_T4_T5_T6_T7_T9_mT8_P12ihipStream_tbDpT10_ENKUlT_T0_E_clISt17integral_constantIbLb0EES17_EEDaS12_S13_EUlS12_E_NS1_11comp_targetILNS1_3genE8ELNS1_11target_archE1030ELNS1_3gpuE2ELNS1_3repE0EEENS1_30default_config_static_selectorELNS0_4arch9wavefront6targetE0EEEvT1_.has_indirect_call, 0
	.section	.AMDGPU.csdata,"",@progbits
; Kernel info:
; codeLenInByte = 0
; TotalNumSgprs: 0
; NumVgprs: 0
; ScratchSize: 0
; MemoryBound: 0
; FloatMode: 240
; IeeeMode: 1
; LDSByteSize: 0 bytes/workgroup (compile time only)
; SGPRBlocks: 0
; VGPRBlocks: 0
; NumSGPRsForWavesPerEU: 1
; NumVGPRsForWavesPerEU: 1
; NamedBarCnt: 0
; Occupancy: 16
; WaveLimiterHint : 0
; COMPUTE_PGM_RSRC2:SCRATCH_EN: 0
; COMPUTE_PGM_RSRC2:USER_SGPR: 2
; COMPUTE_PGM_RSRC2:TRAP_HANDLER: 0
; COMPUTE_PGM_RSRC2:TGID_X_EN: 1
; COMPUTE_PGM_RSRC2:TGID_Y_EN: 0
; COMPUTE_PGM_RSRC2:TGID_Z_EN: 0
; COMPUTE_PGM_RSRC2:TIDIG_COMP_CNT: 0
	.section	.text._ZN7rocprim17ROCPRIM_400000_NS6detail17trampoline_kernelINS0_14default_configENS1_25partition_config_selectorILNS1_17partition_subalgoE8EmNS0_10empty_typeEbEEZZNS1_14partition_implILS5_8ELb0ES3_jPKmPS6_PKS6_NS0_5tupleIJPmS6_EEENSE_IJSB_SB_EEENS0_18inequality_wrapperIN6hipcub16HIPCUB_304000_NS8EqualityEEEPlJS6_EEE10hipError_tPvRmT3_T4_T5_T6_T7_T9_mT8_P12ihipStream_tbDpT10_ENKUlT_T0_E_clISt17integral_constantIbLb1EES17_EEDaS12_S13_EUlS12_E_NS1_11comp_targetILNS1_3genE0ELNS1_11target_archE4294967295ELNS1_3gpuE0ELNS1_3repE0EEENS1_30default_config_static_selectorELNS0_4arch9wavefront6targetE0EEEvT1_,"axG",@progbits,_ZN7rocprim17ROCPRIM_400000_NS6detail17trampoline_kernelINS0_14default_configENS1_25partition_config_selectorILNS1_17partition_subalgoE8EmNS0_10empty_typeEbEEZZNS1_14partition_implILS5_8ELb0ES3_jPKmPS6_PKS6_NS0_5tupleIJPmS6_EEENSE_IJSB_SB_EEENS0_18inequality_wrapperIN6hipcub16HIPCUB_304000_NS8EqualityEEEPlJS6_EEE10hipError_tPvRmT3_T4_T5_T6_T7_T9_mT8_P12ihipStream_tbDpT10_ENKUlT_T0_E_clISt17integral_constantIbLb1EES17_EEDaS12_S13_EUlS12_E_NS1_11comp_targetILNS1_3genE0ELNS1_11target_archE4294967295ELNS1_3gpuE0ELNS1_3repE0EEENS1_30default_config_static_selectorELNS0_4arch9wavefront6targetE0EEEvT1_,comdat
	.protected	_ZN7rocprim17ROCPRIM_400000_NS6detail17trampoline_kernelINS0_14default_configENS1_25partition_config_selectorILNS1_17partition_subalgoE8EmNS0_10empty_typeEbEEZZNS1_14partition_implILS5_8ELb0ES3_jPKmPS6_PKS6_NS0_5tupleIJPmS6_EEENSE_IJSB_SB_EEENS0_18inequality_wrapperIN6hipcub16HIPCUB_304000_NS8EqualityEEEPlJS6_EEE10hipError_tPvRmT3_T4_T5_T6_T7_T9_mT8_P12ihipStream_tbDpT10_ENKUlT_T0_E_clISt17integral_constantIbLb1EES17_EEDaS12_S13_EUlS12_E_NS1_11comp_targetILNS1_3genE0ELNS1_11target_archE4294967295ELNS1_3gpuE0ELNS1_3repE0EEENS1_30default_config_static_selectorELNS0_4arch9wavefront6targetE0EEEvT1_ ; -- Begin function _ZN7rocprim17ROCPRIM_400000_NS6detail17trampoline_kernelINS0_14default_configENS1_25partition_config_selectorILNS1_17partition_subalgoE8EmNS0_10empty_typeEbEEZZNS1_14partition_implILS5_8ELb0ES3_jPKmPS6_PKS6_NS0_5tupleIJPmS6_EEENSE_IJSB_SB_EEENS0_18inequality_wrapperIN6hipcub16HIPCUB_304000_NS8EqualityEEEPlJS6_EEE10hipError_tPvRmT3_T4_T5_T6_T7_T9_mT8_P12ihipStream_tbDpT10_ENKUlT_T0_E_clISt17integral_constantIbLb1EES17_EEDaS12_S13_EUlS12_E_NS1_11comp_targetILNS1_3genE0ELNS1_11target_archE4294967295ELNS1_3gpuE0ELNS1_3repE0EEENS1_30default_config_static_selectorELNS0_4arch9wavefront6targetE0EEEvT1_
	.globl	_ZN7rocprim17ROCPRIM_400000_NS6detail17trampoline_kernelINS0_14default_configENS1_25partition_config_selectorILNS1_17partition_subalgoE8EmNS0_10empty_typeEbEEZZNS1_14partition_implILS5_8ELb0ES3_jPKmPS6_PKS6_NS0_5tupleIJPmS6_EEENSE_IJSB_SB_EEENS0_18inequality_wrapperIN6hipcub16HIPCUB_304000_NS8EqualityEEEPlJS6_EEE10hipError_tPvRmT3_T4_T5_T6_T7_T9_mT8_P12ihipStream_tbDpT10_ENKUlT_T0_E_clISt17integral_constantIbLb1EES17_EEDaS12_S13_EUlS12_E_NS1_11comp_targetILNS1_3genE0ELNS1_11target_archE4294967295ELNS1_3gpuE0ELNS1_3repE0EEENS1_30default_config_static_selectorELNS0_4arch9wavefront6targetE0EEEvT1_
	.p2align	8
	.type	_ZN7rocprim17ROCPRIM_400000_NS6detail17trampoline_kernelINS0_14default_configENS1_25partition_config_selectorILNS1_17partition_subalgoE8EmNS0_10empty_typeEbEEZZNS1_14partition_implILS5_8ELb0ES3_jPKmPS6_PKS6_NS0_5tupleIJPmS6_EEENSE_IJSB_SB_EEENS0_18inequality_wrapperIN6hipcub16HIPCUB_304000_NS8EqualityEEEPlJS6_EEE10hipError_tPvRmT3_T4_T5_T6_T7_T9_mT8_P12ihipStream_tbDpT10_ENKUlT_T0_E_clISt17integral_constantIbLb1EES17_EEDaS12_S13_EUlS12_E_NS1_11comp_targetILNS1_3genE0ELNS1_11target_archE4294967295ELNS1_3gpuE0ELNS1_3repE0EEENS1_30default_config_static_selectorELNS0_4arch9wavefront6targetE0EEEvT1_,@function
_ZN7rocprim17ROCPRIM_400000_NS6detail17trampoline_kernelINS0_14default_configENS1_25partition_config_selectorILNS1_17partition_subalgoE8EmNS0_10empty_typeEbEEZZNS1_14partition_implILS5_8ELb0ES3_jPKmPS6_PKS6_NS0_5tupleIJPmS6_EEENSE_IJSB_SB_EEENS0_18inequality_wrapperIN6hipcub16HIPCUB_304000_NS8EqualityEEEPlJS6_EEE10hipError_tPvRmT3_T4_T5_T6_T7_T9_mT8_P12ihipStream_tbDpT10_ENKUlT_T0_E_clISt17integral_constantIbLb1EES17_EEDaS12_S13_EUlS12_E_NS1_11comp_targetILNS1_3genE0ELNS1_11target_archE4294967295ELNS1_3gpuE0ELNS1_3repE0EEENS1_30default_config_static_selectorELNS0_4arch9wavefront6targetE0EEEvT1_: ; @_ZN7rocprim17ROCPRIM_400000_NS6detail17trampoline_kernelINS0_14default_configENS1_25partition_config_selectorILNS1_17partition_subalgoE8EmNS0_10empty_typeEbEEZZNS1_14partition_implILS5_8ELb0ES3_jPKmPS6_PKS6_NS0_5tupleIJPmS6_EEENSE_IJSB_SB_EEENS0_18inequality_wrapperIN6hipcub16HIPCUB_304000_NS8EqualityEEEPlJS6_EEE10hipError_tPvRmT3_T4_T5_T6_T7_T9_mT8_P12ihipStream_tbDpT10_ENKUlT_T0_E_clISt17integral_constantIbLb1EES17_EEDaS12_S13_EUlS12_E_NS1_11comp_targetILNS1_3genE0ELNS1_11target_archE4294967295ELNS1_3gpuE0ELNS1_3repE0EEENS1_30default_config_static_selectorELNS0_4arch9wavefront6targetE0EEEvT1_
; %bb.0:
	s_endpgm
	.section	.rodata,"a",@progbits
	.p2align	6, 0x0
	.amdhsa_kernel _ZN7rocprim17ROCPRIM_400000_NS6detail17trampoline_kernelINS0_14default_configENS1_25partition_config_selectorILNS1_17partition_subalgoE8EmNS0_10empty_typeEbEEZZNS1_14partition_implILS5_8ELb0ES3_jPKmPS6_PKS6_NS0_5tupleIJPmS6_EEENSE_IJSB_SB_EEENS0_18inequality_wrapperIN6hipcub16HIPCUB_304000_NS8EqualityEEEPlJS6_EEE10hipError_tPvRmT3_T4_T5_T6_T7_T9_mT8_P12ihipStream_tbDpT10_ENKUlT_T0_E_clISt17integral_constantIbLb1EES17_EEDaS12_S13_EUlS12_E_NS1_11comp_targetILNS1_3genE0ELNS1_11target_archE4294967295ELNS1_3gpuE0ELNS1_3repE0EEENS1_30default_config_static_selectorELNS0_4arch9wavefront6targetE0EEEvT1_
		.amdhsa_group_segment_fixed_size 0
		.amdhsa_private_segment_fixed_size 0
		.amdhsa_kernarg_size 128
		.amdhsa_user_sgpr_count 2
		.amdhsa_user_sgpr_dispatch_ptr 0
		.amdhsa_user_sgpr_queue_ptr 0
		.amdhsa_user_sgpr_kernarg_segment_ptr 1
		.amdhsa_user_sgpr_dispatch_id 0
		.amdhsa_user_sgpr_kernarg_preload_length 0
		.amdhsa_user_sgpr_kernarg_preload_offset 0
		.amdhsa_user_sgpr_private_segment_size 0
		.amdhsa_wavefront_size32 1
		.amdhsa_uses_dynamic_stack 0
		.amdhsa_enable_private_segment 0
		.amdhsa_system_sgpr_workgroup_id_x 1
		.amdhsa_system_sgpr_workgroup_id_y 0
		.amdhsa_system_sgpr_workgroup_id_z 0
		.amdhsa_system_sgpr_workgroup_info 0
		.amdhsa_system_vgpr_workitem_id 0
		.amdhsa_next_free_vgpr 1
		.amdhsa_next_free_sgpr 1
		.amdhsa_named_barrier_count 0
		.amdhsa_reserve_vcc 0
		.amdhsa_float_round_mode_32 0
		.amdhsa_float_round_mode_16_64 0
		.amdhsa_float_denorm_mode_32 3
		.amdhsa_float_denorm_mode_16_64 3
		.amdhsa_fp16_overflow 0
		.amdhsa_memory_ordered 1
		.amdhsa_forward_progress 1
		.amdhsa_inst_pref_size 1
		.amdhsa_round_robin_scheduling 0
		.amdhsa_exception_fp_ieee_invalid_op 0
		.amdhsa_exception_fp_denorm_src 0
		.amdhsa_exception_fp_ieee_div_zero 0
		.amdhsa_exception_fp_ieee_overflow 0
		.amdhsa_exception_fp_ieee_underflow 0
		.amdhsa_exception_fp_ieee_inexact 0
		.amdhsa_exception_int_div_zero 0
	.end_amdhsa_kernel
	.section	.text._ZN7rocprim17ROCPRIM_400000_NS6detail17trampoline_kernelINS0_14default_configENS1_25partition_config_selectorILNS1_17partition_subalgoE8EmNS0_10empty_typeEbEEZZNS1_14partition_implILS5_8ELb0ES3_jPKmPS6_PKS6_NS0_5tupleIJPmS6_EEENSE_IJSB_SB_EEENS0_18inequality_wrapperIN6hipcub16HIPCUB_304000_NS8EqualityEEEPlJS6_EEE10hipError_tPvRmT3_T4_T5_T6_T7_T9_mT8_P12ihipStream_tbDpT10_ENKUlT_T0_E_clISt17integral_constantIbLb1EES17_EEDaS12_S13_EUlS12_E_NS1_11comp_targetILNS1_3genE0ELNS1_11target_archE4294967295ELNS1_3gpuE0ELNS1_3repE0EEENS1_30default_config_static_selectorELNS0_4arch9wavefront6targetE0EEEvT1_,"axG",@progbits,_ZN7rocprim17ROCPRIM_400000_NS6detail17trampoline_kernelINS0_14default_configENS1_25partition_config_selectorILNS1_17partition_subalgoE8EmNS0_10empty_typeEbEEZZNS1_14partition_implILS5_8ELb0ES3_jPKmPS6_PKS6_NS0_5tupleIJPmS6_EEENSE_IJSB_SB_EEENS0_18inequality_wrapperIN6hipcub16HIPCUB_304000_NS8EqualityEEEPlJS6_EEE10hipError_tPvRmT3_T4_T5_T6_T7_T9_mT8_P12ihipStream_tbDpT10_ENKUlT_T0_E_clISt17integral_constantIbLb1EES17_EEDaS12_S13_EUlS12_E_NS1_11comp_targetILNS1_3genE0ELNS1_11target_archE4294967295ELNS1_3gpuE0ELNS1_3repE0EEENS1_30default_config_static_selectorELNS0_4arch9wavefront6targetE0EEEvT1_,comdat
.Lfunc_end694:
	.size	_ZN7rocprim17ROCPRIM_400000_NS6detail17trampoline_kernelINS0_14default_configENS1_25partition_config_selectorILNS1_17partition_subalgoE8EmNS0_10empty_typeEbEEZZNS1_14partition_implILS5_8ELb0ES3_jPKmPS6_PKS6_NS0_5tupleIJPmS6_EEENSE_IJSB_SB_EEENS0_18inequality_wrapperIN6hipcub16HIPCUB_304000_NS8EqualityEEEPlJS6_EEE10hipError_tPvRmT3_T4_T5_T6_T7_T9_mT8_P12ihipStream_tbDpT10_ENKUlT_T0_E_clISt17integral_constantIbLb1EES17_EEDaS12_S13_EUlS12_E_NS1_11comp_targetILNS1_3genE0ELNS1_11target_archE4294967295ELNS1_3gpuE0ELNS1_3repE0EEENS1_30default_config_static_selectorELNS0_4arch9wavefront6targetE0EEEvT1_, .Lfunc_end694-_ZN7rocprim17ROCPRIM_400000_NS6detail17trampoline_kernelINS0_14default_configENS1_25partition_config_selectorILNS1_17partition_subalgoE8EmNS0_10empty_typeEbEEZZNS1_14partition_implILS5_8ELb0ES3_jPKmPS6_PKS6_NS0_5tupleIJPmS6_EEENSE_IJSB_SB_EEENS0_18inequality_wrapperIN6hipcub16HIPCUB_304000_NS8EqualityEEEPlJS6_EEE10hipError_tPvRmT3_T4_T5_T6_T7_T9_mT8_P12ihipStream_tbDpT10_ENKUlT_T0_E_clISt17integral_constantIbLb1EES17_EEDaS12_S13_EUlS12_E_NS1_11comp_targetILNS1_3genE0ELNS1_11target_archE4294967295ELNS1_3gpuE0ELNS1_3repE0EEENS1_30default_config_static_selectorELNS0_4arch9wavefront6targetE0EEEvT1_
                                        ; -- End function
	.set _ZN7rocprim17ROCPRIM_400000_NS6detail17trampoline_kernelINS0_14default_configENS1_25partition_config_selectorILNS1_17partition_subalgoE8EmNS0_10empty_typeEbEEZZNS1_14partition_implILS5_8ELb0ES3_jPKmPS6_PKS6_NS0_5tupleIJPmS6_EEENSE_IJSB_SB_EEENS0_18inequality_wrapperIN6hipcub16HIPCUB_304000_NS8EqualityEEEPlJS6_EEE10hipError_tPvRmT3_T4_T5_T6_T7_T9_mT8_P12ihipStream_tbDpT10_ENKUlT_T0_E_clISt17integral_constantIbLb1EES17_EEDaS12_S13_EUlS12_E_NS1_11comp_targetILNS1_3genE0ELNS1_11target_archE4294967295ELNS1_3gpuE0ELNS1_3repE0EEENS1_30default_config_static_selectorELNS0_4arch9wavefront6targetE0EEEvT1_.num_vgpr, 0
	.set _ZN7rocprim17ROCPRIM_400000_NS6detail17trampoline_kernelINS0_14default_configENS1_25partition_config_selectorILNS1_17partition_subalgoE8EmNS0_10empty_typeEbEEZZNS1_14partition_implILS5_8ELb0ES3_jPKmPS6_PKS6_NS0_5tupleIJPmS6_EEENSE_IJSB_SB_EEENS0_18inequality_wrapperIN6hipcub16HIPCUB_304000_NS8EqualityEEEPlJS6_EEE10hipError_tPvRmT3_T4_T5_T6_T7_T9_mT8_P12ihipStream_tbDpT10_ENKUlT_T0_E_clISt17integral_constantIbLb1EES17_EEDaS12_S13_EUlS12_E_NS1_11comp_targetILNS1_3genE0ELNS1_11target_archE4294967295ELNS1_3gpuE0ELNS1_3repE0EEENS1_30default_config_static_selectorELNS0_4arch9wavefront6targetE0EEEvT1_.num_agpr, 0
	.set _ZN7rocprim17ROCPRIM_400000_NS6detail17trampoline_kernelINS0_14default_configENS1_25partition_config_selectorILNS1_17partition_subalgoE8EmNS0_10empty_typeEbEEZZNS1_14partition_implILS5_8ELb0ES3_jPKmPS6_PKS6_NS0_5tupleIJPmS6_EEENSE_IJSB_SB_EEENS0_18inequality_wrapperIN6hipcub16HIPCUB_304000_NS8EqualityEEEPlJS6_EEE10hipError_tPvRmT3_T4_T5_T6_T7_T9_mT8_P12ihipStream_tbDpT10_ENKUlT_T0_E_clISt17integral_constantIbLb1EES17_EEDaS12_S13_EUlS12_E_NS1_11comp_targetILNS1_3genE0ELNS1_11target_archE4294967295ELNS1_3gpuE0ELNS1_3repE0EEENS1_30default_config_static_selectorELNS0_4arch9wavefront6targetE0EEEvT1_.numbered_sgpr, 0
	.set _ZN7rocprim17ROCPRIM_400000_NS6detail17trampoline_kernelINS0_14default_configENS1_25partition_config_selectorILNS1_17partition_subalgoE8EmNS0_10empty_typeEbEEZZNS1_14partition_implILS5_8ELb0ES3_jPKmPS6_PKS6_NS0_5tupleIJPmS6_EEENSE_IJSB_SB_EEENS0_18inequality_wrapperIN6hipcub16HIPCUB_304000_NS8EqualityEEEPlJS6_EEE10hipError_tPvRmT3_T4_T5_T6_T7_T9_mT8_P12ihipStream_tbDpT10_ENKUlT_T0_E_clISt17integral_constantIbLb1EES17_EEDaS12_S13_EUlS12_E_NS1_11comp_targetILNS1_3genE0ELNS1_11target_archE4294967295ELNS1_3gpuE0ELNS1_3repE0EEENS1_30default_config_static_selectorELNS0_4arch9wavefront6targetE0EEEvT1_.num_named_barrier, 0
	.set _ZN7rocprim17ROCPRIM_400000_NS6detail17trampoline_kernelINS0_14default_configENS1_25partition_config_selectorILNS1_17partition_subalgoE8EmNS0_10empty_typeEbEEZZNS1_14partition_implILS5_8ELb0ES3_jPKmPS6_PKS6_NS0_5tupleIJPmS6_EEENSE_IJSB_SB_EEENS0_18inequality_wrapperIN6hipcub16HIPCUB_304000_NS8EqualityEEEPlJS6_EEE10hipError_tPvRmT3_T4_T5_T6_T7_T9_mT8_P12ihipStream_tbDpT10_ENKUlT_T0_E_clISt17integral_constantIbLb1EES17_EEDaS12_S13_EUlS12_E_NS1_11comp_targetILNS1_3genE0ELNS1_11target_archE4294967295ELNS1_3gpuE0ELNS1_3repE0EEENS1_30default_config_static_selectorELNS0_4arch9wavefront6targetE0EEEvT1_.private_seg_size, 0
	.set _ZN7rocprim17ROCPRIM_400000_NS6detail17trampoline_kernelINS0_14default_configENS1_25partition_config_selectorILNS1_17partition_subalgoE8EmNS0_10empty_typeEbEEZZNS1_14partition_implILS5_8ELb0ES3_jPKmPS6_PKS6_NS0_5tupleIJPmS6_EEENSE_IJSB_SB_EEENS0_18inequality_wrapperIN6hipcub16HIPCUB_304000_NS8EqualityEEEPlJS6_EEE10hipError_tPvRmT3_T4_T5_T6_T7_T9_mT8_P12ihipStream_tbDpT10_ENKUlT_T0_E_clISt17integral_constantIbLb1EES17_EEDaS12_S13_EUlS12_E_NS1_11comp_targetILNS1_3genE0ELNS1_11target_archE4294967295ELNS1_3gpuE0ELNS1_3repE0EEENS1_30default_config_static_selectorELNS0_4arch9wavefront6targetE0EEEvT1_.uses_vcc, 0
	.set _ZN7rocprim17ROCPRIM_400000_NS6detail17trampoline_kernelINS0_14default_configENS1_25partition_config_selectorILNS1_17partition_subalgoE8EmNS0_10empty_typeEbEEZZNS1_14partition_implILS5_8ELb0ES3_jPKmPS6_PKS6_NS0_5tupleIJPmS6_EEENSE_IJSB_SB_EEENS0_18inequality_wrapperIN6hipcub16HIPCUB_304000_NS8EqualityEEEPlJS6_EEE10hipError_tPvRmT3_T4_T5_T6_T7_T9_mT8_P12ihipStream_tbDpT10_ENKUlT_T0_E_clISt17integral_constantIbLb1EES17_EEDaS12_S13_EUlS12_E_NS1_11comp_targetILNS1_3genE0ELNS1_11target_archE4294967295ELNS1_3gpuE0ELNS1_3repE0EEENS1_30default_config_static_selectorELNS0_4arch9wavefront6targetE0EEEvT1_.uses_flat_scratch, 0
	.set _ZN7rocprim17ROCPRIM_400000_NS6detail17trampoline_kernelINS0_14default_configENS1_25partition_config_selectorILNS1_17partition_subalgoE8EmNS0_10empty_typeEbEEZZNS1_14partition_implILS5_8ELb0ES3_jPKmPS6_PKS6_NS0_5tupleIJPmS6_EEENSE_IJSB_SB_EEENS0_18inequality_wrapperIN6hipcub16HIPCUB_304000_NS8EqualityEEEPlJS6_EEE10hipError_tPvRmT3_T4_T5_T6_T7_T9_mT8_P12ihipStream_tbDpT10_ENKUlT_T0_E_clISt17integral_constantIbLb1EES17_EEDaS12_S13_EUlS12_E_NS1_11comp_targetILNS1_3genE0ELNS1_11target_archE4294967295ELNS1_3gpuE0ELNS1_3repE0EEENS1_30default_config_static_selectorELNS0_4arch9wavefront6targetE0EEEvT1_.has_dyn_sized_stack, 0
	.set _ZN7rocprim17ROCPRIM_400000_NS6detail17trampoline_kernelINS0_14default_configENS1_25partition_config_selectorILNS1_17partition_subalgoE8EmNS0_10empty_typeEbEEZZNS1_14partition_implILS5_8ELb0ES3_jPKmPS6_PKS6_NS0_5tupleIJPmS6_EEENSE_IJSB_SB_EEENS0_18inequality_wrapperIN6hipcub16HIPCUB_304000_NS8EqualityEEEPlJS6_EEE10hipError_tPvRmT3_T4_T5_T6_T7_T9_mT8_P12ihipStream_tbDpT10_ENKUlT_T0_E_clISt17integral_constantIbLb1EES17_EEDaS12_S13_EUlS12_E_NS1_11comp_targetILNS1_3genE0ELNS1_11target_archE4294967295ELNS1_3gpuE0ELNS1_3repE0EEENS1_30default_config_static_selectorELNS0_4arch9wavefront6targetE0EEEvT1_.has_recursion, 0
	.set _ZN7rocprim17ROCPRIM_400000_NS6detail17trampoline_kernelINS0_14default_configENS1_25partition_config_selectorILNS1_17partition_subalgoE8EmNS0_10empty_typeEbEEZZNS1_14partition_implILS5_8ELb0ES3_jPKmPS6_PKS6_NS0_5tupleIJPmS6_EEENSE_IJSB_SB_EEENS0_18inequality_wrapperIN6hipcub16HIPCUB_304000_NS8EqualityEEEPlJS6_EEE10hipError_tPvRmT3_T4_T5_T6_T7_T9_mT8_P12ihipStream_tbDpT10_ENKUlT_T0_E_clISt17integral_constantIbLb1EES17_EEDaS12_S13_EUlS12_E_NS1_11comp_targetILNS1_3genE0ELNS1_11target_archE4294967295ELNS1_3gpuE0ELNS1_3repE0EEENS1_30default_config_static_selectorELNS0_4arch9wavefront6targetE0EEEvT1_.has_indirect_call, 0
	.section	.AMDGPU.csdata,"",@progbits
; Kernel info:
; codeLenInByte = 4
; TotalNumSgprs: 0
; NumVgprs: 0
; ScratchSize: 0
; MemoryBound: 0
; FloatMode: 240
; IeeeMode: 1
; LDSByteSize: 0 bytes/workgroup (compile time only)
; SGPRBlocks: 0
; VGPRBlocks: 0
; NumSGPRsForWavesPerEU: 1
; NumVGPRsForWavesPerEU: 1
; NamedBarCnt: 0
; Occupancy: 16
; WaveLimiterHint : 0
; COMPUTE_PGM_RSRC2:SCRATCH_EN: 0
; COMPUTE_PGM_RSRC2:USER_SGPR: 2
; COMPUTE_PGM_RSRC2:TRAP_HANDLER: 0
; COMPUTE_PGM_RSRC2:TGID_X_EN: 1
; COMPUTE_PGM_RSRC2:TGID_Y_EN: 0
; COMPUTE_PGM_RSRC2:TGID_Z_EN: 0
; COMPUTE_PGM_RSRC2:TIDIG_COMP_CNT: 0
	.section	.text._ZN7rocprim17ROCPRIM_400000_NS6detail17trampoline_kernelINS0_14default_configENS1_25partition_config_selectorILNS1_17partition_subalgoE8EmNS0_10empty_typeEbEEZZNS1_14partition_implILS5_8ELb0ES3_jPKmPS6_PKS6_NS0_5tupleIJPmS6_EEENSE_IJSB_SB_EEENS0_18inequality_wrapperIN6hipcub16HIPCUB_304000_NS8EqualityEEEPlJS6_EEE10hipError_tPvRmT3_T4_T5_T6_T7_T9_mT8_P12ihipStream_tbDpT10_ENKUlT_T0_E_clISt17integral_constantIbLb1EES17_EEDaS12_S13_EUlS12_E_NS1_11comp_targetILNS1_3genE5ELNS1_11target_archE942ELNS1_3gpuE9ELNS1_3repE0EEENS1_30default_config_static_selectorELNS0_4arch9wavefront6targetE0EEEvT1_,"axG",@progbits,_ZN7rocprim17ROCPRIM_400000_NS6detail17trampoline_kernelINS0_14default_configENS1_25partition_config_selectorILNS1_17partition_subalgoE8EmNS0_10empty_typeEbEEZZNS1_14partition_implILS5_8ELb0ES3_jPKmPS6_PKS6_NS0_5tupleIJPmS6_EEENSE_IJSB_SB_EEENS0_18inequality_wrapperIN6hipcub16HIPCUB_304000_NS8EqualityEEEPlJS6_EEE10hipError_tPvRmT3_T4_T5_T6_T7_T9_mT8_P12ihipStream_tbDpT10_ENKUlT_T0_E_clISt17integral_constantIbLb1EES17_EEDaS12_S13_EUlS12_E_NS1_11comp_targetILNS1_3genE5ELNS1_11target_archE942ELNS1_3gpuE9ELNS1_3repE0EEENS1_30default_config_static_selectorELNS0_4arch9wavefront6targetE0EEEvT1_,comdat
	.protected	_ZN7rocprim17ROCPRIM_400000_NS6detail17trampoline_kernelINS0_14default_configENS1_25partition_config_selectorILNS1_17partition_subalgoE8EmNS0_10empty_typeEbEEZZNS1_14partition_implILS5_8ELb0ES3_jPKmPS6_PKS6_NS0_5tupleIJPmS6_EEENSE_IJSB_SB_EEENS0_18inequality_wrapperIN6hipcub16HIPCUB_304000_NS8EqualityEEEPlJS6_EEE10hipError_tPvRmT3_T4_T5_T6_T7_T9_mT8_P12ihipStream_tbDpT10_ENKUlT_T0_E_clISt17integral_constantIbLb1EES17_EEDaS12_S13_EUlS12_E_NS1_11comp_targetILNS1_3genE5ELNS1_11target_archE942ELNS1_3gpuE9ELNS1_3repE0EEENS1_30default_config_static_selectorELNS0_4arch9wavefront6targetE0EEEvT1_ ; -- Begin function _ZN7rocprim17ROCPRIM_400000_NS6detail17trampoline_kernelINS0_14default_configENS1_25partition_config_selectorILNS1_17partition_subalgoE8EmNS0_10empty_typeEbEEZZNS1_14partition_implILS5_8ELb0ES3_jPKmPS6_PKS6_NS0_5tupleIJPmS6_EEENSE_IJSB_SB_EEENS0_18inequality_wrapperIN6hipcub16HIPCUB_304000_NS8EqualityEEEPlJS6_EEE10hipError_tPvRmT3_T4_T5_T6_T7_T9_mT8_P12ihipStream_tbDpT10_ENKUlT_T0_E_clISt17integral_constantIbLb1EES17_EEDaS12_S13_EUlS12_E_NS1_11comp_targetILNS1_3genE5ELNS1_11target_archE942ELNS1_3gpuE9ELNS1_3repE0EEENS1_30default_config_static_selectorELNS0_4arch9wavefront6targetE0EEEvT1_
	.globl	_ZN7rocprim17ROCPRIM_400000_NS6detail17trampoline_kernelINS0_14default_configENS1_25partition_config_selectorILNS1_17partition_subalgoE8EmNS0_10empty_typeEbEEZZNS1_14partition_implILS5_8ELb0ES3_jPKmPS6_PKS6_NS0_5tupleIJPmS6_EEENSE_IJSB_SB_EEENS0_18inequality_wrapperIN6hipcub16HIPCUB_304000_NS8EqualityEEEPlJS6_EEE10hipError_tPvRmT3_T4_T5_T6_T7_T9_mT8_P12ihipStream_tbDpT10_ENKUlT_T0_E_clISt17integral_constantIbLb1EES17_EEDaS12_S13_EUlS12_E_NS1_11comp_targetILNS1_3genE5ELNS1_11target_archE942ELNS1_3gpuE9ELNS1_3repE0EEENS1_30default_config_static_selectorELNS0_4arch9wavefront6targetE0EEEvT1_
	.p2align	8
	.type	_ZN7rocprim17ROCPRIM_400000_NS6detail17trampoline_kernelINS0_14default_configENS1_25partition_config_selectorILNS1_17partition_subalgoE8EmNS0_10empty_typeEbEEZZNS1_14partition_implILS5_8ELb0ES3_jPKmPS6_PKS6_NS0_5tupleIJPmS6_EEENSE_IJSB_SB_EEENS0_18inequality_wrapperIN6hipcub16HIPCUB_304000_NS8EqualityEEEPlJS6_EEE10hipError_tPvRmT3_T4_T5_T6_T7_T9_mT8_P12ihipStream_tbDpT10_ENKUlT_T0_E_clISt17integral_constantIbLb1EES17_EEDaS12_S13_EUlS12_E_NS1_11comp_targetILNS1_3genE5ELNS1_11target_archE942ELNS1_3gpuE9ELNS1_3repE0EEENS1_30default_config_static_selectorELNS0_4arch9wavefront6targetE0EEEvT1_,@function
_ZN7rocprim17ROCPRIM_400000_NS6detail17trampoline_kernelINS0_14default_configENS1_25partition_config_selectorILNS1_17partition_subalgoE8EmNS0_10empty_typeEbEEZZNS1_14partition_implILS5_8ELb0ES3_jPKmPS6_PKS6_NS0_5tupleIJPmS6_EEENSE_IJSB_SB_EEENS0_18inequality_wrapperIN6hipcub16HIPCUB_304000_NS8EqualityEEEPlJS6_EEE10hipError_tPvRmT3_T4_T5_T6_T7_T9_mT8_P12ihipStream_tbDpT10_ENKUlT_T0_E_clISt17integral_constantIbLb1EES17_EEDaS12_S13_EUlS12_E_NS1_11comp_targetILNS1_3genE5ELNS1_11target_archE942ELNS1_3gpuE9ELNS1_3repE0EEENS1_30default_config_static_selectorELNS0_4arch9wavefront6targetE0EEEvT1_: ; @_ZN7rocprim17ROCPRIM_400000_NS6detail17trampoline_kernelINS0_14default_configENS1_25partition_config_selectorILNS1_17partition_subalgoE8EmNS0_10empty_typeEbEEZZNS1_14partition_implILS5_8ELb0ES3_jPKmPS6_PKS6_NS0_5tupleIJPmS6_EEENSE_IJSB_SB_EEENS0_18inequality_wrapperIN6hipcub16HIPCUB_304000_NS8EqualityEEEPlJS6_EEE10hipError_tPvRmT3_T4_T5_T6_T7_T9_mT8_P12ihipStream_tbDpT10_ENKUlT_T0_E_clISt17integral_constantIbLb1EES17_EEDaS12_S13_EUlS12_E_NS1_11comp_targetILNS1_3genE5ELNS1_11target_archE942ELNS1_3gpuE9ELNS1_3repE0EEENS1_30default_config_static_selectorELNS0_4arch9wavefront6targetE0EEEvT1_
; %bb.0:
	.section	.rodata,"a",@progbits
	.p2align	6, 0x0
	.amdhsa_kernel _ZN7rocprim17ROCPRIM_400000_NS6detail17trampoline_kernelINS0_14default_configENS1_25partition_config_selectorILNS1_17partition_subalgoE8EmNS0_10empty_typeEbEEZZNS1_14partition_implILS5_8ELb0ES3_jPKmPS6_PKS6_NS0_5tupleIJPmS6_EEENSE_IJSB_SB_EEENS0_18inequality_wrapperIN6hipcub16HIPCUB_304000_NS8EqualityEEEPlJS6_EEE10hipError_tPvRmT3_T4_T5_T6_T7_T9_mT8_P12ihipStream_tbDpT10_ENKUlT_T0_E_clISt17integral_constantIbLb1EES17_EEDaS12_S13_EUlS12_E_NS1_11comp_targetILNS1_3genE5ELNS1_11target_archE942ELNS1_3gpuE9ELNS1_3repE0EEENS1_30default_config_static_selectorELNS0_4arch9wavefront6targetE0EEEvT1_
		.amdhsa_group_segment_fixed_size 0
		.amdhsa_private_segment_fixed_size 0
		.amdhsa_kernarg_size 128
		.amdhsa_user_sgpr_count 2
		.amdhsa_user_sgpr_dispatch_ptr 0
		.amdhsa_user_sgpr_queue_ptr 0
		.amdhsa_user_sgpr_kernarg_segment_ptr 1
		.amdhsa_user_sgpr_dispatch_id 0
		.amdhsa_user_sgpr_kernarg_preload_length 0
		.amdhsa_user_sgpr_kernarg_preload_offset 0
		.amdhsa_user_sgpr_private_segment_size 0
		.amdhsa_wavefront_size32 1
		.amdhsa_uses_dynamic_stack 0
		.amdhsa_enable_private_segment 0
		.amdhsa_system_sgpr_workgroup_id_x 1
		.amdhsa_system_sgpr_workgroup_id_y 0
		.amdhsa_system_sgpr_workgroup_id_z 0
		.amdhsa_system_sgpr_workgroup_info 0
		.amdhsa_system_vgpr_workitem_id 0
		.amdhsa_next_free_vgpr 1
		.amdhsa_next_free_sgpr 1
		.amdhsa_named_barrier_count 0
		.amdhsa_reserve_vcc 0
		.amdhsa_float_round_mode_32 0
		.amdhsa_float_round_mode_16_64 0
		.amdhsa_float_denorm_mode_32 3
		.amdhsa_float_denorm_mode_16_64 3
		.amdhsa_fp16_overflow 0
		.amdhsa_memory_ordered 1
		.amdhsa_forward_progress 1
		.amdhsa_inst_pref_size 0
		.amdhsa_round_robin_scheduling 0
		.amdhsa_exception_fp_ieee_invalid_op 0
		.amdhsa_exception_fp_denorm_src 0
		.amdhsa_exception_fp_ieee_div_zero 0
		.amdhsa_exception_fp_ieee_overflow 0
		.amdhsa_exception_fp_ieee_underflow 0
		.amdhsa_exception_fp_ieee_inexact 0
		.amdhsa_exception_int_div_zero 0
	.end_amdhsa_kernel
	.section	.text._ZN7rocprim17ROCPRIM_400000_NS6detail17trampoline_kernelINS0_14default_configENS1_25partition_config_selectorILNS1_17partition_subalgoE8EmNS0_10empty_typeEbEEZZNS1_14partition_implILS5_8ELb0ES3_jPKmPS6_PKS6_NS0_5tupleIJPmS6_EEENSE_IJSB_SB_EEENS0_18inequality_wrapperIN6hipcub16HIPCUB_304000_NS8EqualityEEEPlJS6_EEE10hipError_tPvRmT3_T4_T5_T6_T7_T9_mT8_P12ihipStream_tbDpT10_ENKUlT_T0_E_clISt17integral_constantIbLb1EES17_EEDaS12_S13_EUlS12_E_NS1_11comp_targetILNS1_3genE5ELNS1_11target_archE942ELNS1_3gpuE9ELNS1_3repE0EEENS1_30default_config_static_selectorELNS0_4arch9wavefront6targetE0EEEvT1_,"axG",@progbits,_ZN7rocprim17ROCPRIM_400000_NS6detail17trampoline_kernelINS0_14default_configENS1_25partition_config_selectorILNS1_17partition_subalgoE8EmNS0_10empty_typeEbEEZZNS1_14partition_implILS5_8ELb0ES3_jPKmPS6_PKS6_NS0_5tupleIJPmS6_EEENSE_IJSB_SB_EEENS0_18inequality_wrapperIN6hipcub16HIPCUB_304000_NS8EqualityEEEPlJS6_EEE10hipError_tPvRmT3_T4_T5_T6_T7_T9_mT8_P12ihipStream_tbDpT10_ENKUlT_T0_E_clISt17integral_constantIbLb1EES17_EEDaS12_S13_EUlS12_E_NS1_11comp_targetILNS1_3genE5ELNS1_11target_archE942ELNS1_3gpuE9ELNS1_3repE0EEENS1_30default_config_static_selectorELNS0_4arch9wavefront6targetE0EEEvT1_,comdat
.Lfunc_end695:
	.size	_ZN7rocprim17ROCPRIM_400000_NS6detail17trampoline_kernelINS0_14default_configENS1_25partition_config_selectorILNS1_17partition_subalgoE8EmNS0_10empty_typeEbEEZZNS1_14partition_implILS5_8ELb0ES3_jPKmPS6_PKS6_NS0_5tupleIJPmS6_EEENSE_IJSB_SB_EEENS0_18inequality_wrapperIN6hipcub16HIPCUB_304000_NS8EqualityEEEPlJS6_EEE10hipError_tPvRmT3_T4_T5_T6_T7_T9_mT8_P12ihipStream_tbDpT10_ENKUlT_T0_E_clISt17integral_constantIbLb1EES17_EEDaS12_S13_EUlS12_E_NS1_11comp_targetILNS1_3genE5ELNS1_11target_archE942ELNS1_3gpuE9ELNS1_3repE0EEENS1_30default_config_static_selectorELNS0_4arch9wavefront6targetE0EEEvT1_, .Lfunc_end695-_ZN7rocprim17ROCPRIM_400000_NS6detail17trampoline_kernelINS0_14default_configENS1_25partition_config_selectorILNS1_17partition_subalgoE8EmNS0_10empty_typeEbEEZZNS1_14partition_implILS5_8ELb0ES3_jPKmPS6_PKS6_NS0_5tupleIJPmS6_EEENSE_IJSB_SB_EEENS0_18inequality_wrapperIN6hipcub16HIPCUB_304000_NS8EqualityEEEPlJS6_EEE10hipError_tPvRmT3_T4_T5_T6_T7_T9_mT8_P12ihipStream_tbDpT10_ENKUlT_T0_E_clISt17integral_constantIbLb1EES17_EEDaS12_S13_EUlS12_E_NS1_11comp_targetILNS1_3genE5ELNS1_11target_archE942ELNS1_3gpuE9ELNS1_3repE0EEENS1_30default_config_static_selectorELNS0_4arch9wavefront6targetE0EEEvT1_
                                        ; -- End function
	.set _ZN7rocprim17ROCPRIM_400000_NS6detail17trampoline_kernelINS0_14default_configENS1_25partition_config_selectorILNS1_17partition_subalgoE8EmNS0_10empty_typeEbEEZZNS1_14partition_implILS5_8ELb0ES3_jPKmPS6_PKS6_NS0_5tupleIJPmS6_EEENSE_IJSB_SB_EEENS0_18inequality_wrapperIN6hipcub16HIPCUB_304000_NS8EqualityEEEPlJS6_EEE10hipError_tPvRmT3_T4_T5_T6_T7_T9_mT8_P12ihipStream_tbDpT10_ENKUlT_T0_E_clISt17integral_constantIbLb1EES17_EEDaS12_S13_EUlS12_E_NS1_11comp_targetILNS1_3genE5ELNS1_11target_archE942ELNS1_3gpuE9ELNS1_3repE0EEENS1_30default_config_static_selectorELNS0_4arch9wavefront6targetE0EEEvT1_.num_vgpr, 0
	.set _ZN7rocprim17ROCPRIM_400000_NS6detail17trampoline_kernelINS0_14default_configENS1_25partition_config_selectorILNS1_17partition_subalgoE8EmNS0_10empty_typeEbEEZZNS1_14partition_implILS5_8ELb0ES3_jPKmPS6_PKS6_NS0_5tupleIJPmS6_EEENSE_IJSB_SB_EEENS0_18inequality_wrapperIN6hipcub16HIPCUB_304000_NS8EqualityEEEPlJS6_EEE10hipError_tPvRmT3_T4_T5_T6_T7_T9_mT8_P12ihipStream_tbDpT10_ENKUlT_T0_E_clISt17integral_constantIbLb1EES17_EEDaS12_S13_EUlS12_E_NS1_11comp_targetILNS1_3genE5ELNS1_11target_archE942ELNS1_3gpuE9ELNS1_3repE0EEENS1_30default_config_static_selectorELNS0_4arch9wavefront6targetE0EEEvT1_.num_agpr, 0
	.set _ZN7rocprim17ROCPRIM_400000_NS6detail17trampoline_kernelINS0_14default_configENS1_25partition_config_selectorILNS1_17partition_subalgoE8EmNS0_10empty_typeEbEEZZNS1_14partition_implILS5_8ELb0ES3_jPKmPS6_PKS6_NS0_5tupleIJPmS6_EEENSE_IJSB_SB_EEENS0_18inequality_wrapperIN6hipcub16HIPCUB_304000_NS8EqualityEEEPlJS6_EEE10hipError_tPvRmT3_T4_T5_T6_T7_T9_mT8_P12ihipStream_tbDpT10_ENKUlT_T0_E_clISt17integral_constantIbLb1EES17_EEDaS12_S13_EUlS12_E_NS1_11comp_targetILNS1_3genE5ELNS1_11target_archE942ELNS1_3gpuE9ELNS1_3repE0EEENS1_30default_config_static_selectorELNS0_4arch9wavefront6targetE0EEEvT1_.numbered_sgpr, 0
	.set _ZN7rocprim17ROCPRIM_400000_NS6detail17trampoline_kernelINS0_14default_configENS1_25partition_config_selectorILNS1_17partition_subalgoE8EmNS0_10empty_typeEbEEZZNS1_14partition_implILS5_8ELb0ES3_jPKmPS6_PKS6_NS0_5tupleIJPmS6_EEENSE_IJSB_SB_EEENS0_18inequality_wrapperIN6hipcub16HIPCUB_304000_NS8EqualityEEEPlJS6_EEE10hipError_tPvRmT3_T4_T5_T6_T7_T9_mT8_P12ihipStream_tbDpT10_ENKUlT_T0_E_clISt17integral_constantIbLb1EES17_EEDaS12_S13_EUlS12_E_NS1_11comp_targetILNS1_3genE5ELNS1_11target_archE942ELNS1_3gpuE9ELNS1_3repE0EEENS1_30default_config_static_selectorELNS0_4arch9wavefront6targetE0EEEvT1_.num_named_barrier, 0
	.set _ZN7rocprim17ROCPRIM_400000_NS6detail17trampoline_kernelINS0_14default_configENS1_25partition_config_selectorILNS1_17partition_subalgoE8EmNS0_10empty_typeEbEEZZNS1_14partition_implILS5_8ELb0ES3_jPKmPS6_PKS6_NS0_5tupleIJPmS6_EEENSE_IJSB_SB_EEENS0_18inequality_wrapperIN6hipcub16HIPCUB_304000_NS8EqualityEEEPlJS6_EEE10hipError_tPvRmT3_T4_T5_T6_T7_T9_mT8_P12ihipStream_tbDpT10_ENKUlT_T0_E_clISt17integral_constantIbLb1EES17_EEDaS12_S13_EUlS12_E_NS1_11comp_targetILNS1_3genE5ELNS1_11target_archE942ELNS1_3gpuE9ELNS1_3repE0EEENS1_30default_config_static_selectorELNS0_4arch9wavefront6targetE0EEEvT1_.private_seg_size, 0
	.set _ZN7rocprim17ROCPRIM_400000_NS6detail17trampoline_kernelINS0_14default_configENS1_25partition_config_selectorILNS1_17partition_subalgoE8EmNS0_10empty_typeEbEEZZNS1_14partition_implILS5_8ELb0ES3_jPKmPS6_PKS6_NS0_5tupleIJPmS6_EEENSE_IJSB_SB_EEENS0_18inequality_wrapperIN6hipcub16HIPCUB_304000_NS8EqualityEEEPlJS6_EEE10hipError_tPvRmT3_T4_T5_T6_T7_T9_mT8_P12ihipStream_tbDpT10_ENKUlT_T0_E_clISt17integral_constantIbLb1EES17_EEDaS12_S13_EUlS12_E_NS1_11comp_targetILNS1_3genE5ELNS1_11target_archE942ELNS1_3gpuE9ELNS1_3repE0EEENS1_30default_config_static_selectorELNS0_4arch9wavefront6targetE0EEEvT1_.uses_vcc, 0
	.set _ZN7rocprim17ROCPRIM_400000_NS6detail17trampoline_kernelINS0_14default_configENS1_25partition_config_selectorILNS1_17partition_subalgoE8EmNS0_10empty_typeEbEEZZNS1_14partition_implILS5_8ELb0ES3_jPKmPS6_PKS6_NS0_5tupleIJPmS6_EEENSE_IJSB_SB_EEENS0_18inequality_wrapperIN6hipcub16HIPCUB_304000_NS8EqualityEEEPlJS6_EEE10hipError_tPvRmT3_T4_T5_T6_T7_T9_mT8_P12ihipStream_tbDpT10_ENKUlT_T0_E_clISt17integral_constantIbLb1EES17_EEDaS12_S13_EUlS12_E_NS1_11comp_targetILNS1_3genE5ELNS1_11target_archE942ELNS1_3gpuE9ELNS1_3repE0EEENS1_30default_config_static_selectorELNS0_4arch9wavefront6targetE0EEEvT1_.uses_flat_scratch, 0
	.set _ZN7rocprim17ROCPRIM_400000_NS6detail17trampoline_kernelINS0_14default_configENS1_25partition_config_selectorILNS1_17partition_subalgoE8EmNS0_10empty_typeEbEEZZNS1_14partition_implILS5_8ELb0ES3_jPKmPS6_PKS6_NS0_5tupleIJPmS6_EEENSE_IJSB_SB_EEENS0_18inequality_wrapperIN6hipcub16HIPCUB_304000_NS8EqualityEEEPlJS6_EEE10hipError_tPvRmT3_T4_T5_T6_T7_T9_mT8_P12ihipStream_tbDpT10_ENKUlT_T0_E_clISt17integral_constantIbLb1EES17_EEDaS12_S13_EUlS12_E_NS1_11comp_targetILNS1_3genE5ELNS1_11target_archE942ELNS1_3gpuE9ELNS1_3repE0EEENS1_30default_config_static_selectorELNS0_4arch9wavefront6targetE0EEEvT1_.has_dyn_sized_stack, 0
	.set _ZN7rocprim17ROCPRIM_400000_NS6detail17trampoline_kernelINS0_14default_configENS1_25partition_config_selectorILNS1_17partition_subalgoE8EmNS0_10empty_typeEbEEZZNS1_14partition_implILS5_8ELb0ES3_jPKmPS6_PKS6_NS0_5tupleIJPmS6_EEENSE_IJSB_SB_EEENS0_18inequality_wrapperIN6hipcub16HIPCUB_304000_NS8EqualityEEEPlJS6_EEE10hipError_tPvRmT3_T4_T5_T6_T7_T9_mT8_P12ihipStream_tbDpT10_ENKUlT_T0_E_clISt17integral_constantIbLb1EES17_EEDaS12_S13_EUlS12_E_NS1_11comp_targetILNS1_3genE5ELNS1_11target_archE942ELNS1_3gpuE9ELNS1_3repE0EEENS1_30default_config_static_selectorELNS0_4arch9wavefront6targetE0EEEvT1_.has_recursion, 0
	.set _ZN7rocprim17ROCPRIM_400000_NS6detail17trampoline_kernelINS0_14default_configENS1_25partition_config_selectorILNS1_17partition_subalgoE8EmNS0_10empty_typeEbEEZZNS1_14partition_implILS5_8ELb0ES3_jPKmPS6_PKS6_NS0_5tupleIJPmS6_EEENSE_IJSB_SB_EEENS0_18inequality_wrapperIN6hipcub16HIPCUB_304000_NS8EqualityEEEPlJS6_EEE10hipError_tPvRmT3_T4_T5_T6_T7_T9_mT8_P12ihipStream_tbDpT10_ENKUlT_T0_E_clISt17integral_constantIbLb1EES17_EEDaS12_S13_EUlS12_E_NS1_11comp_targetILNS1_3genE5ELNS1_11target_archE942ELNS1_3gpuE9ELNS1_3repE0EEENS1_30default_config_static_selectorELNS0_4arch9wavefront6targetE0EEEvT1_.has_indirect_call, 0
	.section	.AMDGPU.csdata,"",@progbits
; Kernel info:
; codeLenInByte = 0
; TotalNumSgprs: 0
; NumVgprs: 0
; ScratchSize: 0
; MemoryBound: 0
; FloatMode: 240
; IeeeMode: 1
; LDSByteSize: 0 bytes/workgroup (compile time only)
; SGPRBlocks: 0
; VGPRBlocks: 0
; NumSGPRsForWavesPerEU: 1
; NumVGPRsForWavesPerEU: 1
; NamedBarCnt: 0
; Occupancy: 16
; WaveLimiterHint : 0
; COMPUTE_PGM_RSRC2:SCRATCH_EN: 0
; COMPUTE_PGM_RSRC2:USER_SGPR: 2
; COMPUTE_PGM_RSRC2:TRAP_HANDLER: 0
; COMPUTE_PGM_RSRC2:TGID_X_EN: 1
; COMPUTE_PGM_RSRC2:TGID_Y_EN: 0
; COMPUTE_PGM_RSRC2:TGID_Z_EN: 0
; COMPUTE_PGM_RSRC2:TIDIG_COMP_CNT: 0
	.section	.text._ZN7rocprim17ROCPRIM_400000_NS6detail17trampoline_kernelINS0_14default_configENS1_25partition_config_selectorILNS1_17partition_subalgoE8EmNS0_10empty_typeEbEEZZNS1_14partition_implILS5_8ELb0ES3_jPKmPS6_PKS6_NS0_5tupleIJPmS6_EEENSE_IJSB_SB_EEENS0_18inequality_wrapperIN6hipcub16HIPCUB_304000_NS8EqualityEEEPlJS6_EEE10hipError_tPvRmT3_T4_T5_T6_T7_T9_mT8_P12ihipStream_tbDpT10_ENKUlT_T0_E_clISt17integral_constantIbLb1EES17_EEDaS12_S13_EUlS12_E_NS1_11comp_targetILNS1_3genE4ELNS1_11target_archE910ELNS1_3gpuE8ELNS1_3repE0EEENS1_30default_config_static_selectorELNS0_4arch9wavefront6targetE0EEEvT1_,"axG",@progbits,_ZN7rocprim17ROCPRIM_400000_NS6detail17trampoline_kernelINS0_14default_configENS1_25partition_config_selectorILNS1_17partition_subalgoE8EmNS0_10empty_typeEbEEZZNS1_14partition_implILS5_8ELb0ES3_jPKmPS6_PKS6_NS0_5tupleIJPmS6_EEENSE_IJSB_SB_EEENS0_18inequality_wrapperIN6hipcub16HIPCUB_304000_NS8EqualityEEEPlJS6_EEE10hipError_tPvRmT3_T4_T5_T6_T7_T9_mT8_P12ihipStream_tbDpT10_ENKUlT_T0_E_clISt17integral_constantIbLb1EES17_EEDaS12_S13_EUlS12_E_NS1_11comp_targetILNS1_3genE4ELNS1_11target_archE910ELNS1_3gpuE8ELNS1_3repE0EEENS1_30default_config_static_selectorELNS0_4arch9wavefront6targetE0EEEvT1_,comdat
	.protected	_ZN7rocprim17ROCPRIM_400000_NS6detail17trampoline_kernelINS0_14default_configENS1_25partition_config_selectorILNS1_17partition_subalgoE8EmNS0_10empty_typeEbEEZZNS1_14partition_implILS5_8ELb0ES3_jPKmPS6_PKS6_NS0_5tupleIJPmS6_EEENSE_IJSB_SB_EEENS0_18inequality_wrapperIN6hipcub16HIPCUB_304000_NS8EqualityEEEPlJS6_EEE10hipError_tPvRmT3_T4_T5_T6_T7_T9_mT8_P12ihipStream_tbDpT10_ENKUlT_T0_E_clISt17integral_constantIbLb1EES17_EEDaS12_S13_EUlS12_E_NS1_11comp_targetILNS1_3genE4ELNS1_11target_archE910ELNS1_3gpuE8ELNS1_3repE0EEENS1_30default_config_static_selectorELNS0_4arch9wavefront6targetE0EEEvT1_ ; -- Begin function _ZN7rocprim17ROCPRIM_400000_NS6detail17trampoline_kernelINS0_14default_configENS1_25partition_config_selectorILNS1_17partition_subalgoE8EmNS0_10empty_typeEbEEZZNS1_14partition_implILS5_8ELb0ES3_jPKmPS6_PKS6_NS0_5tupleIJPmS6_EEENSE_IJSB_SB_EEENS0_18inequality_wrapperIN6hipcub16HIPCUB_304000_NS8EqualityEEEPlJS6_EEE10hipError_tPvRmT3_T4_T5_T6_T7_T9_mT8_P12ihipStream_tbDpT10_ENKUlT_T0_E_clISt17integral_constantIbLb1EES17_EEDaS12_S13_EUlS12_E_NS1_11comp_targetILNS1_3genE4ELNS1_11target_archE910ELNS1_3gpuE8ELNS1_3repE0EEENS1_30default_config_static_selectorELNS0_4arch9wavefront6targetE0EEEvT1_
	.globl	_ZN7rocprim17ROCPRIM_400000_NS6detail17trampoline_kernelINS0_14default_configENS1_25partition_config_selectorILNS1_17partition_subalgoE8EmNS0_10empty_typeEbEEZZNS1_14partition_implILS5_8ELb0ES3_jPKmPS6_PKS6_NS0_5tupleIJPmS6_EEENSE_IJSB_SB_EEENS0_18inequality_wrapperIN6hipcub16HIPCUB_304000_NS8EqualityEEEPlJS6_EEE10hipError_tPvRmT3_T4_T5_T6_T7_T9_mT8_P12ihipStream_tbDpT10_ENKUlT_T0_E_clISt17integral_constantIbLb1EES17_EEDaS12_S13_EUlS12_E_NS1_11comp_targetILNS1_3genE4ELNS1_11target_archE910ELNS1_3gpuE8ELNS1_3repE0EEENS1_30default_config_static_selectorELNS0_4arch9wavefront6targetE0EEEvT1_
	.p2align	8
	.type	_ZN7rocprim17ROCPRIM_400000_NS6detail17trampoline_kernelINS0_14default_configENS1_25partition_config_selectorILNS1_17partition_subalgoE8EmNS0_10empty_typeEbEEZZNS1_14partition_implILS5_8ELb0ES3_jPKmPS6_PKS6_NS0_5tupleIJPmS6_EEENSE_IJSB_SB_EEENS0_18inequality_wrapperIN6hipcub16HIPCUB_304000_NS8EqualityEEEPlJS6_EEE10hipError_tPvRmT3_T4_T5_T6_T7_T9_mT8_P12ihipStream_tbDpT10_ENKUlT_T0_E_clISt17integral_constantIbLb1EES17_EEDaS12_S13_EUlS12_E_NS1_11comp_targetILNS1_3genE4ELNS1_11target_archE910ELNS1_3gpuE8ELNS1_3repE0EEENS1_30default_config_static_selectorELNS0_4arch9wavefront6targetE0EEEvT1_,@function
_ZN7rocprim17ROCPRIM_400000_NS6detail17trampoline_kernelINS0_14default_configENS1_25partition_config_selectorILNS1_17partition_subalgoE8EmNS0_10empty_typeEbEEZZNS1_14partition_implILS5_8ELb0ES3_jPKmPS6_PKS6_NS0_5tupleIJPmS6_EEENSE_IJSB_SB_EEENS0_18inequality_wrapperIN6hipcub16HIPCUB_304000_NS8EqualityEEEPlJS6_EEE10hipError_tPvRmT3_T4_T5_T6_T7_T9_mT8_P12ihipStream_tbDpT10_ENKUlT_T0_E_clISt17integral_constantIbLb1EES17_EEDaS12_S13_EUlS12_E_NS1_11comp_targetILNS1_3genE4ELNS1_11target_archE910ELNS1_3gpuE8ELNS1_3repE0EEENS1_30default_config_static_selectorELNS0_4arch9wavefront6targetE0EEEvT1_: ; @_ZN7rocprim17ROCPRIM_400000_NS6detail17trampoline_kernelINS0_14default_configENS1_25partition_config_selectorILNS1_17partition_subalgoE8EmNS0_10empty_typeEbEEZZNS1_14partition_implILS5_8ELb0ES3_jPKmPS6_PKS6_NS0_5tupleIJPmS6_EEENSE_IJSB_SB_EEENS0_18inequality_wrapperIN6hipcub16HIPCUB_304000_NS8EqualityEEEPlJS6_EEE10hipError_tPvRmT3_T4_T5_T6_T7_T9_mT8_P12ihipStream_tbDpT10_ENKUlT_T0_E_clISt17integral_constantIbLb1EES17_EEDaS12_S13_EUlS12_E_NS1_11comp_targetILNS1_3genE4ELNS1_11target_archE910ELNS1_3gpuE8ELNS1_3repE0EEENS1_30default_config_static_selectorELNS0_4arch9wavefront6targetE0EEEvT1_
; %bb.0:
	.section	.rodata,"a",@progbits
	.p2align	6, 0x0
	.amdhsa_kernel _ZN7rocprim17ROCPRIM_400000_NS6detail17trampoline_kernelINS0_14default_configENS1_25partition_config_selectorILNS1_17partition_subalgoE8EmNS0_10empty_typeEbEEZZNS1_14partition_implILS5_8ELb0ES3_jPKmPS6_PKS6_NS0_5tupleIJPmS6_EEENSE_IJSB_SB_EEENS0_18inequality_wrapperIN6hipcub16HIPCUB_304000_NS8EqualityEEEPlJS6_EEE10hipError_tPvRmT3_T4_T5_T6_T7_T9_mT8_P12ihipStream_tbDpT10_ENKUlT_T0_E_clISt17integral_constantIbLb1EES17_EEDaS12_S13_EUlS12_E_NS1_11comp_targetILNS1_3genE4ELNS1_11target_archE910ELNS1_3gpuE8ELNS1_3repE0EEENS1_30default_config_static_selectorELNS0_4arch9wavefront6targetE0EEEvT1_
		.amdhsa_group_segment_fixed_size 0
		.amdhsa_private_segment_fixed_size 0
		.amdhsa_kernarg_size 128
		.amdhsa_user_sgpr_count 2
		.amdhsa_user_sgpr_dispatch_ptr 0
		.amdhsa_user_sgpr_queue_ptr 0
		.amdhsa_user_sgpr_kernarg_segment_ptr 1
		.amdhsa_user_sgpr_dispatch_id 0
		.amdhsa_user_sgpr_kernarg_preload_length 0
		.amdhsa_user_sgpr_kernarg_preload_offset 0
		.amdhsa_user_sgpr_private_segment_size 0
		.amdhsa_wavefront_size32 1
		.amdhsa_uses_dynamic_stack 0
		.amdhsa_enable_private_segment 0
		.amdhsa_system_sgpr_workgroup_id_x 1
		.amdhsa_system_sgpr_workgroup_id_y 0
		.amdhsa_system_sgpr_workgroup_id_z 0
		.amdhsa_system_sgpr_workgroup_info 0
		.amdhsa_system_vgpr_workitem_id 0
		.amdhsa_next_free_vgpr 1
		.amdhsa_next_free_sgpr 1
		.amdhsa_named_barrier_count 0
		.amdhsa_reserve_vcc 0
		.amdhsa_float_round_mode_32 0
		.amdhsa_float_round_mode_16_64 0
		.amdhsa_float_denorm_mode_32 3
		.amdhsa_float_denorm_mode_16_64 3
		.amdhsa_fp16_overflow 0
		.amdhsa_memory_ordered 1
		.amdhsa_forward_progress 1
		.amdhsa_inst_pref_size 0
		.amdhsa_round_robin_scheduling 0
		.amdhsa_exception_fp_ieee_invalid_op 0
		.amdhsa_exception_fp_denorm_src 0
		.amdhsa_exception_fp_ieee_div_zero 0
		.amdhsa_exception_fp_ieee_overflow 0
		.amdhsa_exception_fp_ieee_underflow 0
		.amdhsa_exception_fp_ieee_inexact 0
		.amdhsa_exception_int_div_zero 0
	.end_amdhsa_kernel
	.section	.text._ZN7rocprim17ROCPRIM_400000_NS6detail17trampoline_kernelINS0_14default_configENS1_25partition_config_selectorILNS1_17partition_subalgoE8EmNS0_10empty_typeEbEEZZNS1_14partition_implILS5_8ELb0ES3_jPKmPS6_PKS6_NS0_5tupleIJPmS6_EEENSE_IJSB_SB_EEENS0_18inequality_wrapperIN6hipcub16HIPCUB_304000_NS8EqualityEEEPlJS6_EEE10hipError_tPvRmT3_T4_T5_T6_T7_T9_mT8_P12ihipStream_tbDpT10_ENKUlT_T0_E_clISt17integral_constantIbLb1EES17_EEDaS12_S13_EUlS12_E_NS1_11comp_targetILNS1_3genE4ELNS1_11target_archE910ELNS1_3gpuE8ELNS1_3repE0EEENS1_30default_config_static_selectorELNS0_4arch9wavefront6targetE0EEEvT1_,"axG",@progbits,_ZN7rocprim17ROCPRIM_400000_NS6detail17trampoline_kernelINS0_14default_configENS1_25partition_config_selectorILNS1_17partition_subalgoE8EmNS0_10empty_typeEbEEZZNS1_14partition_implILS5_8ELb0ES3_jPKmPS6_PKS6_NS0_5tupleIJPmS6_EEENSE_IJSB_SB_EEENS0_18inequality_wrapperIN6hipcub16HIPCUB_304000_NS8EqualityEEEPlJS6_EEE10hipError_tPvRmT3_T4_T5_T6_T7_T9_mT8_P12ihipStream_tbDpT10_ENKUlT_T0_E_clISt17integral_constantIbLb1EES17_EEDaS12_S13_EUlS12_E_NS1_11comp_targetILNS1_3genE4ELNS1_11target_archE910ELNS1_3gpuE8ELNS1_3repE0EEENS1_30default_config_static_selectorELNS0_4arch9wavefront6targetE0EEEvT1_,comdat
.Lfunc_end696:
	.size	_ZN7rocprim17ROCPRIM_400000_NS6detail17trampoline_kernelINS0_14default_configENS1_25partition_config_selectorILNS1_17partition_subalgoE8EmNS0_10empty_typeEbEEZZNS1_14partition_implILS5_8ELb0ES3_jPKmPS6_PKS6_NS0_5tupleIJPmS6_EEENSE_IJSB_SB_EEENS0_18inequality_wrapperIN6hipcub16HIPCUB_304000_NS8EqualityEEEPlJS6_EEE10hipError_tPvRmT3_T4_T5_T6_T7_T9_mT8_P12ihipStream_tbDpT10_ENKUlT_T0_E_clISt17integral_constantIbLb1EES17_EEDaS12_S13_EUlS12_E_NS1_11comp_targetILNS1_3genE4ELNS1_11target_archE910ELNS1_3gpuE8ELNS1_3repE0EEENS1_30default_config_static_selectorELNS0_4arch9wavefront6targetE0EEEvT1_, .Lfunc_end696-_ZN7rocprim17ROCPRIM_400000_NS6detail17trampoline_kernelINS0_14default_configENS1_25partition_config_selectorILNS1_17partition_subalgoE8EmNS0_10empty_typeEbEEZZNS1_14partition_implILS5_8ELb0ES3_jPKmPS6_PKS6_NS0_5tupleIJPmS6_EEENSE_IJSB_SB_EEENS0_18inequality_wrapperIN6hipcub16HIPCUB_304000_NS8EqualityEEEPlJS6_EEE10hipError_tPvRmT3_T4_T5_T6_T7_T9_mT8_P12ihipStream_tbDpT10_ENKUlT_T0_E_clISt17integral_constantIbLb1EES17_EEDaS12_S13_EUlS12_E_NS1_11comp_targetILNS1_3genE4ELNS1_11target_archE910ELNS1_3gpuE8ELNS1_3repE0EEENS1_30default_config_static_selectorELNS0_4arch9wavefront6targetE0EEEvT1_
                                        ; -- End function
	.set _ZN7rocprim17ROCPRIM_400000_NS6detail17trampoline_kernelINS0_14default_configENS1_25partition_config_selectorILNS1_17partition_subalgoE8EmNS0_10empty_typeEbEEZZNS1_14partition_implILS5_8ELb0ES3_jPKmPS6_PKS6_NS0_5tupleIJPmS6_EEENSE_IJSB_SB_EEENS0_18inequality_wrapperIN6hipcub16HIPCUB_304000_NS8EqualityEEEPlJS6_EEE10hipError_tPvRmT3_T4_T5_T6_T7_T9_mT8_P12ihipStream_tbDpT10_ENKUlT_T0_E_clISt17integral_constantIbLb1EES17_EEDaS12_S13_EUlS12_E_NS1_11comp_targetILNS1_3genE4ELNS1_11target_archE910ELNS1_3gpuE8ELNS1_3repE0EEENS1_30default_config_static_selectorELNS0_4arch9wavefront6targetE0EEEvT1_.num_vgpr, 0
	.set _ZN7rocprim17ROCPRIM_400000_NS6detail17trampoline_kernelINS0_14default_configENS1_25partition_config_selectorILNS1_17partition_subalgoE8EmNS0_10empty_typeEbEEZZNS1_14partition_implILS5_8ELb0ES3_jPKmPS6_PKS6_NS0_5tupleIJPmS6_EEENSE_IJSB_SB_EEENS0_18inequality_wrapperIN6hipcub16HIPCUB_304000_NS8EqualityEEEPlJS6_EEE10hipError_tPvRmT3_T4_T5_T6_T7_T9_mT8_P12ihipStream_tbDpT10_ENKUlT_T0_E_clISt17integral_constantIbLb1EES17_EEDaS12_S13_EUlS12_E_NS1_11comp_targetILNS1_3genE4ELNS1_11target_archE910ELNS1_3gpuE8ELNS1_3repE0EEENS1_30default_config_static_selectorELNS0_4arch9wavefront6targetE0EEEvT1_.num_agpr, 0
	.set _ZN7rocprim17ROCPRIM_400000_NS6detail17trampoline_kernelINS0_14default_configENS1_25partition_config_selectorILNS1_17partition_subalgoE8EmNS0_10empty_typeEbEEZZNS1_14partition_implILS5_8ELb0ES3_jPKmPS6_PKS6_NS0_5tupleIJPmS6_EEENSE_IJSB_SB_EEENS0_18inequality_wrapperIN6hipcub16HIPCUB_304000_NS8EqualityEEEPlJS6_EEE10hipError_tPvRmT3_T4_T5_T6_T7_T9_mT8_P12ihipStream_tbDpT10_ENKUlT_T0_E_clISt17integral_constantIbLb1EES17_EEDaS12_S13_EUlS12_E_NS1_11comp_targetILNS1_3genE4ELNS1_11target_archE910ELNS1_3gpuE8ELNS1_3repE0EEENS1_30default_config_static_selectorELNS0_4arch9wavefront6targetE0EEEvT1_.numbered_sgpr, 0
	.set _ZN7rocprim17ROCPRIM_400000_NS6detail17trampoline_kernelINS0_14default_configENS1_25partition_config_selectorILNS1_17partition_subalgoE8EmNS0_10empty_typeEbEEZZNS1_14partition_implILS5_8ELb0ES3_jPKmPS6_PKS6_NS0_5tupleIJPmS6_EEENSE_IJSB_SB_EEENS0_18inequality_wrapperIN6hipcub16HIPCUB_304000_NS8EqualityEEEPlJS6_EEE10hipError_tPvRmT3_T4_T5_T6_T7_T9_mT8_P12ihipStream_tbDpT10_ENKUlT_T0_E_clISt17integral_constantIbLb1EES17_EEDaS12_S13_EUlS12_E_NS1_11comp_targetILNS1_3genE4ELNS1_11target_archE910ELNS1_3gpuE8ELNS1_3repE0EEENS1_30default_config_static_selectorELNS0_4arch9wavefront6targetE0EEEvT1_.num_named_barrier, 0
	.set _ZN7rocprim17ROCPRIM_400000_NS6detail17trampoline_kernelINS0_14default_configENS1_25partition_config_selectorILNS1_17partition_subalgoE8EmNS0_10empty_typeEbEEZZNS1_14partition_implILS5_8ELb0ES3_jPKmPS6_PKS6_NS0_5tupleIJPmS6_EEENSE_IJSB_SB_EEENS0_18inequality_wrapperIN6hipcub16HIPCUB_304000_NS8EqualityEEEPlJS6_EEE10hipError_tPvRmT3_T4_T5_T6_T7_T9_mT8_P12ihipStream_tbDpT10_ENKUlT_T0_E_clISt17integral_constantIbLb1EES17_EEDaS12_S13_EUlS12_E_NS1_11comp_targetILNS1_3genE4ELNS1_11target_archE910ELNS1_3gpuE8ELNS1_3repE0EEENS1_30default_config_static_selectorELNS0_4arch9wavefront6targetE0EEEvT1_.private_seg_size, 0
	.set _ZN7rocprim17ROCPRIM_400000_NS6detail17trampoline_kernelINS0_14default_configENS1_25partition_config_selectorILNS1_17partition_subalgoE8EmNS0_10empty_typeEbEEZZNS1_14partition_implILS5_8ELb0ES3_jPKmPS6_PKS6_NS0_5tupleIJPmS6_EEENSE_IJSB_SB_EEENS0_18inequality_wrapperIN6hipcub16HIPCUB_304000_NS8EqualityEEEPlJS6_EEE10hipError_tPvRmT3_T4_T5_T6_T7_T9_mT8_P12ihipStream_tbDpT10_ENKUlT_T0_E_clISt17integral_constantIbLb1EES17_EEDaS12_S13_EUlS12_E_NS1_11comp_targetILNS1_3genE4ELNS1_11target_archE910ELNS1_3gpuE8ELNS1_3repE0EEENS1_30default_config_static_selectorELNS0_4arch9wavefront6targetE0EEEvT1_.uses_vcc, 0
	.set _ZN7rocprim17ROCPRIM_400000_NS6detail17trampoline_kernelINS0_14default_configENS1_25partition_config_selectorILNS1_17partition_subalgoE8EmNS0_10empty_typeEbEEZZNS1_14partition_implILS5_8ELb0ES3_jPKmPS6_PKS6_NS0_5tupleIJPmS6_EEENSE_IJSB_SB_EEENS0_18inequality_wrapperIN6hipcub16HIPCUB_304000_NS8EqualityEEEPlJS6_EEE10hipError_tPvRmT3_T4_T5_T6_T7_T9_mT8_P12ihipStream_tbDpT10_ENKUlT_T0_E_clISt17integral_constantIbLb1EES17_EEDaS12_S13_EUlS12_E_NS1_11comp_targetILNS1_3genE4ELNS1_11target_archE910ELNS1_3gpuE8ELNS1_3repE0EEENS1_30default_config_static_selectorELNS0_4arch9wavefront6targetE0EEEvT1_.uses_flat_scratch, 0
	.set _ZN7rocprim17ROCPRIM_400000_NS6detail17trampoline_kernelINS0_14default_configENS1_25partition_config_selectorILNS1_17partition_subalgoE8EmNS0_10empty_typeEbEEZZNS1_14partition_implILS5_8ELb0ES3_jPKmPS6_PKS6_NS0_5tupleIJPmS6_EEENSE_IJSB_SB_EEENS0_18inequality_wrapperIN6hipcub16HIPCUB_304000_NS8EqualityEEEPlJS6_EEE10hipError_tPvRmT3_T4_T5_T6_T7_T9_mT8_P12ihipStream_tbDpT10_ENKUlT_T0_E_clISt17integral_constantIbLb1EES17_EEDaS12_S13_EUlS12_E_NS1_11comp_targetILNS1_3genE4ELNS1_11target_archE910ELNS1_3gpuE8ELNS1_3repE0EEENS1_30default_config_static_selectorELNS0_4arch9wavefront6targetE0EEEvT1_.has_dyn_sized_stack, 0
	.set _ZN7rocprim17ROCPRIM_400000_NS6detail17trampoline_kernelINS0_14default_configENS1_25partition_config_selectorILNS1_17partition_subalgoE8EmNS0_10empty_typeEbEEZZNS1_14partition_implILS5_8ELb0ES3_jPKmPS6_PKS6_NS0_5tupleIJPmS6_EEENSE_IJSB_SB_EEENS0_18inequality_wrapperIN6hipcub16HIPCUB_304000_NS8EqualityEEEPlJS6_EEE10hipError_tPvRmT3_T4_T5_T6_T7_T9_mT8_P12ihipStream_tbDpT10_ENKUlT_T0_E_clISt17integral_constantIbLb1EES17_EEDaS12_S13_EUlS12_E_NS1_11comp_targetILNS1_3genE4ELNS1_11target_archE910ELNS1_3gpuE8ELNS1_3repE0EEENS1_30default_config_static_selectorELNS0_4arch9wavefront6targetE0EEEvT1_.has_recursion, 0
	.set _ZN7rocprim17ROCPRIM_400000_NS6detail17trampoline_kernelINS0_14default_configENS1_25partition_config_selectorILNS1_17partition_subalgoE8EmNS0_10empty_typeEbEEZZNS1_14partition_implILS5_8ELb0ES3_jPKmPS6_PKS6_NS0_5tupleIJPmS6_EEENSE_IJSB_SB_EEENS0_18inequality_wrapperIN6hipcub16HIPCUB_304000_NS8EqualityEEEPlJS6_EEE10hipError_tPvRmT3_T4_T5_T6_T7_T9_mT8_P12ihipStream_tbDpT10_ENKUlT_T0_E_clISt17integral_constantIbLb1EES17_EEDaS12_S13_EUlS12_E_NS1_11comp_targetILNS1_3genE4ELNS1_11target_archE910ELNS1_3gpuE8ELNS1_3repE0EEENS1_30default_config_static_selectorELNS0_4arch9wavefront6targetE0EEEvT1_.has_indirect_call, 0
	.section	.AMDGPU.csdata,"",@progbits
; Kernel info:
; codeLenInByte = 0
; TotalNumSgprs: 0
; NumVgprs: 0
; ScratchSize: 0
; MemoryBound: 0
; FloatMode: 240
; IeeeMode: 1
; LDSByteSize: 0 bytes/workgroup (compile time only)
; SGPRBlocks: 0
; VGPRBlocks: 0
; NumSGPRsForWavesPerEU: 1
; NumVGPRsForWavesPerEU: 1
; NamedBarCnt: 0
; Occupancy: 16
; WaveLimiterHint : 0
; COMPUTE_PGM_RSRC2:SCRATCH_EN: 0
; COMPUTE_PGM_RSRC2:USER_SGPR: 2
; COMPUTE_PGM_RSRC2:TRAP_HANDLER: 0
; COMPUTE_PGM_RSRC2:TGID_X_EN: 1
; COMPUTE_PGM_RSRC2:TGID_Y_EN: 0
; COMPUTE_PGM_RSRC2:TGID_Z_EN: 0
; COMPUTE_PGM_RSRC2:TIDIG_COMP_CNT: 0
	.section	.text._ZN7rocprim17ROCPRIM_400000_NS6detail17trampoline_kernelINS0_14default_configENS1_25partition_config_selectorILNS1_17partition_subalgoE8EmNS0_10empty_typeEbEEZZNS1_14partition_implILS5_8ELb0ES3_jPKmPS6_PKS6_NS0_5tupleIJPmS6_EEENSE_IJSB_SB_EEENS0_18inequality_wrapperIN6hipcub16HIPCUB_304000_NS8EqualityEEEPlJS6_EEE10hipError_tPvRmT3_T4_T5_T6_T7_T9_mT8_P12ihipStream_tbDpT10_ENKUlT_T0_E_clISt17integral_constantIbLb1EES17_EEDaS12_S13_EUlS12_E_NS1_11comp_targetILNS1_3genE3ELNS1_11target_archE908ELNS1_3gpuE7ELNS1_3repE0EEENS1_30default_config_static_selectorELNS0_4arch9wavefront6targetE0EEEvT1_,"axG",@progbits,_ZN7rocprim17ROCPRIM_400000_NS6detail17trampoline_kernelINS0_14default_configENS1_25partition_config_selectorILNS1_17partition_subalgoE8EmNS0_10empty_typeEbEEZZNS1_14partition_implILS5_8ELb0ES3_jPKmPS6_PKS6_NS0_5tupleIJPmS6_EEENSE_IJSB_SB_EEENS0_18inequality_wrapperIN6hipcub16HIPCUB_304000_NS8EqualityEEEPlJS6_EEE10hipError_tPvRmT3_T4_T5_T6_T7_T9_mT8_P12ihipStream_tbDpT10_ENKUlT_T0_E_clISt17integral_constantIbLb1EES17_EEDaS12_S13_EUlS12_E_NS1_11comp_targetILNS1_3genE3ELNS1_11target_archE908ELNS1_3gpuE7ELNS1_3repE0EEENS1_30default_config_static_selectorELNS0_4arch9wavefront6targetE0EEEvT1_,comdat
	.protected	_ZN7rocprim17ROCPRIM_400000_NS6detail17trampoline_kernelINS0_14default_configENS1_25partition_config_selectorILNS1_17partition_subalgoE8EmNS0_10empty_typeEbEEZZNS1_14partition_implILS5_8ELb0ES3_jPKmPS6_PKS6_NS0_5tupleIJPmS6_EEENSE_IJSB_SB_EEENS0_18inequality_wrapperIN6hipcub16HIPCUB_304000_NS8EqualityEEEPlJS6_EEE10hipError_tPvRmT3_T4_T5_T6_T7_T9_mT8_P12ihipStream_tbDpT10_ENKUlT_T0_E_clISt17integral_constantIbLb1EES17_EEDaS12_S13_EUlS12_E_NS1_11comp_targetILNS1_3genE3ELNS1_11target_archE908ELNS1_3gpuE7ELNS1_3repE0EEENS1_30default_config_static_selectorELNS0_4arch9wavefront6targetE0EEEvT1_ ; -- Begin function _ZN7rocprim17ROCPRIM_400000_NS6detail17trampoline_kernelINS0_14default_configENS1_25partition_config_selectorILNS1_17partition_subalgoE8EmNS0_10empty_typeEbEEZZNS1_14partition_implILS5_8ELb0ES3_jPKmPS6_PKS6_NS0_5tupleIJPmS6_EEENSE_IJSB_SB_EEENS0_18inequality_wrapperIN6hipcub16HIPCUB_304000_NS8EqualityEEEPlJS6_EEE10hipError_tPvRmT3_T4_T5_T6_T7_T9_mT8_P12ihipStream_tbDpT10_ENKUlT_T0_E_clISt17integral_constantIbLb1EES17_EEDaS12_S13_EUlS12_E_NS1_11comp_targetILNS1_3genE3ELNS1_11target_archE908ELNS1_3gpuE7ELNS1_3repE0EEENS1_30default_config_static_selectorELNS0_4arch9wavefront6targetE0EEEvT1_
	.globl	_ZN7rocprim17ROCPRIM_400000_NS6detail17trampoline_kernelINS0_14default_configENS1_25partition_config_selectorILNS1_17partition_subalgoE8EmNS0_10empty_typeEbEEZZNS1_14partition_implILS5_8ELb0ES3_jPKmPS6_PKS6_NS0_5tupleIJPmS6_EEENSE_IJSB_SB_EEENS0_18inequality_wrapperIN6hipcub16HIPCUB_304000_NS8EqualityEEEPlJS6_EEE10hipError_tPvRmT3_T4_T5_T6_T7_T9_mT8_P12ihipStream_tbDpT10_ENKUlT_T0_E_clISt17integral_constantIbLb1EES17_EEDaS12_S13_EUlS12_E_NS1_11comp_targetILNS1_3genE3ELNS1_11target_archE908ELNS1_3gpuE7ELNS1_3repE0EEENS1_30default_config_static_selectorELNS0_4arch9wavefront6targetE0EEEvT1_
	.p2align	8
	.type	_ZN7rocprim17ROCPRIM_400000_NS6detail17trampoline_kernelINS0_14default_configENS1_25partition_config_selectorILNS1_17partition_subalgoE8EmNS0_10empty_typeEbEEZZNS1_14partition_implILS5_8ELb0ES3_jPKmPS6_PKS6_NS0_5tupleIJPmS6_EEENSE_IJSB_SB_EEENS0_18inequality_wrapperIN6hipcub16HIPCUB_304000_NS8EqualityEEEPlJS6_EEE10hipError_tPvRmT3_T4_T5_T6_T7_T9_mT8_P12ihipStream_tbDpT10_ENKUlT_T0_E_clISt17integral_constantIbLb1EES17_EEDaS12_S13_EUlS12_E_NS1_11comp_targetILNS1_3genE3ELNS1_11target_archE908ELNS1_3gpuE7ELNS1_3repE0EEENS1_30default_config_static_selectorELNS0_4arch9wavefront6targetE0EEEvT1_,@function
_ZN7rocprim17ROCPRIM_400000_NS6detail17trampoline_kernelINS0_14default_configENS1_25partition_config_selectorILNS1_17partition_subalgoE8EmNS0_10empty_typeEbEEZZNS1_14partition_implILS5_8ELb0ES3_jPKmPS6_PKS6_NS0_5tupleIJPmS6_EEENSE_IJSB_SB_EEENS0_18inequality_wrapperIN6hipcub16HIPCUB_304000_NS8EqualityEEEPlJS6_EEE10hipError_tPvRmT3_T4_T5_T6_T7_T9_mT8_P12ihipStream_tbDpT10_ENKUlT_T0_E_clISt17integral_constantIbLb1EES17_EEDaS12_S13_EUlS12_E_NS1_11comp_targetILNS1_3genE3ELNS1_11target_archE908ELNS1_3gpuE7ELNS1_3repE0EEENS1_30default_config_static_selectorELNS0_4arch9wavefront6targetE0EEEvT1_: ; @_ZN7rocprim17ROCPRIM_400000_NS6detail17trampoline_kernelINS0_14default_configENS1_25partition_config_selectorILNS1_17partition_subalgoE8EmNS0_10empty_typeEbEEZZNS1_14partition_implILS5_8ELb0ES3_jPKmPS6_PKS6_NS0_5tupleIJPmS6_EEENSE_IJSB_SB_EEENS0_18inequality_wrapperIN6hipcub16HIPCUB_304000_NS8EqualityEEEPlJS6_EEE10hipError_tPvRmT3_T4_T5_T6_T7_T9_mT8_P12ihipStream_tbDpT10_ENKUlT_T0_E_clISt17integral_constantIbLb1EES17_EEDaS12_S13_EUlS12_E_NS1_11comp_targetILNS1_3genE3ELNS1_11target_archE908ELNS1_3gpuE7ELNS1_3repE0EEENS1_30default_config_static_selectorELNS0_4arch9wavefront6targetE0EEEvT1_
; %bb.0:
	.section	.rodata,"a",@progbits
	.p2align	6, 0x0
	.amdhsa_kernel _ZN7rocprim17ROCPRIM_400000_NS6detail17trampoline_kernelINS0_14default_configENS1_25partition_config_selectorILNS1_17partition_subalgoE8EmNS0_10empty_typeEbEEZZNS1_14partition_implILS5_8ELb0ES3_jPKmPS6_PKS6_NS0_5tupleIJPmS6_EEENSE_IJSB_SB_EEENS0_18inequality_wrapperIN6hipcub16HIPCUB_304000_NS8EqualityEEEPlJS6_EEE10hipError_tPvRmT3_T4_T5_T6_T7_T9_mT8_P12ihipStream_tbDpT10_ENKUlT_T0_E_clISt17integral_constantIbLb1EES17_EEDaS12_S13_EUlS12_E_NS1_11comp_targetILNS1_3genE3ELNS1_11target_archE908ELNS1_3gpuE7ELNS1_3repE0EEENS1_30default_config_static_selectorELNS0_4arch9wavefront6targetE0EEEvT1_
		.amdhsa_group_segment_fixed_size 0
		.amdhsa_private_segment_fixed_size 0
		.amdhsa_kernarg_size 128
		.amdhsa_user_sgpr_count 2
		.amdhsa_user_sgpr_dispatch_ptr 0
		.amdhsa_user_sgpr_queue_ptr 0
		.amdhsa_user_sgpr_kernarg_segment_ptr 1
		.amdhsa_user_sgpr_dispatch_id 0
		.amdhsa_user_sgpr_kernarg_preload_length 0
		.amdhsa_user_sgpr_kernarg_preload_offset 0
		.amdhsa_user_sgpr_private_segment_size 0
		.amdhsa_wavefront_size32 1
		.amdhsa_uses_dynamic_stack 0
		.amdhsa_enable_private_segment 0
		.amdhsa_system_sgpr_workgroup_id_x 1
		.amdhsa_system_sgpr_workgroup_id_y 0
		.amdhsa_system_sgpr_workgroup_id_z 0
		.amdhsa_system_sgpr_workgroup_info 0
		.amdhsa_system_vgpr_workitem_id 0
		.amdhsa_next_free_vgpr 1
		.amdhsa_next_free_sgpr 1
		.amdhsa_named_barrier_count 0
		.amdhsa_reserve_vcc 0
		.amdhsa_float_round_mode_32 0
		.amdhsa_float_round_mode_16_64 0
		.amdhsa_float_denorm_mode_32 3
		.amdhsa_float_denorm_mode_16_64 3
		.amdhsa_fp16_overflow 0
		.amdhsa_memory_ordered 1
		.amdhsa_forward_progress 1
		.amdhsa_inst_pref_size 0
		.amdhsa_round_robin_scheduling 0
		.amdhsa_exception_fp_ieee_invalid_op 0
		.amdhsa_exception_fp_denorm_src 0
		.amdhsa_exception_fp_ieee_div_zero 0
		.amdhsa_exception_fp_ieee_overflow 0
		.amdhsa_exception_fp_ieee_underflow 0
		.amdhsa_exception_fp_ieee_inexact 0
		.amdhsa_exception_int_div_zero 0
	.end_amdhsa_kernel
	.section	.text._ZN7rocprim17ROCPRIM_400000_NS6detail17trampoline_kernelINS0_14default_configENS1_25partition_config_selectorILNS1_17partition_subalgoE8EmNS0_10empty_typeEbEEZZNS1_14partition_implILS5_8ELb0ES3_jPKmPS6_PKS6_NS0_5tupleIJPmS6_EEENSE_IJSB_SB_EEENS0_18inequality_wrapperIN6hipcub16HIPCUB_304000_NS8EqualityEEEPlJS6_EEE10hipError_tPvRmT3_T4_T5_T6_T7_T9_mT8_P12ihipStream_tbDpT10_ENKUlT_T0_E_clISt17integral_constantIbLb1EES17_EEDaS12_S13_EUlS12_E_NS1_11comp_targetILNS1_3genE3ELNS1_11target_archE908ELNS1_3gpuE7ELNS1_3repE0EEENS1_30default_config_static_selectorELNS0_4arch9wavefront6targetE0EEEvT1_,"axG",@progbits,_ZN7rocprim17ROCPRIM_400000_NS6detail17trampoline_kernelINS0_14default_configENS1_25partition_config_selectorILNS1_17partition_subalgoE8EmNS0_10empty_typeEbEEZZNS1_14partition_implILS5_8ELb0ES3_jPKmPS6_PKS6_NS0_5tupleIJPmS6_EEENSE_IJSB_SB_EEENS0_18inequality_wrapperIN6hipcub16HIPCUB_304000_NS8EqualityEEEPlJS6_EEE10hipError_tPvRmT3_T4_T5_T6_T7_T9_mT8_P12ihipStream_tbDpT10_ENKUlT_T0_E_clISt17integral_constantIbLb1EES17_EEDaS12_S13_EUlS12_E_NS1_11comp_targetILNS1_3genE3ELNS1_11target_archE908ELNS1_3gpuE7ELNS1_3repE0EEENS1_30default_config_static_selectorELNS0_4arch9wavefront6targetE0EEEvT1_,comdat
.Lfunc_end697:
	.size	_ZN7rocprim17ROCPRIM_400000_NS6detail17trampoline_kernelINS0_14default_configENS1_25partition_config_selectorILNS1_17partition_subalgoE8EmNS0_10empty_typeEbEEZZNS1_14partition_implILS5_8ELb0ES3_jPKmPS6_PKS6_NS0_5tupleIJPmS6_EEENSE_IJSB_SB_EEENS0_18inequality_wrapperIN6hipcub16HIPCUB_304000_NS8EqualityEEEPlJS6_EEE10hipError_tPvRmT3_T4_T5_T6_T7_T9_mT8_P12ihipStream_tbDpT10_ENKUlT_T0_E_clISt17integral_constantIbLb1EES17_EEDaS12_S13_EUlS12_E_NS1_11comp_targetILNS1_3genE3ELNS1_11target_archE908ELNS1_3gpuE7ELNS1_3repE0EEENS1_30default_config_static_selectorELNS0_4arch9wavefront6targetE0EEEvT1_, .Lfunc_end697-_ZN7rocprim17ROCPRIM_400000_NS6detail17trampoline_kernelINS0_14default_configENS1_25partition_config_selectorILNS1_17partition_subalgoE8EmNS0_10empty_typeEbEEZZNS1_14partition_implILS5_8ELb0ES3_jPKmPS6_PKS6_NS0_5tupleIJPmS6_EEENSE_IJSB_SB_EEENS0_18inequality_wrapperIN6hipcub16HIPCUB_304000_NS8EqualityEEEPlJS6_EEE10hipError_tPvRmT3_T4_T5_T6_T7_T9_mT8_P12ihipStream_tbDpT10_ENKUlT_T0_E_clISt17integral_constantIbLb1EES17_EEDaS12_S13_EUlS12_E_NS1_11comp_targetILNS1_3genE3ELNS1_11target_archE908ELNS1_3gpuE7ELNS1_3repE0EEENS1_30default_config_static_selectorELNS0_4arch9wavefront6targetE0EEEvT1_
                                        ; -- End function
	.set _ZN7rocprim17ROCPRIM_400000_NS6detail17trampoline_kernelINS0_14default_configENS1_25partition_config_selectorILNS1_17partition_subalgoE8EmNS0_10empty_typeEbEEZZNS1_14partition_implILS5_8ELb0ES3_jPKmPS6_PKS6_NS0_5tupleIJPmS6_EEENSE_IJSB_SB_EEENS0_18inequality_wrapperIN6hipcub16HIPCUB_304000_NS8EqualityEEEPlJS6_EEE10hipError_tPvRmT3_T4_T5_T6_T7_T9_mT8_P12ihipStream_tbDpT10_ENKUlT_T0_E_clISt17integral_constantIbLb1EES17_EEDaS12_S13_EUlS12_E_NS1_11comp_targetILNS1_3genE3ELNS1_11target_archE908ELNS1_3gpuE7ELNS1_3repE0EEENS1_30default_config_static_selectorELNS0_4arch9wavefront6targetE0EEEvT1_.num_vgpr, 0
	.set _ZN7rocprim17ROCPRIM_400000_NS6detail17trampoline_kernelINS0_14default_configENS1_25partition_config_selectorILNS1_17partition_subalgoE8EmNS0_10empty_typeEbEEZZNS1_14partition_implILS5_8ELb0ES3_jPKmPS6_PKS6_NS0_5tupleIJPmS6_EEENSE_IJSB_SB_EEENS0_18inequality_wrapperIN6hipcub16HIPCUB_304000_NS8EqualityEEEPlJS6_EEE10hipError_tPvRmT3_T4_T5_T6_T7_T9_mT8_P12ihipStream_tbDpT10_ENKUlT_T0_E_clISt17integral_constantIbLb1EES17_EEDaS12_S13_EUlS12_E_NS1_11comp_targetILNS1_3genE3ELNS1_11target_archE908ELNS1_3gpuE7ELNS1_3repE0EEENS1_30default_config_static_selectorELNS0_4arch9wavefront6targetE0EEEvT1_.num_agpr, 0
	.set _ZN7rocprim17ROCPRIM_400000_NS6detail17trampoline_kernelINS0_14default_configENS1_25partition_config_selectorILNS1_17partition_subalgoE8EmNS0_10empty_typeEbEEZZNS1_14partition_implILS5_8ELb0ES3_jPKmPS6_PKS6_NS0_5tupleIJPmS6_EEENSE_IJSB_SB_EEENS0_18inequality_wrapperIN6hipcub16HIPCUB_304000_NS8EqualityEEEPlJS6_EEE10hipError_tPvRmT3_T4_T5_T6_T7_T9_mT8_P12ihipStream_tbDpT10_ENKUlT_T0_E_clISt17integral_constantIbLb1EES17_EEDaS12_S13_EUlS12_E_NS1_11comp_targetILNS1_3genE3ELNS1_11target_archE908ELNS1_3gpuE7ELNS1_3repE0EEENS1_30default_config_static_selectorELNS0_4arch9wavefront6targetE0EEEvT1_.numbered_sgpr, 0
	.set _ZN7rocprim17ROCPRIM_400000_NS6detail17trampoline_kernelINS0_14default_configENS1_25partition_config_selectorILNS1_17partition_subalgoE8EmNS0_10empty_typeEbEEZZNS1_14partition_implILS5_8ELb0ES3_jPKmPS6_PKS6_NS0_5tupleIJPmS6_EEENSE_IJSB_SB_EEENS0_18inequality_wrapperIN6hipcub16HIPCUB_304000_NS8EqualityEEEPlJS6_EEE10hipError_tPvRmT3_T4_T5_T6_T7_T9_mT8_P12ihipStream_tbDpT10_ENKUlT_T0_E_clISt17integral_constantIbLb1EES17_EEDaS12_S13_EUlS12_E_NS1_11comp_targetILNS1_3genE3ELNS1_11target_archE908ELNS1_3gpuE7ELNS1_3repE0EEENS1_30default_config_static_selectorELNS0_4arch9wavefront6targetE0EEEvT1_.num_named_barrier, 0
	.set _ZN7rocprim17ROCPRIM_400000_NS6detail17trampoline_kernelINS0_14default_configENS1_25partition_config_selectorILNS1_17partition_subalgoE8EmNS0_10empty_typeEbEEZZNS1_14partition_implILS5_8ELb0ES3_jPKmPS6_PKS6_NS0_5tupleIJPmS6_EEENSE_IJSB_SB_EEENS0_18inequality_wrapperIN6hipcub16HIPCUB_304000_NS8EqualityEEEPlJS6_EEE10hipError_tPvRmT3_T4_T5_T6_T7_T9_mT8_P12ihipStream_tbDpT10_ENKUlT_T0_E_clISt17integral_constantIbLb1EES17_EEDaS12_S13_EUlS12_E_NS1_11comp_targetILNS1_3genE3ELNS1_11target_archE908ELNS1_3gpuE7ELNS1_3repE0EEENS1_30default_config_static_selectorELNS0_4arch9wavefront6targetE0EEEvT1_.private_seg_size, 0
	.set _ZN7rocprim17ROCPRIM_400000_NS6detail17trampoline_kernelINS0_14default_configENS1_25partition_config_selectorILNS1_17partition_subalgoE8EmNS0_10empty_typeEbEEZZNS1_14partition_implILS5_8ELb0ES3_jPKmPS6_PKS6_NS0_5tupleIJPmS6_EEENSE_IJSB_SB_EEENS0_18inequality_wrapperIN6hipcub16HIPCUB_304000_NS8EqualityEEEPlJS6_EEE10hipError_tPvRmT3_T4_T5_T6_T7_T9_mT8_P12ihipStream_tbDpT10_ENKUlT_T0_E_clISt17integral_constantIbLb1EES17_EEDaS12_S13_EUlS12_E_NS1_11comp_targetILNS1_3genE3ELNS1_11target_archE908ELNS1_3gpuE7ELNS1_3repE0EEENS1_30default_config_static_selectorELNS0_4arch9wavefront6targetE0EEEvT1_.uses_vcc, 0
	.set _ZN7rocprim17ROCPRIM_400000_NS6detail17trampoline_kernelINS0_14default_configENS1_25partition_config_selectorILNS1_17partition_subalgoE8EmNS0_10empty_typeEbEEZZNS1_14partition_implILS5_8ELb0ES3_jPKmPS6_PKS6_NS0_5tupleIJPmS6_EEENSE_IJSB_SB_EEENS0_18inequality_wrapperIN6hipcub16HIPCUB_304000_NS8EqualityEEEPlJS6_EEE10hipError_tPvRmT3_T4_T5_T6_T7_T9_mT8_P12ihipStream_tbDpT10_ENKUlT_T0_E_clISt17integral_constantIbLb1EES17_EEDaS12_S13_EUlS12_E_NS1_11comp_targetILNS1_3genE3ELNS1_11target_archE908ELNS1_3gpuE7ELNS1_3repE0EEENS1_30default_config_static_selectorELNS0_4arch9wavefront6targetE0EEEvT1_.uses_flat_scratch, 0
	.set _ZN7rocprim17ROCPRIM_400000_NS6detail17trampoline_kernelINS0_14default_configENS1_25partition_config_selectorILNS1_17partition_subalgoE8EmNS0_10empty_typeEbEEZZNS1_14partition_implILS5_8ELb0ES3_jPKmPS6_PKS6_NS0_5tupleIJPmS6_EEENSE_IJSB_SB_EEENS0_18inequality_wrapperIN6hipcub16HIPCUB_304000_NS8EqualityEEEPlJS6_EEE10hipError_tPvRmT3_T4_T5_T6_T7_T9_mT8_P12ihipStream_tbDpT10_ENKUlT_T0_E_clISt17integral_constantIbLb1EES17_EEDaS12_S13_EUlS12_E_NS1_11comp_targetILNS1_3genE3ELNS1_11target_archE908ELNS1_3gpuE7ELNS1_3repE0EEENS1_30default_config_static_selectorELNS0_4arch9wavefront6targetE0EEEvT1_.has_dyn_sized_stack, 0
	.set _ZN7rocprim17ROCPRIM_400000_NS6detail17trampoline_kernelINS0_14default_configENS1_25partition_config_selectorILNS1_17partition_subalgoE8EmNS0_10empty_typeEbEEZZNS1_14partition_implILS5_8ELb0ES3_jPKmPS6_PKS6_NS0_5tupleIJPmS6_EEENSE_IJSB_SB_EEENS0_18inequality_wrapperIN6hipcub16HIPCUB_304000_NS8EqualityEEEPlJS6_EEE10hipError_tPvRmT3_T4_T5_T6_T7_T9_mT8_P12ihipStream_tbDpT10_ENKUlT_T0_E_clISt17integral_constantIbLb1EES17_EEDaS12_S13_EUlS12_E_NS1_11comp_targetILNS1_3genE3ELNS1_11target_archE908ELNS1_3gpuE7ELNS1_3repE0EEENS1_30default_config_static_selectorELNS0_4arch9wavefront6targetE0EEEvT1_.has_recursion, 0
	.set _ZN7rocprim17ROCPRIM_400000_NS6detail17trampoline_kernelINS0_14default_configENS1_25partition_config_selectorILNS1_17partition_subalgoE8EmNS0_10empty_typeEbEEZZNS1_14partition_implILS5_8ELb0ES3_jPKmPS6_PKS6_NS0_5tupleIJPmS6_EEENSE_IJSB_SB_EEENS0_18inequality_wrapperIN6hipcub16HIPCUB_304000_NS8EqualityEEEPlJS6_EEE10hipError_tPvRmT3_T4_T5_T6_T7_T9_mT8_P12ihipStream_tbDpT10_ENKUlT_T0_E_clISt17integral_constantIbLb1EES17_EEDaS12_S13_EUlS12_E_NS1_11comp_targetILNS1_3genE3ELNS1_11target_archE908ELNS1_3gpuE7ELNS1_3repE0EEENS1_30default_config_static_selectorELNS0_4arch9wavefront6targetE0EEEvT1_.has_indirect_call, 0
	.section	.AMDGPU.csdata,"",@progbits
; Kernel info:
; codeLenInByte = 0
; TotalNumSgprs: 0
; NumVgprs: 0
; ScratchSize: 0
; MemoryBound: 0
; FloatMode: 240
; IeeeMode: 1
; LDSByteSize: 0 bytes/workgroup (compile time only)
; SGPRBlocks: 0
; VGPRBlocks: 0
; NumSGPRsForWavesPerEU: 1
; NumVGPRsForWavesPerEU: 1
; NamedBarCnt: 0
; Occupancy: 16
; WaveLimiterHint : 0
; COMPUTE_PGM_RSRC2:SCRATCH_EN: 0
; COMPUTE_PGM_RSRC2:USER_SGPR: 2
; COMPUTE_PGM_RSRC2:TRAP_HANDLER: 0
; COMPUTE_PGM_RSRC2:TGID_X_EN: 1
; COMPUTE_PGM_RSRC2:TGID_Y_EN: 0
; COMPUTE_PGM_RSRC2:TGID_Z_EN: 0
; COMPUTE_PGM_RSRC2:TIDIG_COMP_CNT: 0
	.section	.text._ZN7rocprim17ROCPRIM_400000_NS6detail17trampoline_kernelINS0_14default_configENS1_25partition_config_selectorILNS1_17partition_subalgoE8EmNS0_10empty_typeEbEEZZNS1_14partition_implILS5_8ELb0ES3_jPKmPS6_PKS6_NS0_5tupleIJPmS6_EEENSE_IJSB_SB_EEENS0_18inequality_wrapperIN6hipcub16HIPCUB_304000_NS8EqualityEEEPlJS6_EEE10hipError_tPvRmT3_T4_T5_T6_T7_T9_mT8_P12ihipStream_tbDpT10_ENKUlT_T0_E_clISt17integral_constantIbLb1EES17_EEDaS12_S13_EUlS12_E_NS1_11comp_targetILNS1_3genE2ELNS1_11target_archE906ELNS1_3gpuE6ELNS1_3repE0EEENS1_30default_config_static_selectorELNS0_4arch9wavefront6targetE0EEEvT1_,"axG",@progbits,_ZN7rocprim17ROCPRIM_400000_NS6detail17trampoline_kernelINS0_14default_configENS1_25partition_config_selectorILNS1_17partition_subalgoE8EmNS0_10empty_typeEbEEZZNS1_14partition_implILS5_8ELb0ES3_jPKmPS6_PKS6_NS0_5tupleIJPmS6_EEENSE_IJSB_SB_EEENS0_18inequality_wrapperIN6hipcub16HIPCUB_304000_NS8EqualityEEEPlJS6_EEE10hipError_tPvRmT3_T4_T5_T6_T7_T9_mT8_P12ihipStream_tbDpT10_ENKUlT_T0_E_clISt17integral_constantIbLb1EES17_EEDaS12_S13_EUlS12_E_NS1_11comp_targetILNS1_3genE2ELNS1_11target_archE906ELNS1_3gpuE6ELNS1_3repE0EEENS1_30default_config_static_selectorELNS0_4arch9wavefront6targetE0EEEvT1_,comdat
	.protected	_ZN7rocprim17ROCPRIM_400000_NS6detail17trampoline_kernelINS0_14default_configENS1_25partition_config_selectorILNS1_17partition_subalgoE8EmNS0_10empty_typeEbEEZZNS1_14partition_implILS5_8ELb0ES3_jPKmPS6_PKS6_NS0_5tupleIJPmS6_EEENSE_IJSB_SB_EEENS0_18inequality_wrapperIN6hipcub16HIPCUB_304000_NS8EqualityEEEPlJS6_EEE10hipError_tPvRmT3_T4_T5_T6_T7_T9_mT8_P12ihipStream_tbDpT10_ENKUlT_T0_E_clISt17integral_constantIbLb1EES17_EEDaS12_S13_EUlS12_E_NS1_11comp_targetILNS1_3genE2ELNS1_11target_archE906ELNS1_3gpuE6ELNS1_3repE0EEENS1_30default_config_static_selectorELNS0_4arch9wavefront6targetE0EEEvT1_ ; -- Begin function _ZN7rocprim17ROCPRIM_400000_NS6detail17trampoline_kernelINS0_14default_configENS1_25partition_config_selectorILNS1_17partition_subalgoE8EmNS0_10empty_typeEbEEZZNS1_14partition_implILS5_8ELb0ES3_jPKmPS6_PKS6_NS0_5tupleIJPmS6_EEENSE_IJSB_SB_EEENS0_18inequality_wrapperIN6hipcub16HIPCUB_304000_NS8EqualityEEEPlJS6_EEE10hipError_tPvRmT3_T4_T5_T6_T7_T9_mT8_P12ihipStream_tbDpT10_ENKUlT_T0_E_clISt17integral_constantIbLb1EES17_EEDaS12_S13_EUlS12_E_NS1_11comp_targetILNS1_3genE2ELNS1_11target_archE906ELNS1_3gpuE6ELNS1_3repE0EEENS1_30default_config_static_selectorELNS0_4arch9wavefront6targetE0EEEvT1_
	.globl	_ZN7rocprim17ROCPRIM_400000_NS6detail17trampoline_kernelINS0_14default_configENS1_25partition_config_selectorILNS1_17partition_subalgoE8EmNS0_10empty_typeEbEEZZNS1_14partition_implILS5_8ELb0ES3_jPKmPS6_PKS6_NS0_5tupleIJPmS6_EEENSE_IJSB_SB_EEENS0_18inequality_wrapperIN6hipcub16HIPCUB_304000_NS8EqualityEEEPlJS6_EEE10hipError_tPvRmT3_T4_T5_T6_T7_T9_mT8_P12ihipStream_tbDpT10_ENKUlT_T0_E_clISt17integral_constantIbLb1EES17_EEDaS12_S13_EUlS12_E_NS1_11comp_targetILNS1_3genE2ELNS1_11target_archE906ELNS1_3gpuE6ELNS1_3repE0EEENS1_30default_config_static_selectorELNS0_4arch9wavefront6targetE0EEEvT1_
	.p2align	8
	.type	_ZN7rocprim17ROCPRIM_400000_NS6detail17trampoline_kernelINS0_14default_configENS1_25partition_config_selectorILNS1_17partition_subalgoE8EmNS0_10empty_typeEbEEZZNS1_14partition_implILS5_8ELb0ES3_jPKmPS6_PKS6_NS0_5tupleIJPmS6_EEENSE_IJSB_SB_EEENS0_18inequality_wrapperIN6hipcub16HIPCUB_304000_NS8EqualityEEEPlJS6_EEE10hipError_tPvRmT3_T4_T5_T6_T7_T9_mT8_P12ihipStream_tbDpT10_ENKUlT_T0_E_clISt17integral_constantIbLb1EES17_EEDaS12_S13_EUlS12_E_NS1_11comp_targetILNS1_3genE2ELNS1_11target_archE906ELNS1_3gpuE6ELNS1_3repE0EEENS1_30default_config_static_selectorELNS0_4arch9wavefront6targetE0EEEvT1_,@function
_ZN7rocprim17ROCPRIM_400000_NS6detail17trampoline_kernelINS0_14default_configENS1_25partition_config_selectorILNS1_17partition_subalgoE8EmNS0_10empty_typeEbEEZZNS1_14partition_implILS5_8ELb0ES3_jPKmPS6_PKS6_NS0_5tupleIJPmS6_EEENSE_IJSB_SB_EEENS0_18inequality_wrapperIN6hipcub16HIPCUB_304000_NS8EqualityEEEPlJS6_EEE10hipError_tPvRmT3_T4_T5_T6_T7_T9_mT8_P12ihipStream_tbDpT10_ENKUlT_T0_E_clISt17integral_constantIbLb1EES17_EEDaS12_S13_EUlS12_E_NS1_11comp_targetILNS1_3genE2ELNS1_11target_archE906ELNS1_3gpuE6ELNS1_3repE0EEENS1_30default_config_static_selectorELNS0_4arch9wavefront6targetE0EEEvT1_: ; @_ZN7rocprim17ROCPRIM_400000_NS6detail17trampoline_kernelINS0_14default_configENS1_25partition_config_selectorILNS1_17partition_subalgoE8EmNS0_10empty_typeEbEEZZNS1_14partition_implILS5_8ELb0ES3_jPKmPS6_PKS6_NS0_5tupleIJPmS6_EEENSE_IJSB_SB_EEENS0_18inequality_wrapperIN6hipcub16HIPCUB_304000_NS8EqualityEEEPlJS6_EEE10hipError_tPvRmT3_T4_T5_T6_T7_T9_mT8_P12ihipStream_tbDpT10_ENKUlT_T0_E_clISt17integral_constantIbLb1EES17_EEDaS12_S13_EUlS12_E_NS1_11comp_targetILNS1_3genE2ELNS1_11target_archE906ELNS1_3gpuE6ELNS1_3repE0EEENS1_30default_config_static_selectorELNS0_4arch9wavefront6targetE0EEEvT1_
; %bb.0:
	.section	.rodata,"a",@progbits
	.p2align	6, 0x0
	.amdhsa_kernel _ZN7rocprim17ROCPRIM_400000_NS6detail17trampoline_kernelINS0_14default_configENS1_25partition_config_selectorILNS1_17partition_subalgoE8EmNS0_10empty_typeEbEEZZNS1_14partition_implILS5_8ELb0ES3_jPKmPS6_PKS6_NS0_5tupleIJPmS6_EEENSE_IJSB_SB_EEENS0_18inequality_wrapperIN6hipcub16HIPCUB_304000_NS8EqualityEEEPlJS6_EEE10hipError_tPvRmT3_T4_T5_T6_T7_T9_mT8_P12ihipStream_tbDpT10_ENKUlT_T0_E_clISt17integral_constantIbLb1EES17_EEDaS12_S13_EUlS12_E_NS1_11comp_targetILNS1_3genE2ELNS1_11target_archE906ELNS1_3gpuE6ELNS1_3repE0EEENS1_30default_config_static_selectorELNS0_4arch9wavefront6targetE0EEEvT1_
		.amdhsa_group_segment_fixed_size 0
		.amdhsa_private_segment_fixed_size 0
		.amdhsa_kernarg_size 128
		.amdhsa_user_sgpr_count 2
		.amdhsa_user_sgpr_dispatch_ptr 0
		.amdhsa_user_sgpr_queue_ptr 0
		.amdhsa_user_sgpr_kernarg_segment_ptr 1
		.amdhsa_user_sgpr_dispatch_id 0
		.amdhsa_user_sgpr_kernarg_preload_length 0
		.amdhsa_user_sgpr_kernarg_preload_offset 0
		.amdhsa_user_sgpr_private_segment_size 0
		.amdhsa_wavefront_size32 1
		.amdhsa_uses_dynamic_stack 0
		.amdhsa_enable_private_segment 0
		.amdhsa_system_sgpr_workgroup_id_x 1
		.amdhsa_system_sgpr_workgroup_id_y 0
		.amdhsa_system_sgpr_workgroup_id_z 0
		.amdhsa_system_sgpr_workgroup_info 0
		.amdhsa_system_vgpr_workitem_id 0
		.amdhsa_next_free_vgpr 1
		.amdhsa_next_free_sgpr 1
		.amdhsa_named_barrier_count 0
		.amdhsa_reserve_vcc 0
		.amdhsa_float_round_mode_32 0
		.amdhsa_float_round_mode_16_64 0
		.amdhsa_float_denorm_mode_32 3
		.amdhsa_float_denorm_mode_16_64 3
		.amdhsa_fp16_overflow 0
		.amdhsa_memory_ordered 1
		.amdhsa_forward_progress 1
		.amdhsa_inst_pref_size 0
		.amdhsa_round_robin_scheduling 0
		.amdhsa_exception_fp_ieee_invalid_op 0
		.amdhsa_exception_fp_denorm_src 0
		.amdhsa_exception_fp_ieee_div_zero 0
		.amdhsa_exception_fp_ieee_overflow 0
		.amdhsa_exception_fp_ieee_underflow 0
		.amdhsa_exception_fp_ieee_inexact 0
		.amdhsa_exception_int_div_zero 0
	.end_amdhsa_kernel
	.section	.text._ZN7rocprim17ROCPRIM_400000_NS6detail17trampoline_kernelINS0_14default_configENS1_25partition_config_selectorILNS1_17partition_subalgoE8EmNS0_10empty_typeEbEEZZNS1_14partition_implILS5_8ELb0ES3_jPKmPS6_PKS6_NS0_5tupleIJPmS6_EEENSE_IJSB_SB_EEENS0_18inequality_wrapperIN6hipcub16HIPCUB_304000_NS8EqualityEEEPlJS6_EEE10hipError_tPvRmT3_T4_T5_T6_T7_T9_mT8_P12ihipStream_tbDpT10_ENKUlT_T0_E_clISt17integral_constantIbLb1EES17_EEDaS12_S13_EUlS12_E_NS1_11comp_targetILNS1_3genE2ELNS1_11target_archE906ELNS1_3gpuE6ELNS1_3repE0EEENS1_30default_config_static_selectorELNS0_4arch9wavefront6targetE0EEEvT1_,"axG",@progbits,_ZN7rocprim17ROCPRIM_400000_NS6detail17trampoline_kernelINS0_14default_configENS1_25partition_config_selectorILNS1_17partition_subalgoE8EmNS0_10empty_typeEbEEZZNS1_14partition_implILS5_8ELb0ES3_jPKmPS6_PKS6_NS0_5tupleIJPmS6_EEENSE_IJSB_SB_EEENS0_18inequality_wrapperIN6hipcub16HIPCUB_304000_NS8EqualityEEEPlJS6_EEE10hipError_tPvRmT3_T4_T5_T6_T7_T9_mT8_P12ihipStream_tbDpT10_ENKUlT_T0_E_clISt17integral_constantIbLb1EES17_EEDaS12_S13_EUlS12_E_NS1_11comp_targetILNS1_3genE2ELNS1_11target_archE906ELNS1_3gpuE6ELNS1_3repE0EEENS1_30default_config_static_selectorELNS0_4arch9wavefront6targetE0EEEvT1_,comdat
.Lfunc_end698:
	.size	_ZN7rocprim17ROCPRIM_400000_NS6detail17trampoline_kernelINS0_14default_configENS1_25partition_config_selectorILNS1_17partition_subalgoE8EmNS0_10empty_typeEbEEZZNS1_14partition_implILS5_8ELb0ES3_jPKmPS6_PKS6_NS0_5tupleIJPmS6_EEENSE_IJSB_SB_EEENS0_18inequality_wrapperIN6hipcub16HIPCUB_304000_NS8EqualityEEEPlJS6_EEE10hipError_tPvRmT3_T4_T5_T6_T7_T9_mT8_P12ihipStream_tbDpT10_ENKUlT_T0_E_clISt17integral_constantIbLb1EES17_EEDaS12_S13_EUlS12_E_NS1_11comp_targetILNS1_3genE2ELNS1_11target_archE906ELNS1_3gpuE6ELNS1_3repE0EEENS1_30default_config_static_selectorELNS0_4arch9wavefront6targetE0EEEvT1_, .Lfunc_end698-_ZN7rocprim17ROCPRIM_400000_NS6detail17trampoline_kernelINS0_14default_configENS1_25partition_config_selectorILNS1_17partition_subalgoE8EmNS0_10empty_typeEbEEZZNS1_14partition_implILS5_8ELb0ES3_jPKmPS6_PKS6_NS0_5tupleIJPmS6_EEENSE_IJSB_SB_EEENS0_18inequality_wrapperIN6hipcub16HIPCUB_304000_NS8EqualityEEEPlJS6_EEE10hipError_tPvRmT3_T4_T5_T6_T7_T9_mT8_P12ihipStream_tbDpT10_ENKUlT_T0_E_clISt17integral_constantIbLb1EES17_EEDaS12_S13_EUlS12_E_NS1_11comp_targetILNS1_3genE2ELNS1_11target_archE906ELNS1_3gpuE6ELNS1_3repE0EEENS1_30default_config_static_selectorELNS0_4arch9wavefront6targetE0EEEvT1_
                                        ; -- End function
	.set _ZN7rocprim17ROCPRIM_400000_NS6detail17trampoline_kernelINS0_14default_configENS1_25partition_config_selectorILNS1_17partition_subalgoE8EmNS0_10empty_typeEbEEZZNS1_14partition_implILS5_8ELb0ES3_jPKmPS6_PKS6_NS0_5tupleIJPmS6_EEENSE_IJSB_SB_EEENS0_18inequality_wrapperIN6hipcub16HIPCUB_304000_NS8EqualityEEEPlJS6_EEE10hipError_tPvRmT3_T4_T5_T6_T7_T9_mT8_P12ihipStream_tbDpT10_ENKUlT_T0_E_clISt17integral_constantIbLb1EES17_EEDaS12_S13_EUlS12_E_NS1_11comp_targetILNS1_3genE2ELNS1_11target_archE906ELNS1_3gpuE6ELNS1_3repE0EEENS1_30default_config_static_selectorELNS0_4arch9wavefront6targetE0EEEvT1_.num_vgpr, 0
	.set _ZN7rocprim17ROCPRIM_400000_NS6detail17trampoline_kernelINS0_14default_configENS1_25partition_config_selectorILNS1_17partition_subalgoE8EmNS0_10empty_typeEbEEZZNS1_14partition_implILS5_8ELb0ES3_jPKmPS6_PKS6_NS0_5tupleIJPmS6_EEENSE_IJSB_SB_EEENS0_18inequality_wrapperIN6hipcub16HIPCUB_304000_NS8EqualityEEEPlJS6_EEE10hipError_tPvRmT3_T4_T5_T6_T7_T9_mT8_P12ihipStream_tbDpT10_ENKUlT_T0_E_clISt17integral_constantIbLb1EES17_EEDaS12_S13_EUlS12_E_NS1_11comp_targetILNS1_3genE2ELNS1_11target_archE906ELNS1_3gpuE6ELNS1_3repE0EEENS1_30default_config_static_selectorELNS0_4arch9wavefront6targetE0EEEvT1_.num_agpr, 0
	.set _ZN7rocprim17ROCPRIM_400000_NS6detail17trampoline_kernelINS0_14default_configENS1_25partition_config_selectorILNS1_17partition_subalgoE8EmNS0_10empty_typeEbEEZZNS1_14partition_implILS5_8ELb0ES3_jPKmPS6_PKS6_NS0_5tupleIJPmS6_EEENSE_IJSB_SB_EEENS0_18inequality_wrapperIN6hipcub16HIPCUB_304000_NS8EqualityEEEPlJS6_EEE10hipError_tPvRmT3_T4_T5_T6_T7_T9_mT8_P12ihipStream_tbDpT10_ENKUlT_T0_E_clISt17integral_constantIbLb1EES17_EEDaS12_S13_EUlS12_E_NS1_11comp_targetILNS1_3genE2ELNS1_11target_archE906ELNS1_3gpuE6ELNS1_3repE0EEENS1_30default_config_static_selectorELNS0_4arch9wavefront6targetE0EEEvT1_.numbered_sgpr, 0
	.set _ZN7rocprim17ROCPRIM_400000_NS6detail17trampoline_kernelINS0_14default_configENS1_25partition_config_selectorILNS1_17partition_subalgoE8EmNS0_10empty_typeEbEEZZNS1_14partition_implILS5_8ELb0ES3_jPKmPS6_PKS6_NS0_5tupleIJPmS6_EEENSE_IJSB_SB_EEENS0_18inequality_wrapperIN6hipcub16HIPCUB_304000_NS8EqualityEEEPlJS6_EEE10hipError_tPvRmT3_T4_T5_T6_T7_T9_mT8_P12ihipStream_tbDpT10_ENKUlT_T0_E_clISt17integral_constantIbLb1EES17_EEDaS12_S13_EUlS12_E_NS1_11comp_targetILNS1_3genE2ELNS1_11target_archE906ELNS1_3gpuE6ELNS1_3repE0EEENS1_30default_config_static_selectorELNS0_4arch9wavefront6targetE0EEEvT1_.num_named_barrier, 0
	.set _ZN7rocprim17ROCPRIM_400000_NS6detail17trampoline_kernelINS0_14default_configENS1_25partition_config_selectorILNS1_17partition_subalgoE8EmNS0_10empty_typeEbEEZZNS1_14partition_implILS5_8ELb0ES3_jPKmPS6_PKS6_NS0_5tupleIJPmS6_EEENSE_IJSB_SB_EEENS0_18inequality_wrapperIN6hipcub16HIPCUB_304000_NS8EqualityEEEPlJS6_EEE10hipError_tPvRmT3_T4_T5_T6_T7_T9_mT8_P12ihipStream_tbDpT10_ENKUlT_T0_E_clISt17integral_constantIbLb1EES17_EEDaS12_S13_EUlS12_E_NS1_11comp_targetILNS1_3genE2ELNS1_11target_archE906ELNS1_3gpuE6ELNS1_3repE0EEENS1_30default_config_static_selectorELNS0_4arch9wavefront6targetE0EEEvT1_.private_seg_size, 0
	.set _ZN7rocprim17ROCPRIM_400000_NS6detail17trampoline_kernelINS0_14default_configENS1_25partition_config_selectorILNS1_17partition_subalgoE8EmNS0_10empty_typeEbEEZZNS1_14partition_implILS5_8ELb0ES3_jPKmPS6_PKS6_NS0_5tupleIJPmS6_EEENSE_IJSB_SB_EEENS0_18inequality_wrapperIN6hipcub16HIPCUB_304000_NS8EqualityEEEPlJS6_EEE10hipError_tPvRmT3_T4_T5_T6_T7_T9_mT8_P12ihipStream_tbDpT10_ENKUlT_T0_E_clISt17integral_constantIbLb1EES17_EEDaS12_S13_EUlS12_E_NS1_11comp_targetILNS1_3genE2ELNS1_11target_archE906ELNS1_3gpuE6ELNS1_3repE0EEENS1_30default_config_static_selectorELNS0_4arch9wavefront6targetE0EEEvT1_.uses_vcc, 0
	.set _ZN7rocprim17ROCPRIM_400000_NS6detail17trampoline_kernelINS0_14default_configENS1_25partition_config_selectorILNS1_17partition_subalgoE8EmNS0_10empty_typeEbEEZZNS1_14partition_implILS5_8ELb0ES3_jPKmPS6_PKS6_NS0_5tupleIJPmS6_EEENSE_IJSB_SB_EEENS0_18inequality_wrapperIN6hipcub16HIPCUB_304000_NS8EqualityEEEPlJS6_EEE10hipError_tPvRmT3_T4_T5_T6_T7_T9_mT8_P12ihipStream_tbDpT10_ENKUlT_T0_E_clISt17integral_constantIbLb1EES17_EEDaS12_S13_EUlS12_E_NS1_11comp_targetILNS1_3genE2ELNS1_11target_archE906ELNS1_3gpuE6ELNS1_3repE0EEENS1_30default_config_static_selectorELNS0_4arch9wavefront6targetE0EEEvT1_.uses_flat_scratch, 0
	.set _ZN7rocprim17ROCPRIM_400000_NS6detail17trampoline_kernelINS0_14default_configENS1_25partition_config_selectorILNS1_17partition_subalgoE8EmNS0_10empty_typeEbEEZZNS1_14partition_implILS5_8ELb0ES3_jPKmPS6_PKS6_NS0_5tupleIJPmS6_EEENSE_IJSB_SB_EEENS0_18inequality_wrapperIN6hipcub16HIPCUB_304000_NS8EqualityEEEPlJS6_EEE10hipError_tPvRmT3_T4_T5_T6_T7_T9_mT8_P12ihipStream_tbDpT10_ENKUlT_T0_E_clISt17integral_constantIbLb1EES17_EEDaS12_S13_EUlS12_E_NS1_11comp_targetILNS1_3genE2ELNS1_11target_archE906ELNS1_3gpuE6ELNS1_3repE0EEENS1_30default_config_static_selectorELNS0_4arch9wavefront6targetE0EEEvT1_.has_dyn_sized_stack, 0
	.set _ZN7rocprim17ROCPRIM_400000_NS6detail17trampoline_kernelINS0_14default_configENS1_25partition_config_selectorILNS1_17partition_subalgoE8EmNS0_10empty_typeEbEEZZNS1_14partition_implILS5_8ELb0ES3_jPKmPS6_PKS6_NS0_5tupleIJPmS6_EEENSE_IJSB_SB_EEENS0_18inequality_wrapperIN6hipcub16HIPCUB_304000_NS8EqualityEEEPlJS6_EEE10hipError_tPvRmT3_T4_T5_T6_T7_T9_mT8_P12ihipStream_tbDpT10_ENKUlT_T0_E_clISt17integral_constantIbLb1EES17_EEDaS12_S13_EUlS12_E_NS1_11comp_targetILNS1_3genE2ELNS1_11target_archE906ELNS1_3gpuE6ELNS1_3repE0EEENS1_30default_config_static_selectorELNS0_4arch9wavefront6targetE0EEEvT1_.has_recursion, 0
	.set _ZN7rocprim17ROCPRIM_400000_NS6detail17trampoline_kernelINS0_14default_configENS1_25partition_config_selectorILNS1_17partition_subalgoE8EmNS0_10empty_typeEbEEZZNS1_14partition_implILS5_8ELb0ES3_jPKmPS6_PKS6_NS0_5tupleIJPmS6_EEENSE_IJSB_SB_EEENS0_18inequality_wrapperIN6hipcub16HIPCUB_304000_NS8EqualityEEEPlJS6_EEE10hipError_tPvRmT3_T4_T5_T6_T7_T9_mT8_P12ihipStream_tbDpT10_ENKUlT_T0_E_clISt17integral_constantIbLb1EES17_EEDaS12_S13_EUlS12_E_NS1_11comp_targetILNS1_3genE2ELNS1_11target_archE906ELNS1_3gpuE6ELNS1_3repE0EEENS1_30default_config_static_selectorELNS0_4arch9wavefront6targetE0EEEvT1_.has_indirect_call, 0
	.section	.AMDGPU.csdata,"",@progbits
; Kernel info:
; codeLenInByte = 0
; TotalNumSgprs: 0
; NumVgprs: 0
; ScratchSize: 0
; MemoryBound: 0
; FloatMode: 240
; IeeeMode: 1
; LDSByteSize: 0 bytes/workgroup (compile time only)
; SGPRBlocks: 0
; VGPRBlocks: 0
; NumSGPRsForWavesPerEU: 1
; NumVGPRsForWavesPerEU: 1
; NamedBarCnt: 0
; Occupancy: 16
; WaveLimiterHint : 0
; COMPUTE_PGM_RSRC2:SCRATCH_EN: 0
; COMPUTE_PGM_RSRC2:USER_SGPR: 2
; COMPUTE_PGM_RSRC2:TRAP_HANDLER: 0
; COMPUTE_PGM_RSRC2:TGID_X_EN: 1
; COMPUTE_PGM_RSRC2:TGID_Y_EN: 0
; COMPUTE_PGM_RSRC2:TGID_Z_EN: 0
; COMPUTE_PGM_RSRC2:TIDIG_COMP_CNT: 0
	.section	.text._ZN7rocprim17ROCPRIM_400000_NS6detail17trampoline_kernelINS0_14default_configENS1_25partition_config_selectorILNS1_17partition_subalgoE8EmNS0_10empty_typeEbEEZZNS1_14partition_implILS5_8ELb0ES3_jPKmPS6_PKS6_NS0_5tupleIJPmS6_EEENSE_IJSB_SB_EEENS0_18inequality_wrapperIN6hipcub16HIPCUB_304000_NS8EqualityEEEPlJS6_EEE10hipError_tPvRmT3_T4_T5_T6_T7_T9_mT8_P12ihipStream_tbDpT10_ENKUlT_T0_E_clISt17integral_constantIbLb1EES17_EEDaS12_S13_EUlS12_E_NS1_11comp_targetILNS1_3genE10ELNS1_11target_archE1200ELNS1_3gpuE4ELNS1_3repE0EEENS1_30default_config_static_selectorELNS0_4arch9wavefront6targetE0EEEvT1_,"axG",@progbits,_ZN7rocprim17ROCPRIM_400000_NS6detail17trampoline_kernelINS0_14default_configENS1_25partition_config_selectorILNS1_17partition_subalgoE8EmNS0_10empty_typeEbEEZZNS1_14partition_implILS5_8ELb0ES3_jPKmPS6_PKS6_NS0_5tupleIJPmS6_EEENSE_IJSB_SB_EEENS0_18inequality_wrapperIN6hipcub16HIPCUB_304000_NS8EqualityEEEPlJS6_EEE10hipError_tPvRmT3_T4_T5_T6_T7_T9_mT8_P12ihipStream_tbDpT10_ENKUlT_T0_E_clISt17integral_constantIbLb1EES17_EEDaS12_S13_EUlS12_E_NS1_11comp_targetILNS1_3genE10ELNS1_11target_archE1200ELNS1_3gpuE4ELNS1_3repE0EEENS1_30default_config_static_selectorELNS0_4arch9wavefront6targetE0EEEvT1_,comdat
	.protected	_ZN7rocprim17ROCPRIM_400000_NS6detail17trampoline_kernelINS0_14default_configENS1_25partition_config_selectorILNS1_17partition_subalgoE8EmNS0_10empty_typeEbEEZZNS1_14partition_implILS5_8ELb0ES3_jPKmPS6_PKS6_NS0_5tupleIJPmS6_EEENSE_IJSB_SB_EEENS0_18inequality_wrapperIN6hipcub16HIPCUB_304000_NS8EqualityEEEPlJS6_EEE10hipError_tPvRmT3_T4_T5_T6_T7_T9_mT8_P12ihipStream_tbDpT10_ENKUlT_T0_E_clISt17integral_constantIbLb1EES17_EEDaS12_S13_EUlS12_E_NS1_11comp_targetILNS1_3genE10ELNS1_11target_archE1200ELNS1_3gpuE4ELNS1_3repE0EEENS1_30default_config_static_selectorELNS0_4arch9wavefront6targetE0EEEvT1_ ; -- Begin function _ZN7rocprim17ROCPRIM_400000_NS6detail17trampoline_kernelINS0_14default_configENS1_25partition_config_selectorILNS1_17partition_subalgoE8EmNS0_10empty_typeEbEEZZNS1_14partition_implILS5_8ELb0ES3_jPKmPS6_PKS6_NS0_5tupleIJPmS6_EEENSE_IJSB_SB_EEENS0_18inequality_wrapperIN6hipcub16HIPCUB_304000_NS8EqualityEEEPlJS6_EEE10hipError_tPvRmT3_T4_T5_T6_T7_T9_mT8_P12ihipStream_tbDpT10_ENKUlT_T0_E_clISt17integral_constantIbLb1EES17_EEDaS12_S13_EUlS12_E_NS1_11comp_targetILNS1_3genE10ELNS1_11target_archE1200ELNS1_3gpuE4ELNS1_3repE0EEENS1_30default_config_static_selectorELNS0_4arch9wavefront6targetE0EEEvT1_
	.globl	_ZN7rocprim17ROCPRIM_400000_NS6detail17trampoline_kernelINS0_14default_configENS1_25partition_config_selectorILNS1_17partition_subalgoE8EmNS0_10empty_typeEbEEZZNS1_14partition_implILS5_8ELb0ES3_jPKmPS6_PKS6_NS0_5tupleIJPmS6_EEENSE_IJSB_SB_EEENS0_18inequality_wrapperIN6hipcub16HIPCUB_304000_NS8EqualityEEEPlJS6_EEE10hipError_tPvRmT3_T4_T5_T6_T7_T9_mT8_P12ihipStream_tbDpT10_ENKUlT_T0_E_clISt17integral_constantIbLb1EES17_EEDaS12_S13_EUlS12_E_NS1_11comp_targetILNS1_3genE10ELNS1_11target_archE1200ELNS1_3gpuE4ELNS1_3repE0EEENS1_30default_config_static_selectorELNS0_4arch9wavefront6targetE0EEEvT1_
	.p2align	8
	.type	_ZN7rocprim17ROCPRIM_400000_NS6detail17trampoline_kernelINS0_14default_configENS1_25partition_config_selectorILNS1_17partition_subalgoE8EmNS0_10empty_typeEbEEZZNS1_14partition_implILS5_8ELb0ES3_jPKmPS6_PKS6_NS0_5tupleIJPmS6_EEENSE_IJSB_SB_EEENS0_18inequality_wrapperIN6hipcub16HIPCUB_304000_NS8EqualityEEEPlJS6_EEE10hipError_tPvRmT3_T4_T5_T6_T7_T9_mT8_P12ihipStream_tbDpT10_ENKUlT_T0_E_clISt17integral_constantIbLb1EES17_EEDaS12_S13_EUlS12_E_NS1_11comp_targetILNS1_3genE10ELNS1_11target_archE1200ELNS1_3gpuE4ELNS1_3repE0EEENS1_30default_config_static_selectorELNS0_4arch9wavefront6targetE0EEEvT1_,@function
_ZN7rocprim17ROCPRIM_400000_NS6detail17trampoline_kernelINS0_14default_configENS1_25partition_config_selectorILNS1_17partition_subalgoE8EmNS0_10empty_typeEbEEZZNS1_14partition_implILS5_8ELb0ES3_jPKmPS6_PKS6_NS0_5tupleIJPmS6_EEENSE_IJSB_SB_EEENS0_18inequality_wrapperIN6hipcub16HIPCUB_304000_NS8EqualityEEEPlJS6_EEE10hipError_tPvRmT3_T4_T5_T6_T7_T9_mT8_P12ihipStream_tbDpT10_ENKUlT_T0_E_clISt17integral_constantIbLb1EES17_EEDaS12_S13_EUlS12_E_NS1_11comp_targetILNS1_3genE10ELNS1_11target_archE1200ELNS1_3gpuE4ELNS1_3repE0EEENS1_30default_config_static_selectorELNS0_4arch9wavefront6targetE0EEEvT1_: ; @_ZN7rocprim17ROCPRIM_400000_NS6detail17trampoline_kernelINS0_14default_configENS1_25partition_config_selectorILNS1_17partition_subalgoE8EmNS0_10empty_typeEbEEZZNS1_14partition_implILS5_8ELb0ES3_jPKmPS6_PKS6_NS0_5tupleIJPmS6_EEENSE_IJSB_SB_EEENS0_18inequality_wrapperIN6hipcub16HIPCUB_304000_NS8EqualityEEEPlJS6_EEE10hipError_tPvRmT3_T4_T5_T6_T7_T9_mT8_P12ihipStream_tbDpT10_ENKUlT_T0_E_clISt17integral_constantIbLb1EES17_EEDaS12_S13_EUlS12_E_NS1_11comp_targetILNS1_3genE10ELNS1_11target_archE1200ELNS1_3gpuE4ELNS1_3repE0EEENS1_30default_config_static_selectorELNS0_4arch9wavefront6targetE0EEEvT1_
; %bb.0:
	.section	.rodata,"a",@progbits
	.p2align	6, 0x0
	.amdhsa_kernel _ZN7rocprim17ROCPRIM_400000_NS6detail17trampoline_kernelINS0_14default_configENS1_25partition_config_selectorILNS1_17partition_subalgoE8EmNS0_10empty_typeEbEEZZNS1_14partition_implILS5_8ELb0ES3_jPKmPS6_PKS6_NS0_5tupleIJPmS6_EEENSE_IJSB_SB_EEENS0_18inequality_wrapperIN6hipcub16HIPCUB_304000_NS8EqualityEEEPlJS6_EEE10hipError_tPvRmT3_T4_T5_T6_T7_T9_mT8_P12ihipStream_tbDpT10_ENKUlT_T0_E_clISt17integral_constantIbLb1EES17_EEDaS12_S13_EUlS12_E_NS1_11comp_targetILNS1_3genE10ELNS1_11target_archE1200ELNS1_3gpuE4ELNS1_3repE0EEENS1_30default_config_static_selectorELNS0_4arch9wavefront6targetE0EEEvT1_
		.amdhsa_group_segment_fixed_size 0
		.amdhsa_private_segment_fixed_size 0
		.amdhsa_kernarg_size 128
		.amdhsa_user_sgpr_count 2
		.amdhsa_user_sgpr_dispatch_ptr 0
		.amdhsa_user_sgpr_queue_ptr 0
		.amdhsa_user_sgpr_kernarg_segment_ptr 1
		.amdhsa_user_sgpr_dispatch_id 0
		.amdhsa_user_sgpr_kernarg_preload_length 0
		.amdhsa_user_sgpr_kernarg_preload_offset 0
		.amdhsa_user_sgpr_private_segment_size 0
		.amdhsa_wavefront_size32 1
		.amdhsa_uses_dynamic_stack 0
		.amdhsa_enable_private_segment 0
		.amdhsa_system_sgpr_workgroup_id_x 1
		.amdhsa_system_sgpr_workgroup_id_y 0
		.amdhsa_system_sgpr_workgroup_id_z 0
		.amdhsa_system_sgpr_workgroup_info 0
		.amdhsa_system_vgpr_workitem_id 0
		.amdhsa_next_free_vgpr 1
		.amdhsa_next_free_sgpr 1
		.amdhsa_named_barrier_count 0
		.amdhsa_reserve_vcc 0
		.amdhsa_float_round_mode_32 0
		.amdhsa_float_round_mode_16_64 0
		.amdhsa_float_denorm_mode_32 3
		.amdhsa_float_denorm_mode_16_64 3
		.amdhsa_fp16_overflow 0
		.amdhsa_memory_ordered 1
		.amdhsa_forward_progress 1
		.amdhsa_inst_pref_size 0
		.amdhsa_round_robin_scheduling 0
		.amdhsa_exception_fp_ieee_invalid_op 0
		.amdhsa_exception_fp_denorm_src 0
		.amdhsa_exception_fp_ieee_div_zero 0
		.amdhsa_exception_fp_ieee_overflow 0
		.amdhsa_exception_fp_ieee_underflow 0
		.amdhsa_exception_fp_ieee_inexact 0
		.amdhsa_exception_int_div_zero 0
	.end_amdhsa_kernel
	.section	.text._ZN7rocprim17ROCPRIM_400000_NS6detail17trampoline_kernelINS0_14default_configENS1_25partition_config_selectorILNS1_17partition_subalgoE8EmNS0_10empty_typeEbEEZZNS1_14partition_implILS5_8ELb0ES3_jPKmPS6_PKS6_NS0_5tupleIJPmS6_EEENSE_IJSB_SB_EEENS0_18inequality_wrapperIN6hipcub16HIPCUB_304000_NS8EqualityEEEPlJS6_EEE10hipError_tPvRmT3_T4_T5_T6_T7_T9_mT8_P12ihipStream_tbDpT10_ENKUlT_T0_E_clISt17integral_constantIbLb1EES17_EEDaS12_S13_EUlS12_E_NS1_11comp_targetILNS1_3genE10ELNS1_11target_archE1200ELNS1_3gpuE4ELNS1_3repE0EEENS1_30default_config_static_selectorELNS0_4arch9wavefront6targetE0EEEvT1_,"axG",@progbits,_ZN7rocprim17ROCPRIM_400000_NS6detail17trampoline_kernelINS0_14default_configENS1_25partition_config_selectorILNS1_17partition_subalgoE8EmNS0_10empty_typeEbEEZZNS1_14partition_implILS5_8ELb0ES3_jPKmPS6_PKS6_NS0_5tupleIJPmS6_EEENSE_IJSB_SB_EEENS0_18inequality_wrapperIN6hipcub16HIPCUB_304000_NS8EqualityEEEPlJS6_EEE10hipError_tPvRmT3_T4_T5_T6_T7_T9_mT8_P12ihipStream_tbDpT10_ENKUlT_T0_E_clISt17integral_constantIbLb1EES17_EEDaS12_S13_EUlS12_E_NS1_11comp_targetILNS1_3genE10ELNS1_11target_archE1200ELNS1_3gpuE4ELNS1_3repE0EEENS1_30default_config_static_selectorELNS0_4arch9wavefront6targetE0EEEvT1_,comdat
.Lfunc_end699:
	.size	_ZN7rocprim17ROCPRIM_400000_NS6detail17trampoline_kernelINS0_14default_configENS1_25partition_config_selectorILNS1_17partition_subalgoE8EmNS0_10empty_typeEbEEZZNS1_14partition_implILS5_8ELb0ES3_jPKmPS6_PKS6_NS0_5tupleIJPmS6_EEENSE_IJSB_SB_EEENS0_18inequality_wrapperIN6hipcub16HIPCUB_304000_NS8EqualityEEEPlJS6_EEE10hipError_tPvRmT3_T4_T5_T6_T7_T9_mT8_P12ihipStream_tbDpT10_ENKUlT_T0_E_clISt17integral_constantIbLb1EES17_EEDaS12_S13_EUlS12_E_NS1_11comp_targetILNS1_3genE10ELNS1_11target_archE1200ELNS1_3gpuE4ELNS1_3repE0EEENS1_30default_config_static_selectorELNS0_4arch9wavefront6targetE0EEEvT1_, .Lfunc_end699-_ZN7rocprim17ROCPRIM_400000_NS6detail17trampoline_kernelINS0_14default_configENS1_25partition_config_selectorILNS1_17partition_subalgoE8EmNS0_10empty_typeEbEEZZNS1_14partition_implILS5_8ELb0ES3_jPKmPS6_PKS6_NS0_5tupleIJPmS6_EEENSE_IJSB_SB_EEENS0_18inequality_wrapperIN6hipcub16HIPCUB_304000_NS8EqualityEEEPlJS6_EEE10hipError_tPvRmT3_T4_T5_T6_T7_T9_mT8_P12ihipStream_tbDpT10_ENKUlT_T0_E_clISt17integral_constantIbLb1EES17_EEDaS12_S13_EUlS12_E_NS1_11comp_targetILNS1_3genE10ELNS1_11target_archE1200ELNS1_3gpuE4ELNS1_3repE0EEENS1_30default_config_static_selectorELNS0_4arch9wavefront6targetE0EEEvT1_
                                        ; -- End function
	.set _ZN7rocprim17ROCPRIM_400000_NS6detail17trampoline_kernelINS0_14default_configENS1_25partition_config_selectorILNS1_17partition_subalgoE8EmNS0_10empty_typeEbEEZZNS1_14partition_implILS5_8ELb0ES3_jPKmPS6_PKS6_NS0_5tupleIJPmS6_EEENSE_IJSB_SB_EEENS0_18inequality_wrapperIN6hipcub16HIPCUB_304000_NS8EqualityEEEPlJS6_EEE10hipError_tPvRmT3_T4_T5_T6_T7_T9_mT8_P12ihipStream_tbDpT10_ENKUlT_T0_E_clISt17integral_constantIbLb1EES17_EEDaS12_S13_EUlS12_E_NS1_11comp_targetILNS1_3genE10ELNS1_11target_archE1200ELNS1_3gpuE4ELNS1_3repE0EEENS1_30default_config_static_selectorELNS0_4arch9wavefront6targetE0EEEvT1_.num_vgpr, 0
	.set _ZN7rocprim17ROCPRIM_400000_NS6detail17trampoline_kernelINS0_14default_configENS1_25partition_config_selectorILNS1_17partition_subalgoE8EmNS0_10empty_typeEbEEZZNS1_14partition_implILS5_8ELb0ES3_jPKmPS6_PKS6_NS0_5tupleIJPmS6_EEENSE_IJSB_SB_EEENS0_18inequality_wrapperIN6hipcub16HIPCUB_304000_NS8EqualityEEEPlJS6_EEE10hipError_tPvRmT3_T4_T5_T6_T7_T9_mT8_P12ihipStream_tbDpT10_ENKUlT_T0_E_clISt17integral_constantIbLb1EES17_EEDaS12_S13_EUlS12_E_NS1_11comp_targetILNS1_3genE10ELNS1_11target_archE1200ELNS1_3gpuE4ELNS1_3repE0EEENS1_30default_config_static_selectorELNS0_4arch9wavefront6targetE0EEEvT1_.num_agpr, 0
	.set _ZN7rocprim17ROCPRIM_400000_NS6detail17trampoline_kernelINS0_14default_configENS1_25partition_config_selectorILNS1_17partition_subalgoE8EmNS0_10empty_typeEbEEZZNS1_14partition_implILS5_8ELb0ES3_jPKmPS6_PKS6_NS0_5tupleIJPmS6_EEENSE_IJSB_SB_EEENS0_18inequality_wrapperIN6hipcub16HIPCUB_304000_NS8EqualityEEEPlJS6_EEE10hipError_tPvRmT3_T4_T5_T6_T7_T9_mT8_P12ihipStream_tbDpT10_ENKUlT_T0_E_clISt17integral_constantIbLb1EES17_EEDaS12_S13_EUlS12_E_NS1_11comp_targetILNS1_3genE10ELNS1_11target_archE1200ELNS1_3gpuE4ELNS1_3repE0EEENS1_30default_config_static_selectorELNS0_4arch9wavefront6targetE0EEEvT1_.numbered_sgpr, 0
	.set _ZN7rocprim17ROCPRIM_400000_NS6detail17trampoline_kernelINS0_14default_configENS1_25partition_config_selectorILNS1_17partition_subalgoE8EmNS0_10empty_typeEbEEZZNS1_14partition_implILS5_8ELb0ES3_jPKmPS6_PKS6_NS0_5tupleIJPmS6_EEENSE_IJSB_SB_EEENS0_18inequality_wrapperIN6hipcub16HIPCUB_304000_NS8EqualityEEEPlJS6_EEE10hipError_tPvRmT3_T4_T5_T6_T7_T9_mT8_P12ihipStream_tbDpT10_ENKUlT_T0_E_clISt17integral_constantIbLb1EES17_EEDaS12_S13_EUlS12_E_NS1_11comp_targetILNS1_3genE10ELNS1_11target_archE1200ELNS1_3gpuE4ELNS1_3repE0EEENS1_30default_config_static_selectorELNS0_4arch9wavefront6targetE0EEEvT1_.num_named_barrier, 0
	.set _ZN7rocprim17ROCPRIM_400000_NS6detail17trampoline_kernelINS0_14default_configENS1_25partition_config_selectorILNS1_17partition_subalgoE8EmNS0_10empty_typeEbEEZZNS1_14partition_implILS5_8ELb0ES3_jPKmPS6_PKS6_NS0_5tupleIJPmS6_EEENSE_IJSB_SB_EEENS0_18inequality_wrapperIN6hipcub16HIPCUB_304000_NS8EqualityEEEPlJS6_EEE10hipError_tPvRmT3_T4_T5_T6_T7_T9_mT8_P12ihipStream_tbDpT10_ENKUlT_T0_E_clISt17integral_constantIbLb1EES17_EEDaS12_S13_EUlS12_E_NS1_11comp_targetILNS1_3genE10ELNS1_11target_archE1200ELNS1_3gpuE4ELNS1_3repE0EEENS1_30default_config_static_selectorELNS0_4arch9wavefront6targetE0EEEvT1_.private_seg_size, 0
	.set _ZN7rocprim17ROCPRIM_400000_NS6detail17trampoline_kernelINS0_14default_configENS1_25partition_config_selectorILNS1_17partition_subalgoE8EmNS0_10empty_typeEbEEZZNS1_14partition_implILS5_8ELb0ES3_jPKmPS6_PKS6_NS0_5tupleIJPmS6_EEENSE_IJSB_SB_EEENS0_18inequality_wrapperIN6hipcub16HIPCUB_304000_NS8EqualityEEEPlJS6_EEE10hipError_tPvRmT3_T4_T5_T6_T7_T9_mT8_P12ihipStream_tbDpT10_ENKUlT_T0_E_clISt17integral_constantIbLb1EES17_EEDaS12_S13_EUlS12_E_NS1_11comp_targetILNS1_3genE10ELNS1_11target_archE1200ELNS1_3gpuE4ELNS1_3repE0EEENS1_30default_config_static_selectorELNS0_4arch9wavefront6targetE0EEEvT1_.uses_vcc, 0
	.set _ZN7rocprim17ROCPRIM_400000_NS6detail17trampoline_kernelINS0_14default_configENS1_25partition_config_selectorILNS1_17partition_subalgoE8EmNS0_10empty_typeEbEEZZNS1_14partition_implILS5_8ELb0ES3_jPKmPS6_PKS6_NS0_5tupleIJPmS6_EEENSE_IJSB_SB_EEENS0_18inequality_wrapperIN6hipcub16HIPCUB_304000_NS8EqualityEEEPlJS6_EEE10hipError_tPvRmT3_T4_T5_T6_T7_T9_mT8_P12ihipStream_tbDpT10_ENKUlT_T0_E_clISt17integral_constantIbLb1EES17_EEDaS12_S13_EUlS12_E_NS1_11comp_targetILNS1_3genE10ELNS1_11target_archE1200ELNS1_3gpuE4ELNS1_3repE0EEENS1_30default_config_static_selectorELNS0_4arch9wavefront6targetE0EEEvT1_.uses_flat_scratch, 0
	.set _ZN7rocprim17ROCPRIM_400000_NS6detail17trampoline_kernelINS0_14default_configENS1_25partition_config_selectorILNS1_17partition_subalgoE8EmNS0_10empty_typeEbEEZZNS1_14partition_implILS5_8ELb0ES3_jPKmPS6_PKS6_NS0_5tupleIJPmS6_EEENSE_IJSB_SB_EEENS0_18inequality_wrapperIN6hipcub16HIPCUB_304000_NS8EqualityEEEPlJS6_EEE10hipError_tPvRmT3_T4_T5_T6_T7_T9_mT8_P12ihipStream_tbDpT10_ENKUlT_T0_E_clISt17integral_constantIbLb1EES17_EEDaS12_S13_EUlS12_E_NS1_11comp_targetILNS1_3genE10ELNS1_11target_archE1200ELNS1_3gpuE4ELNS1_3repE0EEENS1_30default_config_static_selectorELNS0_4arch9wavefront6targetE0EEEvT1_.has_dyn_sized_stack, 0
	.set _ZN7rocprim17ROCPRIM_400000_NS6detail17trampoline_kernelINS0_14default_configENS1_25partition_config_selectorILNS1_17partition_subalgoE8EmNS0_10empty_typeEbEEZZNS1_14partition_implILS5_8ELb0ES3_jPKmPS6_PKS6_NS0_5tupleIJPmS6_EEENSE_IJSB_SB_EEENS0_18inequality_wrapperIN6hipcub16HIPCUB_304000_NS8EqualityEEEPlJS6_EEE10hipError_tPvRmT3_T4_T5_T6_T7_T9_mT8_P12ihipStream_tbDpT10_ENKUlT_T0_E_clISt17integral_constantIbLb1EES17_EEDaS12_S13_EUlS12_E_NS1_11comp_targetILNS1_3genE10ELNS1_11target_archE1200ELNS1_3gpuE4ELNS1_3repE0EEENS1_30default_config_static_selectorELNS0_4arch9wavefront6targetE0EEEvT1_.has_recursion, 0
	.set _ZN7rocprim17ROCPRIM_400000_NS6detail17trampoline_kernelINS0_14default_configENS1_25partition_config_selectorILNS1_17partition_subalgoE8EmNS0_10empty_typeEbEEZZNS1_14partition_implILS5_8ELb0ES3_jPKmPS6_PKS6_NS0_5tupleIJPmS6_EEENSE_IJSB_SB_EEENS0_18inequality_wrapperIN6hipcub16HIPCUB_304000_NS8EqualityEEEPlJS6_EEE10hipError_tPvRmT3_T4_T5_T6_T7_T9_mT8_P12ihipStream_tbDpT10_ENKUlT_T0_E_clISt17integral_constantIbLb1EES17_EEDaS12_S13_EUlS12_E_NS1_11comp_targetILNS1_3genE10ELNS1_11target_archE1200ELNS1_3gpuE4ELNS1_3repE0EEENS1_30default_config_static_selectorELNS0_4arch9wavefront6targetE0EEEvT1_.has_indirect_call, 0
	.section	.AMDGPU.csdata,"",@progbits
; Kernel info:
; codeLenInByte = 0
; TotalNumSgprs: 0
; NumVgprs: 0
; ScratchSize: 0
; MemoryBound: 0
; FloatMode: 240
; IeeeMode: 1
; LDSByteSize: 0 bytes/workgroup (compile time only)
; SGPRBlocks: 0
; VGPRBlocks: 0
; NumSGPRsForWavesPerEU: 1
; NumVGPRsForWavesPerEU: 1
; NamedBarCnt: 0
; Occupancy: 16
; WaveLimiterHint : 0
; COMPUTE_PGM_RSRC2:SCRATCH_EN: 0
; COMPUTE_PGM_RSRC2:USER_SGPR: 2
; COMPUTE_PGM_RSRC2:TRAP_HANDLER: 0
; COMPUTE_PGM_RSRC2:TGID_X_EN: 1
; COMPUTE_PGM_RSRC2:TGID_Y_EN: 0
; COMPUTE_PGM_RSRC2:TGID_Z_EN: 0
; COMPUTE_PGM_RSRC2:TIDIG_COMP_CNT: 0
	.section	.text._ZN7rocprim17ROCPRIM_400000_NS6detail17trampoline_kernelINS0_14default_configENS1_25partition_config_selectorILNS1_17partition_subalgoE8EmNS0_10empty_typeEbEEZZNS1_14partition_implILS5_8ELb0ES3_jPKmPS6_PKS6_NS0_5tupleIJPmS6_EEENSE_IJSB_SB_EEENS0_18inequality_wrapperIN6hipcub16HIPCUB_304000_NS8EqualityEEEPlJS6_EEE10hipError_tPvRmT3_T4_T5_T6_T7_T9_mT8_P12ihipStream_tbDpT10_ENKUlT_T0_E_clISt17integral_constantIbLb1EES17_EEDaS12_S13_EUlS12_E_NS1_11comp_targetILNS1_3genE9ELNS1_11target_archE1100ELNS1_3gpuE3ELNS1_3repE0EEENS1_30default_config_static_selectorELNS0_4arch9wavefront6targetE0EEEvT1_,"axG",@progbits,_ZN7rocprim17ROCPRIM_400000_NS6detail17trampoline_kernelINS0_14default_configENS1_25partition_config_selectorILNS1_17partition_subalgoE8EmNS0_10empty_typeEbEEZZNS1_14partition_implILS5_8ELb0ES3_jPKmPS6_PKS6_NS0_5tupleIJPmS6_EEENSE_IJSB_SB_EEENS0_18inequality_wrapperIN6hipcub16HIPCUB_304000_NS8EqualityEEEPlJS6_EEE10hipError_tPvRmT3_T4_T5_T6_T7_T9_mT8_P12ihipStream_tbDpT10_ENKUlT_T0_E_clISt17integral_constantIbLb1EES17_EEDaS12_S13_EUlS12_E_NS1_11comp_targetILNS1_3genE9ELNS1_11target_archE1100ELNS1_3gpuE3ELNS1_3repE0EEENS1_30default_config_static_selectorELNS0_4arch9wavefront6targetE0EEEvT1_,comdat
	.protected	_ZN7rocprim17ROCPRIM_400000_NS6detail17trampoline_kernelINS0_14default_configENS1_25partition_config_selectorILNS1_17partition_subalgoE8EmNS0_10empty_typeEbEEZZNS1_14partition_implILS5_8ELb0ES3_jPKmPS6_PKS6_NS0_5tupleIJPmS6_EEENSE_IJSB_SB_EEENS0_18inequality_wrapperIN6hipcub16HIPCUB_304000_NS8EqualityEEEPlJS6_EEE10hipError_tPvRmT3_T4_T5_T6_T7_T9_mT8_P12ihipStream_tbDpT10_ENKUlT_T0_E_clISt17integral_constantIbLb1EES17_EEDaS12_S13_EUlS12_E_NS1_11comp_targetILNS1_3genE9ELNS1_11target_archE1100ELNS1_3gpuE3ELNS1_3repE0EEENS1_30default_config_static_selectorELNS0_4arch9wavefront6targetE0EEEvT1_ ; -- Begin function _ZN7rocprim17ROCPRIM_400000_NS6detail17trampoline_kernelINS0_14default_configENS1_25partition_config_selectorILNS1_17partition_subalgoE8EmNS0_10empty_typeEbEEZZNS1_14partition_implILS5_8ELb0ES3_jPKmPS6_PKS6_NS0_5tupleIJPmS6_EEENSE_IJSB_SB_EEENS0_18inequality_wrapperIN6hipcub16HIPCUB_304000_NS8EqualityEEEPlJS6_EEE10hipError_tPvRmT3_T4_T5_T6_T7_T9_mT8_P12ihipStream_tbDpT10_ENKUlT_T0_E_clISt17integral_constantIbLb1EES17_EEDaS12_S13_EUlS12_E_NS1_11comp_targetILNS1_3genE9ELNS1_11target_archE1100ELNS1_3gpuE3ELNS1_3repE0EEENS1_30default_config_static_selectorELNS0_4arch9wavefront6targetE0EEEvT1_
	.globl	_ZN7rocprim17ROCPRIM_400000_NS6detail17trampoline_kernelINS0_14default_configENS1_25partition_config_selectorILNS1_17partition_subalgoE8EmNS0_10empty_typeEbEEZZNS1_14partition_implILS5_8ELb0ES3_jPKmPS6_PKS6_NS0_5tupleIJPmS6_EEENSE_IJSB_SB_EEENS0_18inequality_wrapperIN6hipcub16HIPCUB_304000_NS8EqualityEEEPlJS6_EEE10hipError_tPvRmT3_T4_T5_T6_T7_T9_mT8_P12ihipStream_tbDpT10_ENKUlT_T0_E_clISt17integral_constantIbLb1EES17_EEDaS12_S13_EUlS12_E_NS1_11comp_targetILNS1_3genE9ELNS1_11target_archE1100ELNS1_3gpuE3ELNS1_3repE0EEENS1_30default_config_static_selectorELNS0_4arch9wavefront6targetE0EEEvT1_
	.p2align	8
	.type	_ZN7rocprim17ROCPRIM_400000_NS6detail17trampoline_kernelINS0_14default_configENS1_25partition_config_selectorILNS1_17partition_subalgoE8EmNS0_10empty_typeEbEEZZNS1_14partition_implILS5_8ELb0ES3_jPKmPS6_PKS6_NS0_5tupleIJPmS6_EEENSE_IJSB_SB_EEENS0_18inequality_wrapperIN6hipcub16HIPCUB_304000_NS8EqualityEEEPlJS6_EEE10hipError_tPvRmT3_T4_T5_T6_T7_T9_mT8_P12ihipStream_tbDpT10_ENKUlT_T0_E_clISt17integral_constantIbLb1EES17_EEDaS12_S13_EUlS12_E_NS1_11comp_targetILNS1_3genE9ELNS1_11target_archE1100ELNS1_3gpuE3ELNS1_3repE0EEENS1_30default_config_static_selectorELNS0_4arch9wavefront6targetE0EEEvT1_,@function
_ZN7rocprim17ROCPRIM_400000_NS6detail17trampoline_kernelINS0_14default_configENS1_25partition_config_selectorILNS1_17partition_subalgoE8EmNS0_10empty_typeEbEEZZNS1_14partition_implILS5_8ELb0ES3_jPKmPS6_PKS6_NS0_5tupleIJPmS6_EEENSE_IJSB_SB_EEENS0_18inequality_wrapperIN6hipcub16HIPCUB_304000_NS8EqualityEEEPlJS6_EEE10hipError_tPvRmT3_T4_T5_T6_T7_T9_mT8_P12ihipStream_tbDpT10_ENKUlT_T0_E_clISt17integral_constantIbLb1EES17_EEDaS12_S13_EUlS12_E_NS1_11comp_targetILNS1_3genE9ELNS1_11target_archE1100ELNS1_3gpuE3ELNS1_3repE0EEENS1_30default_config_static_selectorELNS0_4arch9wavefront6targetE0EEEvT1_: ; @_ZN7rocprim17ROCPRIM_400000_NS6detail17trampoline_kernelINS0_14default_configENS1_25partition_config_selectorILNS1_17partition_subalgoE8EmNS0_10empty_typeEbEEZZNS1_14partition_implILS5_8ELb0ES3_jPKmPS6_PKS6_NS0_5tupleIJPmS6_EEENSE_IJSB_SB_EEENS0_18inequality_wrapperIN6hipcub16HIPCUB_304000_NS8EqualityEEEPlJS6_EEE10hipError_tPvRmT3_T4_T5_T6_T7_T9_mT8_P12ihipStream_tbDpT10_ENKUlT_T0_E_clISt17integral_constantIbLb1EES17_EEDaS12_S13_EUlS12_E_NS1_11comp_targetILNS1_3genE9ELNS1_11target_archE1100ELNS1_3gpuE3ELNS1_3repE0EEENS1_30default_config_static_selectorELNS0_4arch9wavefront6targetE0EEEvT1_
; %bb.0:
	.section	.rodata,"a",@progbits
	.p2align	6, 0x0
	.amdhsa_kernel _ZN7rocprim17ROCPRIM_400000_NS6detail17trampoline_kernelINS0_14default_configENS1_25partition_config_selectorILNS1_17partition_subalgoE8EmNS0_10empty_typeEbEEZZNS1_14partition_implILS5_8ELb0ES3_jPKmPS6_PKS6_NS0_5tupleIJPmS6_EEENSE_IJSB_SB_EEENS0_18inequality_wrapperIN6hipcub16HIPCUB_304000_NS8EqualityEEEPlJS6_EEE10hipError_tPvRmT3_T4_T5_T6_T7_T9_mT8_P12ihipStream_tbDpT10_ENKUlT_T0_E_clISt17integral_constantIbLb1EES17_EEDaS12_S13_EUlS12_E_NS1_11comp_targetILNS1_3genE9ELNS1_11target_archE1100ELNS1_3gpuE3ELNS1_3repE0EEENS1_30default_config_static_selectorELNS0_4arch9wavefront6targetE0EEEvT1_
		.amdhsa_group_segment_fixed_size 0
		.amdhsa_private_segment_fixed_size 0
		.amdhsa_kernarg_size 128
		.amdhsa_user_sgpr_count 2
		.amdhsa_user_sgpr_dispatch_ptr 0
		.amdhsa_user_sgpr_queue_ptr 0
		.amdhsa_user_sgpr_kernarg_segment_ptr 1
		.amdhsa_user_sgpr_dispatch_id 0
		.amdhsa_user_sgpr_kernarg_preload_length 0
		.amdhsa_user_sgpr_kernarg_preload_offset 0
		.amdhsa_user_sgpr_private_segment_size 0
		.amdhsa_wavefront_size32 1
		.amdhsa_uses_dynamic_stack 0
		.amdhsa_enable_private_segment 0
		.amdhsa_system_sgpr_workgroup_id_x 1
		.amdhsa_system_sgpr_workgroup_id_y 0
		.amdhsa_system_sgpr_workgroup_id_z 0
		.amdhsa_system_sgpr_workgroup_info 0
		.amdhsa_system_vgpr_workitem_id 0
		.amdhsa_next_free_vgpr 1
		.amdhsa_next_free_sgpr 1
		.amdhsa_named_barrier_count 0
		.amdhsa_reserve_vcc 0
		.amdhsa_float_round_mode_32 0
		.amdhsa_float_round_mode_16_64 0
		.amdhsa_float_denorm_mode_32 3
		.amdhsa_float_denorm_mode_16_64 3
		.amdhsa_fp16_overflow 0
		.amdhsa_memory_ordered 1
		.amdhsa_forward_progress 1
		.amdhsa_inst_pref_size 0
		.amdhsa_round_robin_scheduling 0
		.amdhsa_exception_fp_ieee_invalid_op 0
		.amdhsa_exception_fp_denorm_src 0
		.amdhsa_exception_fp_ieee_div_zero 0
		.amdhsa_exception_fp_ieee_overflow 0
		.amdhsa_exception_fp_ieee_underflow 0
		.amdhsa_exception_fp_ieee_inexact 0
		.amdhsa_exception_int_div_zero 0
	.end_amdhsa_kernel
	.section	.text._ZN7rocprim17ROCPRIM_400000_NS6detail17trampoline_kernelINS0_14default_configENS1_25partition_config_selectorILNS1_17partition_subalgoE8EmNS0_10empty_typeEbEEZZNS1_14partition_implILS5_8ELb0ES3_jPKmPS6_PKS6_NS0_5tupleIJPmS6_EEENSE_IJSB_SB_EEENS0_18inequality_wrapperIN6hipcub16HIPCUB_304000_NS8EqualityEEEPlJS6_EEE10hipError_tPvRmT3_T4_T5_T6_T7_T9_mT8_P12ihipStream_tbDpT10_ENKUlT_T0_E_clISt17integral_constantIbLb1EES17_EEDaS12_S13_EUlS12_E_NS1_11comp_targetILNS1_3genE9ELNS1_11target_archE1100ELNS1_3gpuE3ELNS1_3repE0EEENS1_30default_config_static_selectorELNS0_4arch9wavefront6targetE0EEEvT1_,"axG",@progbits,_ZN7rocprim17ROCPRIM_400000_NS6detail17trampoline_kernelINS0_14default_configENS1_25partition_config_selectorILNS1_17partition_subalgoE8EmNS0_10empty_typeEbEEZZNS1_14partition_implILS5_8ELb0ES3_jPKmPS6_PKS6_NS0_5tupleIJPmS6_EEENSE_IJSB_SB_EEENS0_18inequality_wrapperIN6hipcub16HIPCUB_304000_NS8EqualityEEEPlJS6_EEE10hipError_tPvRmT3_T4_T5_T6_T7_T9_mT8_P12ihipStream_tbDpT10_ENKUlT_T0_E_clISt17integral_constantIbLb1EES17_EEDaS12_S13_EUlS12_E_NS1_11comp_targetILNS1_3genE9ELNS1_11target_archE1100ELNS1_3gpuE3ELNS1_3repE0EEENS1_30default_config_static_selectorELNS0_4arch9wavefront6targetE0EEEvT1_,comdat
.Lfunc_end700:
	.size	_ZN7rocprim17ROCPRIM_400000_NS6detail17trampoline_kernelINS0_14default_configENS1_25partition_config_selectorILNS1_17partition_subalgoE8EmNS0_10empty_typeEbEEZZNS1_14partition_implILS5_8ELb0ES3_jPKmPS6_PKS6_NS0_5tupleIJPmS6_EEENSE_IJSB_SB_EEENS0_18inequality_wrapperIN6hipcub16HIPCUB_304000_NS8EqualityEEEPlJS6_EEE10hipError_tPvRmT3_T4_T5_T6_T7_T9_mT8_P12ihipStream_tbDpT10_ENKUlT_T0_E_clISt17integral_constantIbLb1EES17_EEDaS12_S13_EUlS12_E_NS1_11comp_targetILNS1_3genE9ELNS1_11target_archE1100ELNS1_3gpuE3ELNS1_3repE0EEENS1_30default_config_static_selectorELNS0_4arch9wavefront6targetE0EEEvT1_, .Lfunc_end700-_ZN7rocprim17ROCPRIM_400000_NS6detail17trampoline_kernelINS0_14default_configENS1_25partition_config_selectorILNS1_17partition_subalgoE8EmNS0_10empty_typeEbEEZZNS1_14partition_implILS5_8ELb0ES3_jPKmPS6_PKS6_NS0_5tupleIJPmS6_EEENSE_IJSB_SB_EEENS0_18inequality_wrapperIN6hipcub16HIPCUB_304000_NS8EqualityEEEPlJS6_EEE10hipError_tPvRmT3_T4_T5_T6_T7_T9_mT8_P12ihipStream_tbDpT10_ENKUlT_T0_E_clISt17integral_constantIbLb1EES17_EEDaS12_S13_EUlS12_E_NS1_11comp_targetILNS1_3genE9ELNS1_11target_archE1100ELNS1_3gpuE3ELNS1_3repE0EEENS1_30default_config_static_selectorELNS0_4arch9wavefront6targetE0EEEvT1_
                                        ; -- End function
	.set _ZN7rocprim17ROCPRIM_400000_NS6detail17trampoline_kernelINS0_14default_configENS1_25partition_config_selectorILNS1_17partition_subalgoE8EmNS0_10empty_typeEbEEZZNS1_14partition_implILS5_8ELb0ES3_jPKmPS6_PKS6_NS0_5tupleIJPmS6_EEENSE_IJSB_SB_EEENS0_18inequality_wrapperIN6hipcub16HIPCUB_304000_NS8EqualityEEEPlJS6_EEE10hipError_tPvRmT3_T4_T5_T6_T7_T9_mT8_P12ihipStream_tbDpT10_ENKUlT_T0_E_clISt17integral_constantIbLb1EES17_EEDaS12_S13_EUlS12_E_NS1_11comp_targetILNS1_3genE9ELNS1_11target_archE1100ELNS1_3gpuE3ELNS1_3repE0EEENS1_30default_config_static_selectorELNS0_4arch9wavefront6targetE0EEEvT1_.num_vgpr, 0
	.set _ZN7rocprim17ROCPRIM_400000_NS6detail17trampoline_kernelINS0_14default_configENS1_25partition_config_selectorILNS1_17partition_subalgoE8EmNS0_10empty_typeEbEEZZNS1_14partition_implILS5_8ELb0ES3_jPKmPS6_PKS6_NS0_5tupleIJPmS6_EEENSE_IJSB_SB_EEENS0_18inequality_wrapperIN6hipcub16HIPCUB_304000_NS8EqualityEEEPlJS6_EEE10hipError_tPvRmT3_T4_T5_T6_T7_T9_mT8_P12ihipStream_tbDpT10_ENKUlT_T0_E_clISt17integral_constantIbLb1EES17_EEDaS12_S13_EUlS12_E_NS1_11comp_targetILNS1_3genE9ELNS1_11target_archE1100ELNS1_3gpuE3ELNS1_3repE0EEENS1_30default_config_static_selectorELNS0_4arch9wavefront6targetE0EEEvT1_.num_agpr, 0
	.set _ZN7rocprim17ROCPRIM_400000_NS6detail17trampoline_kernelINS0_14default_configENS1_25partition_config_selectorILNS1_17partition_subalgoE8EmNS0_10empty_typeEbEEZZNS1_14partition_implILS5_8ELb0ES3_jPKmPS6_PKS6_NS0_5tupleIJPmS6_EEENSE_IJSB_SB_EEENS0_18inequality_wrapperIN6hipcub16HIPCUB_304000_NS8EqualityEEEPlJS6_EEE10hipError_tPvRmT3_T4_T5_T6_T7_T9_mT8_P12ihipStream_tbDpT10_ENKUlT_T0_E_clISt17integral_constantIbLb1EES17_EEDaS12_S13_EUlS12_E_NS1_11comp_targetILNS1_3genE9ELNS1_11target_archE1100ELNS1_3gpuE3ELNS1_3repE0EEENS1_30default_config_static_selectorELNS0_4arch9wavefront6targetE0EEEvT1_.numbered_sgpr, 0
	.set _ZN7rocprim17ROCPRIM_400000_NS6detail17trampoline_kernelINS0_14default_configENS1_25partition_config_selectorILNS1_17partition_subalgoE8EmNS0_10empty_typeEbEEZZNS1_14partition_implILS5_8ELb0ES3_jPKmPS6_PKS6_NS0_5tupleIJPmS6_EEENSE_IJSB_SB_EEENS0_18inequality_wrapperIN6hipcub16HIPCUB_304000_NS8EqualityEEEPlJS6_EEE10hipError_tPvRmT3_T4_T5_T6_T7_T9_mT8_P12ihipStream_tbDpT10_ENKUlT_T0_E_clISt17integral_constantIbLb1EES17_EEDaS12_S13_EUlS12_E_NS1_11comp_targetILNS1_3genE9ELNS1_11target_archE1100ELNS1_3gpuE3ELNS1_3repE0EEENS1_30default_config_static_selectorELNS0_4arch9wavefront6targetE0EEEvT1_.num_named_barrier, 0
	.set _ZN7rocprim17ROCPRIM_400000_NS6detail17trampoline_kernelINS0_14default_configENS1_25partition_config_selectorILNS1_17partition_subalgoE8EmNS0_10empty_typeEbEEZZNS1_14partition_implILS5_8ELb0ES3_jPKmPS6_PKS6_NS0_5tupleIJPmS6_EEENSE_IJSB_SB_EEENS0_18inequality_wrapperIN6hipcub16HIPCUB_304000_NS8EqualityEEEPlJS6_EEE10hipError_tPvRmT3_T4_T5_T6_T7_T9_mT8_P12ihipStream_tbDpT10_ENKUlT_T0_E_clISt17integral_constantIbLb1EES17_EEDaS12_S13_EUlS12_E_NS1_11comp_targetILNS1_3genE9ELNS1_11target_archE1100ELNS1_3gpuE3ELNS1_3repE0EEENS1_30default_config_static_selectorELNS0_4arch9wavefront6targetE0EEEvT1_.private_seg_size, 0
	.set _ZN7rocprim17ROCPRIM_400000_NS6detail17trampoline_kernelINS0_14default_configENS1_25partition_config_selectorILNS1_17partition_subalgoE8EmNS0_10empty_typeEbEEZZNS1_14partition_implILS5_8ELb0ES3_jPKmPS6_PKS6_NS0_5tupleIJPmS6_EEENSE_IJSB_SB_EEENS0_18inequality_wrapperIN6hipcub16HIPCUB_304000_NS8EqualityEEEPlJS6_EEE10hipError_tPvRmT3_T4_T5_T6_T7_T9_mT8_P12ihipStream_tbDpT10_ENKUlT_T0_E_clISt17integral_constantIbLb1EES17_EEDaS12_S13_EUlS12_E_NS1_11comp_targetILNS1_3genE9ELNS1_11target_archE1100ELNS1_3gpuE3ELNS1_3repE0EEENS1_30default_config_static_selectorELNS0_4arch9wavefront6targetE0EEEvT1_.uses_vcc, 0
	.set _ZN7rocprim17ROCPRIM_400000_NS6detail17trampoline_kernelINS0_14default_configENS1_25partition_config_selectorILNS1_17partition_subalgoE8EmNS0_10empty_typeEbEEZZNS1_14partition_implILS5_8ELb0ES3_jPKmPS6_PKS6_NS0_5tupleIJPmS6_EEENSE_IJSB_SB_EEENS0_18inequality_wrapperIN6hipcub16HIPCUB_304000_NS8EqualityEEEPlJS6_EEE10hipError_tPvRmT3_T4_T5_T6_T7_T9_mT8_P12ihipStream_tbDpT10_ENKUlT_T0_E_clISt17integral_constantIbLb1EES17_EEDaS12_S13_EUlS12_E_NS1_11comp_targetILNS1_3genE9ELNS1_11target_archE1100ELNS1_3gpuE3ELNS1_3repE0EEENS1_30default_config_static_selectorELNS0_4arch9wavefront6targetE0EEEvT1_.uses_flat_scratch, 0
	.set _ZN7rocprim17ROCPRIM_400000_NS6detail17trampoline_kernelINS0_14default_configENS1_25partition_config_selectorILNS1_17partition_subalgoE8EmNS0_10empty_typeEbEEZZNS1_14partition_implILS5_8ELb0ES3_jPKmPS6_PKS6_NS0_5tupleIJPmS6_EEENSE_IJSB_SB_EEENS0_18inequality_wrapperIN6hipcub16HIPCUB_304000_NS8EqualityEEEPlJS6_EEE10hipError_tPvRmT3_T4_T5_T6_T7_T9_mT8_P12ihipStream_tbDpT10_ENKUlT_T0_E_clISt17integral_constantIbLb1EES17_EEDaS12_S13_EUlS12_E_NS1_11comp_targetILNS1_3genE9ELNS1_11target_archE1100ELNS1_3gpuE3ELNS1_3repE0EEENS1_30default_config_static_selectorELNS0_4arch9wavefront6targetE0EEEvT1_.has_dyn_sized_stack, 0
	.set _ZN7rocprim17ROCPRIM_400000_NS6detail17trampoline_kernelINS0_14default_configENS1_25partition_config_selectorILNS1_17partition_subalgoE8EmNS0_10empty_typeEbEEZZNS1_14partition_implILS5_8ELb0ES3_jPKmPS6_PKS6_NS0_5tupleIJPmS6_EEENSE_IJSB_SB_EEENS0_18inequality_wrapperIN6hipcub16HIPCUB_304000_NS8EqualityEEEPlJS6_EEE10hipError_tPvRmT3_T4_T5_T6_T7_T9_mT8_P12ihipStream_tbDpT10_ENKUlT_T0_E_clISt17integral_constantIbLb1EES17_EEDaS12_S13_EUlS12_E_NS1_11comp_targetILNS1_3genE9ELNS1_11target_archE1100ELNS1_3gpuE3ELNS1_3repE0EEENS1_30default_config_static_selectorELNS0_4arch9wavefront6targetE0EEEvT1_.has_recursion, 0
	.set _ZN7rocprim17ROCPRIM_400000_NS6detail17trampoline_kernelINS0_14default_configENS1_25partition_config_selectorILNS1_17partition_subalgoE8EmNS0_10empty_typeEbEEZZNS1_14partition_implILS5_8ELb0ES3_jPKmPS6_PKS6_NS0_5tupleIJPmS6_EEENSE_IJSB_SB_EEENS0_18inequality_wrapperIN6hipcub16HIPCUB_304000_NS8EqualityEEEPlJS6_EEE10hipError_tPvRmT3_T4_T5_T6_T7_T9_mT8_P12ihipStream_tbDpT10_ENKUlT_T0_E_clISt17integral_constantIbLb1EES17_EEDaS12_S13_EUlS12_E_NS1_11comp_targetILNS1_3genE9ELNS1_11target_archE1100ELNS1_3gpuE3ELNS1_3repE0EEENS1_30default_config_static_selectorELNS0_4arch9wavefront6targetE0EEEvT1_.has_indirect_call, 0
	.section	.AMDGPU.csdata,"",@progbits
; Kernel info:
; codeLenInByte = 0
; TotalNumSgprs: 0
; NumVgprs: 0
; ScratchSize: 0
; MemoryBound: 0
; FloatMode: 240
; IeeeMode: 1
; LDSByteSize: 0 bytes/workgroup (compile time only)
; SGPRBlocks: 0
; VGPRBlocks: 0
; NumSGPRsForWavesPerEU: 1
; NumVGPRsForWavesPerEU: 1
; NamedBarCnt: 0
; Occupancy: 16
; WaveLimiterHint : 0
; COMPUTE_PGM_RSRC2:SCRATCH_EN: 0
; COMPUTE_PGM_RSRC2:USER_SGPR: 2
; COMPUTE_PGM_RSRC2:TRAP_HANDLER: 0
; COMPUTE_PGM_RSRC2:TGID_X_EN: 1
; COMPUTE_PGM_RSRC2:TGID_Y_EN: 0
; COMPUTE_PGM_RSRC2:TGID_Z_EN: 0
; COMPUTE_PGM_RSRC2:TIDIG_COMP_CNT: 0
	.section	.text._ZN7rocprim17ROCPRIM_400000_NS6detail17trampoline_kernelINS0_14default_configENS1_25partition_config_selectorILNS1_17partition_subalgoE8EmNS0_10empty_typeEbEEZZNS1_14partition_implILS5_8ELb0ES3_jPKmPS6_PKS6_NS0_5tupleIJPmS6_EEENSE_IJSB_SB_EEENS0_18inequality_wrapperIN6hipcub16HIPCUB_304000_NS8EqualityEEEPlJS6_EEE10hipError_tPvRmT3_T4_T5_T6_T7_T9_mT8_P12ihipStream_tbDpT10_ENKUlT_T0_E_clISt17integral_constantIbLb1EES17_EEDaS12_S13_EUlS12_E_NS1_11comp_targetILNS1_3genE8ELNS1_11target_archE1030ELNS1_3gpuE2ELNS1_3repE0EEENS1_30default_config_static_selectorELNS0_4arch9wavefront6targetE0EEEvT1_,"axG",@progbits,_ZN7rocprim17ROCPRIM_400000_NS6detail17trampoline_kernelINS0_14default_configENS1_25partition_config_selectorILNS1_17partition_subalgoE8EmNS0_10empty_typeEbEEZZNS1_14partition_implILS5_8ELb0ES3_jPKmPS6_PKS6_NS0_5tupleIJPmS6_EEENSE_IJSB_SB_EEENS0_18inequality_wrapperIN6hipcub16HIPCUB_304000_NS8EqualityEEEPlJS6_EEE10hipError_tPvRmT3_T4_T5_T6_T7_T9_mT8_P12ihipStream_tbDpT10_ENKUlT_T0_E_clISt17integral_constantIbLb1EES17_EEDaS12_S13_EUlS12_E_NS1_11comp_targetILNS1_3genE8ELNS1_11target_archE1030ELNS1_3gpuE2ELNS1_3repE0EEENS1_30default_config_static_selectorELNS0_4arch9wavefront6targetE0EEEvT1_,comdat
	.protected	_ZN7rocprim17ROCPRIM_400000_NS6detail17trampoline_kernelINS0_14default_configENS1_25partition_config_selectorILNS1_17partition_subalgoE8EmNS0_10empty_typeEbEEZZNS1_14partition_implILS5_8ELb0ES3_jPKmPS6_PKS6_NS0_5tupleIJPmS6_EEENSE_IJSB_SB_EEENS0_18inequality_wrapperIN6hipcub16HIPCUB_304000_NS8EqualityEEEPlJS6_EEE10hipError_tPvRmT3_T4_T5_T6_T7_T9_mT8_P12ihipStream_tbDpT10_ENKUlT_T0_E_clISt17integral_constantIbLb1EES17_EEDaS12_S13_EUlS12_E_NS1_11comp_targetILNS1_3genE8ELNS1_11target_archE1030ELNS1_3gpuE2ELNS1_3repE0EEENS1_30default_config_static_selectorELNS0_4arch9wavefront6targetE0EEEvT1_ ; -- Begin function _ZN7rocprim17ROCPRIM_400000_NS6detail17trampoline_kernelINS0_14default_configENS1_25partition_config_selectorILNS1_17partition_subalgoE8EmNS0_10empty_typeEbEEZZNS1_14partition_implILS5_8ELb0ES3_jPKmPS6_PKS6_NS0_5tupleIJPmS6_EEENSE_IJSB_SB_EEENS0_18inequality_wrapperIN6hipcub16HIPCUB_304000_NS8EqualityEEEPlJS6_EEE10hipError_tPvRmT3_T4_T5_T6_T7_T9_mT8_P12ihipStream_tbDpT10_ENKUlT_T0_E_clISt17integral_constantIbLb1EES17_EEDaS12_S13_EUlS12_E_NS1_11comp_targetILNS1_3genE8ELNS1_11target_archE1030ELNS1_3gpuE2ELNS1_3repE0EEENS1_30default_config_static_selectorELNS0_4arch9wavefront6targetE0EEEvT1_
	.globl	_ZN7rocprim17ROCPRIM_400000_NS6detail17trampoline_kernelINS0_14default_configENS1_25partition_config_selectorILNS1_17partition_subalgoE8EmNS0_10empty_typeEbEEZZNS1_14partition_implILS5_8ELb0ES3_jPKmPS6_PKS6_NS0_5tupleIJPmS6_EEENSE_IJSB_SB_EEENS0_18inequality_wrapperIN6hipcub16HIPCUB_304000_NS8EqualityEEEPlJS6_EEE10hipError_tPvRmT3_T4_T5_T6_T7_T9_mT8_P12ihipStream_tbDpT10_ENKUlT_T0_E_clISt17integral_constantIbLb1EES17_EEDaS12_S13_EUlS12_E_NS1_11comp_targetILNS1_3genE8ELNS1_11target_archE1030ELNS1_3gpuE2ELNS1_3repE0EEENS1_30default_config_static_selectorELNS0_4arch9wavefront6targetE0EEEvT1_
	.p2align	8
	.type	_ZN7rocprim17ROCPRIM_400000_NS6detail17trampoline_kernelINS0_14default_configENS1_25partition_config_selectorILNS1_17partition_subalgoE8EmNS0_10empty_typeEbEEZZNS1_14partition_implILS5_8ELb0ES3_jPKmPS6_PKS6_NS0_5tupleIJPmS6_EEENSE_IJSB_SB_EEENS0_18inequality_wrapperIN6hipcub16HIPCUB_304000_NS8EqualityEEEPlJS6_EEE10hipError_tPvRmT3_T4_T5_T6_T7_T9_mT8_P12ihipStream_tbDpT10_ENKUlT_T0_E_clISt17integral_constantIbLb1EES17_EEDaS12_S13_EUlS12_E_NS1_11comp_targetILNS1_3genE8ELNS1_11target_archE1030ELNS1_3gpuE2ELNS1_3repE0EEENS1_30default_config_static_selectorELNS0_4arch9wavefront6targetE0EEEvT1_,@function
_ZN7rocprim17ROCPRIM_400000_NS6detail17trampoline_kernelINS0_14default_configENS1_25partition_config_selectorILNS1_17partition_subalgoE8EmNS0_10empty_typeEbEEZZNS1_14partition_implILS5_8ELb0ES3_jPKmPS6_PKS6_NS0_5tupleIJPmS6_EEENSE_IJSB_SB_EEENS0_18inequality_wrapperIN6hipcub16HIPCUB_304000_NS8EqualityEEEPlJS6_EEE10hipError_tPvRmT3_T4_T5_T6_T7_T9_mT8_P12ihipStream_tbDpT10_ENKUlT_T0_E_clISt17integral_constantIbLb1EES17_EEDaS12_S13_EUlS12_E_NS1_11comp_targetILNS1_3genE8ELNS1_11target_archE1030ELNS1_3gpuE2ELNS1_3repE0EEENS1_30default_config_static_selectorELNS0_4arch9wavefront6targetE0EEEvT1_: ; @_ZN7rocprim17ROCPRIM_400000_NS6detail17trampoline_kernelINS0_14default_configENS1_25partition_config_selectorILNS1_17partition_subalgoE8EmNS0_10empty_typeEbEEZZNS1_14partition_implILS5_8ELb0ES3_jPKmPS6_PKS6_NS0_5tupleIJPmS6_EEENSE_IJSB_SB_EEENS0_18inequality_wrapperIN6hipcub16HIPCUB_304000_NS8EqualityEEEPlJS6_EEE10hipError_tPvRmT3_T4_T5_T6_T7_T9_mT8_P12ihipStream_tbDpT10_ENKUlT_T0_E_clISt17integral_constantIbLb1EES17_EEDaS12_S13_EUlS12_E_NS1_11comp_targetILNS1_3genE8ELNS1_11target_archE1030ELNS1_3gpuE2ELNS1_3repE0EEENS1_30default_config_static_selectorELNS0_4arch9wavefront6targetE0EEEvT1_
; %bb.0:
	.section	.rodata,"a",@progbits
	.p2align	6, 0x0
	.amdhsa_kernel _ZN7rocprim17ROCPRIM_400000_NS6detail17trampoline_kernelINS0_14default_configENS1_25partition_config_selectorILNS1_17partition_subalgoE8EmNS0_10empty_typeEbEEZZNS1_14partition_implILS5_8ELb0ES3_jPKmPS6_PKS6_NS0_5tupleIJPmS6_EEENSE_IJSB_SB_EEENS0_18inequality_wrapperIN6hipcub16HIPCUB_304000_NS8EqualityEEEPlJS6_EEE10hipError_tPvRmT3_T4_T5_T6_T7_T9_mT8_P12ihipStream_tbDpT10_ENKUlT_T0_E_clISt17integral_constantIbLb1EES17_EEDaS12_S13_EUlS12_E_NS1_11comp_targetILNS1_3genE8ELNS1_11target_archE1030ELNS1_3gpuE2ELNS1_3repE0EEENS1_30default_config_static_selectorELNS0_4arch9wavefront6targetE0EEEvT1_
		.amdhsa_group_segment_fixed_size 0
		.amdhsa_private_segment_fixed_size 0
		.amdhsa_kernarg_size 128
		.amdhsa_user_sgpr_count 2
		.amdhsa_user_sgpr_dispatch_ptr 0
		.amdhsa_user_sgpr_queue_ptr 0
		.amdhsa_user_sgpr_kernarg_segment_ptr 1
		.amdhsa_user_sgpr_dispatch_id 0
		.amdhsa_user_sgpr_kernarg_preload_length 0
		.amdhsa_user_sgpr_kernarg_preload_offset 0
		.amdhsa_user_sgpr_private_segment_size 0
		.amdhsa_wavefront_size32 1
		.amdhsa_uses_dynamic_stack 0
		.amdhsa_enable_private_segment 0
		.amdhsa_system_sgpr_workgroup_id_x 1
		.amdhsa_system_sgpr_workgroup_id_y 0
		.amdhsa_system_sgpr_workgroup_id_z 0
		.amdhsa_system_sgpr_workgroup_info 0
		.amdhsa_system_vgpr_workitem_id 0
		.amdhsa_next_free_vgpr 1
		.amdhsa_next_free_sgpr 1
		.amdhsa_named_barrier_count 0
		.amdhsa_reserve_vcc 0
		.amdhsa_float_round_mode_32 0
		.amdhsa_float_round_mode_16_64 0
		.amdhsa_float_denorm_mode_32 3
		.amdhsa_float_denorm_mode_16_64 3
		.amdhsa_fp16_overflow 0
		.amdhsa_memory_ordered 1
		.amdhsa_forward_progress 1
		.amdhsa_inst_pref_size 0
		.amdhsa_round_robin_scheduling 0
		.amdhsa_exception_fp_ieee_invalid_op 0
		.amdhsa_exception_fp_denorm_src 0
		.amdhsa_exception_fp_ieee_div_zero 0
		.amdhsa_exception_fp_ieee_overflow 0
		.amdhsa_exception_fp_ieee_underflow 0
		.amdhsa_exception_fp_ieee_inexact 0
		.amdhsa_exception_int_div_zero 0
	.end_amdhsa_kernel
	.section	.text._ZN7rocprim17ROCPRIM_400000_NS6detail17trampoline_kernelINS0_14default_configENS1_25partition_config_selectorILNS1_17partition_subalgoE8EmNS0_10empty_typeEbEEZZNS1_14partition_implILS5_8ELb0ES3_jPKmPS6_PKS6_NS0_5tupleIJPmS6_EEENSE_IJSB_SB_EEENS0_18inequality_wrapperIN6hipcub16HIPCUB_304000_NS8EqualityEEEPlJS6_EEE10hipError_tPvRmT3_T4_T5_T6_T7_T9_mT8_P12ihipStream_tbDpT10_ENKUlT_T0_E_clISt17integral_constantIbLb1EES17_EEDaS12_S13_EUlS12_E_NS1_11comp_targetILNS1_3genE8ELNS1_11target_archE1030ELNS1_3gpuE2ELNS1_3repE0EEENS1_30default_config_static_selectorELNS0_4arch9wavefront6targetE0EEEvT1_,"axG",@progbits,_ZN7rocprim17ROCPRIM_400000_NS6detail17trampoline_kernelINS0_14default_configENS1_25partition_config_selectorILNS1_17partition_subalgoE8EmNS0_10empty_typeEbEEZZNS1_14partition_implILS5_8ELb0ES3_jPKmPS6_PKS6_NS0_5tupleIJPmS6_EEENSE_IJSB_SB_EEENS0_18inequality_wrapperIN6hipcub16HIPCUB_304000_NS8EqualityEEEPlJS6_EEE10hipError_tPvRmT3_T4_T5_T6_T7_T9_mT8_P12ihipStream_tbDpT10_ENKUlT_T0_E_clISt17integral_constantIbLb1EES17_EEDaS12_S13_EUlS12_E_NS1_11comp_targetILNS1_3genE8ELNS1_11target_archE1030ELNS1_3gpuE2ELNS1_3repE0EEENS1_30default_config_static_selectorELNS0_4arch9wavefront6targetE0EEEvT1_,comdat
.Lfunc_end701:
	.size	_ZN7rocprim17ROCPRIM_400000_NS6detail17trampoline_kernelINS0_14default_configENS1_25partition_config_selectorILNS1_17partition_subalgoE8EmNS0_10empty_typeEbEEZZNS1_14partition_implILS5_8ELb0ES3_jPKmPS6_PKS6_NS0_5tupleIJPmS6_EEENSE_IJSB_SB_EEENS0_18inequality_wrapperIN6hipcub16HIPCUB_304000_NS8EqualityEEEPlJS6_EEE10hipError_tPvRmT3_T4_T5_T6_T7_T9_mT8_P12ihipStream_tbDpT10_ENKUlT_T0_E_clISt17integral_constantIbLb1EES17_EEDaS12_S13_EUlS12_E_NS1_11comp_targetILNS1_3genE8ELNS1_11target_archE1030ELNS1_3gpuE2ELNS1_3repE0EEENS1_30default_config_static_selectorELNS0_4arch9wavefront6targetE0EEEvT1_, .Lfunc_end701-_ZN7rocprim17ROCPRIM_400000_NS6detail17trampoline_kernelINS0_14default_configENS1_25partition_config_selectorILNS1_17partition_subalgoE8EmNS0_10empty_typeEbEEZZNS1_14partition_implILS5_8ELb0ES3_jPKmPS6_PKS6_NS0_5tupleIJPmS6_EEENSE_IJSB_SB_EEENS0_18inequality_wrapperIN6hipcub16HIPCUB_304000_NS8EqualityEEEPlJS6_EEE10hipError_tPvRmT3_T4_T5_T6_T7_T9_mT8_P12ihipStream_tbDpT10_ENKUlT_T0_E_clISt17integral_constantIbLb1EES17_EEDaS12_S13_EUlS12_E_NS1_11comp_targetILNS1_3genE8ELNS1_11target_archE1030ELNS1_3gpuE2ELNS1_3repE0EEENS1_30default_config_static_selectorELNS0_4arch9wavefront6targetE0EEEvT1_
                                        ; -- End function
	.set _ZN7rocprim17ROCPRIM_400000_NS6detail17trampoline_kernelINS0_14default_configENS1_25partition_config_selectorILNS1_17partition_subalgoE8EmNS0_10empty_typeEbEEZZNS1_14partition_implILS5_8ELb0ES3_jPKmPS6_PKS6_NS0_5tupleIJPmS6_EEENSE_IJSB_SB_EEENS0_18inequality_wrapperIN6hipcub16HIPCUB_304000_NS8EqualityEEEPlJS6_EEE10hipError_tPvRmT3_T4_T5_T6_T7_T9_mT8_P12ihipStream_tbDpT10_ENKUlT_T0_E_clISt17integral_constantIbLb1EES17_EEDaS12_S13_EUlS12_E_NS1_11comp_targetILNS1_3genE8ELNS1_11target_archE1030ELNS1_3gpuE2ELNS1_3repE0EEENS1_30default_config_static_selectorELNS0_4arch9wavefront6targetE0EEEvT1_.num_vgpr, 0
	.set _ZN7rocprim17ROCPRIM_400000_NS6detail17trampoline_kernelINS0_14default_configENS1_25partition_config_selectorILNS1_17partition_subalgoE8EmNS0_10empty_typeEbEEZZNS1_14partition_implILS5_8ELb0ES3_jPKmPS6_PKS6_NS0_5tupleIJPmS6_EEENSE_IJSB_SB_EEENS0_18inequality_wrapperIN6hipcub16HIPCUB_304000_NS8EqualityEEEPlJS6_EEE10hipError_tPvRmT3_T4_T5_T6_T7_T9_mT8_P12ihipStream_tbDpT10_ENKUlT_T0_E_clISt17integral_constantIbLb1EES17_EEDaS12_S13_EUlS12_E_NS1_11comp_targetILNS1_3genE8ELNS1_11target_archE1030ELNS1_3gpuE2ELNS1_3repE0EEENS1_30default_config_static_selectorELNS0_4arch9wavefront6targetE0EEEvT1_.num_agpr, 0
	.set _ZN7rocprim17ROCPRIM_400000_NS6detail17trampoline_kernelINS0_14default_configENS1_25partition_config_selectorILNS1_17partition_subalgoE8EmNS0_10empty_typeEbEEZZNS1_14partition_implILS5_8ELb0ES3_jPKmPS6_PKS6_NS0_5tupleIJPmS6_EEENSE_IJSB_SB_EEENS0_18inequality_wrapperIN6hipcub16HIPCUB_304000_NS8EqualityEEEPlJS6_EEE10hipError_tPvRmT3_T4_T5_T6_T7_T9_mT8_P12ihipStream_tbDpT10_ENKUlT_T0_E_clISt17integral_constantIbLb1EES17_EEDaS12_S13_EUlS12_E_NS1_11comp_targetILNS1_3genE8ELNS1_11target_archE1030ELNS1_3gpuE2ELNS1_3repE0EEENS1_30default_config_static_selectorELNS0_4arch9wavefront6targetE0EEEvT1_.numbered_sgpr, 0
	.set _ZN7rocprim17ROCPRIM_400000_NS6detail17trampoline_kernelINS0_14default_configENS1_25partition_config_selectorILNS1_17partition_subalgoE8EmNS0_10empty_typeEbEEZZNS1_14partition_implILS5_8ELb0ES3_jPKmPS6_PKS6_NS0_5tupleIJPmS6_EEENSE_IJSB_SB_EEENS0_18inequality_wrapperIN6hipcub16HIPCUB_304000_NS8EqualityEEEPlJS6_EEE10hipError_tPvRmT3_T4_T5_T6_T7_T9_mT8_P12ihipStream_tbDpT10_ENKUlT_T0_E_clISt17integral_constantIbLb1EES17_EEDaS12_S13_EUlS12_E_NS1_11comp_targetILNS1_3genE8ELNS1_11target_archE1030ELNS1_3gpuE2ELNS1_3repE0EEENS1_30default_config_static_selectorELNS0_4arch9wavefront6targetE0EEEvT1_.num_named_barrier, 0
	.set _ZN7rocprim17ROCPRIM_400000_NS6detail17trampoline_kernelINS0_14default_configENS1_25partition_config_selectorILNS1_17partition_subalgoE8EmNS0_10empty_typeEbEEZZNS1_14partition_implILS5_8ELb0ES3_jPKmPS6_PKS6_NS0_5tupleIJPmS6_EEENSE_IJSB_SB_EEENS0_18inequality_wrapperIN6hipcub16HIPCUB_304000_NS8EqualityEEEPlJS6_EEE10hipError_tPvRmT3_T4_T5_T6_T7_T9_mT8_P12ihipStream_tbDpT10_ENKUlT_T0_E_clISt17integral_constantIbLb1EES17_EEDaS12_S13_EUlS12_E_NS1_11comp_targetILNS1_3genE8ELNS1_11target_archE1030ELNS1_3gpuE2ELNS1_3repE0EEENS1_30default_config_static_selectorELNS0_4arch9wavefront6targetE0EEEvT1_.private_seg_size, 0
	.set _ZN7rocprim17ROCPRIM_400000_NS6detail17trampoline_kernelINS0_14default_configENS1_25partition_config_selectorILNS1_17partition_subalgoE8EmNS0_10empty_typeEbEEZZNS1_14partition_implILS5_8ELb0ES3_jPKmPS6_PKS6_NS0_5tupleIJPmS6_EEENSE_IJSB_SB_EEENS0_18inequality_wrapperIN6hipcub16HIPCUB_304000_NS8EqualityEEEPlJS6_EEE10hipError_tPvRmT3_T4_T5_T6_T7_T9_mT8_P12ihipStream_tbDpT10_ENKUlT_T0_E_clISt17integral_constantIbLb1EES17_EEDaS12_S13_EUlS12_E_NS1_11comp_targetILNS1_3genE8ELNS1_11target_archE1030ELNS1_3gpuE2ELNS1_3repE0EEENS1_30default_config_static_selectorELNS0_4arch9wavefront6targetE0EEEvT1_.uses_vcc, 0
	.set _ZN7rocprim17ROCPRIM_400000_NS6detail17trampoline_kernelINS0_14default_configENS1_25partition_config_selectorILNS1_17partition_subalgoE8EmNS0_10empty_typeEbEEZZNS1_14partition_implILS5_8ELb0ES3_jPKmPS6_PKS6_NS0_5tupleIJPmS6_EEENSE_IJSB_SB_EEENS0_18inequality_wrapperIN6hipcub16HIPCUB_304000_NS8EqualityEEEPlJS6_EEE10hipError_tPvRmT3_T4_T5_T6_T7_T9_mT8_P12ihipStream_tbDpT10_ENKUlT_T0_E_clISt17integral_constantIbLb1EES17_EEDaS12_S13_EUlS12_E_NS1_11comp_targetILNS1_3genE8ELNS1_11target_archE1030ELNS1_3gpuE2ELNS1_3repE0EEENS1_30default_config_static_selectorELNS0_4arch9wavefront6targetE0EEEvT1_.uses_flat_scratch, 0
	.set _ZN7rocprim17ROCPRIM_400000_NS6detail17trampoline_kernelINS0_14default_configENS1_25partition_config_selectorILNS1_17partition_subalgoE8EmNS0_10empty_typeEbEEZZNS1_14partition_implILS5_8ELb0ES3_jPKmPS6_PKS6_NS0_5tupleIJPmS6_EEENSE_IJSB_SB_EEENS0_18inequality_wrapperIN6hipcub16HIPCUB_304000_NS8EqualityEEEPlJS6_EEE10hipError_tPvRmT3_T4_T5_T6_T7_T9_mT8_P12ihipStream_tbDpT10_ENKUlT_T0_E_clISt17integral_constantIbLb1EES17_EEDaS12_S13_EUlS12_E_NS1_11comp_targetILNS1_3genE8ELNS1_11target_archE1030ELNS1_3gpuE2ELNS1_3repE0EEENS1_30default_config_static_selectorELNS0_4arch9wavefront6targetE0EEEvT1_.has_dyn_sized_stack, 0
	.set _ZN7rocprim17ROCPRIM_400000_NS6detail17trampoline_kernelINS0_14default_configENS1_25partition_config_selectorILNS1_17partition_subalgoE8EmNS0_10empty_typeEbEEZZNS1_14partition_implILS5_8ELb0ES3_jPKmPS6_PKS6_NS0_5tupleIJPmS6_EEENSE_IJSB_SB_EEENS0_18inequality_wrapperIN6hipcub16HIPCUB_304000_NS8EqualityEEEPlJS6_EEE10hipError_tPvRmT3_T4_T5_T6_T7_T9_mT8_P12ihipStream_tbDpT10_ENKUlT_T0_E_clISt17integral_constantIbLb1EES17_EEDaS12_S13_EUlS12_E_NS1_11comp_targetILNS1_3genE8ELNS1_11target_archE1030ELNS1_3gpuE2ELNS1_3repE0EEENS1_30default_config_static_selectorELNS0_4arch9wavefront6targetE0EEEvT1_.has_recursion, 0
	.set _ZN7rocprim17ROCPRIM_400000_NS6detail17trampoline_kernelINS0_14default_configENS1_25partition_config_selectorILNS1_17partition_subalgoE8EmNS0_10empty_typeEbEEZZNS1_14partition_implILS5_8ELb0ES3_jPKmPS6_PKS6_NS0_5tupleIJPmS6_EEENSE_IJSB_SB_EEENS0_18inequality_wrapperIN6hipcub16HIPCUB_304000_NS8EqualityEEEPlJS6_EEE10hipError_tPvRmT3_T4_T5_T6_T7_T9_mT8_P12ihipStream_tbDpT10_ENKUlT_T0_E_clISt17integral_constantIbLb1EES17_EEDaS12_S13_EUlS12_E_NS1_11comp_targetILNS1_3genE8ELNS1_11target_archE1030ELNS1_3gpuE2ELNS1_3repE0EEENS1_30default_config_static_selectorELNS0_4arch9wavefront6targetE0EEEvT1_.has_indirect_call, 0
	.section	.AMDGPU.csdata,"",@progbits
; Kernel info:
; codeLenInByte = 0
; TotalNumSgprs: 0
; NumVgprs: 0
; ScratchSize: 0
; MemoryBound: 0
; FloatMode: 240
; IeeeMode: 1
; LDSByteSize: 0 bytes/workgroup (compile time only)
; SGPRBlocks: 0
; VGPRBlocks: 0
; NumSGPRsForWavesPerEU: 1
; NumVGPRsForWavesPerEU: 1
; NamedBarCnt: 0
; Occupancy: 16
; WaveLimiterHint : 0
; COMPUTE_PGM_RSRC2:SCRATCH_EN: 0
; COMPUTE_PGM_RSRC2:USER_SGPR: 2
; COMPUTE_PGM_RSRC2:TRAP_HANDLER: 0
; COMPUTE_PGM_RSRC2:TGID_X_EN: 1
; COMPUTE_PGM_RSRC2:TGID_Y_EN: 0
; COMPUTE_PGM_RSRC2:TGID_Z_EN: 0
; COMPUTE_PGM_RSRC2:TIDIG_COMP_CNT: 0
	.section	.text._ZN7rocprim17ROCPRIM_400000_NS6detail17trampoline_kernelINS0_14default_configENS1_25partition_config_selectorILNS1_17partition_subalgoE8EmNS0_10empty_typeEbEEZZNS1_14partition_implILS5_8ELb0ES3_jPKmPS6_PKS6_NS0_5tupleIJPmS6_EEENSE_IJSB_SB_EEENS0_18inequality_wrapperIN6hipcub16HIPCUB_304000_NS8EqualityEEEPlJS6_EEE10hipError_tPvRmT3_T4_T5_T6_T7_T9_mT8_P12ihipStream_tbDpT10_ENKUlT_T0_E_clISt17integral_constantIbLb1EES16_IbLb0EEEEDaS12_S13_EUlS12_E_NS1_11comp_targetILNS1_3genE0ELNS1_11target_archE4294967295ELNS1_3gpuE0ELNS1_3repE0EEENS1_30default_config_static_selectorELNS0_4arch9wavefront6targetE0EEEvT1_,"axG",@progbits,_ZN7rocprim17ROCPRIM_400000_NS6detail17trampoline_kernelINS0_14default_configENS1_25partition_config_selectorILNS1_17partition_subalgoE8EmNS0_10empty_typeEbEEZZNS1_14partition_implILS5_8ELb0ES3_jPKmPS6_PKS6_NS0_5tupleIJPmS6_EEENSE_IJSB_SB_EEENS0_18inequality_wrapperIN6hipcub16HIPCUB_304000_NS8EqualityEEEPlJS6_EEE10hipError_tPvRmT3_T4_T5_T6_T7_T9_mT8_P12ihipStream_tbDpT10_ENKUlT_T0_E_clISt17integral_constantIbLb1EES16_IbLb0EEEEDaS12_S13_EUlS12_E_NS1_11comp_targetILNS1_3genE0ELNS1_11target_archE4294967295ELNS1_3gpuE0ELNS1_3repE0EEENS1_30default_config_static_selectorELNS0_4arch9wavefront6targetE0EEEvT1_,comdat
	.protected	_ZN7rocprim17ROCPRIM_400000_NS6detail17trampoline_kernelINS0_14default_configENS1_25partition_config_selectorILNS1_17partition_subalgoE8EmNS0_10empty_typeEbEEZZNS1_14partition_implILS5_8ELb0ES3_jPKmPS6_PKS6_NS0_5tupleIJPmS6_EEENSE_IJSB_SB_EEENS0_18inequality_wrapperIN6hipcub16HIPCUB_304000_NS8EqualityEEEPlJS6_EEE10hipError_tPvRmT3_T4_T5_T6_T7_T9_mT8_P12ihipStream_tbDpT10_ENKUlT_T0_E_clISt17integral_constantIbLb1EES16_IbLb0EEEEDaS12_S13_EUlS12_E_NS1_11comp_targetILNS1_3genE0ELNS1_11target_archE4294967295ELNS1_3gpuE0ELNS1_3repE0EEENS1_30default_config_static_selectorELNS0_4arch9wavefront6targetE0EEEvT1_ ; -- Begin function _ZN7rocprim17ROCPRIM_400000_NS6detail17trampoline_kernelINS0_14default_configENS1_25partition_config_selectorILNS1_17partition_subalgoE8EmNS0_10empty_typeEbEEZZNS1_14partition_implILS5_8ELb0ES3_jPKmPS6_PKS6_NS0_5tupleIJPmS6_EEENSE_IJSB_SB_EEENS0_18inequality_wrapperIN6hipcub16HIPCUB_304000_NS8EqualityEEEPlJS6_EEE10hipError_tPvRmT3_T4_T5_T6_T7_T9_mT8_P12ihipStream_tbDpT10_ENKUlT_T0_E_clISt17integral_constantIbLb1EES16_IbLb0EEEEDaS12_S13_EUlS12_E_NS1_11comp_targetILNS1_3genE0ELNS1_11target_archE4294967295ELNS1_3gpuE0ELNS1_3repE0EEENS1_30default_config_static_selectorELNS0_4arch9wavefront6targetE0EEEvT1_
	.globl	_ZN7rocprim17ROCPRIM_400000_NS6detail17trampoline_kernelINS0_14default_configENS1_25partition_config_selectorILNS1_17partition_subalgoE8EmNS0_10empty_typeEbEEZZNS1_14partition_implILS5_8ELb0ES3_jPKmPS6_PKS6_NS0_5tupleIJPmS6_EEENSE_IJSB_SB_EEENS0_18inequality_wrapperIN6hipcub16HIPCUB_304000_NS8EqualityEEEPlJS6_EEE10hipError_tPvRmT3_T4_T5_T6_T7_T9_mT8_P12ihipStream_tbDpT10_ENKUlT_T0_E_clISt17integral_constantIbLb1EES16_IbLb0EEEEDaS12_S13_EUlS12_E_NS1_11comp_targetILNS1_3genE0ELNS1_11target_archE4294967295ELNS1_3gpuE0ELNS1_3repE0EEENS1_30default_config_static_selectorELNS0_4arch9wavefront6targetE0EEEvT1_
	.p2align	8
	.type	_ZN7rocprim17ROCPRIM_400000_NS6detail17trampoline_kernelINS0_14default_configENS1_25partition_config_selectorILNS1_17partition_subalgoE8EmNS0_10empty_typeEbEEZZNS1_14partition_implILS5_8ELb0ES3_jPKmPS6_PKS6_NS0_5tupleIJPmS6_EEENSE_IJSB_SB_EEENS0_18inequality_wrapperIN6hipcub16HIPCUB_304000_NS8EqualityEEEPlJS6_EEE10hipError_tPvRmT3_T4_T5_T6_T7_T9_mT8_P12ihipStream_tbDpT10_ENKUlT_T0_E_clISt17integral_constantIbLb1EES16_IbLb0EEEEDaS12_S13_EUlS12_E_NS1_11comp_targetILNS1_3genE0ELNS1_11target_archE4294967295ELNS1_3gpuE0ELNS1_3repE0EEENS1_30default_config_static_selectorELNS0_4arch9wavefront6targetE0EEEvT1_,@function
_ZN7rocprim17ROCPRIM_400000_NS6detail17trampoline_kernelINS0_14default_configENS1_25partition_config_selectorILNS1_17partition_subalgoE8EmNS0_10empty_typeEbEEZZNS1_14partition_implILS5_8ELb0ES3_jPKmPS6_PKS6_NS0_5tupleIJPmS6_EEENSE_IJSB_SB_EEENS0_18inequality_wrapperIN6hipcub16HIPCUB_304000_NS8EqualityEEEPlJS6_EEE10hipError_tPvRmT3_T4_T5_T6_T7_T9_mT8_P12ihipStream_tbDpT10_ENKUlT_T0_E_clISt17integral_constantIbLb1EES16_IbLb0EEEEDaS12_S13_EUlS12_E_NS1_11comp_targetILNS1_3genE0ELNS1_11target_archE4294967295ELNS1_3gpuE0ELNS1_3repE0EEENS1_30default_config_static_selectorELNS0_4arch9wavefront6targetE0EEEvT1_: ; @_ZN7rocprim17ROCPRIM_400000_NS6detail17trampoline_kernelINS0_14default_configENS1_25partition_config_selectorILNS1_17partition_subalgoE8EmNS0_10empty_typeEbEEZZNS1_14partition_implILS5_8ELb0ES3_jPKmPS6_PKS6_NS0_5tupleIJPmS6_EEENSE_IJSB_SB_EEENS0_18inequality_wrapperIN6hipcub16HIPCUB_304000_NS8EqualityEEEPlJS6_EEE10hipError_tPvRmT3_T4_T5_T6_T7_T9_mT8_P12ihipStream_tbDpT10_ENKUlT_T0_E_clISt17integral_constantIbLb1EES16_IbLb0EEEEDaS12_S13_EUlS12_E_NS1_11comp_targetILNS1_3genE0ELNS1_11target_archE4294967295ELNS1_3gpuE0ELNS1_3repE0EEENS1_30default_config_static_selectorELNS0_4arch9wavefront6targetE0EEEvT1_
; %bb.0:
	s_endpgm
	.section	.rodata,"a",@progbits
	.p2align	6, 0x0
	.amdhsa_kernel _ZN7rocprim17ROCPRIM_400000_NS6detail17trampoline_kernelINS0_14default_configENS1_25partition_config_selectorILNS1_17partition_subalgoE8EmNS0_10empty_typeEbEEZZNS1_14partition_implILS5_8ELb0ES3_jPKmPS6_PKS6_NS0_5tupleIJPmS6_EEENSE_IJSB_SB_EEENS0_18inequality_wrapperIN6hipcub16HIPCUB_304000_NS8EqualityEEEPlJS6_EEE10hipError_tPvRmT3_T4_T5_T6_T7_T9_mT8_P12ihipStream_tbDpT10_ENKUlT_T0_E_clISt17integral_constantIbLb1EES16_IbLb0EEEEDaS12_S13_EUlS12_E_NS1_11comp_targetILNS1_3genE0ELNS1_11target_archE4294967295ELNS1_3gpuE0ELNS1_3repE0EEENS1_30default_config_static_selectorELNS0_4arch9wavefront6targetE0EEEvT1_
		.amdhsa_group_segment_fixed_size 0
		.amdhsa_private_segment_fixed_size 0
		.amdhsa_kernarg_size 112
		.amdhsa_user_sgpr_count 2
		.amdhsa_user_sgpr_dispatch_ptr 0
		.amdhsa_user_sgpr_queue_ptr 0
		.amdhsa_user_sgpr_kernarg_segment_ptr 1
		.amdhsa_user_sgpr_dispatch_id 0
		.amdhsa_user_sgpr_kernarg_preload_length 0
		.amdhsa_user_sgpr_kernarg_preload_offset 0
		.amdhsa_user_sgpr_private_segment_size 0
		.amdhsa_wavefront_size32 1
		.amdhsa_uses_dynamic_stack 0
		.amdhsa_enable_private_segment 0
		.amdhsa_system_sgpr_workgroup_id_x 1
		.amdhsa_system_sgpr_workgroup_id_y 0
		.amdhsa_system_sgpr_workgroup_id_z 0
		.amdhsa_system_sgpr_workgroup_info 0
		.amdhsa_system_vgpr_workitem_id 0
		.amdhsa_next_free_vgpr 1
		.amdhsa_next_free_sgpr 1
		.amdhsa_named_barrier_count 0
		.amdhsa_reserve_vcc 0
		.amdhsa_float_round_mode_32 0
		.amdhsa_float_round_mode_16_64 0
		.amdhsa_float_denorm_mode_32 3
		.amdhsa_float_denorm_mode_16_64 3
		.amdhsa_fp16_overflow 0
		.amdhsa_memory_ordered 1
		.amdhsa_forward_progress 1
		.amdhsa_inst_pref_size 1
		.amdhsa_round_robin_scheduling 0
		.amdhsa_exception_fp_ieee_invalid_op 0
		.amdhsa_exception_fp_denorm_src 0
		.amdhsa_exception_fp_ieee_div_zero 0
		.amdhsa_exception_fp_ieee_overflow 0
		.amdhsa_exception_fp_ieee_underflow 0
		.amdhsa_exception_fp_ieee_inexact 0
		.amdhsa_exception_int_div_zero 0
	.end_amdhsa_kernel
	.section	.text._ZN7rocprim17ROCPRIM_400000_NS6detail17trampoline_kernelINS0_14default_configENS1_25partition_config_selectorILNS1_17partition_subalgoE8EmNS0_10empty_typeEbEEZZNS1_14partition_implILS5_8ELb0ES3_jPKmPS6_PKS6_NS0_5tupleIJPmS6_EEENSE_IJSB_SB_EEENS0_18inequality_wrapperIN6hipcub16HIPCUB_304000_NS8EqualityEEEPlJS6_EEE10hipError_tPvRmT3_T4_T5_T6_T7_T9_mT8_P12ihipStream_tbDpT10_ENKUlT_T0_E_clISt17integral_constantIbLb1EES16_IbLb0EEEEDaS12_S13_EUlS12_E_NS1_11comp_targetILNS1_3genE0ELNS1_11target_archE4294967295ELNS1_3gpuE0ELNS1_3repE0EEENS1_30default_config_static_selectorELNS0_4arch9wavefront6targetE0EEEvT1_,"axG",@progbits,_ZN7rocprim17ROCPRIM_400000_NS6detail17trampoline_kernelINS0_14default_configENS1_25partition_config_selectorILNS1_17partition_subalgoE8EmNS0_10empty_typeEbEEZZNS1_14partition_implILS5_8ELb0ES3_jPKmPS6_PKS6_NS0_5tupleIJPmS6_EEENSE_IJSB_SB_EEENS0_18inequality_wrapperIN6hipcub16HIPCUB_304000_NS8EqualityEEEPlJS6_EEE10hipError_tPvRmT3_T4_T5_T6_T7_T9_mT8_P12ihipStream_tbDpT10_ENKUlT_T0_E_clISt17integral_constantIbLb1EES16_IbLb0EEEEDaS12_S13_EUlS12_E_NS1_11comp_targetILNS1_3genE0ELNS1_11target_archE4294967295ELNS1_3gpuE0ELNS1_3repE0EEENS1_30default_config_static_selectorELNS0_4arch9wavefront6targetE0EEEvT1_,comdat
.Lfunc_end702:
	.size	_ZN7rocprim17ROCPRIM_400000_NS6detail17trampoline_kernelINS0_14default_configENS1_25partition_config_selectorILNS1_17partition_subalgoE8EmNS0_10empty_typeEbEEZZNS1_14partition_implILS5_8ELb0ES3_jPKmPS6_PKS6_NS0_5tupleIJPmS6_EEENSE_IJSB_SB_EEENS0_18inequality_wrapperIN6hipcub16HIPCUB_304000_NS8EqualityEEEPlJS6_EEE10hipError_tPvRmT3_T4_T5_T6_T7_T9_mT8_P12ihipStream_tbDpT10_ENKUlT_T0_E_clISt17integral_constantIbLb1EES16_IbLb0EEEEDaS12_S13_EUlS12_E_NS1_11comp_targetILNS1_3genE0ELNS1_11target_archE4294967295ELNS1_3gpuE0ELNS1_3repE0EEENS1_30default_config_static_selectorELNS0_4arch9wavefront6targetE0EEEvT1_, .Lfunc_end702-_ZN7rocprim17ROCPRIM_400000_NS6detail17trampoline_kernelINS0_14default_configENS1_25partition_config_selectorILNS1_17partition_subalgoE8EmNS0_10empty_typeEbEEZZNS1_14partition_implILS5_8ELb0ES3_jPKmPS6_PKS6_NS0_5tupleIJPmS6_EEENSE_IJSB_SB_EEENS0_18inequality_wrapperIN6hipcub16HIPCUB_304000_NS8EqualityEEEPlJS6_EEE10hipError_tPvRmT3_T4_T5_T6_T7_T9_mT8_P12ihipStream_tbDpT10_ENKUlT_T0_E_clISt17integral_constantIbLb1EES16_IbLb0EEEEDaS12_S13_EUlS12_E_NS1_11comp_targetILNS1_3genE0ELNS1_11target_archE4294967295ELNS1_3gpuE0ELNS1_3repE0EEENS1_30default_config_static_selectorELNS0_4arch9wavefront6targetE0EEEvT1_
                                        ; -- End function
	.set _ZN7rocprim17ROCPRIM_400000_NS6detail17trampoline_kernelINS0_14default_configENS1_25partition_config_selectorILNS1_17partition_subalgoE8EmNS0_10empty_typeEbEEZZNS1_14partition_implILS5_8ELb0ES3_jPKmPS6_PKS6_NS0_5tupleIJPmS6_EEENSE_IJSB_SB_EEENS0_18inequality_wrapperIN6hipcub16HIPCUB_304000_NS8EqualityEEEPlJS6_EEE10hipError_tPvRmT3_T4_T5_T6_T7_T9_mT8_P12ihipStream_tbDpT10_ENKUlT_T0_E_clISt17integral_constantIbLb1EES16_IbLb0EEEEDaS12_S13_EUlS12_E_NS1_11comp_targetILNS1_3genE0ELNS1_11target_archE4294967295ELNS1_3gpuE0ELNS1_3repE0EEENS1_30default_config_static_selectorELNS0_4arch9wavefront6targetE0EEEvT1_.num_vgpr, 0
	.set _ZN7rocprim17ROCPRIM_400000_NS6detail17trampoline_kernelINS0_14default_configENS1_25partition_config_selectorILNS1_17partition_subalgoE8EmNS0_10empty_typeEbEEZZNS1_14partition_implILS5_8ELb0ES3_jPKmPS6_PKS6_NS0_5tupleIJPmS6_EEENSE_IJSB_SB_EEENS0_18inequality_wrapperIN6hipcub16HIPCUB_304000_NS8EqualityEEEPlJS6_EEE10hipError_tPvRmT3_T4_T5_T6_T7_T9_mT8_P12ihipStream_tbDpT10_ENKUlT_T0_E_clISt17integral_constantIbLb1EES16_IbLb0EEEEDaS12_S13_EUlS12_E_NS1_11comp_targetILNS1_3genE0ELNS1_11target_archE4294967295ELNS1_3gpuE0ELNS1_3repE0EEENS1_30default_config_static_selectorELNS0_4arch9wavefront6targetE0EEEvT1_.num_agpr, 0
	.set _ZN7rocprim17ROCPRIM_400000_NS6detail17trampoline_kernelINS0_14default_configENS1_25partition_config_selectorILNS1_17partition_subalgoE8EmNS0_10empty_typeEbEEZZNS1_14partition_implILS5_8ELb0ES3_jPKmPS6_PKS6_NS0_5tupleIJPmS6_EEENSE_IJSB_SB_EEENS0_18inequality_wrapperIN6hipcub16HIPCUB_304000_NS8EqualityEEEPlJS6_EEE10hipError_tPvRmT3_T4_T5_T6_T7_T9_mT8_P12ihipStream_tbDpT10_ENKUlT_T0_E_clISt17integral_constantIbLb1EES16_IbLb0EEEEDaS12_S13_EUlS12_E_NS1_11comp_targetILNS1_3genE0ELNS1_11target_archE4294967295ELNS1_3gpuE0ELNS1_3repE0EEENS1_30default_config_static_selectorELNS0_4arch9wavefront6targetE0EEEvT1_.numbered_sgpr, 0
	.set _ZN7rocprim17ROCPRIM_400000_NS6detail17trampoline_kernelINS0_14default_configENS1_25partition_config_selectorILNS1_17partition_subalgoE8EmNS0_10empty_typeEbEEZZNS1_14partition_implILS5_8ELb0ES3_jPKmPS6_PKS6_NS0_5tupleIJPmS6_EEENSE_IJSB_SB_EEENS0_18inequality_wrapperIN6hipcub16HIPCUB_304000_NS8EqualityEEEPlJS6_EEE10hipError_tPvRmT3_T4_T5_T6_T7_T9_mT8_P12ihipStream_tbDpT10_ENKUlT_T0_E_clISt17integral_constantIbLb1EES16_IbLb0EEEEDaS12_S13_EUlS12_E_NS1_11comp_targetILNS1_3genE0ELNS1_11target_archE4294967295ELNS1_3gpuE0ELNS1_3repE0EEENS1_30default_config_static_selectorELNS0_4arch9wavefront6targetE0EEEvT1_.num_named_barrier, 0
	.set _ZN7rocprim17ROCPRIM_400000_NS6detail17trampoline_kernelINS0_14default_configENS1_25partition_config_selectorILNS1_17partition_subalgoE8EmNS0_10empty_typeEbEEZZNS1_14partition_implILS5_8ELb0ES3_jPKmPS6_PKS6_NS0_5tupleIJPmS6_EEENSE_IJSB_SB_EEENS0_18inequality_wrapperIN6hipcub16HIPCUB_304000_NS8EqualityEEEPlJS6_EEE10hipError_tPvRmT3_T4_T5_T6_T7_T9_mT8_P12ihipStream_tbDpT10_ENKUlT_T0_E_clISt17integral_constantIbLb1EES16_IbLb0EEEEDaS12_S13_EUlS12_E_NS1_11comp_targetILNS1_3genE0ELNS1_11target_archE4294967295ELNS1_3gpuE0ELNS1_3repE0EEENS1_30default_config_static_selectorELNS0_4arch9wavefront6targetE0EEEvT1_.private_seg_size, 0
	.set _ZN7rocprim17ROCPRIM_400000_NS6detail17trampoline_kernelINS0_14default_configENS1_25partition_config_selectorILNS1_17partition_subalgoE8EmNS0_10empty_typeEbEEZZNS1_14partition_implILS5_8ELb0ES3_jPKmPS6_PKS6_NS0_5tupleIJPmS6_EEENSE_IJSB_SB_EEENS0_18inequality_wrapperIN6hipcub16HIPCUB_304000_NS8EqualityEEEPlJS6_EEE10hipError_tPvRmT3_T4_T5_T6_T7_T9_mT8_P12ihipStream_tbDpT10_ENKUlT_T0_E_clISt17integral_constantIbLb1EES16_IbLb0EEEEDaS12_S13_EUlS12_E_NS1_11comp_targetILNS1_3genE0ELNS1_11target_archE4294967295ELNS1_3gpuE0ELNS1_3repE0EEENS1_30default_config_static_selectorELNS0_4arch9wavefront6targetE0EEEvT1_.uses_vcc, 0
	.set _ZN7rocprim17ROCPRIM_400000_NS6detail17trampoline_kernelINS0_14default_configENS1_25partition_config_selectorILNS1_17partition_subalgoE8EmNS0_10empty_typeEbEEZZNS1_14partition_implILS5_8ELb0ES3_jPKmPS6_PKS6_NS0_5tupleIJPmS6_EEENSE_IJSB_SB_EEENS0_18inequality_wrapperIN6hipcub16HIPCUB_304000_NS8EqualityEEEPlJS6_EEE10hipError_tPvRmT3_T4_T5_T6_T7_T9_mT8_P12ihipStream_tbDpT10_ENKUlT_T0_E_clISt17integral_constantIbLb1EES16_IbLb0EEEEDaS12_S13_EUlS12_E_NS1_11comp_targetILNS1_3genE0ELNS1_11target_archE4294967295ELNS1_3gpuE0ELNS1_3repE0EEENS1_30default_config_static_selectorELNS0_4arch9wavefront6targetE0EEEvT1_.uses_flat_scratch, 0
	.set _ZN7rocprim17ROCPRIM_400000_NS6detail17trampoline_kernelINS0_14default_configENS1_25partition_config_selectorILNS1_17partition_subalgoE8EmNS0_10empty_typeEbEEZZNS1_14partition_implILS5_8ELb0ES3_jPKmPS6_PKS6_NS0_5tupleIJPmS6_EEENSE_IJSB_SB_EEENS0_18inequality_wrapperIN6hipcub16HIPCUB_304000_NS8EqualityEEEPlJS6_EEE10hipError_tPvRmT3_T4_T5_T6_T7_T9_mT8_P12ihipStream_tbDpT10_ENKUlT_T0_E_clISt17integral_constantIbLb1EES16_IbLb0EEEEDaS12_S13_EUlS12_E_NS1_11comp_targetILNS1_3genE0ELNS1_11target_archE4294967295ELNS1_3gpuE0ELNS1_3repE0EEENS1_30default_config_static_selectorELNS0_4arch9wavefront6targetE0EEEvT1_.has_dyn_sized_stack, 0
	.set _ZN7rocprim17ROCPRIM_400000_NS6detail17trampoline_kernelINS0_14default_configENS1_25partition_config_selectorILNS1_17partition_subalgoE8EmNS0_10empty_typeEbEEZZNS1_14partition_implILS5_8ELb0ES3_jPKmPS6_PKS6_NS0_5tupleIJPmS6_EEENSE_IJSB_SB_EEENS0_18inequality_wrapperIN6hipcub16HIPCUB_304000_NS8EqualityEEEPlJS6_EEE10hipError_tPvRmT3_T4_T5_T6_T7_T9_mT8_P12ihipStream_tbDpT10_ENKUlT_T0_E_clISt17integral_constantIbLb1EES16_IbLb0EEEEDaS12_S13_EUlS12_E_NS1_11comp_targetILNS1_3genE0ELNS1_11target_archE4294967295ELNS1_3gpuE0ELNS1_3repE0EEENS1_30default_config_static_selectorELNS0_4arch9wavefront6targetE0EEEvT1_.has_recursion, 0
	.set _ZN7rocprim17ROCPRIM_400000_NS6detail17trampoline_kernelINS0_14default_configENS1_25partition_config_selectorILNS1_17partition_subalgoE8EmNS0_10empty_typeEbEEZZNS1_14partition_implILS5_8ELb0ES3_jPKmPS6_PKS6_NS0_5tupleIJPmS6_EEENSE_IJSB_SB_EEENS0_18inequality_wrapperIN6hipcub16HIPCUB_304000_NS8EqualityEEEPlJS6_EEE10hipError_tPvRmT3_T4_T5_T6_T7_T9_mT8_P12ihipStream_tbDpT10_ENKUlT_T0_E_clISt17integral_constantIbLb1EES16_IbLb0EEEEDaS12_S13_EUlS12_E_NS1_11comp_targetILNS1_3genE0ELNS1_11target_archE4294967295ELNS1_3gpuE0ELNS1_3repE0EEENS1_30default_config_static_selectorELNS0_4arch9wavefront6targetE0EEEvT1_.has_indirect_call, 0
	.section	.AMDGPU.csdata,"",@progbits
; Kernel info:
; codeLenInByte = 4
; TotalNumSgprs: 0
; NumVgprs: 0
; ScratchSize: 0
; MemoryBound: 0
; FloatMode: 240
; IeeeMode: 1
; LDSByteSize: 0 bytes/workgroup (compile time only)
; SGPRBlocks: 0
; VGPRBlocks: 0
; NumSGPRsForWavesPerEU: 1
; NumVGPRsForWavesPerEU: 1
; NamedBarCnt: 0
; Occupancy: 16
; WaveLimiterHint : 0
; COMPUTE_PGM_RSRC2:SCRATCH_EN: 0
; COMPUTE_PGM_RSRC2:USER_SGPR: 2
; COMPUTE_PGM_RSRC2:TRAP_HANDLER: 0
; COMPUTE_PGM_RSRC2:TGID_X_EN: 1
; COMPUTE_PGM_RSRC2:TGID_Y_EN: 0
; COMPUTE_PGM_RSRC2:TGID_Z_EN: 0
; COMPUTE_PGM_RSRC2:TIDIG_COMP_CNT: 0
	.section	.text._ZN7rocprim17ROCPRIM_400000_NS6detail17trampoline_kernelINS0_14default_configENS1_25partition_config_selectorILNS1_17partition_subalgoE8EmNS0_10empty_typeEbEEZZNS1_14partition_implILS5_8ELb0ES3_jPKmPS6_PKS6_NS0_5tupleIJPmS6_EEENSE_IJSB_SB_EEENS0_18inequality_wrapperIN6hipcub16HIPCUB_304000_NS8EqualityEEEPlJS6_EEE10hipError_tPvRmT3_T4_T5_T6_T7_T9_mT8_P12ihipStream_tbDpT10_ENKUlT_T0_E_clISt17integral_constantIbLb1EES16_IbLb0EEEEDaS12_S13_EUlS12_E_NS1_11comp_targetILNS1_3genE5ELNS1_11target_archE942ELNS1_3gpuE9ELNS1_3repE0EEENS1_30default_config_static_selectorELNS0_4arch9wavefront6targetE0EEEvT1_,"axG",@progbits,_ZN7rocprim17ROCPRIM_400000_NS6detail17trampoline_kernelINS0_14default_configENS1_25partition_config_selectorILNS1_17partition_subalgoE8EmNS0_10empty_typeEbEEZZNS1_14partition_implILS5_8ELb0ES3_jPKmPS6_PKS6_NS0_5tupleIJPmS6_EEENSE_IJSB_SB_EEENS0_18inequality_wrapperIN6hipcub16HIPCUB_304000_NS8EqualityEEEPlJS6_EEE10hipError_tPvRmT3_T4_T5_T6_T7_T9_mT8_P12ihipStream_tbDpT10_ENKUlT_T0_E_clISt17integral_constantIbLb1EES16_IbLb0EEEEDaS12_S13_EUlS12_E_NS1_11comp_targetILNS1_3genE5ELNS1_11target_archE942ELNS1_3gpuE9ELNS1_3repE0EEENS1_30default_config_static_selectorELNS0_4arch9wavefront6targetE0EEEvT1_,comdat
	.protected	_ZN7rocprim17ROCPRIM_400000_NS6detail17trampoline_kernelINS0_14default_configENS1_25partition_config_selectorILNS1_17partition_subalgoE8EmNS0_10empty_typeEbEEZZNS1_14partition_implILS5_8ELb0ES3_jPKmPS6_PKS6_NS0_5tupleIJPmS6_EEENSE_IJSB_SB_EEENS0_18inequality_wrapperIN6hipcub16HIPCUB_304000_NS8EqualityEEEPlJS6_EEE10hipError_tPvRmT3_T4_T5_T6_T7_T9_mT8_P12ihipStream_tbDpT10_ENKUlT_T0_E_clISt17integral_constantIbLb1EES16_IbLb0EEEEDaS12_S13_EUlS12_E_NS1_11comp_targetILNS1_3genE5ELNS1_11target_archE942ELNS1_3gpuE9ELNS1_3repE0EEENS1_30default_config_static_selectorELNS0_4arch9wavefront6targetE0EEEvT1_ ; -- Begin function _ZN7rocprim17ROCPRIM_400000_NS6detail17trampoline_kernelINS0_14default_configENS1_25partition_config_selectorILNS1_17partition_subalgoE8EmNS0_10empty_typeEbEEZZNS1_14partition_implILS5_8ELb0ES3_jPKmPS6_PKS6_NS0_5tupleIJPmS6_EEENSE_IJSB_SB_EEENS0_18inequality_wrapperIN6hipcub16HIPCUB_304000_NS8EqualityEEEPlJS6_EEE10hipError_tPvRmT3_T4_T5_T6_T7_T9_mT8_P12ihipStream_tbDpT10_ENKUlT_T0_E_clISt17integral_constantIbLb1EES16_IbLb0EEEEDaS12_S13_EUlS12_E_NS1_11comp_targetILNS1_3genE5ELNS1_11target_archE942ELNS1_3gpuE9ELNS1_3repE0EEENS1_30default_config_static_selectorELNS0_4arch9wavefront6targetE0EEEvT1_
	.globl	_ZN7rocprim17ROCPRIM_400000_NS6detail17trampoline_kernelINS0_14default_configENS1_25partition_config_selectorILNS1_17partition_subalgoE8EmNS0_10empty_typeEbEEZZNS1_14partition_implILS5_8ELb0ES3_jPKmPS6_PKS6_NS0_5tupleIJPmS6_EEENSE_IJSB_SB_EEENS0_18inequality_wrapperIN6hipcub16HIPCUB_304000_NS8EqualityEEEPlJS6_EEE10hipError_tPvRmT3_T4_T5_T6_T7_T9_mT8_P12ihipStream_tbDpT10_ENKUlT_T0_E_clISt17integral_constantIbLb1EES16_IbLb0EEEEDaS12_S13_EUlS12_E_NS1_11comp_targetILNS1_3genE5ELNS1_11target_archE942ELNS1_3gpuE9ELNS1_3repE0EEENS1_30default_config_static_selectorELNS0_4arch9wavefront6targetE0EEEvT1_
	.p2align	8
	.type	_ZN7rocprim17ROCPRIM_400000_NS6detail17trampoline_kernelINS0_14default_configENS1_25partition_config_selectorILNS1_17partition_subalgoE8EmNS0_10empty_typeEbEEZZNS1_14partition_implILS5_8ELb0ES3_jPKmPS6_PKS6_NS0_5tupleIJPmS6_EEENSE_IJSB_SB_EEENS0_18inequality_wrapperIN6hipcub16HIPCUB_304000_NS8EqualityEEEPlJS6_EEE10hipError_tPvRmT3_T4_T5_T6_T7_T9_mT8_P12ihipStream_tbDpT10_ENKUlT_T0_E_clISt17integral_constantIbLb1EES16_IbLb0EEEEDaS12_S13_EUlS12_E_NS1_11comp_targetILNS1_3genE5ELNS1_11target_archE942ELNS1_3gpuE9ELNS1_3repE0EEENS1_30default_config_static_selectorELNS0_4arch9wavefront6targetE0EEEvT1_,@function
_ZN7rocprim17ROCPRIM_400000_NS6detail17trampoline_kernelINS0_14default_configENS1_25partition_config_selectorILNS1_17partition_subalgoE8EmNS0_10empty_typeEbEEZZNS1_14partition_implILS5_8ELb0ES3_jPKmPS6_PKS6_NS0_5tupleIJPmS6_EEENSE_IJSB_SB_EEENS0_18inequality_wrapperIN6hipcub16HIPCUB_304000_NS8EqualityEEEPlJS6_EEE10hipError_tPvRmT3_T4_T5_T6_T7_T9_mT8_P12ihipStream_tbDpT10_ENKUlT_T0_E_clISt17integral_constantIbLb1EES16_IbLb0EEEEDaS12_S13_EUlS12_E_NS1_11comp_targetILNS1_3genE5ELNS1_11target_archE942ELNS1_3gpuE9ELNS1_3repE0EEENS1_30default_config_static_selectorELNS0_4arch9wavefront6targetE0EEEvT1_: ; @_ZN7rocprim17ROCPRIM_400000_NS6detail17trampoline_kernelINS0_14default_configENS1_25partition_config_selectorILNS1_17partition_subalgoE8EmNS0_10empty_typeEbEEZZNS1_14partition_implILS5_8ELb0ES3_jPKmPS6_PKS6_NS0_5tupleIJPmS6_EEENSE_IJSB_SB_EEENS0_18inequality_wrapperIN6hipcub16HIPCUB_304000_NS8EqualityEEEPlJS6_EEE10hipError_tPvRmT3_T4_T5_T6_T7_T9_mT8_P12ihipStream_tbDpT10_ENKUlT_T0_E_clISt17integral_constantIbLb1EES16_IbLb0EEEEDaS12_S13_EUlS12_E_NS1_11comp_targetILNS1_3genE5ELNS1_11target_archE942ELNS1_3gpuE9ELNS1_3repE0EEENS1_30default_config_static_selectorELNS0_4arch9wavefront6targetE0EEEvT1_
; %bb.0:
	.section	.rodata,"a",@progbits
	.p2align	6, 0x0
	.amdhsa_kernel _ZN7rocprim17ROCPRIM_400000_NS6detail17trampoline_kernelINS0_14default_configENS1_25partition_config_selectorILNS1_17partition_subalgoE8EmNS0_10empty_typeEbEEZZNS1_14partition_implILS5_8ELb0ES3_jPKmPS6_PKS6_NS0_5tupleIJPmS6_EEENSE_IJSB_SB_EEENS0_18inequality_wrapperIN6hipcub16HIPCUB_304000_NS8EqualityEEEPlJS6_EEE10hipError_tPvRmT3_T4_T5_T6_T7_T9_mT8_P12ihipStream_tbDpT10_ENKUlT_T0_E_clISt17integral_constantIbLb1EES16_IbLb0EEEEDaS12_S13_EUlS12_E_NS1_11comp_targetILNS1_3genE5ELNS1_11target_archE942ELNS1_3gpuE9ELNS1_3repE0EEENS1_30default_config_static_selectorELNS0_4arch9wavefront6targetE0EEEvT1_
		.amdhsa_group_segment_fixed_size 0
		.amdhsa_private_segment_fixed_size 0
		.amdhsa_kernarg_size 112
		.amdhsa_user_sgpr_count 2
		.amdhsa_user_sgpr_dispatch_ptr 0
		.amdhsa_user_sgpr_queue_ptr 0
		.amdhsa_user_sgpr_kernarg_segment_ptr 1
		.amdhsa_user_sgpr_dispatch_id 0
		.amdhsa_user_sgpr_kernarg_preload_length 0
		.amdhsa_user_sgpr_kernarg_preload_offset 0
		.amdhsa_user_sgpr_private_segment_size 0
		.amdhsa_wavefront_size32 1
		.amdhsa_uses_dynamic_stack 0
		.amdhsa_enable_private_segment 0
		.amdhsa_system_sgpr_workgroup_id_x 1
		.amdhsa_system_sgpr_workgroup_id_y 0
		.amdhsa_system_sgpr_workgroup_id_z 0
		.amdhsa_system_sgpr_workgroup_info 0
		.amdhsa_system_vgpr_workitem_id 0
		.amdhsa_next_free_vgpr 1
		.amdhsa_next_free_sgpr 1
		.amdhsa_named_barrier_count 0
		.amdhsa_reserve_vcc 0
		.amdhsa_float_round_mode_32 0
		.amdhsa_float_round_mode_16_64 0
		.amdhsa_float_denorm_mode_32 3
		.amdhsa_float_denorm_mode_16_64 3
		.amdhsa_fp16_overflow 0
		.amdhsa_memory_ordered 1
		.amdhsa_forward_progress 1
		.amdhsa_inst_pref_size 0
		.amdhsa_round_robin_scheduling 0
		.amdhsa_exception_fp_ieee_invalid_op 0
		.amdhsa_exception_fp_denorm_src 0
		.amdhsa_exception_fp_ieee_div_zero 0
		.amdhsa_exception_fp_ieee_overflow 0
		.amdhsa_exception_fp_ieee_underflow 0
		.amdhsa_exception_fp_ieee_inexact 0
		.amdhsa_exception_int_div_zero 0
	.end_amdhsa_kernel
	.section	.text._ZN7rocprim17ROCPRIM_400000_NS6detail17trampoline_kernelINS0_14default_configENS1_25partition_config_selectorILNS1_17partition_subalgoE8EmNS0_10empty_typeEbEEZZNS1_14partition_implILS5_8ELb0ES3_jPKmPS6_PKS6_NS0_5tupleIJPmS6_EEENSE_IJSB_SB_EEENS0_18inequality_wrapperIN6hipcub16HIPCUB_304000_NS8EqualityEEEPlJS6_EEE10hipError_tPvRmT3_T4_T5_T6_T7_T9_mT8_P12ihipStream_tbDpT10_ENKUlT_T0_E_clISt17integral_constantIbLb1EES16_IbLb0EEEEDaS12_S13_EUlS12_E_NS1_11comp_targetILNS1_3genE5ELNS1_11target_archE942ELNS1_3gpuE9ELNS1_3repE0EEENS1_30default_config_static_selectorELNS0_4arch9wavefront6targetE0EEEvT1_,"axG",@progbits,_ZN7rocprim17ROCPRIM_400000_NS6detail17trampoline_kernelINS0_14default_configENS1_25partition_config_selectorILNS1_17partition_subalgoE8EmNS0_10empty_typeEbEEZZNS1_14partition_implILS5_8ELb0ES3_jPKmPS6_PKS6_NS0_5tupleIJPmS6_EEENSE_IJSB_SB_EEENS0_18inequality_wrapperIN6hipcub16HIPCUB_304000_NS8EqualityEEEPlJS6_EEE10hipError_tPvRmT3_T4_T5_T6_T7_T9_mT8_P12ihipStream_tbDpT10_ENKUlT_T0_E_clISt17integral_constantIbLb1EES16_IbLb0EEEEDaS12_S13_EUlS12_E_NS1_11comp_targetILNS1_3genE5ELNS1_11target_archE942ELNS1_3gpuE9ELNS1_3repE0EEENS1_30default_config_static_selectorELNS0_4arch9wavefront6targetE0EEEvT1_,comdat
.Lfunc_end703:
	.size	_ZN7rocprim17ROCPRIM_400000_NS6detail17trampoline_kernelINS0_14default_configENS1_25partition_config_selectorILNS1_17partition_subalgoE8EmNS0_10empty_typeEbEEZZNS1_14partition_implILS5_8ELb0ES3_jPKmPS6_PKS6_NS0_5tupleIJPmS6_EEENSE_IJSB_SB_EEENS0_18inequality_wrapperIN6hipcub16HIPCUB_304000_NS8EqualityEEEPlJS6_EEE10hipError_tPvRmT3_T4_T5_T6_T7_T9_mT8_P12ihipStream_tbDpT10_ENKUlT_T0_E_clISt17integral_constantIbLb1EES16_IbLb0EEEEDaS12_S13_EUlS12_E_NS1_11comp_targetILNS1_3genE5ELNS1_11target_archE942ELNS1_3gpuE9ELNS1_3repE0EEENS1_30default_config_static_selectorELNS0_4arch9wavefront6targetE0EEEvT1_, .Lfunc_end703-_ZN7rocprim17ROCPRIM_400000_NS6detail17trampoline_kernelINS0_14default_configENS1_25partition_config_selectorILNS1_17partition_subalgoE8EmNS0_10empty_typeEbEEZZNS1_14partition_implILS5_8ELb0ES3_jPKmPS6_PKS6_NS0_5tupleIJPmS6_EEENSE_IJSB_SB_EEENS0_18inequality_wrapperIN6hipcub16HIPCUB_304000_NS8EqualityEEEPlJS6_EEE10hipError_tPvRmT3_T4_T5_T6_T7_T9_mT8_P12ihipStream_tbDpT10_ENKUlT_T0_E_clISt17integral_constantIbLb1EES16_IbLb0EEEEDaS12_S13_EUlS12_E_NS1_11comp_targetILNS1_3genE5ELNS1_11target_archE942ELNS1_3gpuE9ELNS1_3repE0EEENS1_30default_config_static_selectorELNS0_4arch9wavefront6targetE0EEEvT1_
                                        ; -- End function
	.set _ZN7rocprim17ROCPRIM_400000_NS6detail17trampoline_kernelINS0_14default_configENS1_25partition_config_selectorILNS1_17partition_subalgoE8EmNS0_10empty_typeEbEEZZNS1_14partition_implILS5_8ELb0ES3_jPKmPS6_PKS6_NS0_5tupleIJPmS6_EEENSE_IJSB_SB_EEENS0_18inequality_wrapperIN6hipcub16HIPCUB_304000_NS8EqualityEEEPlJS6_EEE10hipError_tPvRmT3_T4_T5_T6_T7_T9_mT8_P12ihipStream_tbDpT10_ENKUlT_T0_E_clISt17integral_constantIbLb1EES16_IbLb0EEEEDaS12_S13_EUlS12_E_NS1_11comp_targetILNS1_3genE5ELNS1_11target_archE942ELNS1_3gpuE9ELNS1_3repE0EEENS1_30default_config_static_selectorELNS0_4arch9wavefront6targetE0EEEvT1_.num_vgpr, 0
	.set _ZN7rocprim17ROCPRIM_400000_NS6detail17trampoline_kernelINS0_14default_configENS1_25partition_config_selectorILNS1_17partition_subalgoE8EmNS0_10empty_typeEbEEZZNS1_14partition_implILS5_8ELb0ES3_jPKmPS6_PKS6_NS0_5tupleIJPmS6_EEENSE_IJSB_SB_EEENS0_18inequality_wrapperIN6hipcub16HIPCUB_304000_NS8EqualityEEEPlJS6_EEE10hipError_tPvRmT3_T4_T5_T6_T7_T9_mT8_P12ihipStream_tbDpT10_ENKUlT_T0_E_clISt17integral_constantIbLb1EES16_IbLb0EEEEDaS12_S13_EUlS12_E_NS1_11comp_targetILNS1_3genE5ELNS1_11target_archE942ELNS1_3gpuE9ELNS1_3repE0EEENS1_30default_config_static_selectorELNS0_4arch9wavefront6targetE0EEEvT1_.num_agpr, 0
	.set _ZN7rocprim17ROCPRIM_400000_NS6detail17trampoline_kernelINS0_14default_configENS1_25partition_config_selectorILNS1_17partition_subalgoE8EmNS0_10empty_typeEbEEZZNS1_14partition_implILS5_8ELb0ES3_jPKmPS6_PKS6_NS0_5tupleIJPmS6_EEENSE_IJSB_SB_EEENS0_18inequality_wrapperIN6hipcub16HIPCUB_304000_NS8EqualityEEEPlJS6_EEE10hipError_tPvRmT3_T4_T5_T6_T7_T9_mT8_P12ihipStream_tbDpT10_ENKUlT_T0_E_clISt17integral_constantIbLb1EES16_IbLb0EEEEDaS12_S13_EUlS12_E_NS1_11comp_targetILNS1_3genE5ELNS1_11target_archE942ELNS1_3gpuE9ELNS1_3repE0EEENS1_30default_config_static_selectorELNS0_4arch9wavefront6targetE0EEEvT1_.numbered_sgpr, 0
	.set _ZN7rocprim17ROCPRIM_400000_NS6detail17trampoline_kernelINS0_14default_configENS1_25partition_config_selectorILNS1_17partition_subalgoE8EmNS0_10empty_typeEbEEZZNS1_14partition_implILS5_8ELb0ES3_jPKmPS6_PKS6_NS0_5tupleIJPmS6_EEENSE_IJSB_SB_EEENS0_18inequality_wrapperIN6hipcub16HIPCUB_304000_NS8EqualityEEEPlJS6_EEE10hipError_tPvRmT3_T4_T5_T6_T7_T9_mT8_P12ihipStream_tbDpT10_ENKUlT_T0_E_clISt17integral_constantIbLb1EES16_IbLb0EEEEDaS12_S13_EUlS12_E_NS1_11comp_targetILNS1_3genE5ELNS1_11target_archE942ELNS1_3gpuE9ELNS1_3repE0EEENS1_30default_config_static_selectorELNS0_4arch9wavefront6targetE0EEEvT1_.num_named_barrier, 0
	.set _ZN7rocprim17ROCPRIM_400000_NS6detail17trampoline_kernelINS0_14default_configENS1_25partition_config_selectorILNS1_17partition_subalgoE8EmNS0_10empty_typeEbEEZZNS1_14partition_implILS5_8ELb0ES3_jPKmPS6_PKS6_NS0_5tupleIJPmS6_EEENSE_IJSB_SB_EEENS0_18inequality_wrapperIN6hipcub16HIPCUB_304000_NS8EqualityEEEPlJS6_EEE10hipError_tPvRmT3_T4_T5_T6_T7_T9_mT8_P12ihipStream_tbDpT10_ENKUlT_T0_E_clISt17integral_constantIbLb1EES16_IbLb0EEEEDaS12_S13_EUlS12_E_NS1_11comp_targetILNS1_3genE5ELNS1_11target_archE942ELNS1_3gpuE9ELNS1_3repE0EEENS1_30default_config_static_selectorELNS0_4arch9wavefront6targetE0EEEvT1_.private_seg_size, 0
	.set _ZN7rocprim17ROCPRIM_400000_NS6detail17trampoline_kernelINS0_14default_configENS1_25partition_config_selectorILNS1_17partition_subalgoE8EmNS0_10empty_typeEbEEZZNS1_14partition_implILS5_8ELb0ES3_jPKmPS6_PKS6_NS0_5tupleIJPmS6_EEENSE_IJSB_SB_EEENS0_18inequality_wrapperIN6hipcub16HIPCUB_304000_NS8EqualityEEEPlJS6_EEE10hipError_tPvRmT3_T4_T5_T6_T7_T9_mT8_P12ihipStream_tbDpT10_ENKUlT_T0_E_clISt17integral_constantIbLb1EES16_IbLb0EEEEDaS12_S13_EUlS12_E_NS1_11comp_targetILNS1_3genE5ELNS1_11target_archE942ELNS1_3gpuE9ELNS1_3repE0EEENS1_30default_config_static_selectorELNS0_4arch9wavefront6targetE0EEEvT1_.uses_vcc, 0
	.set _ZN7rocprim17ROCPRIM_400000_NS6detail17trampoline_kernelINS0_14default_configENS1_25partition_config_selectorILNS1_17partition_subalgoE8EmNS0_10empty_typeEbEEZZNS1_14partition_implILS5_8ELb0ES3_jPKmPS6_PKS6_NS0_5tupleIJPmS6_EEENSE_IJSB_SB_EEENS0_18inequality_wrapperIN6hipcub16HIPCUB_304000_NS8EqualityEEEPlJS6_EEE10hipError_tPvRmT3_T4_T5_T6_T7_T9_mT8_P12ihipStream_tbDpT10_ENKUlT_T0_E_clISt17integral_constantIbLb1EES16_IbLb0EEEEDaS12_S13_EUlS12_E_NS1_11comp_targetILNS1_3genE5ELNS1_11target_archE942ELNS1_3gpuE9ELNS1_3repE0EEENS1_30default_config_static_selectorELNS0_4arch9wavefront6targetE0EEEvT1_.uses_flat_scratch, 0
	.set _ZN7rocprim17ROCPRIM_400000_NS6detail17trampoline_kernelINS0_14default_configENS1_25partition_config_selectorILNS1_17partition_subalgoE8EmNS0_10empty_typeEbEEZZNS1_14partition_implILS5_8ELb0ES3_jPKmPS6_PKS6_NS0_5tupleIJPmS6_EEENSE_IJSB_SB_EEENS0_18inequality_wrapperIN6hipcub16HIPCUB_304000_NS8EqualityEEEPlJS6_EEE10hipError_tPvRmT3_T4_T5_T6_T7_T9_mT8_P12ihipStream_tbDpT10_ENKUlT_T0_E_clISt17integral_constantIbLb1EES16_IbLb0EEEEDaS12_S13_EUlS12_E_NS1_11comp_targetILNS1_3genE5ELNS1_11target_archE942ELNS1_3gpuE9ELNS1_3repE0EEENS1_30default_config_static_selectorELNS0_4arch9wavefront6targetE0EEEvT1_.has_dyn_sized_stack, 0
	.set _ZN7rocprim17ROCPRIM_400000_NS6detail17trampoline_kernelINS0_14default_configENS1_25partition_config_selectorILNS1_17partition_subalgoE8EmNS0_10empty_typeEbEEZZNS1_14partition_implILS5_8ELb0ES3_jPKmPS6_PKS6_NS0_5tupleIJPmS6_EEENSE_IJSB_SB_EEENS0_18inequality_wrapperIN6hipcub16HIPCUB_304000_NS8EqualityEEEPlJS6_EEE10hipError_tPvRmT3_T4_T5_T6_T7_T9_mT8_P12ihipStream_tbDpT10_ENKUlT_T0_E_clISt17integral_constantIbLb1EES16_IbLb0EEEEDaS12_S13_EUlS12_E_NS1_11comp_targetILNS1_3genE5ELNS1_11target_archE942ELNS1_3gpuE9ELNS1_3repE0EEENS1_30default_config_static_selectorELNS0_4arch9wavefront6targetE0EEEvT1_.has_recursion, 0
	.set _ZN7rocprim17ROCPRIM_400000_NS6detail17trampoline_kernelINS0_14default_configENS1_25partition_config_selectorILNS1_17partition_subalgoE8EmNS0_10empty_typeEbEEZZNS1_14partition_implILS5_8ELb0ES3_jPKmPS6_PKS6_NS0_5tupleIJPmS6_EEENSE_IJSB_SB_EEENS0_18inequality_wrapperIN6hipcub16HIPCUB_304000_NS8EqualityEEEPlJS6_EEE10hipError_tPvRmT3_T4_T5_T6_T7_T9_mT8_P12ihipStream_tbDpT10_ENKUlT_T0_E_clISt17integral_constantIbLb1EES16_IbLb0EEEEDaS12_S13_EUlS12_E_NS1_11comp_targetILNS1_3genE5ELNS1_11target_archE942ELNS1_3gpuE9ELNS1_3repE0EEENS1_30default_config_static_selectorELNS0_4arch9wavefront6targetE0EEEvT1_.has_indirect_call, 0
	.section	.AMDGPU.csdata,"",@progbits
; Kernel info:
; codeLenInByte = 0
; TotalNumSgprs: 0
; NumVgprs: 0
; ScratchSize: 0
; MemoryBound: 0
; FloatMode: 240
; IeeeMode: 1
; LDSByteSize: 0 bytes/workgroup (compile time only)
; SGPRBlocks: 0
; VGPRBlocks: 0
; NumSGPRsForWavesPerEU: 1
; NumVGPRsForWavesPerEU: 1
; NamedBarCnt: 0
; Occupancy: 16
; WaveLimiterHint : 0
; COMPUTE_PGM_RSRC2:SCRATCH_EN: 0
; COMPUTE_PGM_RSRC2:USER_SGPR: 2
; COMPUTE_PGM_RSRC2:TRAP_HANDLER: 0
; COMPUTE_PGM_RSRC2:TGID_X_EN: 1
; COMPUTE_PGM_RSRC2:TGID_Y_EN: 0
; COMPUTE_PGM_RSRC2:TGID_Z_EN: 0
; COMPUTE_PGM_RSRC2:TIDIG_COMP_CNT: 0
	.section	.text._ZN7rocprim17ROCPRIM_400000_NS6detail17trampoline_kernelINS0_14default_configENS1_25partition_config_selectorILNS1_17partition_subalgoE8EmNS0_10empty_typeEbEEZZNS1_14partition_implILS5_8ELb0ES3_jPKmPS6_PKS6_NS0_5tupleIJPmS6_EEENSE_IJSB_SB_EEENS0_18inequality_wrapperIN6hipcub16HIPCUB_304000_NS8EqualityEEEPlJS6_EEE10hipError_tPvRmT3_T4_T5_T6_T7_T9_mT8_P12ihipStream_tbDpT10_ENKUlT_T0_E_clISt17integral_constantIbLb1EES16_IbLb0EEEEDaS12_S13_EUlS12_E_NS1_11comp_targetILNS1_3genE4ELNS1_11target_archE910ELNS1_3gpuE8ELNS1_3repE0EEENS1_30default_config_static_selectorELNS0_4arch9wavefront6targetE0EEEvT1_,"axG",@progbits,_ZN7rocprim17ROCPRIM_400000_NS6detail17trampoline_kernelINS0_14default_configENS1_25partition_config_selectorILNS1_17partition_subalgoE8EmNS0_10empty_typeEbEEZZNS1_14partition_implILS5_8ELb0ES3_jPKmPS6_PKS6_NS0_5tupleIJPmS6_EEENSE_IJSB_SB_EEENS0_18inequality_wrapperIN6hipcub16HIPCUB_304000_NS8EqualityEEEPlJS6_EEE10hipError_tPvRmT3_T4_T5_T6_T7_T9_mT8_P12ihipStream_tbDpT10_ENKUlT_T0_E_clISt17integral_constantIbLb1EES16_IbLb0EEEEDaS12_S13_EUlS12_E_NS1_11comp_targetILNS1_3genE4ELNS1_11target_archE910ELNS1_3gpuE8ELNS1_3repE0EEENS1_30default_config_static_selectorELNS0_4arch9wavefront6targetE0EEEvT1_,comdat
	.protected	_ZN7rocprim17ROCPRIM_400000_NS6detail17trampoline_kernelINS0_14default_configENS1_25partition_config_selectorILNS1_17partition_subalgoE8EmNS0_10empty_typeEbEEZZNS1_14partition_implILS5_8ELb0ES3_jPKmPS6_PKS6_NS0_5tupleIJPmS6_EEENSE_IJSB_SB_EEENS0_18inequality_wrapperIN6hipcub16HIPCUB_304000_NS8EqualityEEEPlJS6_EEE10hipError_tPvRmT3_T4_T5_T6_T7_T9_mT8_P12ihipStream_tbDpT10_ENKUlT_T0_E_clISt17integral_constantIbLb1EES16_IbLb0EEEEDaS12_S13_EUlS12_E_NS1_11comp_targetILNS1_3genE4ELNS1_11target_archE910ELNS1_3gpuE8ELNS1_3repE0EEENS1_30default_config_static_selectorELNS0_4arch9wavefront6targetE0EEEvT1_ ; -- Begin function _ZN7rocprim17ROCPRIM_400000_NS6detail17trampoline_kernelINS0_14default_configENS1_25partition_config_selectorILNS1_17partition_subalgoE8EmNS0_10empty_typeEbEEZZNS1_14partition_implILS5_8ELb0ES3_jPKmPS6_PKS6_NS0_5tupleIJPmS6_EEENSE_IJSB_SB_EEENS0_18inequality_wrapperIN6hipcub16HIPCUB_304000_NS8EqualityEEEPlJS6_EEE10hipError_tPvRmT3_T4_T5_T6_T7_T9_mT8_P12ihipStream_tbDpT10_ENKUlT_T0_E_clISt17integral_constantIbLb1EES16_IbLb0EEEEDaS12_S13_EUlS12_E_NS1_11comp_targetILNS1_3genE4ELNS1_11target_archE910ELNS1_3gpuE8ELNS1_3repE0EEENS1_30default_config_static_selectorELNS0_4arch9wavefront6targetE0EEEvT1_
	.globl	_ZN7rocprim17ROCPRIM_400000_NS6detail17trampoline_kernelINS0_14default_configENS1_25partition_config_selectorILNS1_17partition_subalgoE8EmNS0_10empty_typeEbEEZZNS1_14partition_implILS5_8ELb0ES3_jPKmPS6_PKS6_NS0_5tupleIJPmS6_EEENSE_IJSB_SB_EEENS0_18inequality_wrapperIN6hipcub16HIPCUB_304000_NS8EqualityEEEPlJS6_EEE10hipError_tPvRmT3_T4_T5_T6_T7_T9_mT8_P12ihipStream_tbDpT10_ENKUlT_T0_E_clISt17integral_constantIbLb1EES16_IbLb0EEEEDaS12_S13_EUlS12_E_NS1_11comp_targetILNS1_3genE4ELNS1_11target_archE910ELNS1_3gpuE8ELNS1_3repE0EEENS1_30default_config_static_selectorELNS0_4arch9wavefront6targetE0EEEvT1_
	.p2align	8
	.type	_ZN7rocprim17ROCPRIM_400000_NS6detail17trampoline_kernelINS0_14default_configENS1_25partition_config_selectorILNS1_17partition_subalgoE8EmNS0_10empty_typeEbEEZZNS1_14partition_implILS5_8ELb0ES3_jPKmPS6_PKS6_NS0_5tupleIJPmS6_EEENSE_IJSB_SB_EEENS0_18inequality_wrapperIN6hipcub16HIPCUB_304000_NS8EqualityEEEPlJS6_EEE10hipError_tPvRmT3_T4_T5_T6_T7_T9_mT8_P12ihipStream_tbDpT10_ENKUlT_T0_E_clISt17integral_constantIbLb1EES16_IbLb0EEEEDaS12_S13_EUlS12_E_NS1_11comp_targetILNS1_3genE4ELNS1_11target_archE910ELNS1_3gpuE8ELNS1_3repE0EEENS1_30default_config_static_selectorELNS0_4arch9wavefront6targetE0EEEvT1_,@function
_ZN7rocprim17ROCPRIM_400000_NS6detail17trampoline_kernelINS0_14default_configENS1_25partition_config_selectorILNS1_17partition_subalgoE8EmNS0_10empty_typeEbEEZZNS1_14partition_implILS5_8ELb0ES3_jPKmPS6_PKS6_NS0_5tupleIJPmS6_EEENSE_IJSB_SB_EEENS0_18inequality_wrapperIN6hipcub16HIPCUB_304000_NS8EqualityEEEPlJS6_EEE10hipError_tPvRmT3_T4_T5_T6_T7_T9_mT8_P12ihipStream_tbDpT10_ENKUlT_T0_E_clISt17integral_constantIbLb1EES16_IbLb0EEEEDaS12_S13_EUlS12_E_NS1_11comp_targetILNS1_3genE4ELNS1_11target_archE910ELNS1_3gpuE8ELNS1_3repE0EEENS1_30default_config_static_selectorELNS0_4arch9wavefront6targetE0EEEvT1_: ; @_ZN7rocprim17ROCPRIM_400000_NS6detail17trampoline_kernelINS0_14default_configENS1_25partition_config_selectorILNS1_17partition_subalgoE8EmNS0_10empty_typeEbEEZZNS1_14partition_implILS5_8ELb0ES3_jPKmPS6_PKS6_NS0_5tupleIJPmS6_EEENSE_IJSB_SB_EEENS0_18inequality_wrapperIN6hipcub16HIPCUB_304000_NS8EqualityEEEPlJS6_EEE10hipError_tPvRmT3_T4_T5_T6_T7_T9_mT8_P12ihipStream_tbDpT10_ENKUlT_T0_E_clISt17integral_constantIbLb1EES16_IbLb0EEEEDaS12_S13_EUlS12_E_NS1_11comp_targetILNS1_3genE4ELNS1_11target_archE910ELNS1_3gpuE8ELNS1_3repE0EEENS1_30default_config_static_selectorELNS0_4arch9wavefront6targetE0EEEvT1_
; %bb.0:
	.section	.rodata,"a",@progbits
	.p2align	6, 0x0
	.amdhsa_kernel _ZN7rocprim17ROCPRIM_400000_NS6detail17trampoline_kernelINS0_14default_configENS1_25partition_config_selectorILNS1_17partition_subalgoE8EmNS0_10empty_typeEbEEZZNS1_14partition_implILS5_8ELb0ES3_jPKmPS6_PKS6_NS0_5tupleIJPmS6_EEENSE_IJSB_SB_EEENS0_18inequality_wrapperIN6hipcub16HIPCUB_304000_NS8EqualityEEEPlJS6_EEE10hipError_tPvRmT3_T4_T5_T6_T7_T9_mT8_P12ihipStream_tbDpT10_ENKUlT_T0_E_clISt17integral_constantIbLb1EES16_IbLb0EEEEDaS12_S13_EUlS12_E_NS1_11comp_targetILNS1_3genE4ELNS1_11target_archE910ELNS1_3gpuE8ELNS1_3repE0EEENS1_30default_config_static_selectorELNS0_4arch9wavefront6targetE0EEEvT1_
		.amdhsa_group_segment_fixed_size 0
		.amdhsa_private_segment_fixed_size 0
		.amdhsa_kernarg_size 112
		.amdhsa_user_sgpr_count 2
		.amdhsa_user_sgpr_dispatch_ptr 0
		.amdhsa_user_sgpr_queue_ptr 0
		.amdhsa_user_sgpr_kernarg_segment_ptr 1
		.amdhsa_user_sgpr_dispatch_id 0
		.amdhsa_user_sgpr_kernarg_preload_length 0
		.amdhsa_user_sgpr_kernarg_preload_offset 0
		.amdhsa_user_sgpr_private_segment_size 0
		.amdhsa_wavefront_size32 1
		.amdhsa_uses_dynamic_stack 0
		.amdhsa_enable_private_segment 0
		.amdhsa_system_sgpr_workgroup_id_x 1
		.amdhsa_system_sgpr_workgroup_id_y 0
		.amdhsa_system_sgpr_workgroup_id_z 0
		.amdhsa_system_sgpr_workgroup_info 0
		.amdhsa_system_vgpr_workitem_id 0
		.amdhsa_next_free_vgpr 1
		.amdhsa_next_free_sgpr 1
		.amdhsa_named_barrier_count 0
		.amdhsa_reserve_vcc 0
		.amdhsa_float_round_mode_32 0
		.amdhsa_float_round_mode_16_64 0
		.amdhsa_float_denorm_mode_32 3
		.amdhsa_float_denorm_mode_16_64 3
		.amdhsa_fp16_overflow 0
		.amdhsa_memory_ordered 1
		.amdhsa_forward_progress 1
		.amdhsa_inst_pref_size 0
		.amdhsa_round_robin_scheduling 0
		.amdhsa_exception_fp_ieee_invalid_op 0
		.amdhsa_exception_fp_denorm_src 0
		.amdhsa_exception_fp_ieee_div_zero 0
		.amdhsa_exception_fp_ieee_overflow 0
		.amdhsa_exception_fp_ieee_underflow 0
		.amdhsa_exception_fp_ieee_inexact 0
		.amdhsa_exception_int_div_zero 0
	.end_amdhsa_kernel
	.section	.text._ZN7rocprim17ROCPRIM_400000_NS6detail17trampoline_kernelINS0_14default_configENS1_25partition_config_selectorILNS1_17partition_subalgoE8EmNS0_10empty_typeEbEEZZNS1_14partition_implILS5_8ELb0ES3_jPKmPS6_PKS6_NS0_5tupleIJPmS6_EEENSE_IJSB_SB_EEENS0_18inequality_wrapperIN6hipcub16HIPCUB_304000_NS8EqualityEEEPlJS6_EEE10hipError_tPvRmT3_T4_T5_T6_T7_T9_mT8_P12ihipStream_tbDpT10_ENKUlT_T0_E_clISt17integral_constantIbLb1EES16_IbLb0EEEEDaS12_S13_EUlS12_E_NS1_11comp_targetILNS1_3genE4ELNS1_11target_archE910ELNS1_3gpuE8ELNS1_3repE0EEENS1_30default_config_static_selectorELNS0_4arch9wavefront6targetE0EEEvT1_,"axG",@progbits,_ZN7rocprim17ROCPRIM_400000_NS6detail17trampoline_kernelINS0_14default_configENS1_25partition_config_selectorILNS1_17partition_subalgoE8EmNS0_10empty_typeEbEEZZNS1_14partition_implILS5_8ELb0ES3_jPKmPS6_PKS6_NS0_5tupleIJPmS6_EEENSE_IJSB_SB_EEENS0_18inequality_wrapperIN6hipcub16HIPCUB_304000_NS8EqualityEEEPlJS6_EEE10hipError_tPvRmT3_T4_T5_T6_T7_T9_mT8_P12ihipStream_tbDpT10_ENKUlT_T0_E_clISt17integral_constantIbLb1EES16_IbLb0EEEEDaS12_S13_EUlS12_E_NS1_11comp_targetILNS1_3genE4ELNS1_11target_archE910ELNS1_3gpuE8ELNS1_3repE0EEENS1_30default_config_static_selectorELNS0_4arch9wavefront6targetE0EEEvT1_,comdat
.Lfunc_end704:
	.size	_ZN7rocprim17ROCPRIM_400000_NS6detail17trampoline_kernelINS0_14default_configENS1_25partition_config_selectorILNS1_17partition_subalgoE8EmNS0_10empty_typeEbEEZZNS1_14partition_implILS5_8ELb0ES3_jPKmPS6_PKS6_NS0_5tupleIJPmS6_EEENSE_IJSB_SB_EEENS0_18inequality_wrapperIN6hipcub16HIPCUB_304000_NS8EqualityEEEPlJS6_EEE10hipError_tPvRmT3_T4_T5_T6_T7_T9_mT8_P12ihipStream_tbDpT10_ENKUlT_T0_E_clISt17integral_constantIbLb1EES16_IbLb0EEEEDaS12_S13_EUlS12_E_NS1_11comp_targetILNS1_3genE4ELNS1_11target_archE910ELNS1_3gpuE8ELNS1_3repE0EEENS1_30default_config_static_selectorELNS0_4arch9wavefront6targetE0EEEvT1_, .Lfunc_end704-_ZN7rocprim17ROCPRIM_400000_NS6detail17trampoline_kernelINS0_14default_configENS1_25partition_config_selectorILNS1_17partition_subalgoE8EmNS0_10empty_typeEbEEZZNS1_14partition_implILS5_8ELb0ES3_jPKmPS6_PKS6_NS0_5tupleIJPmS6_EEENSE_IJSB_SB_EEENS0_18inequality_wrapperIN6hipcub16HIPCUB_304000_NS8EqualityEEEPlJS6_EEE10hipError_tPvRmT3_T4_T5_T6_T7_T9_mT8_P12ihipStream_tbDpT10_ENKUlT_T0_E_clISt17integral_constantIbLb1EES16_IbLb0EEEEDaS12_S13_EUlS12_E_NS1_11comp_targetILNS1_3genE4ELNS1_11target_archE910ELNS1_3gpuE8ELNS1_3repE0EEENS1_30default_config_static_selectorELNS0_4arch9wavefront6targetE0EEEvT1_
                                        ; -- End function
	.set _ZN7rocprim17ROCPRIM_400000_NS6detail17trampoline_kernelINS0_14default_configENS1_25partition_config_selectorILNS1_17partition_subalgoE8EmNS0_10empty_typeEbEEZZNS1_14partition_implILS5_8ELb0ES3_jPKmPS6_PKS6_NS0_5tupleIJPmS6_EEENSE_IJSB_SB_EEENS0_18inequality_wrapperIN6hipcub16HIPCUB_304000_NS8EqualityEEEPlJS6_EEE10hipError_tPvRmT3_T4_T5_T6_T7_T9_mT8_P12ihipStream_tbDpT10_ENKUlT_T0_E_clISt17integral_constantIbLb1EES16_IbLb0EEEEDaS12_S13_EUlS12_E_NS1_11comp_targetILNS1_3genE4ELNS1_11target_archE910ELNS1_3gpuE8ELNS1_3repE0EEENS1_30default_config_static_selectorELNS0_4arch9wavefront6targetE0EEEvT1_.num_vgpr, 0
	.set _ZN7rocprim17ROCPRIM_400000_NS6detail17trampoline_kernelINS0_14default_configENS1_25partition_config_selectorILNS1_17partition_subalgoE8EmNS0_10empty_typeEbEEZZNS1_14partition_implILS5_8ELb0ES3_jPKmPS6_PKS6_NS0_5tupleIJPmS6_EEENSE_IJSB_SB_EEENS0_18inequality_wrapperIN6hipcub16HIPCUB_304000_NS8EqualityEEEPlJS6_EEE10hipError_tPvRmT3_T4_T5_T6_T7_T9_mT8_P12ihipStream_tbDpT10_ENKUlT_T0_E_clISt17integral_constantIbLb1EES16_IbLb0EEEEDaS12_S13_EUlS12_E_NS1_11comp_targetILNS1_3genE4ELNS1_11target_archE910ELNS1_3gpuE8ELNS1_3repE0EEENS1_30default_config_static_selectorELNS0_4arch9wavefront6targetE0EEEvT1_.num_agpr, 0
	.set _ZN7rocprim17ROCPRIM_400000_NS6detail17trampoline_kernelINS0_14default_configENS1_25partition_config_selectorILNS1_17partition_subalgoE8EmNS0_10empty_typeEbEEZZNS1_14partition_implILS5_8ELb0ES3_jPKmPS6_PKS6_NS0_5tupleIJPmS6_EEENSE_IJSB_SB_EEENS0_18inequality_wrapperIN6hipcub16HIPCUB_304000_NS8EqualityEEEPlJS6_EEE10hipError_tPvRmT3_T4_T5_T6_T7_T9_mT8_P12ihipStream_tbDpT10_ENKUlT_T0_E_clISt17integral_constantIbLb1EES16_IbLb0EEEEDaS12_S13_EUlS12_E_NS1_11comp_targetILNS1_3genE4ELNS1_11target_archE910ELNS1_3gpuE8ELNS1_3repE0EEENS1_30default_config_static_selectorELNS0_4arch9wavefront6targetE0EEEvT1_.numbered_sgpr, 0
	.set _ZN7rocprim17ROCPRIM_400000_NS6detail17trampoline_kernelINS0_14default_configENS1_25partition_config_selectorILNS1_17partition_subalgoE8EmNS0_10empty_typeEbEEZZNS1_14partition_implILS5_8ELb0ES3_jPKmPS6_PKS6_NS0_5tupleIJPmS6_EEENSE_IJSB_SB_EEENS0_18inequality_wrapperIN6hipcub16HIPCUB_304000_NS8EqualityEEEPlJS6_EEE10hipError_tPvRmT3_T4_T5_T6_T7_T9_mT8_P12ihipStream_tbDpT10_ENKUlT_T0_E_clISt17integral_constantIbLb1EES16_IbLb0EEEEDaS12_S13_EUlS12_E_NS1_11comp_targetILNS1_3genE4ELNS1_11target_archE910ELNS1_3gpuE8ELNS1_3repE0EEENS1_30default_config_static_selectorELNS0_4arch9wavefront6targetE0EEEvT1_.num_named_barrier, 0
	.set _ZN7rocprim17ROCPRIM_400000_NS6detail17trampoline_kernelINS0_14default_configENS1_25partition_config_selectorILNS1_17partition_subalgoE8EmNS0_10empty_typeEbEEZZNS1_14partition_implILS5_8ELb0ES3_jPKmPS6_PKS6_NS0_5tupleIJPmS6_EEENSE_IJSB_SB_EEENS0_18inequality_wrapperIN6hipcub16HIPCUB_304000_NS8EqualityEEEPlJS6_EEE10hipError_tPvRmT3_T4_T5_T6_T7_T9_mT8_P12ihipStream_tbDpT10_ENKUlT_T0_E_clISt17integral_constantIbLb1EES16_IbLb0EEEEDaS12_S13_EUlS12_E_NS1_11comp_targetILNS1_3genE4ELNS1_11target_archE910ELNS1_3gpuE8ELNS1_3repE0EEENS1_30default_config_static_selectorELNS0_4arch9wavefront6targetE0EEEvT1_.private_seg_size, 0
	.set _ZN7rocprim17ROCPRIM_400000_NS6detail17trampoline_kernelINS0_14default_configENS1_25partition_config_selectorILNS1_17partition_subalgoE8EmNS0_10empty_typeEbEEZZNS1_14partition_implILS5_8ELb0ES3_jPKmPS6_PKS6_NS0_5tupleIJPmS6_EEENSE_IJSB_SB_EEENS0_18inequality_wrapperIN6hipcub16HIPCUB_304000_NS8EqualityEEEPlJS6_EEE10hipError_tPvRmT3_T4_T5_T6_T7_T9_mT8_P12ihipStream_tbDpT10_ENKUlT_T0_E_clISt17integral_constantIbLb1EES16_IbLb0EEEEDaS12_S13_EUlS12_E_NS1_11comp_targetILNS1_3genE4ELNS1_11target_archE910ELNS1_3gpuE8ELNS1_3repE0EEENS1_30default_config_static_selectorELNS0_4arch9wavefront6targetE0EEEvT1_.uses_vcc, 0
	.set _ZN7rocprim17ROCPRIM_400000_NS6detail17trampoline_kernelINS0_14default_configENS1_25partition_config_selectorILNS1_17partition_subalgoE8EmNS0_10empty_typeEbEEZZNS1_14partition_implILS5_8ELb0ES3_jPKmPS6_PKS6_NS0_5tupleIJPmS6_EEENSE_IJSB_SB_EEENS0_18inequality_wrapperIN6hipcub16HIPCUB_304000_NS8EqualityEEEPlJS6_EEE10hipError_tPvRmT3_T4_T5_T6_T7_T9_mT8_P12ihipStream_tbDpT10_ENKUlT_T0_E_clISt17integral_constantIbLb1EES16_IbLb0EEEEDaS12_S13_EUlS12_E_NS1_11comp_targetILNS1_3genE4ELNS1_11target_archE910ELNS1_3gpuE8ELNS1_3repE0EEENS1_30default_config_static_selectorELNS0_4arch9wavefront6targetE0EEEvT1_.uses_flat_scratch, 0
	.set _ZN7rocprim17ROCPRIM_400000_NS6detail17trampoline_kernelINS0_14default_configENS1_25partition_config_selectorILNS1_17partition_subalgoE8EmNS0_10empty_typeEbEEZZNS1_14partition_implILS5_8ELb0ES3_jPKmPS6_PKS6_NS0_5tupleIJPmS6_EEENSE_IJSB_SB_EEENS0_18inequality_wrapperIN6hipcub16HIPCUB_304000_NS8EqualityEEEPlJS6_EEE10hipError_tPvRmT3_T4_T5_T6_T7_T9_mT8_P12ihipStream_tbDpT10_ENKUlT_T0_E_clISt17integral_constantIbLb1EES16_IbLb0EEEEDaS12_S13_EUlS12_E_NS1_11comp_targetILNS1_3genE4ELNS1_11target_archE910ELNS1_3gpuE8ELNS1_3repE0EEENS1_30default_config_static_selectorELNS0_4arch9wavefront6targetE0EEEvT1_.has_dyn_sized_stack, 0
	.set _ZN7rocprim17ROCPRIM_400000_NS6detail17trampoline_kernelINS0_14default_configENS1_25partition_config_selectorILNS1_17partition_subalgoE8EmNS0_10empty_typeEbEEZZNS1_14partition_implILS5_8ELb0ES3_jPKmPS6_PKS6_NS0_5tupleIJPmS6_EEENSE_IJSB_SB_EEENS0_18inequality_wrapperIN6hipcub16HIPCUB_304000_NS8EqualityEEEPlJS6_EEE10hipError_tPvRmT3_T4_T5_T6_T7_T9_mT8_P12ihipStream_tbDpT10_ENKUlT_T0_E_clISt17integral_constantIbLb1EES16_IbLb0EEEEDaS12_S13_EUlS12_E_NS1_11comp_targetILNS1_3genE4ELNS1_11target_archE910ELNS1_3gpuE8ELNS1_3repE0EEENS1_30default_config_static_selectorELNS0_4arch9wavefront6targetE0EEEvT1_.has_recursion, 0
	.set _ZN7rocprim17ROCPRIM_400000_NS6detail17trampoline_kernelINS0_14default_configENS1_25partition_config_selectorILNS1_17partition_subalgoE8EmNS0_10empty_typeEbEEZZNS1_14partition_implILS5_8ELb0ES3_jPKmPS6_PKS6_NS0_5tupleIJPmS6_EEENSE_IJSB_SB_EEENS0_18inequality_wrapperIN6hipcub16HIPCUB_304000_NS8EqualityEEEPlJS6_EEE10hipError_tPvRmT3_T4_T5_T6_T7_T9_mT8_P12ihipStream_tbDpT10_ENKUlT_T0_E_clISt17integral_constantIbLb1EES16_IbLb0EEEEDaS12_S13_EUlS12_E_NS1_11comp_targetILNS1_3genE4ELNS1_11target_archE910ELNS1_3gpuE8ELNS1_3repE0EEENS1_30default_config_static_selectorELNS0_4arch9wavefront6targetE0EEEvT1_.has_indirect_call, 0
	.section	.AMDGPU.csdata,"",@progbits
; Kernel info:
; codeLenInByte = 0
; TotalNumSgprs: 0
; NumVgprs: 0
; ScratchSize: 0
; MemoryBound: 0
; FloatMode: 240
; IeeeMode: 1
; LDSByteSize: 0 bytes/workgroup (compile time only)
; SGPRBlocks: 0
; VGPRBlocks: 0
; NumSGPRsForWavesPerEU: 1
; NumVGPRsForWavesPerEU: 1
; NamedBarCnt: 0
; Occupancy: 16
; WaveLimiterHint : 0
; COMPUTE_PGM_RSRC2:SCRATCH_EN: 0
; COMPUTE_PGM_RSRC2:USER_SGPR: 2
; COMPUTE_PGM_RSRC2:TRAP_HANDLER: 0
; COMPUTE_PGM_RSRC2:TGID_X_EN: 1
; COMPUTE_PGM_RSRC2:TGID_Y_EN: 0
; COMPUTE_PGM_RSRC2:TGID_Z_EN: 0
; COMPUTE_PGM_RSRC2:TIDIG_COMP_CNT: 0
	.section	.text._ZN7rocprim17ROCPRIM_400000_NS6detail17trampoline_kernelINS0_14default_configENS1_25partition_config_selectorILNS1_17partition_subalgoE8EmNS0_10empty_typeEbEEZZNS1_14partition_implILS5_8ELb0ES3_jPKmPS6_PKS6_NS0_5tupleIJPmS6_EEENSE_IJSB_SB_EEENS0_18inequality_wrapperIN6hipcub16HIPCUB_304000_NS8EqualityEEEPlJS6_EEE10hipError_tPvRmT3_T4_T5_T6_T7_T9_mT8_P12ihipStream_tbDpT10_ENKUlT_T0_E_clISt17integral_constantIbLb1EES16_IbLb0EEEEDaS12_S13_EUlS12_E_NS1_11comp_targetILNS1_3genE3ELNS1_11target_archE908ELNS1_3gpuE7ELNS1_3repE0EEENS1_30default_config_static_selectorELNS0_4arch9wavefront6targetE0EEEvT1_,"axG",@progbits,_ZN7rocprim17ROCPRIM_400000_NS6detail17trampoline_kernelINS0_14default_configENS1_25partition_config_selectorILNS1_17partition_subalgoE8EmNS0_10empty_typeEbEEZZNS1_14partition_implILS5_8ELb0ES3_jPKmPS6_PKS6_NS0_5tupleIJPmS6_EEENSE_IJSB_SB_EEENS0_18inequality_wrapperIN6hipcub16HIPCUB_304000_NS8EqualityEEEPlJS6_EEE10hipError_tPvRmT3_T4_T5_T6_T7_T9_mT8_P12ihipStream_tbDpT10_ENKUlT_T0_E_clISt17integral_constantIbLb1EES16_IbLb0EEEEDaS12_S13_EUlS12_E_NS1_11comp_targetILNS1_3genE3ELNS1_11target_archE908ELNS1_3gpuE7ELNS1_3repE0EEENS1_30default_config_static_selectorELNS0_4arch9wavefront6targetE0EEEvT1_,comdat
	.protected	_ZN7rocprim17ROCPRIM_400000_NS6detail17trampoline_kernelINS0_14default_configENS1_25partition_config_selectorILNS1_17partition_subalgoE8EmNS0_10empty_typeEbEEZZNS1_14partition_implILS5_8ELb0ES3_jPKmPS6_PKS6_NS0_5tupleIJPmS6_EEENSE_IJSB_SB_EEENS0_18inequality_wrapperIN6hipcub16HIPCUB_304000_NS8EqualityEEEPlJS6_EEE10hipError_tPvRmT3_T4_T5_T6_T7_T9_mT8_P12ihipStream_tbDpT10_ENKUlT_T0_E_clISt17integral_constantIbLb1EES16_IbLb0EEEEDaS12_S13_EUlS12_E_NS1_11comp_targetILNS1_3genE3ELNS1_11target_archE908ELNS1_3gpuE7ELNS1_3repE0EEENS1_30default_config_static_selectorELNS0_4arch9wavefront6targetE0EEEvT1_ ; -- Begin function _ZN7rocprim17ROCPRIM_400000_NS6detail17trampoline_kernelINS0_14default_configENS1_25partition_config_selectorILNS1_17partition_subalgoE8EmNS0_10empty_typeEbEEZZNS1_14partition_implILS5_8ELb0ES3_jPKmPS6_PKS6_NS0_5tupleIJPmS6_EEENSE_IJSB_SB_EEENS0_18inequality_wrapperIN6hipcub16HIPCUB_304000_NS8EqualityEEEPlJS6_EEE10hipError_tPvRmT3_T4_T5_T6_T7_T9_mT8_P12ihipStream_tbDpT10_ENKUlT_T0_E_clISt17integral_constantIbLb1EES16_IbLb0EEEEDaS12_S13_EUlS12_E_NS1_11comp_targetILNS1_3genE3ELNS1_11target_archE908ELNS1_3gpuE7ELNS1_3repE0EEENS1_30default_config_static_selectorELNS0_4arch9wavefront6targetE0EEEvT1_
	.globl	_ZN7rocprim17ROCPRIM_400000_NS6detail17trampoline_kernelINS0_14default_configENS1_25partition_config_selectorILNS1_17partition_subalgoE8EmNS0_10empty_typeEbEEZZNS1_14partition_implILS5_8ELb0ES3_jPKmPS6_PKS6_NS0_5tupleIJPmS6_EEENSE_IJSB_SB_EEENS0_18inequality_wrapperIN6hipcub16HIPCUB_304000_NS8EqualityEEEPlJS6_EEE10hipError_tPvRmT3_T4_T5_T6_T7_T9_mT8_P12ihipStream_tbDpT10_ENKUlT_T0_E_clISt17integral_constantIbLb1EES16_IbLb0EEEEDaS12_S13_EUlS12_E_NS1_11comp_targetILNS1_3genE3ELNS1_11target_archE908ELNS1_3gpuE7ELNS1_3repE0EEENS1_30default_config_static_selectorELNS0_4arch9wavefront6targetE0EEEvT1_
	.p2align	8
	.type	_ZN7rocprim17ROCPRIM_400000_NS6detail17trampoline_kernelINS0_14default_configENS1_25partition_config_selectorILNS1_17partition_subalgoE8EmNS0_10empty_typeEbEEZZNS1_14partition_implILS5_8ELb0ES3_jPKmPS6_PKS6_NS0_5tupleIJPmS6_EEENSE_IJSB_SB_EEENS0_18inequality_wrapperIN6hipcub16HIPCUB_304000_NS8EqualityEEEPlJS6_EEE10hipError_tPvRmT3_T4_T5_T6_T7_T9_mT8_P12ihipStream_tbDpT10_ENKUlT_T0_E_clISt17integral_constantIbLb1EES16_IbLb0EEEEDaS12_S13_EUlS12_E_NS1_11comp_targetILNS1_3genE3ELNS1_11target_archE908ELNS1_3gpuE7ELNS1_3repE0EEENS1_30default_config_static_selectorELNS0_4arch9wavefront6targetE0EEEvT1_,@function
_ZN7rocprim17ROCPRIM_400000_NS6detail17trampoline_kernelINS0_14default_configENS1_25partition_config_selectorILNS1_17partition_subalgoE8EmNS0_10empty_typeEbEEZZNS1_14partition_implILS5_8ELb0ES3_jPKmPS6_PKS6_NS0_5tupleIJPmS6_EEENSE_IJSB_SB_EEENS0_18inequality_wrapperIN6hipcub16HIPCUB_304000_NS8EqualityEEEPlJS6_EEE10hipError_tPvRmT3_T4_T5_T6_T7_T9_mT8_P12ihipStream_tbDpT10_ENKUlT_T0_E_clISt17integral_constantIbLb1EES16_IbLb0EEEEDaS12_S13_EUlS12_E_NS1_11comp_targetILNS1_3genE3ELNS1_11target_archE908ELNS1_3gpuE7ELNS1_3repE0EEENS1_30default_config_static_selectorELNS0_4arch9wavefront6targetE0EEEvT1_: ; @_ZN7rocprim17ROCPRIM_400000_NS6detail17trampoline_kernelINS0_14default_configENS1_25partition_config_selectorILNS1_17partition_subalgoE8EmNS0_10empty_typeEbEEZZNS1_14partition_implILS5_8ELb0ES3_jPKmPS6_PKS6_NS0_5tupleIJPmS6_EEENSE_IJSB_SB_EEENS0_18inequality_wrapperIN6hipcub16HIPCUB_304000_NS8EqualityEEEPlJS6_EEE10hipError_tPvRmT3_T4_T5_T6_T7_T9_mT8_P12ihipStream_tbDpT10_ENKUlT_T0_E_clISt17integral_constantIbLb1EES16_IbLb0EEEEDaS12_S13_EUlS12_E_NS1_11comp_targetILNS1_3genE3ELNS1_11target_archE908ELNS1_3gpuE7ELNS1_3repE0EEENS1_30default_config_static_selectorELNS0_4arch9wavefront6targetE0EEEvT1_
; %bb.0:
	.section	.rodata,"a",@progbits
	.p2align	6, 0x0
	.amdhsa_kernel _ZN7rocprim17ROCPRIM_400000_NS6detail17trampoline_kernelINS0_14default_configENS1_25partition_config_selectorILNS1_17partition_subalgoE8EmNS0_10empty_typeEbEEZZNS1_14partition_implILS5_8ELb0ES3_jPKmPS6_PKS6_NS0_5tupleIJPmS6_EEENSE_IJSB_SB_EEENS0_18inequality_wrapperIN6hipcub16HIPCUB_304000_NS8EqualityEEEPlJS6_EEE10hipError_tPvRmT3_T4_T5_T6_T7_T9_mT8_P12ihipStream_tbDpT10_ENKUlT_T0_E_clISt17integral_constantIbLb1EES16_IbLb0EEEEDaS12_S13_EUlS12_E_NS1_11comp_targetILNS1_3genE3ELNS1_11target_archE908ELNS1_3gpuE7ELNS1_3repE0EEENS1_30default_config_static_selectorELNS0_4arch9wavefront6targetE0EEEvT1_
		.amdhsa_group_segment_fixed_size 0
		.amdhsa_private_segment_fixed_size 0
		.amdhsa_kernarg_size 112
		.amdhsa_user_sgpr_count 2
		.amdhsa_user_sgpr_dispatch_ptr 0
		.amdhsa_user_sgpr_queue_ptr 0
		.amdhsa_user_sgpr_kernarg_segment_ptr 1
		.amdhsa_user_sgpr_dispatch_id 0
		.amdhsa_user_sgpr_kernarg_preload_length 0
		.amdhsa_user_sgpr_kernarg_preload_offset 0
		.amdhsa_user_sgpr_private_segment_size 0
		.amdhsa_wavefront_size32 1
		.amdhsa_uses_dynamic_stack 0
		.amdhsa_enable_private_segment 0
		.amdhsa_system_sgpr_workgroup_id_x 1
		.amdhsa_system_sgpr_workgroup_id_y 0
		.amdhsa_system_sgpr_workgroup_id_z 0
		.amdhsa_system_sgpr_workgroup_info 0
		.amdhsa_system_vgpr_workitem_id 0
		.amdhsa_next_free_vgpr 1
		.amdhsa_next_free_sgpr 1
		.amdhsa_named_barrier_count 0
		.amdhsa_reserve_vcc 0
		.amdhsa_float_round_mode_32 0
		.amdhsa_float_round_mode_16_64 0
		.amdhsa_float_denorm_mode_32 3
		.amdhsa_float_denorm_mode_16_64 3
		.amdhsa_fp16_overflow 0
		.amdhsa_memory_ordered 1
		.amdhsa_forward_progress 1
		.amdhsa_inst_pref_size 0
		.amdhsa_round_robin_scheduling 0
		.amdhsa_exception_fp_ieee_invalid_op 0
		.amdhsa_exception_fp_denorm_src 0
		.amdhsa_exception_fp_ieee_div_zero 0
		.amdhsa_exception_fp_ieee_overflow 0
		.amdhsa_exception_fp_ieee_underflow 0
		.amdhsa_exception_fp_ieee_inexact 0
		.amdhsa_exception_int_div_zero 0
	.end_amdhsa_kernel
	.section	.text._ZN7rocprim17ROCPRIM_400000_NS6detail17trampoline_kernelINS0_14default_configENS1_25partition_config_selectorILNS1_17partition_subalgoE8EmNS0_10empty_typeEbEEZZNS1_14partition_implILS5_8ELb0ES3_jPKmPS6_PKS6_NS0_5tupleIJPmS6_EEENSE_IJSB_SB_EEENS0_18inequality_wrapperIN6hipcub16HIPCUB_304000_NS8EqualityEEEPlJS6_EEE10hipError_tPvRmT3_T4_T5_T6_T7_T9_mT8_P12ihipStream_tbDpT10_ENKUlT_T0_E_clISt17integral_constantIbLb1EES16_IbLb0EEEEDaS12_S13_EUlS12_E_NS1_11comp_targetILNS1_3genE3ELNS1_11target_archE908ELNS1_3gpuE7ELNS1_3repE0EEENS1_30default_config_static_selectorELNS0_4arch9wavefront6targetE0EEEvT1_,"axG",@progbits,_ZN7rocprim17ROCPRIM_400000_NS6detail17trampoline_kernelINS0_14default_configENS1_25partition_config_selectorILNS1_17partition_subalgoE8EmNS0_10empty_typeEbEEZZNS1_14partition_implILS5_8ELb0ES3_jPKmPS6_PKS6_NS0_5tupleIJPmS6_EEENSE_IJSB_SB_EEENS0_18inequality_wrapperIN6hipcub16HIPCUB_304000_NS8EqualityEEEPlJS6_EEE10hipError_tPvRmT3_T4_T5_T6_T7_T9_mT8_P12ihipStream_tbDpT10_ENKUlT_T0_E_clISt17integral_constantIbLb1EES16_IbLb0EEEEDaS12_S13_EUlS12_E_NS1_11comp_targetILNS1_3genE3ELNS1_11target_archE908ELNS1_3gpuE7ELNS1_3repE0EEENS1_30default_config_static_selectorELNS0_4arch9wavefront6targetE0EEEvT1_,comdat
.Lfunc_end705:
	.size	_ZN7rocprim17ROCPRIM_400000_NS6detail17trampoline_kernelINS0_14default_configENS1_25partition_config_selectorILNS1_17partition_subalgoE8EmNS0_10empty_typeEbEEZZNS1_14partition_implILS5_8ELb0ES3_jPKmPS6_PKS6_NS0_5tupleIJPmS6_EEENSE_IJSB_SB_EEENS0_18inequality_wrapperIN6hipcub16HIPCUB_304000_NS8EqualityEEEPlJS6_EEE10hipError_tPvRmT3_T4_T5_T6_T7_T9_mT8_P12ihipStream_tbDpT10_ENKUlT_T0_E_clISt17integral_constantIbLb1EES16_IbLb0EEEEDaS12_S13_EUlS12_E_NS1_11comp_targetILNS1_3genE3ELNS1_11target_archE908ELNS1_3gpuE7ELNS1_3repE0EEENS1_30default_config_static_selectorELNS0_4arch9wavefront6targetE0EEEvT1_, .Lfunc_end705-_ZN7rocprim17ROCPRIM_400000_NS6detail17trampoline_kernelINS0_14default_configENS1_25partition_config_selectorILNS1_17partition_subalgoE8EmNS0_10empty_typeEbEEZZNS1_14partition_implILS5_8ELb0ES3_jPKmPS6_PKS6_NS0_5tupleIJPmS6_EEENSE_IJSB_SB_EEENS0_18inequality_wrapperIN6hipcub16HIPCUB_304000_NS8EqualityEEEPlJS6_EEE10hipError_tPvRmT3_T4_T5_T6_T7_T9_mT8_P12ihipStream_tbDpT10_ENKUlT_T0_E_clISt17integral_constantIbLb1EES16_IbLb0EEEEDaS12_S13_EUlS12_E_NS1_11comp_targetILNS1_3genE3ELNS1_11target_archE908ELNS1_3gpuE7ELNS1_3repE0EEENS1_30default_config_static_selectorELNS0_4arch9wavefront6targetE0EEEvT1_
                                        ; -- End function
	.set _ZN7rocprim17ROCPRIM_400000_NS6detail17trampoline_kernelINS0_14default_configENS1_25partition_config_selectorILNS1_17partition_subalgoE8EmNS0_10empty_typeEbEEZZNS1_14partition_implILS5_8ELb0ES3_jPKmPS6_PKS6_NS0_5tupleIJPmS6_EEENSE_IJSB_SB_EEENS0_18inequality_wrapperIN6hipcub16HIPCUB_304000_NS8EqualityEEEPlJS6_EEE10hipError_tPvRmT3_T4_T5_T6_T7_T9_mT8_P12ihipStream_tbDpT10_ENKUlT_T0_E_clISt17integral_constantIbLb1EES16_IbLb0EEEEDaS12_S13_EUlS12_E_NS1_11comp_targetILNS1_3genE3ELNS1_11target_archE908ELNS1_3gpuE7ELNS1_3repE0EEENS1_30default_config_static_selectorELNS0_4arch9wavefront6targetE0EEEvT1_.num_vgpr, 0
	.set _ZN7rocprim17ROCPRIM_400000_NS6detail17trampoline_kernelINS0_14default_configENS1_25partition_config_selectorILNS1_17partition_subalgoE8EmNS0_10empty_typeEbEEZZNS1_14partition_implILS5_8ELb0ES3_jPKmPS6_PKS6_NS0_5tupleIJPmS6_EEENSE_IJSB_SB_EEENS0_18inequality_wrapperIN6hipcub16HIPCUB_304000_NS8EqualityEEEPlJS6_EEE10hipError_tPvRmT3_T4_T5_T6_T7_T9_mT8_P12ihipStream_tbDpT10_ENKUlT_T0_E_clISt17integral_constantIbLb1EES16_IbLb0EEEEDaS12_S13_EUlS12_E_NS1_11comp_targetILNS1_3genE3ELNS1_11target_archE908ELNS1_3gpuE7ELNS1_3repE0EEENS1_30default_config_static_selectorELNS0_4arch9wavefront6targetE0EEEvT1_.num_agpr, 0
	.set _ZN7rocprim17ROCPRIM_400000_NS6detail17trampoline_kernelINS0_14default_configENS1_25partition_config_selectorILNS1_17partition_subalgoE8EmNS0_10empty_typeEbEEZZNS1_14partition_implILS5_8ELb0ES3_jPKmPS6_PKS6_NS0_5tupleIJPmS6_EEENSE_IJSB_SB_EEENS0_18inequality_wrapperIN6hipcub16HIPCUB_304000_NS8EqualityEEEPlJS6_EEE10hipError_tPvRmT3_T4_T5_T6_T7_T9_mT8_P12ihipStream_tbDpT10_ENKUlT_T0_E_clISt17integral_constantIbLb1EES16_IbLb0EEEEDaS12_S13_EUlS12_E_NS1_11comp_targetILNS1_3genE3ELNS1_11target_archE908ELNS1_3gpuE7ELNS1_3repE0EEENS1_30default_config_static_selectorELNS0_4arch9wavefront6targetE0EEEvT1_.numbered_sgpr, 0
	.set _ZN7rocprim17ROCPRIM_400000_NS6detail17trampoline_kernelINS0_14default_configENS1_25partition_config_selectorILNS1_17partition_subalgoE8EmNS0_10empty_typeEbEEZZNS1_14partition_implILS5_8ELb0ES3_jPKmPS6_PKS6_NS0_5tupleIJPmS6_EEENSE_IJSB_SB_EEENS0_18inequality_wrapperIN6hipcub16HIPCUB_304000_NS8EqualityEEEPlJS6_EEE10hipError_tPvRmT3_T4_T5_T6_T7_T9_mT8_P12ihipStream_tbDpT10_ENKUlT_T0_E_clISt17integral_constantIbLb1EES16_IbLb0EEEEDaS12_S13_EUlS12_E_NS1_11comp_targetILNS1_3genE3ELNS1_11target_archE908ELNS1_3gpuE7ELNS1_3repE0EEENS1_30default_config_static_selectorELNS0_4arch9wavefront6targetE0EEEvT1_.num_named_barrier, 0
	.set _ZN7rocprim17ROCPRIM_400000_NS6detail17trampoline_kernelINS0_14default_configENS1_25partition_config_selectorILNS1_17partition_subalgoE8EmNS0_10empty_typeEbEEZZNS1_14partition_implILS5_8ELb0ES3_jPKmPS6_PKS6_NS0_5tupleIJPmS6_EEENSE_IJSB_SB_EEENS0_18inequality_wrapperIN6hipcub16HIPCUB_304000_NS8EqualityEEEPlJS6_EEE10hipError_tPvRmT3_T4_T5_T6_T7_T9_mT8_P12ihipStream_tbDpT10_ENKUlT_T0_E_clISt17integral_constantIbLb1EES16_IbLb0EEEEDaS12_S13_EUlS12_E_NS1_11comp_targetILNS1_3genE3ELNS1_11target_archE908ELNS1_3gpuE7ELNS1_3repE0EEENS1_30default_config_static_selectorELNS0_4arch9wavefront6targetE0EEEvT1_.private_seg_size, 0
	.set _ZN7rocprim17ROCPRIM_400000_NS6detail17trampoline_kernelINS0_14default_configENS1_25partition_config_selectorILNS1_17partition_subalgoE8EmNS0_10empty_typeEbEEZZNS1_14partition_implILS5_8ELb0ES3_jPKmPS6_PKS6_NS0_5tupleIJPmS6_EEENSE_IJSB_SB_EEENS0_18inequality_wrapperIN6hipcub16HIPCUB_304000_NS8EqualityEEEPlJS6_EEE10hipError_tPvRmT3_T4_T5_T6_T7_T9_mT8_P12ihipStream_tbDpT10_ENKUlT_T0_E_clISt17integral_constantIbLb1EES16_IbLb0EEEEDaS12_S13_EUlS12_E_NS1_11comp_targetILNS1_3genE3ELNS1_11target_archE908ELNS1_3gpuE7ELNS1_3repE0EEENS1_30default_config_static_selectorELNS0_4arch9wavefront6targetE0EEEvT1_.uses_vcc, 0
	.set _ZN7rocprim17ROCPRIM_400000_NS6detail17trampoline_kernelINS0_14default_configENS1_25partition_config_selectorILNS1_17partition_subalgoE8EmNS0_10empty_typeEbEEZZNS1_14partition_implILS5_8ELb0ES3_jPKmPS6_PKS6_NS0_5tupleIJPmS6_EEENSE_IJSB_SB_EEENS0_18inequality_wrapperIN6hipcub16HIPCUB_304000_NS8EqualityEEEPlJS6_EEE10hipError_tPvRmT3_T4_T5_T6_T7_T9_mT8_P12ihipStream_tbDpT10_ENKUlT_T0_E_clISt17integral_constantIbLb1EES16_IbLb0EEEEDaS12_S13_EUlS12_E_NS1_11comp_targetILNS1_3genE3ELNS1_11target_archE908ELNS1_3gpuE7ELNS1_3repE0EEENS1_30default_config_static_selectorELNS0_4arch9wavefront6targetE0EEEvT1_.uses_flat_scratch, 0
	.set _ZN7rocprim17ROCPRIM_400000_NS6detail17trampoline_kernelINS0_14default_configENS1_25partition_config_selectorILNS1_17partition_subalgoE8EmNS0_10empty_typeEbEEZZNS1_14partition_implILS5_8ELb0ES3_jPKmPS6_PKS6_NS0_5tupleIJPmS6_EEENSE_IJSB_SB_EEENS0_18inequality_wrapperIN6hipcub16HIPCUB_304000_NS8EqualityEEEPlJS6_EEE10hipError_tPvRmT3_T4_T5_T6_T7_T9_mT8_P12ihipStream_tbDpT10_ENKUlT_T0_E_clISt17integral_constantIbLb1EES16_IbLb0EEEEDaS12_S13_EUlS12_E_NS1_11comp_targetILNS1_3genE3ELNS1_11target_archE908ELNS1_3gpuE7ELNS1_3repE0EEENS1_30default_config_static_selectorELNS0_4arch9wavefront6targetE0EEEvT1_.has_dyn_sized_stack, 0
	.set _ZN7rocprim17ROCPRIM_400000_NS6detail17trampoline_kernelINS0_14default_configENS1_25partition_config_selectorILNS1_17partition_subalgoE8EmNS0_10empty_typeEbEEZZNS1_14partition_implILS5_8ELb0ES3_jPKmPS6_PKS6_NS0_5tupleIJPmS6_EEENSE_IJSB_SB_EEENS0_18inequality_wrapperIN6hipcub16HIPCUB_304000_NS8EqualityEEEPlJS6_EEE10hipError_tPvRmT3_T4_T5_T6_T7_T9_mT8_P12ihipStream_tbDpT10_ENKUlT_T0_E_clISt17integral_constantIbLb1EES16_IbLb0EEEEDaS12_S13_EUlS12_E_NS1_11comp_targetILNS1_3genE3ELNS1_11target_archE908ELNS1_3gpuE7ELNS1_3repE0EEENS1_30default_config_static_selectorELNS0_4arch9wavefront6targetE0EEEvT1_.has_recursion, 0
	.set _ZN7rocprim17ROCPRIM_400000_NS6detail17trampoline_kernelINS0_14default_configENS1_25partition_config_selectorILNS1_17partition_subalgoE8EmNS0_10empty_typeEbEEZZNS1_14partition_implILS5_8ELb0ES3_jPKmPS6_PKS6_NS0_5tupleIJPmS6_EEENSE_IJSB_SB_EEENS0_18inequality_wrapperIN6hipcub16HIPCUB_304000_NS8EqualityEEEPlJS6_EEE10hipError_tPvRmT3_T4_T5_T6_T7_T9_mT8_P12ihipStream_tbDpT10_ENKUlT_T0_E_clISt17integral_constantIbLb1EES16_IbLb0EEEEDaS12_S13_EUlS12_E_NS1_11comp_targetILNS1_3genE3ELNS1_11target_archE908ELNS1_3gpuE7ELNS1_3repE0EEENS1_30default_config_static_selectorELNS0_4arch9wavefront6targetE0EEEvT1_.has_indirect_call, 0
	.section	.AMDGPU.csdata,"",@progbits
; Kernel info:
; codeLenInByte = 0
; TotalNumSgprs: 0
; NumVgprs: 0
; ScratchSize: 0
; MemoryBound: 0
; FloatMode: 240
; IeeeMode: 1
; LDSByteSize: 0 bytes/workgroup (compile time only)
; SGPRBlocks: 0
; VGPRBlocks: 0
; NumSGPRsForWavesPerEU: 1
; NumVGPRsForWavesPerEU: 1
; NamedBarCnt: 0
; Occupancy: 16
; WaveLimiterHint : 0
; COMPUTE_PGM_RSRC2:SCRATCH_EN: 0
; COMPUTE_PGM_RSRC2:USER_SGPR: 2
; COMPUTE_PGM_RSRC2:TRAP_HANDLER: 0
; COMPUTE_PGM_RSRC2:TGID_X_EN: 1
; COMPUTE_PGM_RSRC2:TGID_Y_EN: 0
; COMPUTE_PGM_RSRC2:TGID_Z_EN: 0
; COMPUTE_PGM_RSRC2:TIDIG_COMP_CNT: 0
	.section	.text._ZN7rocprim17ROCPRIM_400000_NS6detail17trampoline_kernelINS0_14default_configENS1_25partition_config_selectorILNS1_17partition_subalgoE8EmNS0_10empty_typeEbEEZZNS1_14partition_implILS5_8ELb0ES3_jPKmPS6_PKS6_NS0_5tupleIJPmS6_EEENSE_IJSB_SB_EEENS0_18inequality_wrapperIN6hipcub16HIPCUB_304000_NS8EqualityEEEPlJS6_EEE10hipError_tPvRmT3_T4_T5_T6_T7_T9_mT8_P12ihipStream_tbDpT10_ENKUlT_T0_E_clISt17integral_constantIbLb1EES16_IbLb0EEEEDaS12_S13_EUlS12_E_NS1_11comp_targetILNS1_3genE2ELNS1_11target_archE906ELNS1_3gpuE6ELNS1_3repE0EEENS1_30default_config_static_selectorELNS0_4arch9wavefront6targetE0EEEvT1_,"axG",@progbits,_ZN7rocprim17ROCPRIM_400000_NS6detail17trampoline_kernelINS0_14default_configENS1_25partition_config_selectorILNS1_17partition_subalgoE8EmNS0_10empty_typeEbEEZZNS1_14partition_implILS5_8ELb0ES3_jPKmPS6_PKS6_NS0_5tupleIJPmS6_EEENSE_IJSB_SB_EEENS0_18inequality_wrapperIN6hipcub16HIPCUB_304000_NS8EqualityEEEPlJS6_EEE10hipError_tPvRmT3_T4_T5_T6_T7_T9_mT8_P12ihipStream_tbDpT10_ENKUlT_T0_E_clISt17integral_constantIbLb1EES16_IbLb0EEEEDaS12_S13_EUlS12_E_NS1_11comp_targetILNS1_3genE2ELNS1_11target_archE906ELNS1_3gpuE6ELNS1_3repE0EEENS1_30default_config_static_selectorELNS0_4arch9wavefront6targetE0EEEvT1_,comdat
	.protected	_ZN7rocprim17ROCPRIM_400000_NS6detail17trampoline_kernelINS0_14default_configENS1_25partition_config_selectorILNS1_17partition_subalgoE8EmNS0_10empty_typeEbEEZZNS1_14partition_implILS5_8ELb0ES3_jPKmPS6_PKS6_NS0_5tupleIJPmS6_EEENSE_IJSB_SB_EEENS0_18inequality_wrapperIN6hipcub16HIPCUB_304000_NS8EqualityEEEPlJS6_EEE10hipError_tPvRmT3_T4_T5_T6_T7_T9_mT8_P12ihipStream_tbDpT10_ENKUlT_T0_E_clISt17integral_constantIbLb1EES16_IbLb0EEEEDaS12_S13_EUlS12_E_NS1_11comp_targetILNS1_3genE2ELNS1_11target_archE906ELNS1_3gpuE6ELNS1_3repE0EEENS1_30default_config_static_selectorELNS0_4arch9wavefront6targetE0EEEvT1_ ; -- Begin function _ZN7rocprim17ROCPRIM_400000_NS6detail17trampoline_kernelINS0_14default_configENS1_25partition_config_selectorILNS1_17partition_subalgoE8EmNS0_10empty_typeEbEEZZNS1_14partition_implILS5_8ELb0ES3_jPKmPS6_PKS6_NS0_5tupleIJPmS6_EEENSE_IJSB_SB_EEENS0_18inequality_wrapperIN6hipcub16HIPCUB_304000_NS8EqualityEEEPlJS6_EEE10hipError_tPvRmT3_T4_T5_T6_T7_T9_mT8_P12ihipStream_tbDpT10_ENKUlT_T0_E_clISt17integral_constantIbLb1EES16_IbLb0EEEEDaS12_S13_EUlS12_E_NS1_11comp_targetILNS1_3genE2ELNS1_11target_archE906ELNS1_3gpuE6ELNS1_3repE0EEENS1_30default_config_static_selectorELNS0_4arch9wavefront6targetE0EEEvT1_
	.globl	_ZN7rocprim17ROCPRIM_400000_NS6detail17trampoline_kernelINS0_14default_configENS1_25partition_config_selectorILNS1_17partition_subalgoE8EmNS0_10empty_typeEbEEZZNS1_14partition_implILS5_8ELb0ES3_jPKmPS6_PKS6_NS0_5tupleIJPmS6_EEENSE_IJSB_SB_EEENS0_18inequality_wrapperIN6hipcub16HIPCUB_304000_NS8EqualityEEEPlJS6_EEE10hipError_tPvRmT3_T4_T5_T6_T7_T9_mT8_P12ihipStream_tbDpT10_ENKUlT_T0_E_clISt17integral_constantIbLb1EES16_IbLb0EEEEDaS12_S13_EUlS12_E_NS1_11comp_targetILNS1_3genE2ELNS1_11target_archE906ELNS1_3gpuE6ELNS1_3repE0EEENS1_30default_config_static_selectorELNS0_4arch9wavefront6targetE0EEEvT1_
	.p2align	8
	.type	_ZN7rocprim17ROCPRIM_400000_NS6detail17trampoline_kernelINS0_14default_configENS1_25partition_config_selectorILNS1_17partition_subalgoE8EmNS0_10empty_typeEbEEZZNS1_14partition_implILS5_8ELb0ES3_jPKmPS6_PKS6_NS0_5tupleIJPmS6_EEENSE_IJSB_SB_EEENS0_18inequality_wrapperIN6hipcub16HIPCUB_304000_NS8EqualityEEEPlJS6_EEE10hipError_tPvRmT3_T4_T5_T6_T7_T9_mT8_P12ihipStream_tbDpT10_ENKUlT_T0_E_clISt17integral_constantIbLb1EES16_IbLb0EEEEDaS12_S13_EUlS12_E_NS1_11comp_targetILNS1_3genE2ELNS1_11target_archE906ELNS1_3gpuE6ELNS1_3repE0EEENS1_30default_config_static_selectorELNS0_4arch9wavefront6targetE0EEEvT1_,@function
_ZN7rocprim17ROCPRIM_400000_NS6detail17trampoline_kernelINS0_14default_configENS1_25partition_config_selectorILNS1_17partition_subalgoE8EmNS0_10empty_typeEbEEZZNS1_14partition_implILS5_8ELb0ES3_jPKmPS6_PKS6_NS0_5tupleIJPmS6_EEENSE_IJSB_SB_EEENS0_18inequality_wrapperIN6hipcub16HIPCUB_304000_NS8EqualityEEEPlJS6_EEE10hipError_tPvRmT3_T4_T5_T6_T7_T9_mT8_P12ihipStream_tbDpT10_ENKUlT_T0_E_clISt17integral_constantIbLb1EES16_IbLb0EEEEDaS12_S13_EUlS12_E_NS1_11comp_targetILNS1_3genE2ELNS1_11target_archE906ELNS1_3gpuE6ELNS1_3repE0EEENS1_30default_config_static_selectorELNS0_4arch9wavefront6targetE0EEEvT1_: ; @_ZN7rocprim17ROCPRIM_400000_NS6detail17trampoline_kernelINS0_14default_configENS1_25partition_config_selectorILNS1_17partition_subalgoE8EmNS0_10empty_typeEbEEZZNS1_14partition_implILS5_8ELb0ES3_jPKmPS6_PKS6_NS0_5tupleIJPmS6_EEENSE_IJSB_SB_EEENS0_18inequality_wrapperIN6hipcub16HIPCUB_304000_NS8EqualityEEEPlJS6_EEE10hipError_tPvRmT3_T4_T5_T6_T7_T9_mT8_P12ihipStream_tbDpT10_ENKUlT_T0_E_clISt17integral_constantIbLb1EES16_IbLb0EEEEDaS12_S13_EUlS12_E_NS1_11comp_targetILNS1_3genE2ELNS1_11target_archE906ELNS1_3gpuE6ELNS1_3repE0EEENS1_30default_config_static_selectorELNS0_4arch9wavefront6targetE0EEEvT1_
; %bb.0:
	.section	.rodata,"a",@progbits
	.p2align	6, 0x0
	.amdhsa_kernel _ZN7rocprim17ROCPRIM_400000_NS6detail17trampoline_kernelINS0_14default_configENS1_25partition_config_selectorILNS1_17partition_subalgoE8EmNS0_10empty_typeEbEEZZNS1_14partition_implILS5_8ELb0ES3_jPKmPS6_PKS6_NS0_5tupleIJPmS6_EEENSE_IJSB_SB_EEENS0_18inequality_wrapperIN6hipcub16HIPCUB_304000_NS8EqualityEEEPlJS6_EEE10hipError_tPvRmT3_T4_T5_T6_T7_T9_mT8_P12ihipStream_tbDpT10_ENKUlT_T0_E_clISt17integral_constantIbLb1EES16_IbLb0EEEEDaS12_S13_EUlS12_E_NS1_11comp_targetILNS1_3genE2ELNS1_11target_archE906ELNS1_3gpuE6ELNS1_3repE0EEENS1_30default_config_static_selectorELNS0_4arch9wavefront6targetE0EEEvT1_
		.amdhsa_group_segment_fixed_size 0
		.amdhsa_private_segment_fixed_size 0
		.amdhsa_kernarg_size 112
		.amdhsa_user_sgpr_count 2
		.amdhsa_user_sgpr_dispatch_ptr 0
		.amdhsa_user_sgpr_queue_ptr 0
		.amdhsa_user_sgpr_kernarg_segment_ptr 1
		.amdhsa_user_sgpr_dispatch_id 0
		.amdhsa_user_sgpr_kernarg_preload_length 0
		.amdhsa_user_sgpr_kernarg_preload_offset 0
		.amdhsa_user_sgpr_private_segment_size 0
		.amdhsa_wavefront_size32 1
		.amdhsa_uses_dynamic_stack 0
		.amdhsa_enable_private_segment 0
		.amdhsa_system_sgpr_workgroup_id_x 1
		.amdhsa_system_sgpr_workgroup_id_y 0
		.amdhsa_system_sgpr_workgroup_id_z 0
		.amdhsa_system_sgpr_workgroup_info 0
		.amdhsa_system_vgpr_workitem_id 0
		.amdhsa_next_free_vgpr 1
		.amdhsa_next_free_sgpr 1
		.amdhsa_named_barrier_count 0
		.amdhsa_reserve_vcc 0
		.amdhsa_float_round_mode_32 0
		.amdhsa_float_round_mode_16_64 0
		.amdhsa_float_denorm_mode_32 3
		.amdhsa_float_denorm_mode_16_64 3
		.amdhsa_fp16_overflow 0
		.amdhsa_memory_ordered 1
		.amdhsa_forward_progress 1
		.amdhsa_inst_pref_size 0
		.amdhsa_round_robin_scheduling 0
		.amdhsa_exception_fp_ieee_invalid_op 0
		.amdhsa_exception_fp_denorm_src 0
		.amdhsa_exception_fp_ieee_div_zero 0
		.amdhsa_exception_fp_ieee_overflow 0
		.amdhsa_exception_fp_ieee_underflow 0
		.amdhsa_exception_fp_ieee_inexact 0
		.amdhsa_exception_int_div_zero 0
	.end_amdhsa_kernel
	.section	.text._ZN7rocprim17ROCPRIM_400000_NS6detail17trampoline_kernelINS0_14default_configENS1_25partition_config_selectorILNS1_17partition_subalgoE8EmNS0_10empty_typeEbEEZZNS1_14partition_implILS5_8ELb0ES3_jPKmPS6_PKS6_NS0_5tupleIJPmS6_EEENSE_IJSB_SB_EEENS0_18inequality_wrapperIN6hipcub16HIPCUB_304000_NS8EqualityEEEPlJS6_EEE10hipError_tPvRmT3_T4_T5_T6_T7_T9_mT8_P12ihipStream_tbDpT10_ENKUlT_T0_E_clISt17integral_constantIbLb1EES16_IbLb0EEEEDaS12_S13_EUlS12_E_NS1_11comp_targetILNS1_3genE2ELNS1_11target_archE906ELNS1_3gpuE6ELNS1_3repE0EEENS1_30default_config_static_selectorELNS0_4arch9wavefront6targetE0EEEvT1_,"axG",@progbits,_ZN7rocprim17ROCPRIM_400000_NS6detail17trampoline_kernelINS0_14default_configENS1_25partition_config_selectorILNS1_17partition_subalgoE8EmNS0_10empty_typeEbEEZZNS1_14partition_implILS5_8ELb0ES3_jPKmPS6_PKS6_NS0_5tupleIJPmS6_EEENSE_IJSB_SB_EEENS0_18inequality_wrapperIN6hipcub16HIPCUB_304000_NS8EqualityEEEPlJS6_EEE10hipError_tPvRmT3_T4_T5_T6_T7_T9_mT8_P12ihipStream_tbDpT10_ENKUlT_T0_E_clISt17integral_constantIbLb1EES16_IbLb0EEEEDaS12_S13_EUlS12_E_NS1_11comp_targetILNS1_3genE2ELNS1_11target_archE906ELNS1_3gpuE6ELNS1_3repE0EEENS1_30default_config_static_selectorELNS0_4arch9wavefront6targetE0EEEvT1_,comdat
.Lfunc_end706:
	.size	_ZN7rocprim17ROCPRIM_400000_NS6detail17trampoline_kernelINS0_14default_configENS1_25partition_config_selectorILNS1_17partition_subalgoE8EmNS0_10empty_typeEbEEZZNS1_14partition_implILS5_8ELb0ES3_jPKmPS6_PKS6_NS0_5tupleIJPmS6_EEENSE_IJSB_SB_EEENS0_18inequality_wrapperIN6hipcub16HIPCUB_304000_NS8EqualityEEEPlJS6_EEE10hipError_tPvRmT3_T4_T5_T6_T7_T9_mT8_P12ihipStream_tbDpT10_ENKUlT_T0_E_clISt17integral_constantIbLb1EES16_IbLb0EEEEDaS12_S13_EUlS12_E_NS1_11comp_targetILNS1_3genE2ELNS1_11target_archE906ELNS1_3gpuE6ELNS1_3repE0EEENS1_30default_config_static_selectorELNS0_4arch9wavefront6targetE0EEEvT1_, .Lfunc_end706-_ZN7rocprim17ROCPRIM_400000_NS6detail17trampoline_kernelINS0_14default_configENS1_25partition_config_selectorILNS1_17partition_subalgoE8EmNS0_10empty_typeEbEEZZNS1_14partition_implILS5_8ELb0ES3_jPKmPS6_PKS6_NS0_5tupleIJPmS6_EEENSE_IJSB_SB_EEENS0_18inequality_wrapperIN6hipcub16HIPCUB_304000_NS8EqualityEEEPlJS6_EEE10hipError_tPvRmT3_T4_T5_T6_T7_T9_mT8_P12ihipStream_tbDpT10_ENKUlT_T0_E_clISt17integral_constantIbLb1EES16_IbLb0EEEEDaS12_S13_EUlS12_E_NS1_11comp_targetILNS1_3genE2ELNS1_11target_archE906ELNS1_3gpuE6ELNS1_3repE0EEENS1_30default_config_static_selectorELNS0_4arch9wavefront6targetE0EEEvT1_
                                        ; -- End function
	.set _ZN7rocprim17ROCPRIM_400000_NS6detail17trampoline_kernelINS0_14default_configENS1_25partition_config_selectorILNS1_17partition_subalgoE8EmNS0_10empty_typeEbEEZZNS1_14partition_implILS5_8ELb0ES3_jPKmPS6_PKS6_NS0_5tupleIJPmS6_EEENSE_IJSB_SB_EEENS0_18inequality_wrapperIN6hipcub16HIPCUB_304000_NS8EqualityEEEPlJS6_EEE10hipError_tPvRmT3_T4_T5_T6_T7_T9_mT8_P12ihipStream_tbDpT10_ENKUlT_T0_E_clISt17integral_constantIbLb1EES16_IbLb0EEEEDaS12_S13_EUlS12_E_NS1_11comp_targetILNS1_3genE2ELNS1_11target_archE906ELNS1_3gpuE6ELNS1_3repE0EEENS1_30default_config_static_selectorELNS0_4arch9wavefront6targetE0EEEvT1_.num_vgpr, 0
	.set _ZN7rocprim17ROCPRIM_400000_NS6detail17trampoline_kernelINS0_14default_configENS1_25partition_config_selectorILNS1_17partition_subalgoE8EmNS0_10empty_typeEbEEZZNS1_14partition_implILS5_8ELb0ES3_jPKmPS6_PKS6_NS0_5tupleIJPmS6_EEENSE_IJSB_SB_EEENS0_18inequality_wrapperIN6hipcub16HIPCUB_304000_NS8EqualityEEEPlJS6_EEE10hipError_tPvRmT3_T4_T5_T6_T7_T9_mT8_P12ihipStream_tbDpT10_ENKUlT_T0_E_clISt17integral_constantIbLb1EES16_IbLb0EEEEDaS12_S13_EUlS12_E_NS1_11comp_targetILNS1_3genE2ELNS1_11target_archE906ELNS1_3gpuE6ELNS1_3repE0EEENS1_30default_config_static_selectorELNS0_4arch9wavefront6targetE0EEEvT1_.num_agpr, 0
	.set _ZN7rocprim17ROCPRIM_400000_NS6detail17trampoline_kernelINS0_14default_configENS1_25partition_config_selectorILNS1_17partition_subalgoE8EmNS0_10empty_typeEbEEZZNS1_14partition_implILS5_8ELb0ES3_jPKmPS6_PKS6_NS0_5tupleIJPmS6_EEENSE_IJSB_SB_EEENS0_18inequality_wrapperIN6hipcub16HIPCUB_304000_NS8EqualityEEEPlJS6_EEE10hipError_tPvRmT3_T4_T5_T6_T7_T9_mT8_P12ihipStream_tbDpT10_ENKUlT_T0_E_clISt17integral_constantIbLb1EES16_IbLb0EEEEDaS12_S13_EUlS12_E_NS1_11comp_targetILNS1_3genE2ELNS1_11target_archE906ELNS1_3gpuE6ELNS1_3repE0EEENS1_30default_config_static_selectorELNS0_4arch9wavefront6targetE0EEEvT1_.numbered_sgpr, 0
	.set _ZN7rocprim17ROCPRIM_400000_NS6detail17trampoline_kernelINS0_14default_configENS1_25partition_config_selectorILNS1_17partition_subalgoE8EmNS0_10empty_typeEbEEZZNS1_14partition_implILS5_8ELb0ES3_jPKmPS6_PKS6_NS0_5tupleIJPmS6_EEENSE_IJSB_SB_EEENS0_18inequality_wrapperIN6hipcub16HIPCUB_304000_NS8EqualityEEEPlJS6_EEE10hipError_tPvRmT3_T4_T5_T6_T7_T9_mT8_P12ihipStream_tbDpT10_ENKUlT_T0_E_clISt17integral_constantIbLb1EES16_IbLb0EEEEDaS12_S13_EUlS12_E_NS1_11comp_targetILNS1_3genE2ELNS1_11target_archE906ELNS1_3gpuE6ELNS1_3repE0EEENS1_30default_config_static_selectorELNS0_4arch9wavefront6targetE0EEEvT1_.num_named_barrier, 0
	.set _ZN7rocprim17ROCPRIM_400000_NS6detail17trampoline_kernelINS0_14default_configENS1_25partition_config_selectorILNS1_17partition_subalgoE8EmNS0_10empty_typeEbEEZZNS1_14partition_implILS5_8ELb0ES3_jPKmPS6_PKS6_NS0_5tupleIJPmS6_EEENSE_IJSB_SB_EEENS0_18inequality_wrapperIN6hipcub16HIPCUB_304000_NS8EqualityEEEPlJS6_EEE10hipError_tPvRmT3_T4_T5_T6_T7_T9_mT8_P12ihipStream_tbDpT10_ENKUlT_T0_E_clISt17integral_constantIbLb1EES16_IbLb0EEEEDaS12_S13_EUlS12_E_NS1_11comp_targetILNS1_3genE2ELNS1_11target_archE906ELNS1_3gpuE6ELNS1_3repE0EEENS1_30default_config_static_selectorELNS0_4arch9wavefront6targetE0EEEvT1_.private_seg_size, 0
	.set _ZN7rocprim17ROCPRIM_400000_NS6detail17trampoline_kernelINS0_14default_configENS1_25partition_config_selectorILNS1_17partition_subalgoE8EmNS0_10empty_typeEbEEZZNS1_14partition_implILS5_8ELb0ES3_jPKmPS6_PKS6_NS0_5tupleIJPmS6_EEENSE_IJSB_SB_EEENS0_18inequality_wrapperIN6hipcub16HIPCUB_304000_NS8EqualityEEEPlJS6_EEE10hipError_tPvRmT3_T4_T5_T6_T7_T9_mT8_P12ihipStream_tbDpT10_ENKUlT_T0_E_clISt17integral_constantIbLb1EES16_IbLb0EEEEDaS12_S13_EUlS12_E_NS1_11comp_targetILNS1_3genE2ELNS1_11target_archE906ELNS1_3gpuE6ELNS1_3repE0EEENS1_30default_config_static_selectorELNS0_4arch9wavefront6targetE0EEEvT1_.uses_vcc, 0
	.set _ZN7rocprim17ROCPRIM_400000_NS6detail17trampoline_kernelINS0_14default_configENS1_25partition_config_selectorILNS1_17partition_subalgoE8EmNS0_10empty_typeEbEEZZNS1_14partition_implILS5_8ELb0ES3_jPKmPS6_PKS6_NS0_5tupleIJPmS6_EEENSE_IJSB_SB_EEENS0_18inequality_wrapperIN6hipcub16HIPCUB_304000_NS8EqualityEEEPlJS6_EEE10hipError_tPvRmT3_T4_T5_T6_T7_T9_mT8_P12ihipStream_tbDpT10_ENKUlT_T0_E_clISt17integral_constantIbLb1EES16_IbLb0EEEEDaS12_S13_EUlS12_E_NS1_11comp_targetILNS1_3genE2ELNS1_11target_archE906ELNS1_3gpuE6ELNS1_3repE0EEENS1_30default_config_static_selectorELNS0_4arch9wavefront6targetE0EEEvT1_.uses_flat_scratch, 0
	.set _ZN7rocprim17ROCPRIM_400000_NS6detail17trampoline_kernelINS0_14default_configENS1_25partition_config_selectorILNS1_17partition_subalgoE8EmNS0_10empty_typeEbEEZZNS1_14partition_implILS5_8ELb0ES3_jPKmPS6_PKS6_NS0_5tupleIJPmS6_EEENSE_IJSB_SB_EEENS0_18inequality_wrapperIN6hipcub16HIPCUB_304000_NS8EqualityEEEPlJS6_EEE10hipError_tPvRmT3_T4_T5_T6_T7_T9_mT8_P12ihipStream_tbDpT10_ENKUlT_T0_E_clISt17integral_constantIbLb1EES16_IbLb0EEEEDaS12_S13_EUlS12_E_NS1_11comp_targetILNS1_3genE2ELNS1_11target_archE906ELNS1_3gpuE6ELNS1_3repE0EEENS1_30default_config_static_selectorELNS0_4arch9wavefront6targetE0EEEvT1_.has_dyn_sized_stack, 0
	.set _ZN7rocprim17ROCPRIM_400000_NS6detail17trampoline_kernelINS0_14default_configENS1_25partition_config_selectorILNS1_17partition_subalgoE8EmNS0_10empty_typeEbEEZZNS1_14partition_implILS5_8ELb0ES3_jPKmPS6_PKS6_NS0_5tupleIJPmS6_EEENSE_IJSB_SB_EEENS0_18inequality_wrapperIN6hipcub16HIPCUB_304000_NS8EqualityEEEPlJS6_EEE10hipError_tPvRmT3_T4_T5_T6_T7_T9_mT8_P12ihipStream_tbDpT10_ENKUlT_T0_E_clISt17integral_constantIbLb1EES16_IbLb0EEEEDaS12_S13_EUlS12_E_NS1_11comp_targetILNS1_3genE2ELNS1_11target_archE906ELNS1_3gpuE6ELNS1_3repE0EEENS1_30default_config_static_selectorELNS0_4arch9wavefront6targetE0EEEvT1_.has_recursion, 0
	.set _ZN7rocprim17ROCPRIM_400000_NS6detail17trampoline_kernelINS0_14default_configENS1_25partition_config_selectorILNS1_17partition_subalgoE8EmNS0_10empty_typeEbEEZZNS1_14partition_implILS5_8ELb0ES3_jPKmPS6_PKS6_NS0_5tupleIJPmS6_EEENSE_IJSB_SB_EEENS0_18inequality_wrapperIN6hipcub16HIPCUB_304000_NS8EqualityEEEPlJS6_EEE10hipError_tPvRmT3_T4_T5_T6_T7_T9_mT8_P12ihipStream_tbDpT10_ENKUlT_T0_E_clISt17integral_constantIbLb1EES16_IbLb0EEEEDaS12_S13_EUlS12_E_NS1_11comp_targetILNS1_3genE2ELNS1_11target_archE906ELNS1_3gpuE6ELNS1_3repE0EEENS1_30default_config_static_selectorELNS0_4arch9wavefront6targetE0EEEvT1_.has_indirect_call, 0
	.section	.AMDGPU.csdata,"",@progbits
; Kernel info:
; codeLenInByte = 0
; TotalNumSgprs: 0
; NumVgprs: 0
; ScratchSize: 0
; MemoryBound: 0
; FloatMode: 240
; IeeeMode: 1
; LDSByteSize: 0 bytes/workgroup (compile time only)
; SGPRBlocks: 0
; VGPRBlocks: 0
; NumSGPRsForWavesPerEU: 1
; NumVGPRsForWavesPerEU: 1
; NamedBarCnt: 0
; Occupancy: 16
; WaveLimiterHint : 0
; COMPUTE_PGM_RSRC2:SCRATCH_EN: 0
; COMPUTE_PGM_RSRC2:USER_SGPR: 2
; COMPUTE_PGM_RSRC2:TRAP_HANDLER: 0
; COMPUTE_PGM_RSRC2:TGID_X_EN: 1
; COMPUTE_PGM_RSRC2:TGID_Y_EN: 0
; COMPUTE_PGM_RSRC2:TGID_Z_EN: 0
; COMPUTE_PGM_RSRC2:TIDIG_COMP_CNT: 0
	.section	.text._ZN7rocprim17ROCPRIM_400000_NS6detail17trampoline_kernelINS0_14default_configENS1_25partition_config_selectorILNS1_17partition_subalgoE8EmNS0_10empty_typeEbEEZZNS1_14partition_implILS5_8ELb0ES3_jPKmPS6_PKS6_NS0_5tupleIJPmS6_EEENSE_IJSB_SB_EEENS0_18inequality_wrapperIN6hipcub16HIPCUB_304000_NS8EqualityEEEPlJS6_EEE10hipError_tPvRmT3_T4_T5_T6_T7_T9_mT8_P12ihipStream_tbDpT10_ENKUlT_T0_E_clISt17integral_constantIbLb1EES16_IbLb0EEEEDaS12_S13_EUlS12_E_NS1_11comp_targetILNS1_3genE10ELNS1_11target_archE1200ELNS1_3gpuE4ELNS1_3repE0EEENS1_30default_config_static_selectorELNS0_4arch9wavefront6targetE0EEEvT1_,"axG",@progbits,_ZN7rocprim17ROCPRIM_400000_NS6detail17trampoline_kernelINS0_14default_configENS1_25partition_config_selectorILNS1_17partition_subalgoE8EmNS0_10empty_typeEbEEZZNS1_14partition_implILS5_8ELb0ES3_jPKmPS6_PKS6_NS0_5tupleIJPmS6_EEENSE_IJSB_SB_EEENS0_18inequality_wrapperIN6hipcub16HIPCUB_304000_NS8EqualityEEEPlJS6_EEE10hipError_tPvRmT3_T4_T5_T6_T7_T9_mT8_P12ihipStream_tbDpT10_ENKUlT_T0_E_clISt17integral_constantIbLb1EES16_IbLb0EEEEDaS12_S13_EUlS12_E_NS1_11comp_targetILNS1_3genE10ELNS1_11target_archE1200ELNS1_3gpuE4ELNS1_3repE0EEENS1_30default_config_static_selectorELNS0_4arch9wavefront6targetE0EEEvT1_,comdat
	.protected	_ZN7rocprim17ROCPRIM_400000_NS6detail17trampoline_kernelINS0_14default_configENS1_25partition_config_selectorILNS1_17partition_subalgoE8EmNS0_10empty_typeEbEEZZNS1_14partition_implILS5_8ELb0ES3_jPKmPS6_PKS6_NS0_5tupleIJPmS6_EEENSE_IJSB_SB_EEENS0_18inequality_wrapperIN6hipcub16HIPCUB_304000_NS8EqualityEEEPlJS6_EEE10hipError_tPvRmT3_T4_T5_T6_T7_T9_mT8_P12ihipStream_tbDpT10_ENKUlT_T0_E_clISt17integral_constantIbLb1EES16_IbLb0EEEEDaS12_S13_EUlS12_E_NS1_11comp_targetILNS1_3genE10ELNS1_11target_archE1200ELNS1_3gpuE4ELNS1_3repE0EEENS1_30default_config_static_selectorELNS0_4arch9wavefront6targetE0EEEvT1_ ; -- Begin function _ZN7rocprim17ROCPRIM_400000_NS6detail17trampoline_kernelINS0_14default_configENS1_25partition_config_selectorILNS1_17partition_subalgoE8EmNS0_10empty_typeEbEEZZNS1_14partition_implILS5_8ELb0ES3_jPKmPS6_PKS6_NS0_5tupleIJPmS6_EEENSE_IJSB_SB_EEENS0_18inequality_wrapperIN6hipcub16HIPCUB_304000_NS8EqualityEEEPlJS6_EEE10hipError_tPvRmT3_T4_T5_T6_T7_T9_mT8_P12ihipStream_tbDpT10_ENKUlT_T0_E_clISt17integral_constantIbLb1EES16_IbLb0EEEEDaS12_S13_EUlS12_E_NS1_11comp_targetILNS1_3genE10ELNS1_11target_archE1200ELNS1_3gpuE4ELNS1_3repE0EEENS1_30default_config_static_selectorELNS0_4arch9wavefront6targetE0EEEvT1_
	.globl	_ZN7rocprim17ROCPRIM_400000_NS6detail17trampoline_kernelINS0_14default_configENS1_25partition_config_selectorILNS1_17partition_subalgoE8EmNS0_10empty_typeEbEEZZNS1_14partition_implILS5_8ELb0ES3_jPKmPS6_PKS6_NS0_5tupleIJPmS6_EEENSE_IJSB_SB_EEENS0_18inequality_wrapperIN6hipcub16HIPCUB_304000_NS8EqualityEEEPlJS6_EEE10hipError_tPvRmT3_T4_T5_T6_T7_T9_mT8_P12ihipStream_tbDpT10_ENKUlT_T0_E_clISt17integral_constantIbLb1EES16_IbLb0EEEEDaS12_S13_EUlS12_E_NS1_11comp_targetILNS1_3genE10ELNS1_11target_archE1200ELNS1_3gpuE4ELNS1_3repE0EEENS1_30default_config_static_selectorELNS0_4arch9wavefront6targetE0EEEvT1_
	.p2align	8
	.type	_ZN7rocprim17ROCPRIM_400000_NS6detail17trampoline_kernelINS0_14default_configENS1_25partition_config_selectorILNS1_17partition_subalgoE8EmNS0_10empty_typeEbEEZZNS1_14partition_implILS5_8ELb0ES3_jPKmPS6_PKS6_NS0_5tupleIJPmS6_EEENSE_IJSB_SB_EEENS0_18inequality_wrapperIN6hipcub16HIPCUB_304000_NS8EqualityEEEPlJS6_EEE10hipError_tPvRmT3_T4_T5_T6_T7_T9_mT8_P12ihipStream_tbDpT10_ENKUlT_T0_E_clISt17integral_constantIbLb1EES16_IbLb0EEEEDaS12_S13_EUlS12_E_NS1_11comp_targetILNS1_3genE10ELNS1_11target_archE1200ELNS1_3gpuE4ELNS1_3repE0EEENS1_30default_config_static_selectorELNS0_4arch9wavefront6targetE0EEEvT1_,@function
_ZN7rocprim17ROCPRIM_400000_NS6detail17trampoline_kernelINS0_14default_configENS1_25partition_config_selectorILNS1_17partition_subalgoE8EmNS0_10empty_typeEbEEZZNS1_14partition_implILS5_8ELb0ES3_jPKmPS6_PKS6_NS0_5tupleIJPmS6_EEENSE_IJSB_SB_EEENS0_18inequality_wrapperIN6hipcub16HIPCUB_304000_NS8EqualityEEEPlJS6_EEE10hipError_tPvRmT3_T4_T5_T6_T7_T9_mT8_P12ihipStream_tbDpT10_ENKUlT_T0_E_clISt17integral_constantIbLb1EES16_IbLb0EEEEDaS12_S13_EUlS12_E_NS1_11comp_targetILNS1_3genE10ELNS1_11target_archE1200ELNS1_3gpuE4ELNS1_3repE0EEENS1_30default_config_static_selectorELNS0_4arch9wavefront6targetE0EEEvT1_: ; @_ZN7rocprim17ROCPRIM_400000_NS6detail17trampoline_kernelINS0_14default_configENS1_25partition_config_selectorILNS1_17partition_subalgoE8EmNS0_10empty_typeEbEEZZNS1_14partition_implILS5_8ELb0ES3_jPKmPS6_PKS6_NS0_5tupleIJPmS6_EEENSE_IJSB_SB_EEENS0_18inequality_wrapperIN6hipcub16HIPCUB_304000_NS8EqualityEEEPlJS6_EEE10hipError_tPvRmT3_T4_T5_T6_T7_T9_mT8_P12ihipStream_tbDpT10_ENKUlT_T0_E_clISt17integral_constantIbLb1EES16_IbLb0EEEEDaS12_S13_EUlS12_E_NS1_11comp_targetILNS1_3genE10ELNS1_11target_archE1200ELNS1_3gpuE4ELNS1_3repE0EEENS1_30default_config_static_selectorELNS0_4arch9wavefront6targetE0EEEvT1_
; %bb.0:
	.section	.rodata,"a",@progbits
	.p2align	6, 0x0
	.amdhsa_kernel _ZN7rocprim17ROCPRIM_400000_NS6detail17trampoline_kernelINS0_14default_configENS1_25partition_config_selectorILNS1_17partition_subalgoE8EmNS0_10empty_typeEbEEZZNS1_14partition_implILS5_8ELb0ES3_jPKmPS6_PKS6_NS0_5tupleIJPmS6_EEENSE_IJSB_SB_EEENS0_18inequality_wrapperIN6hipcub16HIPCUB_304000_NS8EqualityEEEPlJS6_EEE10hipError_tPvRmT3_T4_T5_T6_T7_T9_mT8_P12ihipStream_tbDpT10_ENKUlT_T0_E_clISt17integral_constantIbLb1EES16_IbLb0EEEEDaS12_S13_EUlS12_E_NS1_11comp_targetILNS1_3genE10ELNS1_11target_archE1200ELNS1_3gpuE4ELNS1_3repE0EEENS1_30default_config_static_selectorELNS0_4arch9wavefront6targetE0EEEvT1_
		.amdhsa_group_segment_fixed_size 0
		.amdhsa_private_segment_fixed_size 0
		.amdhsa_kernarg_size 112
		.amdhsa_user_sgpr_count 2
		.amdhsa_user_sgpr_dispatch_ptr 0
		.amdhsa_user_sgpr_queue_ptr 0
		.amdhsa_user_sgpr_kernarg_segment_ptr 1
		.amdhsa_user_sgpr_dispatch_id 0
		.amdhsa_user_sgpr_kernarg_preload_length 0
		.amdhsa_user_sgpr_kernarg_preload_offset 0
		.amdhsa_user_sgpr_private_segment_size 0
		.amdhsa_wavefront_size32 1
		.amdhsa_uses_dynamic_stack 0
		.amdhsa_enable_private_segment 0
		.amdhsa_system_sgpr_workgroup_id_x 1
		.amdhsa_system_sgpr_workgroup_id_y 0
		.amdhsa_system_sgpr_workgroup_id_z 0
		.amdhsa_system_sgpr_workgroup_info 0
		.amdhsa_system_vgpr_workitem_id 0
		.amdhsa_next_free_vgpr 1
		.amdhsa_next_free_sgpr 1
		.amdhsa_named_barrier_count 0
		.amdhsa_reserve_vcc 0
		.amdhsa_float_round_mode_32 0
		.amdhsa_float_round_mode_16_64 0
		.amdhsa_float_denorm_mode_32 3
		.amdhsa_float_denorm_mode_16_64 3
		.amdhsa_fp16_overflow 0
		.amdhsa_memory_ordered 1
		.amdhsa_forward_progress 1
		.amdhsa_inst_pref_size 0
		.amdhsa_round_robin_scheduling 0
		.amdhsa_exception_fp_ieee_invalid_op 0
		.amdhsa_exception_fp_denorm_src 0
		.amdhsa_exception_fp_ieee_div_zero 0
		.amdhsa_exception_fp_ieee_overflow 0
		.amdhsa_exception_fp_ieee_underflow 0
		.amdhsa_exception_fp_ieee_inexact 0
		.amdhsa_exception_int_div_zero 0
	.end_amdhsa_kernel
	.section	.text._ZN7rocprim17ROCPRIM_400000_NS6detail17trampoline_kernelINS0_14default_configENS1_25partition_config_selectorILNS1_17partition_subalgoE8EmNS0_10empty_typeEbEEZZNS1_14partition_implILS5_8ELb0ES3_jPKmPS6_PKS6_NS0_5tupleIJPmS6_EEENSE_IJSB_SB_EEENS0_18inequality_wrapperIN6hipcub16HIPCUB_304000_NS8EqualityEEEPlJS6_EEE10hipError_tPvRmT3_T4_T5_T6_T7_T9_mT8_P12ihipStream_tbDpT10_ENKUlT_T0_E_clISt17integral_constantIbLb1EES16_IbLb0EEEEDaS12_S13_EUlS12_E_NS1_11comp_targetILNS1_3genE10ELNS1_11target_archE1200ELNS1_3gpuE4ELNS1_3repE0EEENS1_30default_config_static_selectorELNS0_4arch9wavefront6targetE0EEEvT1_,"axG",@progbits,_ZN7rocprim17ROCPRIM_400000_NS6detail17trampoline_kernelINS0_14default_configENS1_25partition_config_selectorILNS1_17partition_subalgoE8EmNS0_10empty_typeEbEEZZNS1_14partition_implILS5_8ELb0ES3_jPKmPS6_PKS6_NS0_5tupleIJPmS6_EEENSE_IJSB_SB_EEENS0_18inequality_wrapperIN6hipcub16HIPCUB_304000_NS8EqualityEEEPlJS6_EEE10hipError_tPvRmT3_T4_T5_T6_T7_T9_mT8_P12ihipStream_tbDpT10_ENKUlT_T0_E_clISt17integral_constantIbLb1EES16_IbLb0EEEEDaS12_S13_EUlS12_E_NS1_11comp_targetILNS1_3genE10ELNS1_11target_archE1200ELNS1_3gpuE4ELNS1_3repE0EEENS1_30default_config_static_selectorELNS0_4arch9wavefront6targetE0EEEvT1_,comdat
.Lfunc_end707:
	.size	_ZN7rocprim17ROCPRIM_400000_NS6detail17trampoline_kernelINS0_14default_configENS1_25partition_config_selectorILNS1_17partition_subalgoE8EmNS0_10empty_typeEbEEZZNS1_14partition_implILS5_8ELb0ES3_jPKmPS6_PKS6_NS0_5tupleIJPmS6_EEENSE_IJSB_SB_EEENS0_18inequality_wrapperIN6hipcub16HIPCUB_304000_NS8EqualityEEEPlJS6_EEE10hipError_tPvRmT3_T4_T5_T6_T7_T9_mT8_P12ihipStream_tbDpT10_ENKUlT_T0_E_clISt17integral_constantIbLb1EES16_IbLb0EEEEDaS12_S13_EUlS12_E_NS1_11comp_targetILNS1_3genE10ELNS1_11target_archE1200ELNS1_3gpuE4ELNS1_3repE0EEENS1_30default_config_static_selectorELNS0_4arch9wavefront6targetE0EEEvT1_, .Lfunc_end707-_ZN7rocprim17ROCPRIM_400000_NS6detail17trampoline_kernelINS0_14default_configENS1_25partition_config_selectorILNS1_17partition_subalgoE8EmNS0_10empty_typeEbEEZZNS1_14partition_implILS5_8ELb0ES3_jPKmPS6_PKS6_NS0_5tupleIJPmS6_EEENSE_IJSB_SB_EEENS0_18inequality_wrapperIN6hipcub16HIPCUB_304000_NS8EqualityEEEPlJS6_EEE10hipError_tPvRmT3_T4_T5_T6_T7_T9_mT8_P12ihipStream_tbDpT10_ENKUlT_T0_E_clISt17integral_constantIbLb1EES16_IbLb0EEEEDaS12_S13_EUlS12_E_NS1_11comp_targetILNS1_3genE10ELNS1_11target_archE1200ELNS1_3gpuE4ELNS1_3repE0EEENS1_30default_config_static_selectorELNS0_4arch9wavefront6targetE0EEEvT1_
                                        ; -- End function
	.set _ZN7rocprim17ROCPRIM_400000_NS6detail17trampoline_kernelINS0_14default_configENS1_25partition_config_selectorILNS1_17partition_subalgoE8EmNS0_10empty_typeEbEEZZNS1_14partition_implILS5_8ELb0ES3_jPKmPS6_PKS6_NS0_5tupleIJPmS6_EEENSE_IJSB_SB_EEENS0_18inequality_wrapperIN6hipcub16HIPCUB_304000_NS8EqualityEEEPlJS6_EEE10hipError_tPvRmT3_T4_T5_T6_T7_T9_mT8_P12ihipStream_tbDpT10_ENKUlT_T0_E_clISt17integral_constantIbLb1EES16_IbLb0EEEEDaS12_S13_EUlS12_E_NS1_11comp_targetILNS1_3genE10ELNS1_11target_archE1200ELNS1_3gpuE4ELNS1_3repE0EEENS1_30default_config_static_selectorELNS0_4arch9wavefront6targetE0EEEvT1_.num_vgpr, 0
	.set _ZN7rocprim17ROCPRIM_400000_NS6detail17trampoline_kernelINS0_14default_configENS1_25partition_config_selectorILNS1_17partition_subalgoE8EmNS0_10empty_typeEbEEZZNS1_14partition_implILS5_8ELb0ES3_jPKmPS6_PKS6_NS0_5tupleIJPmS6_EEENSE_IJSB_SB_EEENS0_18inequality_wrapperIN6hipcub16HIPCUB_304000_NS8EqualityEEEPlJS6_EEE10hipError_tPvRmT3_T4_T5_T6_T7_T9_mT8_P12ihipStream_tbDpT10_ENKUlT_T0_E_clISt17integral_constantIbLb1EES16_IbLb0EEEEDaS12_S13_EUlS12_E_NS1_11comp_targetILNS1_3genE10ELNS1_11target_archE1200ELNS1_3gpuE4ELNS1_3repE0EEENS1_30default_config_static_selectorELNS0_4arch9wavefront6targetE0EEEvT1_.num_agpr, 0
	.set _ZN7rocprim17ROCPRIM_400000_NS6detail17trampoline_kernelINS0_14default_configENS1_25partition_config_selectorILNS1_17partition_subalgoE8EmNS0_10empty_typeEbEEZZNS1_14partition_implILS5_8ELb0ES3_jPKmPS6_PKS6_NS0_5tupleIJPmS6_EEENSE_IJSB_SB_EEENS0_18inequality_wrapperIN6hipcub16HIPCUB_304000_NS8EqualityEEEPlJS6_EEE10hipError_tPvRmT3_T4_T5_T6_T7_T9_mT8_P12ihipStream_tbDpT10_ENKUlT_T0_E_clISt17integral_constantIbLb1EES16_IbLb0EEEEDaS12_S13_EUlS12_E_NS1_11comp_targetILNS1_3genE10ELNS1_11target_archE1200ELNS1_3gpuE4ELNS1_3repE0EEENS1_30default_config_static_selectorELNS0_4arch9wavefront6targetE0EEEvT1_.numbered_sgpr, 0
	.set _ZN7rocprim17ROCPRIM_400000_NS6detail17trampoline_kernelINS0_14default_configENS1_25partition_config_selectorILNS1_17partition_subalgoE8EmNS0_10empty_typeEbEEZZNS1_14partition_implILS5_8ELb0ES3_jPKmPS6_PKS6_NS0_5tupleIJPmS6_EEENSE_IJSB_SB_EEENS0_18inequality_wrapperIN6hipcub16HIPCUB_304000_NS8EqualityEEEPlJS6_EEE10hipError_tPvRmT3_T4_T5_T6_T7_T9_mT8_P12ihipStream_tbDpT10_ENKUlT_T0_E_clISt17integral_constantIbLb1EES16_IbLb0EEEEDaS12_S13_EUlS12_E_NS1_11comp_targetILNS1_3genE10ELNS1_11target_archE1200ELNS1_3gpuE4ELNS1_3repE0EEENS1_30default_config_static_selectorELNS0_4arch9wavefront6targetE0EEEvT1_.num_named_barrier, 0
	.set _ZN7rocprim17ROCPRIM_400000_NS6detail17trampoline_kernelINS0_14default_configENS1_25partition_config_selectorILNS1_17partition_subalgoE8EmNS0_10empty_typeEbEEZZNS1_14partition_implILS5_8ELb0ES3_jPKmPS6_PKS6_NS0_5tupleIJPmS6_EEENSE_IJSB_SB_EEENS0_18inequality_wrapperIN6hipcub16HIPCUB_304000_NS8EqualityEEEPlJS6_EEE10hipError_tPvRmT3_T4_T5_T6_T7_T9_mT8_P12ihipStream_tbDpT10_ENKUlT_T0_E_clISt17integral_constantIbLb1EES16_IbLb0EEEEDaS12_S13_EUlS12_E_NS1_11comp_targetILNS1_3genE10ELNS1_11target_archE1200ELNS1_3gpuE4ELNS1_3repE0EEENS1_30default_config_static_selectorELNS0_4arch9wavefront6targetE0EEEvT1_.private_seg_size, 0
	.set _ZN7rocprim17ROCPRIM_400000_NS6detail17trampoline_kernelINS0_14default_configENS1_25partition_config_selectorILNS1_17partition_subalgoE8EmNS0_10empty_typeEbEEZZNS1_14partition_implILS5_8ELb0ES3_jPKmPS6_PKS6_NS0_5tupleIJPmS6_EEENSE_IJSB_SB_EEENS0_18inequality_wrapperIN6hipcub16HIPCUB_304000_NS8EqualityEEEPlJS6_EEE10hipError_tPvRmT3_T4_T5_T6_T7_T9_mT8_P12ihipStream_tbDpT10_ENKUlT_T0_E_clISt17integral_constantIbLb1EES16_IbLb0EEEEDaS12_S13_EUlS12_E_NS1_11comp_targetILNS1_3genE10ELNS1_11target_archE1200ELNS1_3gpuE4ELNS1_3repE0EEENS1_30default_config_static_selectorELNS0_4arch9wavefront6targetE0EEEvT1_.uses_vcc, 0
	.set _ZN7rocprim17ROCPRIM_400000_NS6detail17trampoline_kernelINS0_14default_configENS1_25partition_config_selectorILNS1_17partition_subalgoE8EmNS0_10empty_typeEbEEZZNS1_14partition_implILS5_8ELb0ES3_jPKmPS6_PKS6_NS0_5tupleIJPmS6_EEENSE_IJSB_SB_EEENS0_18inequality_wrapperIN6hipcub16HIPCUB_304000_NS8EqualityEEEPlJS6_EEE10hipError_tPvRmT3_T4_T5_T6_T7_T9_mT8_P12ihipStream_tbDpT10_ENKUlT_T0_E_clISt17integral_constantIbLb1EES16_IbLb0EEEEDaS12_S13_EUlS12_E_NS1_11comp_targetILNS1_3genE10ELNS1_11target_archE1200ELNS1_3gpuE4ELNS1_3repE0EEENS1_30default_config_static_selectorELNS0_4arch9wavefront6targetE0EEEvT1_.uses_flat_scratch, 0
	.set _ZN7rocprim17ROCPRIM_400000_NS6detail17trampoline_kernelINS0_14default_configENS1_25partition_config_selectorILNS1_17partition_subalgoE8EmNS0_10empty_typeEbEEZZNS1_14partition_implILS5_8ELb0ES3_jPKmPS6_PKS6_NS0_5tupleIJPmS6_EEENSE_IJSB_SB_EEENS0_18inequality_wrapperIN6hipcub16HIPCUB_304000_NS8EqualityEEEPlJS6_EEE10hipError_tPvRmT3_T4_T5_T6_T7_T9_mT8_P12ihipStream_tbDpT10_ENKUlT_T0_E_clISt17integral_constantIbLb1EES16_IbLb0EEEEDaS12_S13_EUlS12_E_NS1_11comp_targetILNS1_3genE10ELNS1_11target_archE1200ELNS1_3gpuE4ELNS1_3repE0EEENS1_30default_config_static_selectorELNS0_4arch9wavefront6targetE0EEEvT1_.has_dyn_sized_stack, 0
	.set _ZN7rocprim17ROCPRIM_400000_NS6detail17trampoline_kernelINS0_14default_configENS1_25partition_config_selectorILNS1_17partition_subalgoE8EmNS0_10empty_typeEbEEZZNS1_14partition_implILS5_8ELb0ES3_jPKmPS6_PKS6_NS0_5tupleIJPmS6_EEENSE_IJSB_SB_EEENS0_18inequality_wrapperIN6hipcub16HIPCUB_304000_NS8EqualityEEEPlJS6_EEE10hipError_tPvRmT3_T4_T5_T6_T7_T9_mT8_P12ihipStream_tbDpT10_ENKUlT_T0_E_clISt17integral_constantIbLb1EES16_IbLb0EEEEDaS12_S13_EUlS12_E_NS1_11comp_targetILNS1_3genE10ELNS1_11target_archE1200ELNS1_3gpuE4ELNS1_3repE0EEENS1_30default_config_static_selectorELNS0_4arch9wavefront6targetE0EEEvT1_.has_recursion, 0
	.set _ZN7rocprim17ROCPRIM_400000_NS6detail17trampoline_kernelINS0_14default_configENS1_25partition_config_selectorILNS1_17partition_subalgoE8EmNS0_10empty_typeEbEEZZNS1_14partition_implILS5_8ELb0ES3_jPKmPS6_PKS6_NS0_5tupleIJPmS6_EEENSE_IJSB_SB_EEENS0_18inequality_wrapperIN6hipcub16HIPCUB_304000_NS8EqualityEEEPlJS6_EEE10hipError_tPvRmT3_T4_T5_T6_T7_T9_mT8_P12ihipStream_tbDpT10_ENKUlT_T0_E_clISt17integral_constantIbLb1EES16_IbLb0EEEEDaS12_S13_EUlS12_E_NS1_11comp_targetILNS1_3genE10ELNS1_11target_archE1200ELNS1_3gpuE4ELNS1_3repE0EEENS1_30default_config_static_selectorELNS0_4arch9wavefront6targetE0EEEvT1_.has_indirect_call, 0
	.section	.AMDGPU.csdata,"",@progbits
; Kernel info:
; codeLenInByte = 0
; TotalNumSgprs: 0
; NumVgprs: 0
; ScratchSize: 0
; MemoryBound: 0
; FloatMode: 240
; IeeeMode: 1
; LDSByteSize: 0 bytes/workgroup (compile time only)
; SGPRBlocks: 0
; VGPRBlocks: 0
; NumSGPRsForWavesPerEU: 1
; NumVGPRsForWavesPerEU: 1
; NamedBarCnt: 0
; Occupancy: 16
; WaveLimiterHint : 0
; COMPUTE_PGM_RSRC2:SCRATCH_EN: 0
; COMPUTE_PGM_RSRC2:USER_SGPR: 2
; COMPUTE_PGM_RSRC2:TRAP_HANDLER: 0
; COMPUTE_PGM_RSRC2:TGID_X_EN: 1
; COMPUTE_PGM_RSRC2:TGID_Y_EN: 0
; COMPUTE_PGM_RSRC2:TGID_Z_EN: 0
; COMPUTE_PGM_RSRC2:TIDIG_COMP_CNT: 0
	.section	.text._ZN7rocprim17ROCPRIM_400000_NS6detail17trampoline_kernelINS0_14default_configENS1_25partition_config_selectorILNS1_17partition_subalgoE8EmNS0_10empty_typeEbEEZZNS1_14partition_implILS5_8ELb0ES3_jPKmPS6_PKS6_NS0_5tupleIJPmS6_EEENSE_IJSB_SB_EEENS0_18inequality_wrapperIN6hipcub16HIPCUB_304000_NS8EqualityEEEPlJS6_EEE10hipError_tPvRmT3_T4_T5_T6_T7_T9_mT8_P12ihipStream_tbDpT10_ENKUlT_T0_E_clISt17integral_constantIbLb1EES16_IbLb0EEEEDaS12_S13_EUlS12_E_NS1_11comp_targetILNS1_3genE9ELNS1_11target_archE1100ELNS1_3gpuE3ELNS1_3repE0EEENS1_30default_config_static_selectorELNS0_4arch9wavefront6targetE0EEEvT1_,"axG",@progbits,_ZN7rocprim17ROCPRIM_400000_NS6detail17trampoline_kernelINS0_14default_configENS1_25partition_config_selectorILNS1_17partition_subalgoE8EmNS0_10empty_typeEbEEZZNS1_14partition_implILS5_8ELb0ES3_jPKmPS6_PKS6_NS0_5tupleIJPmS6_EEENSE_IJSB_SB_EEENS0_18inequality_wrapperIN6hipcub16HIPCUB_304000_NS8EqualityEEEPlJS6_EEE10hipError_tPvRmT3_T4_T5_T6_T7_T9_mT8_P12ihipStream_tbDpT10_ENKUlT_T0_E_clISt17integral_constantIbLb1EES16_IbLb0EEEEDaS12_S13_EUlS12_E_NS1_11comp_targetILNS1_3genE9ELNS1_11target_archE1100ELNS1_3gpuE3ELNS1_3repE0EEENS1_30default_config_static_selectorELNS0_4arch9wavefront6targetE0EEEvT1_,comdat
	.protected	_ZN7rocprim17ROCPRIM_400000_NS6detail17trampoline_kernelINS0_14default_configENS1_25partition_config_selectorILNS1_17partition_subalgoE8EmNS0_10empty_typeEbEEZZNS1_14partition_implILS5_8ELb0ES3_jPKmPS6_PKS6_NS0_5tupleIJPmS6_EEENSE_IJSB_SB_EEENS0_18inequality_wrapperIN6hipcub16HIPCUB_304000_NS8EqualityEEEPlJS6_EEE10hipError_tPvRmT3_T4_T5_T6_T7_T9_mT8_P12ihipStream_tbDpT10_ENKUlT_T0_E_clISt17integral_constantIbLb1EES16_IbLb0EEEEDaS12_S13_EUlS12_E_NS1_11comp_targetILNS1_3genE9ELNS1_11target_archE1100ELNS1_3gpuE3ELNS1_3repE0EEENS1_30default_config_static_selectorELNS0_4arch9wavefront6targetE0EEEvT1_ ; -- Begin function _ZN7rocprim17ROCPRIM_400000_NS6detail17trampoline_kernelINS0_14default_configENS1_25partition_config_selectorILNS1_17partition_subalgoE8EmNS0_10empty_typeEbEEZZNS1_14partition_implILS5_8ELb0ES3_jPKmPS6_PKS6_NS0_5tupleIJPmS6_EEENSE_IJSB_SB_EEENS0_18inequality_wrapperIN6hipcub16HIPCUB_304000_NS8EqualityEEEPlJS6_EEE10hipError_tPvRmT3_T4_T5_T6_T7_T9_mT8_P12ihipStream_tbDpT10_ENKUlT_T0_E_clISt17integral_constantIbLb1EES16_IbLb0EEEEDaS12_S13_EUlS12_E_NS1_11comp_targetILNS1_3genE9ELNS1_11target_archE1100ELNS1_3gpuE3ELNS1_3repE0EEENS1_30default_config_static_selectorELNS0_4arch9wavefront6targetE0EEEvT1_
	.globl	_ZN7rocprim17ROCPRIM_400000_NS6detail17trampoline_kernelINS0_14default_configENS1_25partition_config_selectorILNS1_17partition_subalgoE8EmNS0_10empty_typeEbEEZZNS1_14partition_implILS5_8ELb0ES3_jPKmPS6_PKS6_NS0_5tupleIJPmS6_EEENSE_IJSB_SB_EEENS0_18inequality_wrapperIN6hipcub16HIPCUB_304000_NS8EqualityEEEPlJS6_EEE10hipError_tPvRmT3_T4_T5_T6_T7_T9_mT8_P12ihipStream_tbDpT10_ENKUlT_T0_E_clISt17integral_constantIbLb1EES16_IbLb0EEEEDaS12_S13_EUlS12_E_NS1_11comp_targetILNS1_3genE9ELNS1_11target_archE1100ELNS1_3gpuE3ELNS1_3repE0EEENS1_30default_config_static_selectorELNS0_4arch9wavefront6targetE0EEEvT1_
	.p2align	8
	.type	_ZN7rocprim17ROCPRIM_400000_NS6detail17trampoline_kernelINS0_14default_configENS1_25partition_config_selectorILNS1_17partition_subalgoE8EmNS0_10empty_typeEbEEZZNS1_14partition_implILS5_8ELb0ES3_jPKmPS6_PKS6_NS0_5tupleIJPmS6_EEENSE_IJSB_SB_EEENS0_18inequality_wrapperIN6hipcub16HIPCUB_304000_NS8EqualityEEEPlJS6_EEE10hipError_tPvRmT3_T4_T5_T6_T7_T9_mT8_P12ihipStream_tbDpT10_ENKUlT_T0_E_clISt17integral_constantIbLb1EES16_IbLb0EEEEDaS12_S13_EUlS12_E_NS1_11comp_targetILNS1_3genE9ELNS1_11target_archE1100ELNS1_3gpuE3ELNS1_3repE0EEENS1_30default_config_static_selectorELNS0_4arch9wavefront6targetE0EEEvT1_,@function
_ZN7rocprim17ROCPRIM_400000_NS6detail17trampoline_kernelINS0_14default_configENS1_25partition_config_selectorILNS1_17partition_subalgoE8EmNS0_10empty_typeEbEEZZNS1_14partition_implILS5_8ELb0ES3_jPKmPS6_PKS6_NS0_5tupleIJPmS6_EEENSE_IJSB_SB_EEENS0_18inequality_wrapperIN6hipcub16HIPCUB_304000_NS8EqualityEEEPlJS6_EEE10hipError_tPvRmT3_T4_T5_T6_T7_T9_mT8_P12ihipStream_tbDpT10_ENKUlT_T0_E_clISt17integral_constantIbLb1EES16_IbLb0EEEEDaS12_S13_EUlS12_E_NS1_11comp_targetILNS1_3genE9ELNS1_11target_archE1100ELNS1_3gpuE3ELNS1_3repE0EEENS1_30default_config_static_selectorELNS0_4arch9wavefront6targetE0EEEvT1_: ; @_ZN7rocprim17ROCPRIM_400000_NS6detail17trampoline_kernelINS0_14default_configENS1_25partition_config_selectorILNS1_17partition_subalgoE8EmNS0_10empty_typeEbEEZZNS1_14partition_implILS5_8ELb0ES3_jPKmPS6_PKS6_NS0_5tupleIJPmS6_EEENSE_IJSB_SB_EEENS0_18inequality_wrapperIN6hipcub16HIPCUB_304000_NS8EqualityEEEPlJS6_EEE10hipError_tPvRmT3_T4_T5_T6_T7_T9_mT8_P12ihipStream_tbDpT10_ENKUlT_T0_E_clISt17integral_constantIbLb1EES16_IbLb0EEEEDaS12_S13_EUlS12_E_NS1_11comp_targetILNS1_3genE9ELNS1_11target_archE1100ELNS1_3gpuE3ELNS1_3repE0EEENS1_30default_config_static_selectorELNS0_4arch9wavefront6targetE0EEEvT1_
; %bb.0:
	.section	.rodata,"a",@progbits
	.p2align	6, 0x0
	.amdhsa_kernel _ZN7rocprim17ROCPRIM_400000_NS6detail17trampoline_kernelINS0_14default_configENS1_25partition_config_selectorILNS1_17partition_subalgoE8EmNS0_10empty_typeEbEEZZNS1_14partition_implILS5_8ELb0ES3_jPKmPS6_PKS6_NS0_5tupleIJPmS6_EEENSE_IJSB_SB_EEENS0_18inequality_wrapperIN6hipcub16HIPCUB_304000_NS8EqualityEEEPlJS6_EEE10hipError_tPvRmT3_T4_T5_T6_T7_T9_mT8_P12ihipStream_tbDpT10_ENKUlT_T0_E_clISt17integral_constantIbLb1EES16_IbLb0EEEEDaS12_S13_EUlS12_E_NS1_11comp_targetILNS1_3genE9ELNS1_11target_archE1100ELNS1_3gpuE3ELNS1_3repE0EEENS1_30default_config_static_selectorELNS0_4arch9wavefront6targetE0EEEvT1_
		.amdhsa_group_segment_fixed_size 0
		.amdhsa_private_segment_fixed_size 0
		.amdhsa_kernarg_size 112
		.amdhsa_user_sgpr_count 2
		.amdhsa_user_sgpr_dispatch_ptr 0
		.amdhsa_user_sgpr_queue_ptr 0
		.amdhsa_user_sgpr_kernarg_segment_ptr 1
		.amdhsa_user_sgpr_dispatch_id 0
		.amdhsa_user_sgpr_kernarg_preload_length 0
		.amdhsa_user_sgpr_kernarg_preload_offset 0
		.amdhsa_user_sgpr_private_segment_size 0
		.amdhsa_wavefront_size32 1
		.amdhsa_uses_dynamic_stack 0
		.amdhsa_enable_private_segment 0
		.amdhsa_system_sgpr_workgroup_id_x 1
		.amdhsa_system_sgpr_workgroup_id_y 0
		.amdhsa_system_sgpr_workgroup_id_z 0
		.amdhsa_system_sgpr_workgroup_info 0
		.amdhsa_system_vgpr_workitem_id 0
		.amdhsa_next_free_vgpr 1
		.amdhsa_next_free_sgpr 1
		.amdhsa_named_barrier_count 0
		.amdhsa_reserve_vcc 0
		.amdhsa_float_round_mode_32 0
		.amdhsa_float_round_mode_16_64 0
		.amdhsa_float_denorm_mode_32 3
		.amdhsa_float_denorm_mode_16_64 3
		.amdhsa_fp16_overflow 0
		.amdhsa_memory_ordered 1
		.amdhsa_forward_progress 1
		.amdhsa_inst_pref_size 0
		.amdhsa_round_robin_scheduling 0
		.amdhsa_exception_fp_ieee_invalid_op 0
		.amdhsa_exception_fp_denorm_src 0
		.amdhsa_exception_fp_ieee_div_zero 0
		.amdhsa_exception_fp_ieee_overflow 0
		.amdhsa_exception_fp_ieee_underflow 0
		.amdhsa_exception_fp_ieee_inexact 0
		.amdhsa_exception_int_div_zero 0
	.end_amdhsa_kernel
	.section	.text._ZN7rocprim17ROCPRIM_400000_NS6detail17trampoline_kernelINS0_14default_configENS1_25partition_config_selectorILNS1_17partition_subalgoE8EmNS0_10empty_typeEbEEZZNS1_14partition_implILS5_8ELb0ES3_jPKmPS6_PKS6_NS0_5tupleIJPmS6_EEENSE_IJSB_SB_EEENS0_18inequality_wrapperIN6hipcub16HIPCUB_304000_NS8EqualityEEEPlJS6_EEE10hipError_tPvRmT3_T4_T5_T6_T7_T9_mT8_P12ihipStream_tbDpT10_ENKUlT_T0_E_clISt17integral_constantIbLb1EES16_IbLb0EEEEDaS12_S13_EUlS12_E_NS1_11comp_targetILNS1_3genE9ELNS1_11target_archE1100ELNS1_3gpuE3ELNS1_3repE0EEENS1_30default_config_static_selectorELNS0_4arch9wavefront6targetE0EEEvT1_,"axG",@progbits,_ZN7rocprim17ROCPRIM_400000_NS6detail17trampoline_kernelINS0_14default_configENS1_25partition_config_selectorILNS1_17partition_subalgoE8EmNS0_10empty_typeEbEEZZNS1_14partition_implILS5_8ELb0ES3_jPKmPS6_PKS6_NS0_5tupleIJPmS6_EEENSE_IJSB_SB_EEENS0_18inequality_wrapperIN6hipcub16HIPCUB_304000_NS8EqualityEEEPlJS6_EEE10hipError_tPvRmT3_T4_T5_T6_T7_T9_mT8_P12ihipStream_tbDpT10_ENKUlT_T0_E_clISt17integral_constantIbLb1EES16_IbLb0EEEEDaS12_S13_EUlS12_E_NS1_11comp_targetILNS1_3genE9ELNS1_11target_archE1100ELNS1_3gpuE3ELNS1_3repE0EEENS1_30default_config_static_selectorELNS0_4arch9wavefront6targetE0EEEvT1_,comdat
.Lfunc_end708:
	.size	_ZN7rocprim17ROCPRIM_400000_NS6detail17trampoline_kernelINS0_14default_configENS1_25partition_config_selectorILNS1_17partition_subalgoE8EmNS0_10empty_typeEbEEZZNS1_14partition_implILS5_8ELb0ES3_jPKmPS6_PKS6_NS0_5tupleIJPmS6_EEENSE_IJSB_SB_EEENS0_18inequality_wrapperIN6hipcub16HIPCUB_304000_NS8EqualityEEEPlJS6_EEE10hipError_tPvRmT3_T4_T5_T6_T7_T9_mT8_P12ihipStream_tbDpT10_ENKUlT_T0_E_clISt17integral_constantIbLb1EES16_IbLb0EEEEDaS12_S13_EUlS12_E_NS1_11comp_targetILNS1_3genE9ELNS1_11target_archE1100ELNS1_3gpuE3ELNS1_3repE0EEENS1_30default_config_static_selectorELNS0_4arch9wavefront6targetE0EEEvT1_, .Lfunc_end708-_ZN7rocprim17ROCPRIM_400000_NS6detail17trampoline_kernelINS0_14default_configENS1_25partition_config_selectorILNS1_17partition_subalgoE8EmNS0_10empty_typeEbEEZZNS1_14partition_implILS5_8ELb0ES3_jPKmPS6_PKS6_NS0_5tupleIJPmS6_EEENSE_IJSB_SB_EEENS0_18inequality_wrapperIN6hipcub16HIPCUB_304000_NS8EqualityEEEPlJS6_EEE10hipError_tPvRmT3_T4_T5_T6_T7_T9_mT8_P12ihipStream_tbDpT10_ENKUlT_T0_E_clISt17integral_constantIbLb1EES16_IbLb0EEEEDaS12_S13_EUlS12_E_NS1_11comp_targetILNS1_3genE9ELNS1_11target_archE1100ELNS1_3gpuE3ELNS1_3repE0EEENS1_30default_config_static_selectorELNS0_4arch9wavefront6targetE0EEEvT1_
                                        ; -- End function
	.set _ZN7rocprim17ROCPRIM_400000_NS6detail17trampoline_kernelINS0_14default_configENS1_25partition_config_selectorILNS1_17partition_subalgoE8EmNS0_10empty_typeEbEEZZNS1_14partition_implILS5_8ELb0ES3_jPKmPS6_PKS6_NS0_5tupleIJPmS6_EEENSE_IJSB_SB_EEENS0_18inequality_wrapperIN6hipcub16HIPCUB_304000_NS8EqualityEEEPlJS6_EEE10hipError_tPvRmT3_T4_T5_T6_T7_T9_mT8_P12ihipStream_tbDpT10_ENKUlT_T0_E_clISt17integral_constantIbLb1EES16_IbLb0EEEEDaS12_S13_EUlS12_E_NS1_11comp_targetILNS1_3genE9ELNS1_11target_archE1100ELNS1_3gpuE3ELNS1_3repE0EEENS1_30default_config_static_selectorELNS0_4arch9wavefront6targetE0EEEvT1_.num_vgpr, 0
	.set _ZN7rocprim17ROCPRIM_400000_NS6detail17trampoline_kernelINS0_14default_configENS1_25partition_config_selectorILNS1_17partition_subalgoE8EmNS0_10empty_typeEbEEZZNS1_14partition_implILS5_8ELb0ES3_jPKmPS6_PKS6_NS0_5tupleIJPmS6_EEENSE_IJSB_SB_EEENS0_18inequality_wrapperIN6hipcub16HIPCUB_304000_NS8EqualityEEEPlJS6_EEE10hipError_tPvRmT3_T4_T5_T6_T7_T9_mT8_P12ihipStream_tbDpT10_ENKUlT_T0_E_clISt17integral_constantIbLb1EES16_IbLb0EEEEDaS12_S13_EUlS12_E_NS1_11comp_targetILNS1_3genE9ELNS1_11target_archE1100ELNS1_3gpuE3ELNS1_3repE0EEENS1_30default_config_static_selectorELNS0_4arch9wavefront6targetE0EEEvT1_.num_agpr, 0
	.set _ZN7rocprim17ROCPRIM_400000_NS6detail17trampoline_kernelINS0_14default_configENS1_25partition_config_selectorILNS1_17partition_subalgoE8EmNS0_10empty_typeEbEEZZNS1_14partition_implILS5_8ELb0ES3_jPKmPS6_PKS6_NS0_5tupleIJPmS6_EEENSE_IJSB_SB_EEENS0_18inequality_wrapperIN6hipcub16HIPCUB_304000_NS8EqualityEEEPlJS6_EEE10hipError_tPvRmT3_T4_T5_T6_T7_T9_mT8_P12ihipStream_tbDpT10_ENKUlT_T0_E_clISt17integral_constantIbLb1EES16_IbLb0EEEEDaS12_S13_EUlS12_E_NS1_11comp_targetILNS1_3genE9ELNS1_11target_archE1100ELNS1_3gpuE3ELNS1_3repE0EEENS1_30default_config_static_selectorELNS0_4arch9wavefront6targetE0EEEvT1_.numbered_sgpr, 0
	.set _ZN7rocprim17ROCPRIM_400000_NS6detail17trampoline_kernelINS0_14default_configENS1_25partition_config_selectorILNS1_17partition_subalgoE8EmNS0_10empty_typeEbEEZZNS1_14partition_implILS5_8ELb0ES3_jPKmPS6_PKS6_NS0_5tupleIJPmS6_EEENSE_IJSB_SB_EEENS0_18inequality_wrapperIN6hipcub16HIPCUB_304000_NS8EqualityEEEPlJS6_EEE10hipError_tPvRmT3_T4_T5_T6_T7_T9_mT8_P12ihipStream_tbDpT10_ENKUlT_T0_E_clISt17integral_constantIbLb1EES16_IbLb0EEEEDaS12_S13_EUlS12_E_NS1_11comp_targetILNS1_3genE9ELNS1_11target_archE1100ELNS1_3gpuE3ELNS1_3repE0EEENS1_30default_config_static_selectorELNS0_4arch9wavefront6targetE0EEEvT1_.num_named_barrier, 0
	.set _ZN7rocprim17ROCPRIM_400000_NS6detail17trampoline_kernelINS0_14default_configENS1_25partition_config_selectorILNS1_17partition_subalgoE8EmNS0_10empty_typeEbEEZZNS1_14partition_implILS5_8ELb0ES3_jPKmPS6_PKS6_NS0_5tupleIJPmS6_EEENSE_IJSB_SB_EEENS0_18inequality_wrapperIN6hipcub16HIPCUB_304000_NS8EqualityEEEPlJS6_EEE10hipError_tPvRmT3_T4_T5_T6_T7_T9_mT8_P12ihipStream_tbDpT10_ENKUlT_T0_E_clISt17integral_constantIbLb1EES16_IbLb0EEEEDaS12_S13_EUlS12_E_NS1_11comp_targetILNS1_3genE9ELNS1_11target_archE1100ELNS1_3gpuE3ELNS1_3repE0EEENS1_30default_config_static_selectorELNS0_4arch9wavefront6targetE0EEEvT1_.private_seg_size, 0
	.set _ZN7rocprim17ROCPRIM_400000_NS6detail17trampoline_kernelINS0_14default_configENS1_25partition_config_selectorILNS1_17partition_subalgoE8EmNS0_10empty_typeEbEEZZNS1_14partition_implILS5_8ELb0ES3_jPKmPS6_PKS6_NS0_5tupleIJPmS6_EEENSE_IJSB_SB_EEENS0_18inequality_wrapperIN6hipcub16HIPCUB_304000_NS8EqualityEEEPlJS6_EEE10hipError_tPvRmT3_T4_T5_T6_T7_T9_mT8_P12ihipStream_tbDpT10_ENKUlT_T0_E_clISt17integral_constantIbLb1EES16_IbLb0EEEEDaS12_S13_EUlS12_E_NS1_11comp_targetILNS1_3genE9ELNS1_11target_archE1100ELNS1_3gpuE3ELNS1_3repE0EEENS1_30default_config_static_selectorELNS0_4arch9wavefront6targetE0EEEvT1_.uses_vcc, 0
	.set _ZN7rocprim17ROCPRIM_400000_NS6detail17trampoline_kernelINS0_14default_configENS1_25partition_config_selectorILNS1_17partition_subalgoE8EmNS0_10empty_typeEbEEZZNS1_14partition_implILS5_8ELb0ES3_jPKmPS6_PKS6_NS0_5tupleIJPmS6_EEENSE_IJSB_SB_EEENS0_18inequality_wrapperIN6hipcub16HIPCUB_304000_NS8EqualityEEEPlJS6_EEE10hipError_tPvRmT3_T4_T5_T6_T7_T9_mT8_P12ihipStream_tbDpT10_ENKUlT_T0_E_clISt17integral_constantIbLb1EES16_IbLb0EEEEDaS12_S13_EUlS12_E_NS1_11comp_targetILNS1_3genE9ELNS1_11target_archE1100ELNS1_3gpuE3ELNS1_3repE0EEENS1_30default_config_static_selectorELNS0_4arch9wavefront6targetE0EEEvT1_.uses_flat_scratch, 0
	.set _ZN7rocprim17ROCPRIM_400000_NS6detail17trampoline_kernelINS0_14default_configENS1_25partition_config_selectorILNS1_17partition_subalgoE8EmNS0_10empty_typeEbEEZZNS1_14partition_implILS5_8ELb0ES3_jPKmPS6_PKS6_NS0_5tupleIJPmS6_EEENSE_IJSB_SB_EEENS0_18inequality_wrapperIN6hipcub16HIPCUB_304000_NS8EqualityEEEPlJS6_EEE10hipError_tPvRmT3_T4_T5_T6_T7_T9_mT8_P12ihipStream_tbDpT10_ENKUlT_T0_E_clISt17integral_constantIbLb1EES16_IbLb0EEEEDaS12_S13_EUlS12_E_NS1_11comp_targetILNS1_3genE9ELNS1_11target_archE1100ELNS1_3gpuE3ELNS1_3repE0EEENS1_30default_config_static_selectorELNS0_4arch9wavefront6targetE0EEEvT1_.has_dyn_sized_stack, 0
	.set _ZN7rocprim17ROCPRIM_400000_NS6detail17trampoline_kernelINS0_14default_configENS1_25partition_config_selectorILNS1_17partition_subalgoE8EmNS0_10empty_typeEbEEZZNS1_14partition_implILS5_8ELb0ES3_jPKmPS6_PKS6_NS0_5tupleIJPmS6_EEENSE_IJSB_SB_EEENS0_18inequality_wrapperIN6hipcub16HIPCUB_304000_NS8EqualityEEEPlJS6_EEE10hipError_tPvRmT3_T4_T5_T6_T7_T9_mT8_P12ihipStream_tbDpT10_ENKUlT_T0_E_clISt17integral_constantIbLb1EES16_IbLb0EEEEDaS12_S13_EUlS12_E_NS1_11comp_targetILNS1_3genE9ELNS1_11target_archE1100ELNS1_3gpuE3ELNS1_3repE0EEENS1_30default_config_static_selectorELNS0_4arch9wavefront6targetE0EEEvT1_.has_recursion, 0
	.set _ZN7rocprim17ROCPRIM_400000_NS6detail17trampoline_kernelINS0_14default_configENS1_25partition_config_selectorILNS1_17partition_subalgoE8EmNS0_10empty_typeEbEEZZNS1_14partition_implILS5_8ELb0ES3_jPKmPS6_PKS6_NS0_5tupleIJPmS6_EEENSE_IJSB_SB_EEENS0_18inequality_wrapperIN6hipcub16HIPCUB_304000_NS8EqualityEEEPlJS6_EEE10hipError_tPvRmT3_T4_T5_T6_T7_T9_mT8_P12ihipStream_tbDpT10_ENKUlT_T0_E_clISt17integral_constantIbLb1EES16_IbLb0EEEEDaS12_S13_EUlS12_E_NS1_11comp_targetILNS1_3genE9ELNS1_11target_archE1100ELNS1_3gpuE3ELNS1_3repE0EEENS1_30default_config_static_selectorELNS0_4arch9wavefront6targetE0EEEvT1_.has_indirect_call, 0
	.section	.AMDGPU.csdata,"",@progbits
; Kernel info:
; codeLenInByte = 0
; TotalNumSgprs: 0
; NumVgprs: 0
; ScratchSize: 0
; MemoryBound: 0
; FloatMode: 240
; IeeeMode: 1
; LDSByteSize: 0 bytes/workgroup (compile time only)
; SGPRBlocks: 0
; VGPRBlocks: 0
; NumSGPRsForWavesPerEU: 1
; NumVGPRsForWavesPerEU: 1
; NamedBarCnt: 0
; Occupancy: 16
; WaveLimiterHint : 0
; COMPUTE_PGM_RSRC2:SCRATCH_EN: 0
; COMPUTE_PGM_RSRC2:USER_SGPR: 2
; COMPUTE_PGM_RSRC2:TRAP_HANDLER: 0
; COMPUTE_PGM_RSRC2:TGID_X_EN: 1
; COMPUTE_PGM_RSRC2:TGID_Y_EN: 0
; COMPUTE_PGM_RSRC2:TGID_Z_EN: 0
; COMPUTE_PGM_RSRC2:TIDIG_COMP_CNT: 0
	.section	.text._ZN7rocprim17ROCPRIM_400000_NS6detail17trampoline_kernelINS0_14default_configENS1_25partition_config_selectorILNS1_17partition_subalgoE8EmNS0_10empty_typeEbEEZZNS1_14partition_implILS5_8ELb0ES3_jPKmPS6_PKS6_NS0_5tupleIJPmS6_EEENSE_IJSB_SB_EEENS0_18inequality_wrapperIN6hipcub16HIPCUB_304000_NS8EqualityEEEPlJS6_EEE10hipError_tPvRmT3_T4_T5_T6_T7_T9_mT8_P12ihipStream_tbDpT10_ENKUlT_T0_E_clISt17integral_constantIbLb1EES16_IbLb0EEEEDaS12_S13_EUlS12_E_NS1_11comp_targetILNS1_3genE8ELNS1_11target_archE1030ELNS1_3gpuE2ELNS1_3repE0EEENS1_30default_config_static_selectorELNS0_4arch9wavefront6targetE0EEEvT1_,"axG",@progbits,_ZN7rocprim17ROCPRIM_400000_NS6detail17trampoline_kernelINS0_14default_configENS1_25partition_config_selectorILNS1_17partition_subalgoE8EmNS0_10empty_typeEbEEZZNS1_14partition_implILS5_8ELb0ES3_jPKmPS6_PKS6_NS0_5tupleIJPmS6_EEENSE_IJSB_SB_EEENS0_18inequality_wrapperIN6hipcub16HIPCUB_304000_NS8EqualityEEEPlJS6_EEE10hipError_tPvRmT3_T4_T5_T6_T7_T9_mT8_P12ihipStream_tbDpT10_ENKUlT_T0_E_clISt17integral_constantIbLb1EES16_IbLb0EEEEDaS12_S13_EUlS12_E_NS1_11comp_targetILNS1_3genE8ELNS1_11target_archE1030ELNS1_3gpuE2ELNS1_3repE0EEENS1_30default_config_static_selectorELNS0_4arch9wavefront6targetE0EEEvT1_,comdat
	.protected	_ZN7rocprim17ROCPRIM_400000_NS6detail17trampoline_kernelINS0_14default_configENS1_25partition_config_selectorILNS1_17partition_subalgoE8EmNS0_10empty_typeEbEEZZNS1_14partition_implILS5_8ELb0ES3_jPKmPS6_PKS6_NS0_5tupleIJPmS6_EEENSE_IJSB_SB_EEENS0_18inequality_wrapperIN6hipcub16HIPCUB_304000_NS8EqualityEEEPlJS6_EEE10hipError_tPvRmT3_T4_T5_T6_T7_T9_mT8_P12ihipStream_tbDpT10_ENKUlT_T0_E_clISt17integral_constantIbLb1EES16_IbLb0EEEEDaS12_S13_EUlS12_E_NS1_11comp_targetILNS1_3genE8ELNS1_11target_archE1030ELNS1_3gpuE2ELNS1_3repE0EEENS1_30default_config_static_selectorELNS0_4arch9wavefront6targetE0EEEvT1_ ; -- Begin function _ZN7rocprim17ROCPRIM_400000_NS6detail17trampoline_kernelINS0_14default_configENS1_25partition_config_selectorILNS1_17partition_subalgoE8EmNS0_10empty_typeEbEEZZNS1_14partition_implILS5_8ELb0ES3_jPKmPS6_PKS6_NS0_5tupleIJPmS6_EEENSE_IJSB_SB_EEENS0_18inequality_wrapperIN6hipcub16HIPCUB_304000_NS8EqualityEEEPlJS6_EEE10hipError_tPvRmT3_T4_T5_T6_T7_T9_mT8_P12ihipStream_tbDpT10_ENKUlT_T0_E_clISt17integral_constantIbLb1EES16_IbLb0EEEEDaS12_S13_EUlS12_E_NS1_11comp_targetILNS1_3genE8ELNS1_11target_archE1030ELNS1_3gpuE2ELNS1_3repE0EEENS1_30default_config_static_selectorELNS0_4arch9wavefront6targetE0EEEvT1_
	.globl	_ZN7rocprim17ROCPRIM_400000_NS6detail17trampoline_kernelINS0_14default_configENS1_25partition_config_selectorILNS1_17partition_subalgoE8EmNS0_10empty_typeEbEEZZNS1_14partition_implILS5_8ELb0ES3_jPKmPS6_PKS6_NS0_5tupleIJPmS6_EEENSE_IJSB_SB_EEENS0_18inequality_wrapperIN6hipcub16HIPCUB_304000_NS8EqualityEEEPlJS6_EEE10hipError_tPvRmT3_T4_T5_T6_T7_T9_mT8_P12ihipStream_tbDpT10_ENKUlT_T0_E_clISt17integral_constantIbLb1EES16_IbLb0EEEEDaS12_S13_EUlS12_E_NS1_11comp_targetILNS1_3genE8ELNS1_11target_archE1030ELNS1_3gpuE2ELNS1_3repE0EEENS1_30default_config_static_selectorELNS0_4arch9wavefront6targetE0EEEvT1_
	.p2align	8
	.type	_ZN7rocprim17ROCPRIM_400000_NS6detail17trampoline_kernelINS0_14default_configENS1_25partition_config_selectorILNS1_17partition_subalgoE8EmNS0_10empty_typeEbEEZZNS1_14partition_implILS5_8ELb0ES3_jPKmPS6_PKS6_NS0_5tupleIJPmS6_EEENSE_IJSB_SB_EEENS0_18inequality_wrapperIN6hipcub16HIPCUB_304000_NS8EqualityEEEPlJS6_EEE10hipError_tPvRmT3_T4_T5_T6_T7_T9_mT8_P12ihipStream_tbDpT10_ENKUlT_T0_E_clISt17integral_constantIbLb1EES16_IbLb0EEEEDaS12_S13_EUlS12_E_NS1_11comp_targetILNS1_3genE8ELNS1_11target_archE1030ELNS1_3gpuE2ELNS1_3repE0EEENS1_30default_config_static_selectorELNS0_4arch9wavefront6targetE0EEEvT1_,@function
_ZN7rocprim17ROCPRIM_400000_NS6detail17trampoline_kernelINS0_14default_configENS1_25partition_config_selectorILNS1_17partition_subalgoE8EmNS0_10empty_typeEbEEZZNS1_14partition_implILS5_8ELb0ES3_jPKmPS6_PKS6_NS0_5tupleIJPmS6_EEENSE_IJSB_SB_EEENS0_18inequality_wrapperIN6hipcub16HIPCUB_304000_NS8EqualityEEEPlJS6_EEE10hipError_tPvRmT3_T4_T5_T6_T7_T9_mT8_P12ihipStream_tbDpT10_ENKUlT_T0_E_clISt17integral_constantIbLb1EES16_IbLb0EEEEDaS12_S13_EUlS12_E_NS1_11comp_targetILNS1_3genE8ELNS1_11target_archE1030ELNS1_3gpuE2ELNS1_3repE0EEENS1_30default_config_static_selectorELNS0_4arch9wavefront6targetE0EEEvT1_: ; @_ZN7rocprim17ROCPRIM_400000_NS6detail17trampoline_kernelINS0_14default_configENS1_25partition_config_selectorILNS1_17partition_subalgoE8EmNS0_10empty_typeEbEEZZNS1_14partition_implILS5_8ELb0ES3_jPKmPS6_PKS6_NS0_5tupleIJPmS6_EEENSE_IJSB_SB_EEENS0_18inequality_wrapperIN6hipcub16HIPCUB_304000_NS8EqualityEEEPlJS6_EEE10hipError_tPvRmT3_T4_T5_T6_T7_T9_mT8_P12ihipStream_tbDpT10_ENKUlT_T0_E_clISt17integral_constantIbLb1EES16_IbLb0EEEEDaS12_S13_EUlS12_E_NS1_11comp_targetILNS1_3genE8ELNS1_11target_archE1030ELNS1_3gpuE2ELNS1_3repE0EEENS1_30default_config_static_selectorELNS0_4arch9wavefront6targetE0EEEvT1_
; %bb.0:
	.section	.rodata,"a",@progbits
	.p2align	6, 0x0
	.amdhsa_kernel _ZN7rocprim17ROCPRIM_400000_NS6detail17trampoline_kernelINS0_14default_configENS1_25partition_config_selectorILNS1_17partition_subalgoE8EmNS0_10empty_typeEbEEZZNS1_14partition_implILS5_8ELb0ES3_jPKmPS6_PKS6_NS0_5tupleIJPmS6_EEENSE_IJSB_SB_EEENS0_18inequality_wrapperIN6hipcub16HIPCUB_304000_NS8EqualityEEEPlJS6_EEE10hipError_tPvRmT3_T4_T5_T6_T7_T9_mT8_P12ihipStream_tbDpT10_ENKUlT_T0_E_clISt17integral_constantIbLb1EES16_IbLb0EEEEDaS12_S13_EUlS12_E_NS1_11comp_targetILNS1_3genE8ELNS1_11target_archE1030ELNS1_3gpuE2ELNS1_3repE0EEENS1_30default_config_static_selectorELNS0_4arch9wavefront6targetE0EEEvT1_
		.amdhsa_group_segment_fixed_size 0
		.amdhsa_private_segment_fixed_size 0
		.amdhsa_kernarg_size 112
		.amdhsa_user_sgpr_count 2
		.amdhsa_user_sgpr_dispatch_ptr 0
		.amdhsa_user_sgpr_queue_ptr 0
		.amdhsa_user_sgpr_kernarg_segment_ptr 1
		.amdhsa_user_sgpr_dispatch_id 0
		.amdhsa_user_sgpr_kernarg_preload_length 0
		.amdhsa_user_sgpr_kernarg_preload_offset 0
		.amdhsa_user_sgpr_private_segment_size 0
		.amdhsa_wavefront_size32 1
		.amdhsa_uses_dynamic_stack 0
		.amdhsa_enable_private_segment 0
		.amdhsa_system_sgpr_workgroup_id_x 1
		.amdhsa_system_sgpr_workgroup_id_y 0
		.amdhsa_system_sgpr_workgroup_id_z 0
		.amdhsa_system_sgpr_workgroup_info 0
		.amdhsa_system_vgpr_workitem_id 0
		.amdhsa_next_free_vgpr 1
		.amdhsa_next_free_sgpr 1
		.amdhsa_named_barrier_count 0
		.amdhsa_reserve_vcc 0
		.amdhsa_float_round_mode_32 0
		.amdhsa_float_round_mode_16_64 0
		.amdhsa_float_denorm_mode_32 3
		.amdhsa_float_denorm_mode_16_64 3
		.amdhsa_fp16_overflow 0
		.amdhsa_memory_ordered 1
		.amdhsa_forward_progress 1
		.amdhsa_inst_pref_size 0
		.amdhsa_round_robin_scheduling 0
		.amdhsa_exception_fp_ieee_invalid_op 0
		.amdhsa_exception_fp_denorm_src 0
		.amdhsa_exception_fp_ieee_div_zero 0
		.amdhsa_exception_fp_ieee_overflow 0
		.amdhsa_exception_fp_ieee_underflow 0
		.amdhsa_exception_fp_ieee_inexact 0
		.amdhsa_exception_int_div_zero 0
	.end_amdhsa_kernel
	.section	.text._ZN7rocprim17ROCPRIM_400000_NS6detail17trampoline_kernelINS0_14default_configENS1_25partition_config_selectorILNS1_17partition_subalgoE8EmNS0_10empty_typeEbEEZZNS1_14partition_implILS5_8ELb0ES3_jPKmPS6_PKS6_NS0_5tupleIJPmS6_EEENSE_IJSB_SB_EEENS0_18inequality_wrapperIN6hipcub16HIPCUB_304000_NS8EqualityEEEPlJS6_EEE10hipError_tPvRmT3_T4_T5_T6_T7_T9_mT8_P12ihipStream_tbDpT10_ENKUlT_T0_E_clISt17integral_constantIbLb1EES16_IbLb0EEEEDaS12_S13_EUlS12_E_NS1_11comp_targetILNS1_3genE8ELNS1_11target_archE1030ELNS1_3gpuE2ELNS1_3repE0EEENS1_30default_config_static_selectorELNS0_4arch9wavefront6targetE0EEEvT1_,"axG",@progbits,_ZN7rocprim17ROCPRIM_400000_NS6detail17trampoline_kernelINS0_14default_configENS1_25partition_config_selectorILNS1_17partition_subalgoE8EmNS0_10empty_typeEbEEZZNS1_14partition_implILS5_8ELb0ES3_jPKmPS6_PKS6_NS0_5tupleIJPmS6_EEENSE_IJSB_SB_EEENS0_18inequality_wrapperIN6hipcub16HIPCUB_304000_NS8EqualityEEEPlJS6_EEE10hipError_tPvRmT3_T4_T5_T6_T7_T9_mT8_P12ihipStream_tbDpT10_ENKUlT_T0_E_clISt17integral_constantIbLb1EES16_IbLb0EEEEDaS12_S13_EUlS12_E_NS1_11comp_targetILNS1_3genE8ELNS1_11target_archE1030ELNS1_3gpuE2ELNS1_3repE0EEENS1_30default_config_static_selectorELNS0_4arch9wavefront6targetE0EEEvT1_,comdat
.Lfunc_end709:
	.size	_ZN7rocprim17ROCPRIM_400000_NS6detail17trampoline_kernelINS0_14default_configENS1_25partition_config_selectorILNS1_17partition_subalgoE8EmNS0_10empty_typeEbEEZZNS1_14partition_implILS5_8ELb0ES3_jPKmPS6_PKS6_NS0_5tupleIJPmS6_EEENSE_IJSB_SB_EEENS0_18inequality_wrapperIN6hipcub16HIPCUB_304000_NS8EqualityEEEPlJS6_EEE10hipError_tPvRmT3_T4_T5_T6_T7_T9_mT8_P12ihipStream_tbDpT10_ENKUlT_T0_E_clISt17integral_constantIbLb1EES16_IbLb0EEEEDaS12_S13_EUlS12_E_NS1_11comp_targetILNS1_3genE8ELNS1_11target_archE1030ELNS1_3gpuE2ELNS1_3repE0EEENS1_30default_config_static_selectorELNS0_4arch9wavefront6targetE0EEEvT1_, .Lfunc_end709-_ZN7rocprim17ROCPRIM_400000_NS6detail17trampoline_kernelINS0_14default_configENS1_25partition_config_selectorILNS1_17partition_subalgoE8EmNS0_10empty_typeEbEEZZNS1_14partition_implILS5_8ELb0ES3_jPKmPS6_PKS6_NS0_5tupleIJPmS6_EEENSE_IJSB_SB_EEENS0_18inequality_wrapperIN6hipcub16HIPCUB_304000_NS8EqualityEEEPlJS6_EEE10hipError_tPvRmT3_T4_T5_T6_T7_T9_mT8_P12ihipStream_tbDpT10_ENKUlT_T0_E_clISt17integral_constantIbLb1EES16_IbLb0EEEEDaS12_S13_EUlS12_E_NS1_11comp_targetILNS1_3genE8ELNS1_11target_archE1030ELNS1_3gpuE2ELNS1_3repE0EEENS1_30default_config_static_selectorELNS0_4arch9wavefront6targetE0EEEvT1_
                                        ; -- End function
	.set _ZN7rocprim17ROCPRIM_400000_NS6detail17trampoline_kernelINS0_14default_configENS1_25partition_config_selectorILNS1_17partition_subalgoE8EmNS0_10empty_typeEbEEZZNS1_14partition_implILS5_8ELb0ES3_jPKmPS6_PKS6_NS0_5tupleIJPmS6_EEENSE_IJSB_SB_EEENS0_18inequality_wrapperIN6hipcub16HIPCUB_304000_NS8EqualityEEEPlJS6_EEE10hipError_tPvRmT3_T4_T5_T6_T7_T9_mT8_P12ihipStream_tbDpT10_ENKUlT_T0_E_clISt17integral_constantIbLb1EES16_IbLb0EEEEDaS12_S13_EUlS12_E_NS1_11comp_targetILNS1_3genE8ELNS1_11target_archE1030ELNS1_3gpuE2ELNS1_3repE0EEENS1_30default_config_static_selectorELNS0_4arch9wavefront6targetE0EEEvT1_.num_vgpr, 0
	.set _ZN7rocprim17ROCPRIM_400000_NS6detail17trampoline_kernelINS0_14default_configENS1_25partition_config_selectorILNS1_17partition_subalgoE8EmNS0_10empty_typeEbEEZZNS1_14partition_implILS5_8ELb0ES3_jPKmPS6_PKS6_NS0_5tupleIJPmS6_EEENSE_IJSB_SB_EEENS0_18inequality_wrapperIN6hipcub16HIPCUB_304000_NS8EqualityEEEPlJS6_EEE10hipError_tPvRmT3_T4_T5_T6_T7_T9_mT8_P12ihipStream_tbDpT10_ENKUlT_T0_E_clISt17integral_constantIbLb1EES16_IbLb0EEEEDaS12_S13_EUlS12_E_NS1_11comp_targetILNS1_3genE8ELNS1_11target_archE1030ELNS1_3gpuE2ELNS1_3repE0EEENS1_30default_config_static_selectorELNS0_4arch9wavefront6targetE0EEEvT1_.num_agpr, 0
	.set _ZN7rocprim17ROCPRIM_400000_NS6detail17trampoline_kernelINS0_14default_configENS1_25partition_config_selectorILNS1_17partition_subalgoE8EmNS0_10empty_typeEbEEZZNS1_14partition_implILS5_8ELb0ES3_jPKmPS6_PKS6_NS0_5tupleIJPmS6_EEENSE_IJSB_SB_EEENS0_18inequality_wrapperIN6hipcub16HIPCUB_304000_NS8EqualityEEEPlJS6_EEE10hipError_tPvRmT3_T4_T5_T6_T7_T9_mT8_P12ihipStream_tbDpT10_ENKUlT_T0_E_clISt17integral_constantIbLb1EES16_IbLb0EEEEDaS12_S13_EUlS12_E_NS1_11comp_targetILNS1_3genE8ELNS1_11target_archE1030ELNS1_3gpuE2ELNS1_3repE0EEENS1_30default_config_static_selectorELNS0_4arch9wavefront6targetE0EEEvT1_.numbered_sgpr, 0
	.set _ZN7rocprim17ROCPRIM_400000_NS6detail17trampoline_kernelINS0_14default_configENS1_25partition_config_selectorILNS1_17partition_subalgoE8EmNS0_10empty_typeEbEEZZNS1_14partition_implILS5_8ELb0ES3_jPKmPS6_PKS6_NS0_5tupleIJPmS6_EEENSE_IJSB_SB_EEENS0_18inequality_wrapperIN6hipcub16HIPCUB_304000_NS8EqualityEEEPlJS6_EEE10hipError_tPvRmT3_T4_T5_T6_T7_T9_mT8_P12ihipStream_tbDpT10_ENKUlT_T0_E_clISt17integral_constantIbLb1EES16_IbLb0EEEEDaS12_S13_EUlS12_E_NS1_11comp_targetILNS1_3genE8ELNS1_11target_archE1030ELNS1_3gpuE2ELNS1_3repE0EEENS1_30default_config_static_selectorELNS0_4arch9wavefront6targetE0EEEvT1_.num_named_barrier, 0
	.set _ZN7rocprim17ROCPRIM_400000_NS6detail17trampoline_kernelINS0_14default_configENS1_25partition_config_selectorILNS1_17partition_subalgoE8EmNS0_10empty_typeEbEEZZNS1_14partition_implILS5_8ELb0ES3_jPKmPS6_PKS6_NS0_5tupleIJPmS6_EEENSE_IJSB_SB_EEENS0_18inequality_wrapperIN6hipcub16HIPCUB_304000_NS8EqualityEEEPlJS6_EEE10hipError_tPvRmT3_T4_T5_T6_T7_T9_mT8_P12ihipStream_tbDpT10_ENKUlT_T0_E_clISt17integral_constantIbLb1EES16_IbLb0EEEEDaS12_S13_EUlS12_E_NS1_11comp_targetILNS1_3genE8ELNS1_11target_archE1030ELNS1_3gpuE2ELNS1_3repE0EEENS1_30default_config_static_selectorELNS0_4arch9wavefront6targetE0EEEvT1_.private_seg_size, 0
	.set _ZN7rocprim17ROCPRIM_400000_NS6detail17trampoline_kernelINS0_14default_configENS1_25partition_config_selectorILNS1_17partition_subalgoE8EmNS0_10empty_typeEbEEZZNS1_14partition_implILS5_8ELb0ES3_jPKmPS6_PKS6_NS0_5tupleIJPmS6_EEENSE_IJSB_SB_EEENS0_18inequality_wrapperIN6hipcub16HIPCUB_304000_NS8EqualityEEEPlJS6_EEE10hipError_tPvRmT3_T4_T5_T6_T7_T9_mT8_P12ihipStream_tbDpT10_ENKUlT_T0_E_clISt17integral_constantIbLb1EES16_IbLb0EEEEDaS12_S13_EUlS12_E_NS1_11comp_targetILNS1_3genE8ELNS1_11target_archE1030ELNS1_3gpuE2ELNS1_3repE0EEENS1_30default_config_static_selectorELNS0_4arch9wavefront6targetE0EEEvT1_.uses_vcc, 0
	.set _ZN7rocprim17ROCPRIM_400000_NS6detail17trampoline_kernelINS0_14default_configENS1_25partition_config_selectorILNS1_17partition_subalgoE8EmNS0_10empty_typeEbEEZZNS1_14partition_implILS5_8ELb0ES3_jPKmPS6_PKS6_NS0_5tupleIJPmS6_EEENSE_IJSB_SB_EEENS0_18inequality_wrapperIN6hipcub16HIPCUB_304000_NS8EqualityEEEPlJS6_EEE10hipError_tPvRmT3_T4_T5_T6_T7_T9_mT8_P12ihipStream_tbDpT10_ENKUlT_T0_E_clISt17integral_constantIbLb1EES16_IbLb0EEEEDaS12_S13_EUlS12_E_NS1_11comp_targetILNS1_3genE8ELNS1_11target_archE1030ELNS1_3gpuE2ELNS1_3repE0EEENS1_30default_config_static_selectorELNS0_4arch9wavefront6targetE0EEEvT1_.uses_flat_scratch, 0
	.set _ZN7rocprim17ROCPRIM_400000_NS6detail17trampoline_kernelINS0_14default_configENS1_25partition_config_selectorILNS1_17partition_subalgoE8EmNS0_10empty_typeEbEEZZNS1_14partition_implILS5_8ELb0ES3_jPKmPS6_PKS6_NS0_5tupleIJPmS6_EEENSE_IJSB_SB_EEENS0_18inequality_wrapperIN6hipcub16HIPCUB_304000_NS8EqualityEEEPlJS6_EEE10hipError_tPvRmT3_T4_T5_T6_T7_T9_mT8_P12ihipStream_tbDpT10_ENKUlT_T0_E_clISt17integral_constantIbLb1EES16_IbLb0EEEEDaS12_S13_EUlS12_E_NS1_11comp_targetILNS1_3genE8ELNS1_11target_archE1030ELNS1_3gpuE2ELNS1_3repE0EEENS1_30default_config_static_selectorELNS0_4arch9wavefront6targetE0EEEvT1_.has_dyn_sized_stack, 0
	.set _ZN7rocprim17ROCPRIM_400000_NS6detail17trampoline_kernelINS0_14default_configENS1_25partition_config_selectorILNS1_17partition_subalgoE8EmNS0_10empty_typeEbEEZZNS1_14partition_implILS5_8ELb0ES3_jPKmPS6_PKS6_NS0_5tupleIJPmS6_EEENSE_IJSB_SB_EEENS0_18inequality_wrapperIN6hipcub16HIPCUB_304000_NS8EqualityEEEPlJS6_EEE10hipError_tPvRmT3_T4_T5_T6_T7_T9_mT8_P12ihipStream_tbDpT10_ENKUlT_T0_E_clISt17integral_constantIbLb1EES16_IbLb0EEEEDaS12_S13_EUlS12_E_NS1_11comp_targetILNS1_3genE8ELNS1_11target_archE1030ELNS1_3gpuE2ELNS1_3repE0EEENS1_30default_config_static_selectorELNS0_4arch9wavefront6targetE0EEEvT1_.has_recursion, 0
	.set _ZN7rocprim17ROCPRIM_400000_NS6detail17trampoline_kernelINS0_14default_configENS1_25partition_config_selectorILNS1_17partition_subalgoE8EmNS0_10empty_typeEbEEZZNS1_14partition_implILS5_8ELb0ES3_jPKmPS6_PKS6_NS0_5tupleIJPmS6_EEENSE_IJSB_SB_EEENS0_18inequality_wrapperIN6hipcub16HIPCUB_304000_NS8EqualityEEEPlJS6_EEE10hipError_tPvRmT3_T4_T5_T6_T7_T9_mT8_P12ihipStream_tbDpT10_ENKUlT_T0_E_clISt17integral_constantIbLb1EES16_IbLb0EEEEDaS12_S13_EUlS12_E_NS1_11comp_targetILNS1_3genE8ELNS1_11target_archE1030ELNS1_3gpuE2ELNS1_3repE0EEENS1_30default_config_static_selectorELNS0_4arch9wavefront6targetE0EEEvT1_.has_indirect_call, 0
	.section	.AMDGPU.csdata,"",@progbits
; Kernel info:
; codeLenInByte = 0
; TotalNumSgprs: 0
; NumVgprs: 0
; ScratchSize: 0
; MemoryBound: 0
; FloatMode: 240
; IeeeMode: 1
; LDSByteSize: 0 bytes/workgroup (compile time only)
; SGPRBlocks: 0
; VGPRBlocks: 0
; NumSGPRsForWavesPerEU: 1
; NumVGPRsForWavesPerEU: 1
; NamedBarCnt: 0
; Occupancy: 16
; WaveLimiterHint : 0
; COMPUTE_PGM_RSRC2:SCRATCH_EN: 0
; COMPUTE_PGM_RSRC2:USER_SGPR: 2
; COMPUTE_PGM_RSRC2:TRAP_HANDLER: 0
; COMPUTE_PGM_RSRC2:TGID_X_EN: 1
; COMPUTE_PGM_RSRC2:TGID_Y_EN: 0
; COMPUTE_PGM_RSRC2:TGID_Z_EN: 0
; COMPUTE_PGM_RSRC2:TIDIG_COMP_CNT: 0
	.section	.text._ZN7rocprim17ROCPRIM_400000_NS6detail17trampoline_kernelINS0_14default_configENS1_25partition_config_selectorILNS1_17partition_subalgoE8EmNS0_10empty_typeEbEEZZNS1_14partition_implILS5_8ELb0ES3_jPKmPS6_PKS6_NS0_5tupleIJPmS6_EEENSE_IJSB_SB_EEENS0_18inequality_wrapperIN6hipcub16HIPCUB_304000_NS8EqualityEEEPlJS6_EEE10hipError_tPvRmT3_T4_T5_T6_T7_T9_mT8_P12ihipStream_tbDpT10_ENKUlT_T0_E_clISt17integral_constantIbLb0EES16_IbLb1EEEEDaS12_S13_EUlS12_E_NS1_11comp_targetILNS1_3genE0ELNS1_11target_archE4294967295ELNS1_3gpuE0ELNS1_3repE0EEENS1_30default_config_static_selectorELNS0_4arch9wavefront6targetE0EEEvT1_,"axG",@progbits,_ZN7rocprim17ROCPRIM_400000_NS6detail17trampoline_kernelINS0_14default_configENS1_25partition_config_selectorILNS1_17partition_subalgoE8EmNS0_10empty_typeEbEEZZNS1_14partition_implILS5_8ELb0ES3_jPKmPS6_PKS6_NS0_5tupleIJPmS6_EEENSE_IJSB_SB_EEENS0_18inequality_wrapperIN6hipcub16HIPCUB_304000_NS8EqualityEEEPlJS6_EEE10hipError_tPvRmT3_T4_T5_T6_T7_T9_mT8_P12ihipStream_tbDpT10_ENKUlT_T0_E_clISt17integral_constantIbLb0EES16_IbLb1EEEEDaS12_S13_EUlS12_E_NS1_11comp_targetILNS1_3genE0ELNS1_11target_archE4294967295ELNS1_3gpuE0ELNS1_3repE0EEENS1_30default_config_static_selectorELNS0_4arch9wavefront6targetE0EEEvT1_,comdat
	.protected	_ZN7rocprim17ROCPRIM_400000_NS6detail17trampoline_kernelINS0_14default_configENS1_25partition_config_selectorILNS1_17partition_subalgoE8EmNS0_10empty_typeEbEEZZNS1_14partition_implILS5_8ELb0ES3_jPKmPS6_PKS6_NS0_5tupleIJPmS6_EEENSE_IJSB_SB_EEENS0_18inequality_wrapperIN6hipcub16HIPCUB_304000_NS8EqualityEEEPlJS6_EEE10hipError_tPvRmT3_T4_T5_T6_T7_T9_mT8_P12ihipStream_tbDpT10_ENKUlT_T0_E_clISt17integral_constantIbLb0EES16_IbLb1EEEEDaS12_S13_EUlS12_E_NS1_11comp_targetILNS1_3genE0ELNS1_11target_archE4294967295ELNS1_3gpuE0ELNS1_3repE0EEENS1_30default_config_static_selectorELNS0_4arch9wavefront6targetE0EEEvT1_ ; -- Begin function _ZN7rocprim17ROCPRIM_400000_NS6detail17trampoline_kernelINS0_14default_configENS1_25partition_config_selectorILNS1_17partition_subalgoE8EmNS0_10empty_typeEbEEZZNS1_14partition_implILS5_8ELb0ES3_jPKmPS6_PKS6_NS0_5tupleIJPmS6_EEENSE_IJSB_SB_EEENS0_18inequality_wrapperIN6hipcub16HIPCUB_304000_NS8EqualityEEEPlJS6_EEE10hipError_tPvRmT3_T4_T5_T6_T7_T9_mT8_P12ihipStream_tbDpT10_ENKUlT_T0_E_clISt17integral_constantIbLb0EES16_IbLb1EEEEDaS12_S13_EUlS12_E_NS1_11comp_targetILNS1_3genE0ELNS1_11target_archE4294967295ELNS1_3gpuE0ELNS1_3repE0EEENS1_30default_config_static_selectorELNS0_4arch9wavefront6targetE0EEEvT1_
	.globl	_ZN7rocprim17ROCPRIM_400000_NS6detail17trampoline_kernelINS0_14default_configENS1_25partition_config_selectorILNS1_17partition_subalgoE8EmNS0_10empty_typeEbEEZZNS1_14partition_implILS5_8ELb0ES3_jPKmPS6_PKS6_NS0_5tupleIJPmS6_EEENSE_IJSB_SB_EEENS0_18inequality_wrapperIN6hipcub16HIPCUB_304000_NS8EqualityEEEPlJS6_EEE10hipError_tPvRmT3_T4_T5_T6_T7_T9_mT8_P12ihipStream_tbDpT10_ENKUlT_T0_E_clISt17integral_constantIbLb0EES16_IbLb1EEEEDaS12_S13_EUlS12_E_NS1_11comp_targetILNS1_3genE0ELNS1_11target_archE4294967295ELNS1_3gpuE0ELNS1_3repE0EEENS1_30default_config_static_selectorELNS0_4arch9wavefront6targetE0EEEvT1_
	.p2align	8
	.type	_ZN7rocprim17ROCPRIM_400000_NS6detail17trampoline_kernelINS0_14default_configENS1_25partition_config_selectorILNS1_17partition_subalgoE8EmNS0_10empty_typeEbEEZZNS1_14partition_implILS5_8ELb0ES3_jPKmPS6_PKS6_NS0_5tupleIJPmS6_EEENSE_IJSB_SB_EEENS0_18inequality_wrapperIN6hipcub16HIPCUB_304000_NS8EqualityEEEPlJS6_EEE10hipError_tPvRmT3_T4_T5_T6_T7_T9_mT8_P12ihipStream_tbDpT10_ENKUlT_T0_E_clISt17integral_constantIbLb0EES16_IbLb1EEEEDaS12_S13_EUlS12_E_NS1_11comp_targetILNS1_3genE0ELNS1_11target_archE4294967295ELNS1_3gpuE0ELNS1_3repE0EEENS1_30default_config_static_selectorELNS0_4arch9wavefront6targetE0EEEvT1_,@function
_ZN7rocprim17ROCPRIM_400000_NS6detail17trampoline_kernelINS0_14default_configENS1_25partition_config_selectorILNS1_17partition_subalgoE8EmNS0_10empty_typeEbEEZZNS1_14partition_implILS5_8ELb0ES3_jPKmPS6_PKS6_NS0_5tupleIJPmS6_EEENSE_IJSB_SB_EEENS0_18inequality_wrapperIN6hipcub16HIPCUB_304000_NS8EqualityEEEPlJS6_EEE10hipError_tPvRmT3_T4_T5_T6_T7_T9_mT8_P12ihipStream_tbDpT10_ENKUlT_T0_E_clISt17integral_constantIbLb0EES16_IbLb1EEEEDaS12_S13_EUlS12_E_NS1_11comp_targetILNS1_3genE0ELNS1_11target_archE4294967295ELNS1_3gpuE0ELNS1_3repE0EEENS1_30default_config_static_selectorELNS0_4arch9wavefront6targetE0EEEvT1_: ; @_ZN7rocprim17ROCPRIM_400000_NS6detail17trampoline_kernelINS0_14default_configENS1_25partition_config_selectorILNS1_17partition_subalgoE8EmNS0_10empty_typeEbEEZZNS1_14partition_implILS5_8ELb0ES3_jPKmPS6_PKS6_NS0_5tupleIJPmS6_EEENSE_IJSB_SB_EEENS0_18inequality_wrapperIN6hipcub16HIPCUB_304000_NS8EqualityEEEPlJS6_EEE10hipError_tPvRmT3_T4_T5_T6_T7_T9_mT8_P12ihipStream_tbDpT10_ENKUlT_T0_E_clISt17integral_constantIbLb0EES16_IbLb1EEEEDaS12_S13_EUlS12_E_NS1_11comp_targetILNS1_3genE0ELNS1_11target_archE4294967295ELNS1_3gpuE0ELNS1_3repE0EEENS1_30default_config_static_selectorELNS0_4arch9wavefront6targetE0EEEvT1_
; %bb.0:
	s_clause 0x2
	s_load_b128 s[12:15], s[0:1], 0x40
	s_load_b64 s[8:9], s[0:1], 0x50
	s_load_b64 s[16:17], s[0:1], 0x60
	v_cmp_ne_u32_e64 s3, 0, v0
	v_cmp_eq_u32_e64 s2, 0, v0
	s_and_saveexec_b32 s4, s2
	s_cbranch_execz .LBB710_4
; %bb.1:
	s_mov_b32 s6, exec_lo
	s_mov_b32 s5, exec_lo
	v_mbcnt_lo_u32_b32 v1, s6, 0
                                        ; implicit-def: $vgpr2
	s_delay_alu instid0(VALU_DEP_1)
	v_cmpx_eq_u32_e32 0, v1
	s_cbranch_execz .LBB710_3
; %bb.2:
	s_load_b64 s[10:11], s[0:1], 0x70
	s_bcnt1_i32_b32 s6, s6
	s_delay_alu instid0(SALU_CYCLE_1)
	v_dual_mov_b32 v2, 0 :: v_dual_mov_b32 v3, s6
	s_wait_xcnt 0x0
	s_wait_kmcnt 0x0
	global_atomic_add_u32 v2, v2, v3, s[10:11] th:TH_ATOMIC_RETURN scope:SCOPE_DEV
.LBB710_3:
	s_wait_xcnt 0x0
	s_or_b32 exec_lo, exec_lo, s5
	s_wait_loadcnt 0x0
	v_readfirstlane_b32 s5, v2
	s_delay_alu instid0(VALU_DEP_1)
	v_dual_mov_b32 v2, 0 :: v_dual_add_nc_u32 v1, s5, v1
	ds_store_b32 v2, v1
.LBB710_4:
	s_or_b32 exec_lo, exec_lo, s4
	v_dual_mov_b32 v3, 0 :: v_dual_lshlrev_b32 v24, 3, v0
	s_clause 0x2
	s_load_b128 s[4:7], s[0:1], 0x8
	s_load_b64 s[10:11], s[0:1], 0x28
	s_load_b32 s18, s[0:1], 0x68
	s_wait_dscnt 0x0
	s_barrier_signal -1
	s_barrier_wait -1
	ds_load_b32 v1, v3
	s_wait_dscnt 0x0
	s_barrier_signal -1
	s_barrier_wait -1
	s_wait_kmcnt 0x0
	global_load_b64 v[22:23], v3, s[14:15]
	s_mov_b32 s21, 0
	s_lshl_b64 s[0:1], s[6:7], 3
	s_mul_i32 s20, s18, 0xe00
	s_wait_xcnt 0x0
	s_add_co_i32 s14, s18, -1
	s_add_nc_u64 s[18:19], s[6:7], s[20:21]
	s_add_co_i32 s20, s20, s6
	v_cmp_le_u64_e64 s18, s[8:9], s[18:19]
	v_mul_lo_u32 v2, 0xe00, v1
	v_readfirstlane_b32 s15, v1
	s_sub_co_i32 s8, s8, s20
	s_add_nc_u64 s[0:1], s[4:5], s[0:1]
	s_cmp_eq_u32 s15, s14
	s_cselect_b32 s9, -1, 0
	s_delay_alu instid0(SALU_CYCLE_1) | instskip(SKIP_2) | instid1(SALU_CYCLE_1)
	s_and_b32 s18, s18, s9
	v_lshlrev_b64_e32 v[2:3], 3, v[2:3]
	s_xor_b32 s14, s18, -1
	s_and_b32 vcc_lo, exec_lo, s14
	s_delay_alu instid0(VALU_DEP_1)
	v_add_nc_u64_e32 v[26:27], s[0:1], v[2:3]
	s_mov_b32 s0, -1
	s_cbranch_vccz .LBB710_6
; %bb.5:
	s_delay_alu instid0(VALU_DEP_1) | instskip(NEXT) | instid1(VALU_DEP_2)
	v_readfirstlane_b32 s0, v26
	v_readfirstlane_b32 s1, v27
	v_lshlrev_b32_e32 v1, 3, v0
	s_clause 0x6
	global_load_b64 v[2:3], v0, s[0:1] scale_offset
	global_load_b64 v[4:5], v0, s[0:1] offset:4096 scale_offset
	global_load_b64 v[6:7], v0, s[0:1] offset:8192 scale_offset
	;; [unrolled: 1-line block ×6, first 2 shown]
	s_wait_xcnt 0x0
	s_mov_b32 s0, 0
	s_wait_loadcnt 0x5
	ds_store_2addr_stride64_b64 v1, v[2:3], v[4:5] offset1:8
	s_wait_loadcnt 0x3
	ds_store_2addr_stride64_b64 v1, v[6:7], v[8:9] offset0:16 offset1:24
	s_wait_loadcnt 0x1
	ds_store_2addr_stride64_b64 v1, v[10:11], v[12:13] offset0:32 offset1:40
	s_wait_loadcnt 0x0
	ds_store_b64 v1, v[14:15] offset:24576
	s_wait_dscnt 0x0
	s_barrier_signal -1
	s_barrier_wait -1
.LBB710_6:
	s_and_not1_b32 vcc_lo, exec_lo, s0
	s_addk_co_i32 s8, 0xe00
	s_cbranch_vccnz .LBB710_22
; %bb.7:
	v_mov_b32_e32 v2, 0
	s_mov_b32 s0, exec_lo
	s_delay_alu instid0(VALU_DEP_1)
	v_dual_mov_b32 v3, v2 :: v_dual_mov_b32 v4, v2
	v_dual_mov_b32 v5, v2 :: v_dual_mov_b32 v6, v2
	;; [unrolled: 1-line block ×6, first 2 shown]
	v_mov_b32_e32 v15, v2
	v_cmpx_gt_u32_e64 s8, v0
	s_cbranch_execz .LBB710_9
; %bb.8:
	v_readfirstlane_b32 s4, v26
	v_readfirstlane_b32 s5, v27
	v_dual_mov_b32 v6, v2 :: v_dual_mov_b32 v7, v2
	v_dual_mov_b32 v8, v2 :: v_dual_mov_b32 v9, v2
	global_load_b64 v[4:5], v0, s[4:5] scale_offset
	v_dual_mov_b32 v10, v2 :: v_dual_mov_b32 v11, v2
	v_dual_mov_b32 v12, v2 :: v_dual_mov_b32 v13, v2
	;; [unrolled: 1-line block ×4, first 2 shown]
	s_wait_loadcnt 0x0
	v_mov_b64_e32 v[2:3], v[4:5]
	v_mov_b64_e32 v[4:5], v[6:7]
	;; [unrolled: 1-line block ×8, first 2 shown]
.LBB710_9:
	s_or_b32 exec_lo, exec_lo, s0
	v_or_b32_e32 v1, 0x200, v0
	s_mov_b32 s0, exec_lo
	s_delay_alu instid0(VALU_DEP_1)
	v_cmpx_gt_u32_e64 s8, v1
	s_cbranch_execz .LBB710_11
; %bb.10:
	v_readfirstlane_b32 s4, v26
	v_readfirstlane_b32 s5, v27
	global_load_b64 v[4:5], v0, s[4:5] offset:4096 scale_offset
.LBB710_11:
	s_wait_xcnt 0x0
	s_or_b32 exec_lo, exec_lo, s0
	v_or_b32_e32 v1, 0x400, v0
	s_mov_b32 s0, exec_lo
	s_delay_alu instid0(VALU_DEP_1)
	v_cmpx_gt_u32_e64 s8, v1
	s_cbranch_execz .LBB710_13
; %bb.12:
	v_readfirstlane_b32 s4, v26
	v_readfirstlane_b32 s5, v27
	global_load_b64 v[6:7], v0, s[4:5] offset:8192 scale_offset
.LBB710_13:
	s_wait_xcnt 0x0
	;; [unrolled: 12-line block ×6, first 2 shown]
	s_or_b32 exec_lo, exec_lo, s0
	v_lshlrev_b32_e32 v1, 3, v0
	s_wait_loadcnt 0x0
	ds_store_2addr_stride64_b64 v1, v[2:3], v[4:5] offset1:8
	ds_store_2addr_stride64_b64 v1, v[6:7], v[8:9] offset0:16 offset1:24
	ds_store_2addr_stride64_b64 v1, v[10:11], v[12:13] offset0:32 offset1:40
	ds_store_b64 v1, v[14:15] offset:24576
	s_wait_dscnt 0x0
	s_barrier_signal -1
	s_barrier_wait -1
.LBB710_22:
	v_mul_u32_u24_e32 v30, 7, v0
	s_wait_loadcnt 0x0
	s_cmp_lg_u32 s15, 0
	s_mov_b32 s20, 0
	s_cselect_b32 s19, -1, 0
	v_lshlrev_b32_e32 v32, 3, v30
	s_cmp_lg_u64 s[6:7], 0
	ds_load_2addr_b64 v[10:13], v32 offset0:2 offset1:3
	ds_load_2addr_b64 v[6:9], v32 offset0:3 offset1:4
	ds_load_2addr_b64 v[14:17], v32 offset1:1
	ds_load_2addr_b64 v[18:21], v32 offset0:1 offset1:2
	ds_load_2addr_b64 v[2:5], v32 offset0:5 offset1:6
	s_cselect_b32 s0, -1, 0
	s_wait_dscnt 0x0
	s_or_b32 s0, s0, s19
	s_barrier_signal -1
	s_and_b32 vcc_lo, exec_lo, s0
	s_barrier_wait -1
	s_cbranch_vccz .LBB710_27
; %bb.23:
	global_load_b64 v[26:27], v[26:27], off offset:-8
	v_lshlrev_b32_e32 v33, 3, v0
	s_and_b32 vcc_lo, exec_lo, s14
	ds_store_b64 v33, v[4:5]
	s_cbranch_vccz .LBB710_29
; %bb.24:
	s_wait_loadcnt 0x0
	v_mov_b64_e32 v[28:29], v[26:27]
	s_wait_dscnt 0x0
	s_barrier_signal -1
	s_barrier_wait -1
	s_and_saveexec_b32 s0, s3
; %bb.25:
	v_add_nc_u32_e32 v1, -8, v33
	ds_load_b64 v[28:29], v1
; %bb.26:
	s_or_b32 exec_lo, exec_lo, s0
	v_cmp_ne_u64_e32 vcc_lo, v[10:11], v[12:13]
	s_wait_dscnt 0x0
	v_cmp_ne_u64_e64 s0, v[28:29], v[14:15]
	v_cndmask_b32_e64 v1, 0, 1, vcc_lo
	v_cmp_ne_u64_e32 vcc_lo, v[16:17], v[10:11]
	s_delay_alu instid0(VALU_DEP_2) | instskip(SKIP_2) | instid1(VALU_DEP_2)
	v_lshlrev_b16 v1, 8, v1
	v_cndmask_b32_e64 v25, 0, 1, vcc_lo
	v_cmp_ne_u64_e32 vcc_lo, v[14:15], v[16:17]
	v_or_b32_e32 v25, v25, v1
	v_cndmask_b32_e64 v31, 0, 1, vcc_lo
	v_cmp_ne_u64_e32 vcc_lo, v[2:3], v[4:5]
	s_delay_alu instid0(VALU_DEP_3) | instskip(NEXT) | instid1(VALU_DEP_3)
	v_lshlrev_b32_e32 v35, 16, v25
	v_lshlrev_b16 v31, 8, v31
	v_cndmask_b32_e64 v1, 0, 1, vcc_lo
	v_cmp_ne_u64_e32 vcc_lo, v[8:9], v[2:3]
	s_delay_alu instid0(VALU_DEP_3) | instskip(NEXT) | instid1(VALU_DEP_1)
	v_and_b32_e32 v34, 0xffff, v31
	v_or_b32_e32 v29, v34, v35
	v_cndmask_b32_e64 v25, 0, 1, vcc_lo
	v_cmp_ne_u64_e32 vcc_lo, v[12:13], v[8:9]
	v_cndmask_b32_e64 v31, 0, 1, vcc_lo
	s_branch .LBB710_33
.LBB710_27:
                                        ; implicit-def: $sgpr0
                                        ; implicit-def: $vgpr1
                                        ; implicit-def: $vgpr25
                                        ; implicit-def: $vgpr31
                                        ; implicit-def: $vgpr29
	s_branch .LBB710_34
.LBB710_28:
                                        ; implicit-def: $vgpr26
                                        ; implicit-def: $vgpr34
                                        ; implicit-def: $vgpr33
                                        ; implicit-def: $vgpr28
	s_branch .LBB710_42
.LBB710_29:
                                        ; implicit-def: $sgpr0
                                        ; implicit-def: $vgpr1
                                        ; implicit-def: $vgpr25
                                        ; implicit-def: $vgpr31
                                        ; implicit-def: $vgpr29
	s_cbranch_execz .LBB710_33
; %bb.30:
	s_wait_loadcnt_dscnt 0x0
	s_barrier_signal -1
	s_barrier_wait -1
	s_and_saveexec_b32 s0, s3
; %bb.31:
	v_add_nc_u32_e32 v1, -8, v33
	ds_load_b64 v[26:27], v1
; %bb.32:
	s_or_b32 exec_lo, exec_lo, s0
	v_dual_add_nc_u32 v1, 6, v30 :: v_dual_add_nc_u32 v25, 5, v30
	v_dual_add_nc_u32 v28, 3, v30 :: v_dual_add_nc_u32 v29, 2, v30
	v_cmp_ne_u64_e32 vcc_lo, v[2:3], v[4:5]
	s_delay_alu instid0(VALU_DEP_3) | instskip(SKIP_1) | instid1(VALU_DEP_4)
	v_cmp_gt_u32_e64 s0, s8, v1
	v_cmp_ne_u64_e64 s1, v[10:11], v[12:13]
	v_cmp_gt_u32_e64 s5, s8, v28
	v_dual_add_nc_u32 v28, 1, v30 :: v_dual_add_nc_u32 v33, 4, v30
	v_cmp_ne_u64_e64 s4, v[16:17], v[10:11]
	s_and_b32 s0, s0, vcc_lo
	v_cmp_gt_u32_e32 vcc_lo, s8, v29
	v_cndmask_b32_e64 v1, 0, 1, s0
	v_cmp_ne_u64_e64 s0, v[14:15], v[16:17]
	s_and_b32 s1, s5, s1
	v_cmp_ne_u64_e64 s5, v[8:9], v[2:3]
	v_cndmask_b32_e64 v29, 0, 1, s1
	v_cmp_gt_u32_e64 s1, s8, v28
	s_and_b32 s4, vcc_lo, s4
	v_cmp_gt_u32_e32 vcc_lo, s8, v25
	v_cndmask_b32_e64 v28, 0, 1, s4
	v_lshlrev_b16 v29, 8, v29
	s_and_b32 s0, s1, s0
	v_cmp_gt_u32_e64 s4, s8, v30
	v_cndmask_b32_e64 v31, 0, 1, s0
	v_cmp_ne_u64_e64 s0, v[12:13], v[8:9]
	v_or_b32_e32 v28, v28, v29
	s_and_b32 s1, vcc_lo, s5
	v_cmp_gt_u32_e32 vcc_lo, s8, v33
	v_lshlrev_b16 v29, 8, v31
	v_cndmask_b32_e64 v25, 0, 1, s1
	v_lshlrev_b32_e32 v28, 16, v28
	s_wait_dscnt 0x0
	v_cmp_ne_u64_e64 s1, v[26:27], v[14:15]
	s_and_b32 s0, vcc_lo, s0
	v_and_b32_e32 v29, 0xffff, v29
	v_cndmask_b32_e64 v31, 0, 1, s0
	s_delay_alu instid0(VALU_DEP_2)
	v_or_b32_e32 v29, v29, v28
	s_and_b32 s0, s4, s1
.LBB710_33:
	s_mov_b32 s20, -1
	s_cbranch_execnz .LBB710_28
.LBB710_34:
	v_cmp_ne_u64_e64 s0, v[2:3], v[4:5]
	v_mad_i32_i24 v35, 0xffffffd0, v0, v32
	s_and_b32 vcc_lo, exec_lo, s14
	ds_store_b64 v35, v[4:5]
	s_cbranch_vccz .LBB710_38
; %bb.35:
	v_cmp_ne_u64_e32 vcc_lo, v[8:9], v[2:3]
	v_cndmask_b32_e64 v1, 0, 1, s0
	s_wait_loadcnt 0x0
	v_mov_b32_e32 v26, 1
	s_wait_dscnt 0x0
	s_barrier_signal -1
	s_barrier_wait -1
	v_cndmask_b32_e64 v25, 0, 1, vcc_lo
	v_cmp_ne_u64_e32 vcc_lo, v[12:13], v[8:9]
                                        ; implicit-def: $sgpr0
                                        ; implicit-def: $vgpr29
	v_cndmask_b32_e64 v27, 0, 1, vcc_lo
	v_cmp_ne_u64_e32 vcc_lo, v[14:15], v[16:17]
	v_cndmask_b32_e64 v34, 0, 1, vcc_lo
	v_cmp_ne_u64_e32 vcc_lo, v[16:17], v[10:11]
	;; [unrolled: 2-line block ×3, first 2 shown]
	v_cndmask_b32_e64 v28, 0, 1, vcc_lo
	s_and_saveexec_b32 s1, s3
	s_delay_alu instid0(SALU_CYCLE_1)
	s_xor_b32 s1, exec_lo, s1
	s_cbranch_execz .LBB710_37
; %bb.36:
	v_add_nc_u32_e32 v29, -8, v35
	v_lshlrev_b16 v31, 8, v34
	s_or_b32 s20, s20, exec_lo
	ds_load_b64 v[36:37], v29
	v_lshlrev_b16 v29, 8, v28
	s_delay_alu instid0(VALU_DEP_1) | instskip(NEXT) | instid1(VALU_DEP_1)
	v_or_b32_e32 v29, v33, v29
	v_dual_lshlrev_b32 v29, 16, v29 :: v_dual_bitop2_b32 v31, 1, v31 bitop3:0x54
	s_delay_alu instid0(VALU_DEP_1) | instskip(NEXT) | instid1(VALU_DEP_1)
	v_and_b32_e32 v31, 0xffff, v31
	v_or_b32_e32 v29, v31, v29
	s_wait_dscnt 0x0
	v_cmp_ne_u64_e64 s0, v[36:37], v[14:15]
	s_delay_alu instid0(VALU_DEP_2)
	v_perm_b32 v29, v29, v29, 0x3020104
.LBB710_37:
	s_or_b32 exec_lo, exec_lo, s1
	v_mov_b32_e32 v31, v27
	s_branch .LBB710_42
.LBB710_38:
                                        ; implicit-def: $sgpr0
                                        ; implicit-def: $vgpr1
                                        ; implicit-def: $vgpr25
                                        ; implicit-def: $vgpr31
                                        ; implicit-def: $vgpr29
                                        ; implicit-def: $vgpr26
                                        ; implicit-def: $vgpr34
                                        ; implicit-def: $vgpr33
                                        ; implicit-def: $vgpr28
	s_cbranch_execz .LBB710_42
; %bb.39:
	v_dual_add_nc_u32 v1, 4, v30 :: v_dual_add_nc_u32 v25, 6, v30
	v_cmp_ne_u64_e32 vcc_lo, v[12:13], v[8:9]
	s_wait_loadcnt 0x0
	v_dual_add_nc_u32 v26, 5, v30 :: v_dual_add_nc_u32 v27, 3, v30
	s_delay_alu instid0(VALU_DEP_3)
	v_cmp_gt_u32_e64 s0, s8, v1
	v_add_nc_u32_e32 v1, 2, v30
	v_cmp_ne_u64_e64 s1, v[16:17], v[20:21]
	v_cmp_ne_u64_e64 s4, v[10:11], v[6:7]
	v_add_nc_u32_e32 v7, 1, v30
	s_and_b32 s0, s0, vcc_lo
	v_cmp_gt_u32_e32 vcc_lo, s8, v27
	v_cmp_gt_u32_e64 s6, s8, v1
	v_cndmask_b32_e64 v20, 0, 1, s0
	v_cmp_ne_u64_e64 s0, v[2:3], v[4:5]
	v_cmp_gt_u32_e64 s5, s8, v25
	s_and_b32 s4, vcc_lo, s4
	s_and_b32 s1, s6, s1
	v_lshlrev_b16 v1, 8, v20
	v_cndmask_b32_e64 v27, 0, 1, s4
	v_cndmask_b32_e64 v21, 0, 1, s1
	v_cmp_ne_u64_e32 vcc_lo, v[8:9], v[2:3]
	v_cmp_ne_u64_e64 s1, v[14:15], v[18:19]
	s_and_b32 s0, s5, s0
	v_or_b32_e32 v28, v27, v1
	v_lshlrev_b16 v6, 8, v21
	v_cmp_gt_u32_e64 s7, s8, v26
	v_cndmask_b32_e64 v1, 0, 1, s0
	v_cmp_gt_u32_e64 s0, s8, v7
	v_dual_mov_b32 v26, 1 :: v_dual_lshlrev_b32 v7, 16, v28
	v_and_b32_e32 v18, 0xffff, v6
	s_and_b32 s4, s7, vcc_lo
	s_and_b32 s0, s0, s1
	v_cndmask_b32_e64 v25, 0, 1, s4
	v_cndmask_b32_e64 v19, 0, 1, s0
	v_or_b32_e32 v18, v18, v7
	s_wait_dscnt 0x0
	s_barrier_signal -1
	s_barrier_wait -1
                                        ; implicit-def: $sgpr0
                                        ; implicit-def: $vgpr31
                                        ; implicit-def: $vgpr29
	s_and_saveexec_b32 s1, s3
	s_cbranch_execz .LBB710_41
; %bb.40:
	v_lshlrev_b16 v29, 8, v19
	v_add_nc_u32_e32 v31, -8, v35
	v_lshlrev_b16 v27, 8, v27
	v_cmp_gt_u32_e64 s0, s8, v30
	s_or_b32 s20, s20, exec_lo
	v_lshrrev_b32_e32 v29, 8, v29
	ds_load_b64 v[34:35], v31
	v_lshrrev_b32_e32 v27, 8, v27
	v_lshlrev_b16 v31, 8, v25
	v_lshlrev_b16 v29, 8, v29
	s_delay_alu instid0(VALU_DEP_3) | instskip(NEXT) | instid1(VALU_DEP_3)
	v_lshlrev_b16 v27, 8, v27
	v_or_b32_e32 v20, v20, v31
	s_delay_alu instid0(VALU_DEP_2) | instskip(NEXT) | instid1(VALU_DEP_4)
	v_or_b32_e32 v21, v21, v27
	v_or_b32_e32 v27, 1, v29
	s_delay_alu instid0(VALU_DEP_3) | instskip(NEXT) | instid1(VALU_DEP_3)
	v_and_b32_e32 v20, 0xffff, v20
	v_lshlrev_b32_e32 v21, 16, v21
	s_delay_alu instid0(VALU_DEP_3) | instskip(NEXT) | instid1(VALU_DEP_3)
	v_and_b32_e32 v27, 0xffff, v27
	v_lshl_or_b32 v31, v1, 16, v20
	s_wait_dscnt 0x0
	v_cmp_ne_u64_e32 vcc_lo, v[34:35], v[14:15]
	s_delay_alu instid0(VALU_DEP_3) | instskip(NEXT) | instid1(VALU_DEP_1)
	v_or_b32_e32 v21, v27, v21
	v_perm_b32 v29, v21, v21, 0x3020104
	s_and_b32 s0, s0, vcc_lo
.LBB710_41:
	s_or_b32 exec_lo, exec_lo, s1
	v_dual_lshrrev_b32 v27, 24, v7 :: v_dual_bitop2_b32 v34, v19, v6 bitop3:0x54
	v_lshrrev_b32_e32 v33, 8, v18
.LBB710_42:
	s_wait_xcnt 0x0
	s_and_saveexec_b32 s1, s20
	s_cbranch_execz .LBB710_44
; %bb.43:
	v_dual_lshrrev_b32 v28, 24, v29 :: v_dual_lshrrev_b32 v33, 16, v29
	s_wait_loadcnt 0x0
	v_dual_mov_b32 v27, v31 :: v_dual_lshrrev_b32 v34, 8, v29
	v_cndmask_b32_e64 v26, 0, 1, s0
.LBB710_44:
	s_or_b32 exec_lo, exec_lo, s1
	s_delay_alu instid0(SALU_CYCLE_1)
	s_and_not1_b32 vcc_lo, exec_lo, s18
	s_cbranch_vccnz .LBB710_48
; %bb.45:
	s_wait_loadcnt 0x0
	v_perm_b32 v6, v26, v34, 0xc0c0004
	v_perm_b32 v7, v33, v28, 0xc0c0004
	v_cmp_gt_u32_e32 vcc_lo, s8, v30
	v_dual_add_nc_u32 v18, 1, v30 :: v_dual_add_nc_u32 v20, 4, v30
	v_and_b32_e32 v1, 0xff, v1
	s_delay_alu instid0(VALU_DEP_4) | instskip(SKIP_1) | instid1(VALU_DEP_2)
	v_lshl_or_b32 v6, v7, 16, v6
	v_perm_b32 v19, v27, v25, 0xc0c0004
	v_dual_lshlrev_b32 v1, 16, v1 :: v_dual_cndmask_b32 v7, 0, v6, vcc_lo
	v_cmp_gt_u32_e32 vcc_lo, s8, v18
	s_delay_alu instid0(VALU_DEP_2) | instskip(NEXT) | instid1(VALU_DEP_3)
	v_dual_add_nc_u32 v18, 2, v30 :: v_dual_bitop2_b32 v21, v19, v1 bitop3:0x54
	v_and_b32_e32 v7, 0xff, v7
	v_bitop3_b32 v1, v19, 0xffff00, v1 bitop3:0xc8
	v_add_nc_u32_e32 v19, 3, v30
	s_delay_alu instid0(VALU_DEP_3) | instskip(SKIP_2) | instid1(VALU_DEP_4)
	v_cndmask_b32_e32 v7, v7, v6, vcc_lo
	v_cmp_gt_u32_e32 vcc_lo, s8, v18
	v_add_nc_u32_e32 v18, 5, v30
	v_cmp_gt_u32_e64 s1, s8, v19
	s_delay_alu instid0(VALU_DEP_4) | instskip(NEXT) | instid1(VALU_DEP_3)
	v_and_b32_e32 v7, 0xffff, v7
	v_cmp_gt_u32_e64 s0, s8, v18
	s_delay_alu instid0(VALU_DEP_2) | instskip(SKIP_3) | instid1(VALU_DEP_1)
	v_cndmask_b32_e32 v7, v7, v6, vcc_lo
	v_cmp_gt_u32_e32 vcc_lo, s8, v20
	v_cndmask_b32_e32 v1, v1, v21, vcc_lo
	s_or_b32 vcc_lo, s0, vcc_lo
	v_and_b32_e32 v1, 0xffff00ff, v1
	s_delay_alu instid0(VALU_DEP_1) | instskip(SKIP_2) | instid1(VALU_DEP_1)
	v_cndmask_b32_e64 v27, v1, v21, s0
	v_and_b32_e32 v7, 0xffffff, v7
	s_mov_b32 s0, exec_lo
	v_dual_lshrrev_b32 v1, 16, v27 :: v_dual_cndmask_b32 v7, v7, v6, s1
	s_delay_alu instid0(VALU_DEP_1) | instskip(SKIP_1) | instid1(VALU_DEP_2)
	v_dual_cndmask_b32 v26, v7, v6 :: v_dual_lshrrev_b32 v25, 8, v27
	v_add_nc_u32_e32 v6, 6, v30
	v_lshrrev_b64 v[28:29], 24, v[26:27]
	v_dual_lshrrev_b32 v33, 16, v26 :: v_dual_lshrrev_b32 v34, 8, v26
	s_delay_alu instid0(VALU_DEP_3)
	v_cmpx_le_u32_e64 s8, v6
; %bb.46:
	v_mov_b32_e32 v1, 0
; %bb.47:
	s_or_b32 exec_lo, exec_lo, s0
.LBB710_48:
	s_wait_loadcnt 0x0
	v_and_b32_e32 v29, 0xff, v26
	v_and_b32_e32 v35, 0xff, v34
	;; [unrolled: 1-line block ×5, first 2 shown]
	v_mbcnt_lo_u32_b32 v40, -1, 0
	v_and_b32_e32 v39, 0xff, v25
	v_add3_u32 v6, v35, v29, v36
	v_and_b32_e32 v7, 0xff, v1
	s_and_b32 vcc_lo, exec_lo, s19
	v_and_b32_e32 v18, 15, v40
	s_mov_b32 s7, -1
	v_add3_u32 v6, v6, v37, v38
	s_wait_dscnt 0x0
	s_barrier_signal -1
	v_cmp_eq_u32_e64 s0, 0, v18
	v_cmp_lt_u32_e64 s3, 1, v18
	v_add3_u32 v42, v6, v39, v7
	v_and_b32_e32 v6, 16, v40
	v_dual_lshrrev_b32 v41, 5, v0 :: v_dual_bitop2_b32 v7, 31, v0 bitop3:0x54
	v_cmp_lt_u32_e64 s4, 3, v18
	v_cmp_lt_u32_e64 s1, 7, v18
	s_delay_alu instid0(VALU_DEP_4) | instskip(NEXT) | instid1(VALU_DEP_4)
	v_cmp_eq_u32_e64 s6, 0, v6
	v_cmp_eq_u32_e64 s5, v0, v7
	s_barrier_wait -1
	s_cbranch_vccz .LBB710_70
; %bb.49:
	v_mov_b32_dpp v6, v42 row_shr:1 row_mask:0xf bank_mask:0xf
	s_delay_alu instid0(VALU_DEP_1) | instskip(NEXT) | instid1(VALU_DEP_1)
	v_cndmask_b32_e64 v6, v6, 0, s0
	v_add_nc_u32_e32 v6, v6, v42
	s_delay_alu instid0(VALU_DEP_1) | instskip(NEXT) | instid1(VALU_DEP_1)
	v_mov_b32_dpp v7, v6 row_shr:2 row_mask:0xf bank_mask:0xf
	v_cndmask_b32_e64 v7, 0, v7, s3
	s_delay_alu instid0(VALU_DEP_1) | instskip(NEXT) | instid1(VALU_DEP_1)
	v_add_nc_u32_e32 v6, v6, v7
	v_mov_b32_dpp v7, v6 row_shr:4 row_mask:0xf bank_mask:0xf
	s_delay_alu instid0(VALU_DEP_1) | instskip(NEXT) | instid1(VALU_DEP_1)
	v_cndmask_b32_e64 v7, 0, v7, s4
	v_add_nc_u32_e32 v6, v6, v7
	s_delay_alu instid0(VALU_DEP_1) | instskip(NEXT) | instid1(VALU_DEP_1)
	v_mov_b32_dpp v7, v6 row_shr:8 row_mask:0xf bank_mask:0xf
	v_cndmask_b32_e64 v7, 0, v7, s1
	s_delay_alu instid0(VALU_DEP_1) | instskip(SKIP_3) | instid1(VALU_DEP_1)
	v_add_nc_u32_e32 v6, v6, v7
	ds_swizzle_b32 v7, v6 offset:swizzle(BROADCAST,32,15)
	s_wait_dscnt 0x0
	v_cndmask_b32_e64 v7, v7, 0, s6
	v_add_nc_u32_e32 v6, v6, v7
	s_and_saveexec_b32 s7, s5
; %bb.50:
	v_lshlrev_b32_e32 v7, 2, v41
	ds_store_b32 v7, v6
; %bb.51:
	s_or_b32 exec_lo, exec_lo, s7
	s_delay_alu instid0(SALU_CYCLE_1)
	s_mov_b32 s7, exec_lo
	s_wait_dscnt 0x0
	s_barrier_signal -1
	s_barrier_wait -1
	v_cmpx_gt_u32_e32 16, v0
	s_cbranch_execz .LBB710_53
; %bb.52:
	v_lshlrev_b32_e32 v7, 2, v0
	ds_load_b32 v18, v7
	s_wait_dscnt 0x0
	v_mov_b32_dpp v19, v18 row_shr:1 row_mask:0xf bank_mask:0xf
	s_delay_alu instid0(VALU_DEP_1) | instskip(NEXT) | instid1(VALU_DEP_1)
	v_cndmask_b32_e64 v19, v19, 0, s0
	v_add_nc_u32_e32 v18, v19, v18
	s_delay_alu instid0(VALU_DEP_1) | instskip(NEXT) | instid1(VALU_DEP_1)
	v_mov_b32_dpp v19, v18 row_shr:2 row_mask:0xf bank_mask:0xf
	v_cndmask_b32_e64 v19, 0, v19, s3
	s_delay_alu instid0(VALU_DEP_1) | instskip(NEXT) | instid1(VALU_DEP_1)
	v_add_nc_u32_e32 v18, v18, v19
	v_mov_b32_dpp v19, v18 row_shr:4 row_mask:0xf bank_mask:0xf
	s_delay_alu instid0(VALU_DEP_1) | instskip(NEXT) | instid1(VALU_DEP_1)
	v_cndmask_b32_e64 v19, 0, v19, s4
	v_add_nc_u32_e32 v18, v18, v19
	s_delay_alu instid0(VALU_DEP_1) | instskip(NEXT) | instid1(VALU_DEP_1)
	v_mov_b32_dpp v19, v18 row_shr:8 row_mask:0xf bank_mask:0xf
	v_cndmask_b32_e64 v19, 0, v19, s1
	s_delay_alu instid0(VALU_DEP_1)
	v_add_nc_u32_e32 v18, v18, v19
	ds_store_b32 v7, v18
.LBB710_53:
	s_or_b32 exec_lo, exec_lo, s7
	s_delay_alu instid0(SALU_CYCLE_1)
	s_mov_b32 s8, exec_lo
	v_cmp_gt_u32_e32 vcc_lo, 32, v0
	s_wait_dscnt 0x0
	s_barrier_signal -1
	s_barrier_wait -1
                                        ; implicit-def: $vgpr43
	v_cmpx_lt_u32_e32 31, v0
	s_cbranch_execz .LBB710_55
; %bb.54:
	v_lshl_add_u32 v7, v41, 2, -4
	ds_load_b32 v43, v7
	s_wait_dscnt 0x0
	v_add_nc_u32_e32 v6, v43, v6
.LBB710_55:
	s_or_b32 exec_lo, exec_lo, s8
	v_sub_co_u32 v7, s7, v40, 1
	s_delay_alu instid0(VALU_DEP_1) | instskip(NEXT) | instid1(VALU_DEP_1)
	v_cmp_gt_i32_e64 s8, 0, v7
	v_cndmask_b32_e64 v7, v7, v40, s8
	s_delay_alu instid0(VALU_DEP_1)
	v_lshlrev_b32_e32 v7, 2, v7
	ds_bpermute_b32 v44, v7, v6
	s_and_saveexec_b32 s8, vcc_lo
	s_cbranch_execz .LBB710_75
; %bb.56:
	v_mov_b32_e32 v31, 0
	ds_load_b32 v6, v31 offset:60
	s_and_saveexec_b32 s18, s7
	s_cbranch_execz .LBB710_58
; %bb.57:
	s_add_co_i32 s19, s15, 32
	s_delay_alu instid0(SALU_CYCLE_1)
	v_dual_mov_b32 v7, 1 :: v_dual_mov_b32 v18, s19
	s_wait_dscnt 0x0
	global_store_b64 v18, v[6:7], s[16:17] scale_offset scope:SCOPE_DEV
.LBB710_58:
	s_wait_xcnt 0x0
	s_or_b32 exec_lo, exec_lo, s18
	v_xad_u32 v18, v40, -1, s15
	s_mov_b32 s19, 0
	s_mov_b32 s18, exec_lo
	s_delay_alu instid0(VALU_DEP_1) | instskip(SKIP_4) | instid1(VALU_DEP_1)
	v_add_nc_u32_e32 v30, 32, v18
	global_load_b64 v[20:21], v30, s[16:17] scale_offset scope:SCOPE_DEV
	s_wait_loadcnt 0x0
	v_and_b32_e32 v7, 0xff, v21
	s_wait_xcnt 0x0
	v_cmpx_eq_u16_e32 0, v7
	s_cbranch_execz .LBB710_62
; %bb.59:
	v_lshl_add_u64 v[30:31], v[30:31], 3, s[16:17]
.LBB710_60:                             ; =>This Inner Loop Header: Depth=1
	global_load_b64 v[20:21], v[30:31], off scope:SCOPE_DEV
	s_wait_loadcnt 0x0
	v_and_b32_e32 v7, 0xff, v21
	s_delay_alu instid0(VALU_DEP_1)
	v_cmp_ne_u16_e32 vcc_lo, 0, v7
	s_or_b32 s19, vcc_lo, s19
	s_wait_xcnt 0x0
	s_and_not1_b32 exec_lo, exec_lo, s19
	s_cbranch_execnz .LBB710_60
; %bb.61:
	s_or_b32 exec_lo, exec_lo, s19
.LBB710_62:
	s_delay_alu instid0(SALU_CYCLE_1)
	s_or_b32 exec_lo, exec_lo, s18
	v_cmp_ne_u32_e32 vcc_lo, 31, v40
	v_lshlrev_b32_e64 v46, v40, -1
	v_dual_add_nc_u32 v50, 4, v40 :: v_dual_add_nc_u32 v52, 8, v40
	v_add_nc_u32_e32 v54, 16, v40
	v_add_co_ci_u32_e64 v7, null, 0, v40, vcc_lo
	v_lshl_or_b32 v53, v40, 2, 64
	s_delay_alu instid0(VALU_DEP_2)
	v_dual_add_nc_u32 v48, 2, v40 :: v_dual_lshlrev_b32 v45, 2, v7
	v_and_b32_e32 v7, 0xff, v21
	ds_bpermute_b32 v19, v45, v20
	v_cmp_eq_u16_e32 vcc_lo, 2, v7
	v_and_or_b32 v7, vcc_lo, v46, 0x80000000
	v_cmp_gt_u32_e32 vcc_lo, 30, v40
	s_delay_alu instid0(VALU_DEP_2) | instskip(SKIP_1) | instid1(VALU_DEP_2)
	v_ctz_i32_b32_e32 v7, v7
	v_cndmask_b32_e64 v30, 0, 2, vcc_lo
	v_cmp_lt_u32_e32 vcc_lo, v40, v7
	s_delay_alu instid0(VALU_DEP_2) | instskip(SKIP_3) | instid1(VALU_DEP_2)
	v_add_lshl_u32 v47, v30, v40, 2
	s_wait_dscnt 0x0
	v_cndmask_b32_e32 v19, 0, v19, vcc_lo
	v_cmp_gt_u32_e32 vcc_lo, 28, v40
	v_add_nc_u32_e32 v19, v19, v20
	v_cndmask_b32_e64 v30, 0, 4, vcc_lo
	v_cmp_le_u32_e32 vcc_lo, v48, v7
	ds_bpermute_b32 v20, v47, v19
	v_add_lshl_u32 v49, v30, v40, 2
	s_wait_dscnt 0x0
	v_cndmask_b32_e32 v20, 0, v20, vcc_lo
	v_cmp_gt_u32_e32 vcc_lo, 24, v40
	v_cndmask_b32_e64 v30, 0, 8, vcc_lo
	v_cmp_le_u32_e32 vcc_lo, v50, v7
	s_delay_alu instid0(VALU_DEP_4) | instskip(NEXT) | instid1(VALU_DEP_3)
	v_add_nc_u32_e32 v19, v19, v20
	v_add_lshl_u32 v51, v30, v40, 2
	ds_bpermute_b32 v20, v49, v19
	s_wait_dscnt 0x0
	v_cndmask_b32_e32 v20, 0, v20, vcc_lo
	v_cmp_le_u32_e32 vcc_lo, v52, v7
	s_delay_alu instid0(VALU_DEP_2) | instskip(SKIP_4) | instid1(VALU_DEP_2)
	v_add_nc_u32_e32 v19, v19, v20
	ds_bpermute_b32 v20, v51, v19
	s_wait_dscnt 0x0
	v_cndmask_b32_e32 v20, 0, v20, vcc_lo
	v_cmp_le_u32_e32 vcc_lo, v54, v7
	v_add_nc_u32_e32 v19, v19, v20
	ds_bpermute_b32 v20, v53, v19
	s_wait_dscnt 0x0
	v_cndmask_b32_e32 v7, 0, v20, vcc_lo
	s_delay_alu instid0(VALU_DEP_1)
	v_dual_mov_b32 v19, 0 :: v_dual_add_nc_u32 v20, v19, v7
	s_branch .LBB710_65
.LBB710_63:                             ;   in Loop: Header=BB710_65 Depth=1
	s_or_b32 exec_lo, exec_lo, s18
	v_and_b32_e32 v30, 0xff, v21
	ds_bpermute_b32 v31, v45, v20
	v_subrev_nc_u32_e32 v18, 32, v18
	s_mov_b32 s18, 0
	v_cmp_eq_u16_e32 vcc_lo, 2, v30
	v_and_or_b32 v30, vcc_lo, v46, 0x80000000
	s_delay_alu instid0(VALU_DEP_1) | instskip(NEXT) | instid1(VALU_DEP_1)
	v_ctz_i32_b32_e32 v30, v30
	v_cmp_lt_u32_e32 vcc_lo, v40, v30
	s_wait_dscnt 0x0
	v_cndmask_b32_e32 v31, 0, v31, vcc_lo
	v_cmp_le_u32_e32 vcc_lo, v48, v30
	s_delay_alu instid0(VALU_DEP_2) | instskip(SKIP_4) | instid1(VALU_DEP_2)
	v_add_nc_u32_e32 v20, v31, v20
	ds_bpermute_b32 v31, v47, v20
	s_wait_dscnt 0x0
	v_cndmask_b32_e32 v31, 0, v31, vcc_lo
	v_cmp_le_u32_e32 vcc_lo, v50, v30
	v_add_nc_u32_e32 v20, v20, v31
	ds_bpermute_b32 v31, v49, v20
	s_wait_dscnt 0x0
	v_cndmask_b32_e32 v31, 0, v31, vcc_lo
	v_cmp_le_u32_e32 vcc_lo, v52, v30
	s_delay_alu instid0(VALU_DEP_2) | instskip(SKIP_4) | instid1(VALU_DEP_2)
	v_add_nc_u32_e32 v20, v20, v31
	ds_bpermute_b32 v31, v51, v20
	s_wait_dscnt 0x0
	v_cndmask_b32_e32 v31, 0, v31, vcc_lo
	v_cmp_le_u32_e32 vcc_lo, v54, v30
	v_add_nc_u32_e32 v20, v20, v31
	ds_bpermute_b32 v31, v53, v20
	s_wait_dscnt 0x0
	v_cndmask_b32_e32 v30, 0, v31, vcc_lo
	s_delay_alu instid0(VALU_DEP_1)
	v_add3_u32 v20, v30, v7, v20
.LBB710_64:                             ;   in Loop: Header=BB710_65 Depth=1
	s_and_b32 vcc_lo, exec_lo, s18
	s_cbranch_vccnz .LBB710_71
.LBB710_65:                             ; =>This Loop Header: Depth=1
                                        ;     Child Loop BB710_68 Depth 2
	v_and_b32_e32 v7, 0xff, v21
	s_mov_b32 s18, -1
                                        ; implicit-def: $vgpr21
	s_delay_alu instid0(VALU_DEP_1)
	v_cmp_ne_u16_e32 vcc_lo, 2, v7
	v_mov_b32_e32 v7, v20
                                        ; implicit-def: $vgpr20
	s_cmp_lg_u32 vcc_lo, exec_lo
	s_cbranch_scc1 .LBB710_64
; %bb.66:                               ;   in Loop: Header=BB710_65 Depth=1
	global_load_b64 v[20:21], v18, s[16:17] scale_offset scope:SCOPE_DEV
	s_mov_b32 s18, exec_lo
	s_wait_loadcnt 0x0
	v_and_b32_e32 v30, 0xff, v21
	s_wait_xcnt 0x0
	s_delay_alu instid0(VALU_DEP_1)
	v_cmpx_eq_u16_e32 0, v30
	s_cbranch_execz .LBB710_63
; %bb.67:                               ;   in Loop: Header=BB710_65 Depth=1
	v_lshl_add_u64 v[30:31], v[18:19], 3, s[16:17]
	s_mov_b32 s19, 0
.LBB710_68:                             ;   Parent Loop BB710_65 Depth=1
                                        ; =>  This Inner Loop Header: Depth=2
	global_load_b64 v[20:21], v[30:31], off scope:SCOPE_DEV
	s_wait_loadcnt 0x0
	v_and_b32_e32 v55, 0xff, v21
	s_delay_alu instid0(VALU_DEP_1)
	v_cmp_ne_u16_e32 vcc_lo, 0, v55
	s_or_b32 s19, vcc_lo, s19
	s_wait_xcnt 0x0
	s_and_not1_b32 exec_lo, exec_lo, s19
	s_cbranch_execnz .LBB710_68
; %bb.69:                               ;   in Loop: Header=BB710_65 Depth=1
	s_or_b32 exec_lo, exec_lo, s19
	s_branch .LBB710_63
.LBB710_70:
                                        ; implicit-def: $vgpr18
                                        ; implicit-def: $vgpr6
                                        ; implicit-def: $vgpr19
                                        ; implicit-def: $vgpr43
                                        ; implicit-def: $vgpr44
                                        ; implicit-def: $vgpr45
                                        ; implicit-def: $vgpr46
                                        ; implicit-def: $vgpr47
                                        ; implicit-def: $vgpr48
	s_and_b32 vcc_lo, exec_lo, s7
	s_cbranch_vccnz .LBB710_76
	s_branch .LBB710_85
.LBB710_71:
	s_and_saveexec_b32 s18, s7
	s_cbranch_execz .LBB710_73
; %bb.72:
	s_add_co_i32 s15, s15, 32
	v_dual_mov_b32 v19, 2 :: v_dual_add_nc_u32 v18, v7, v6
	v_dual_mov_b32 v20, s15 :: v_dual_mov_b32 v21, 0
	global_store_b64 v20, v[18:19], s[16:17] scale_offset scope:SCOPE_DEV
	ds_store_b64 v21, v[6:7] offset:28672
.LBB710_73:
	s_wait_xcnt 0x0
	s_or_b32 exec_lo, exec_lo, s18
	s_delay_alu instid0(SALU_CYCLE_1)
	s_and_b32 exec_lo, exec_lo, s2
; %bb.74:
	v_mov_b32_e32 v6, 0
	ds_store_b32 v6, v7 offset:60
.LBB710_75:
	s_or_b32 exec_lo, exec_lo, s8
	s_wait_dscnt 0x0
	v_dual_mov_b32 v6, 0 :: v_dual_cndmask_b32 v18, v44, v43, s7
	s_wait_storecnt 0x0
	s_barrier_signal -1
	s_barrier_wait -1
	ds_load_b32 v7, v6 offset:60
	v_cndmask_b32_e64 v18, v18, 0, s2
	s_wait_dscnt 0x0
	s_barrier_signal -1
	s_barrier_wait -1
	s_delay_alu instid0(VALU_DEP_1) | instskip(SKIP_2) | instid1(VALU_DEP_1)
	v_add_nc_u32_e32 v48, v7, v18
	ds_load_b64 v[6:7], v6 offset:28672
	v_add_nc_u32_e32 v47, v48, v29
	v_add_nc_u32_e32 v46, v47, v35
	s_delay_alu instid0(VALU_DEP_1) | instskip(SKIP_1) | instid1(VALU_DEP_1)
	v_add_nc_u32_e32 v45, v46, v36
	s_wait_dscnt 0x0
	v_dual_add_nc_u32 v44, v45, v37 :: v_dual_mov_b32 v18, v7
	s_delay_alu instid0(VALU_DEP_1) | instskip(NEXT) | instid1(VALU_DEP_1)
	v_add_nc_u32_e32 v43, v44, v38
	v_add_nc_u32_e32 v19, v43, v39
	s_branch .LBB710_85
.LBB710_76:
	v_mov_b32_dpp v6, v42 row_shr:1 row_mask:0xf bank_mask:0xf
	s_delay_alu instid0(VALU_DEP_1) | instskip(NEXT) | instid1(VALU_DEP_1)
	v_cndmask_b32_e64 v6, v6, 0, s0
	v_add_nc_u32_e32 v6, v6, v42
	s_delay_alu instid0(VALU_DEP_1) | instskip(NEXT) | instid1(VALU_DEP_1)
	v_mov_b32_dpp v7, v6 row_shr:2 row_mask:0xf bank_mask:0xf
	v_cndmask_b32_e64 v7, 0, v7, s3
	s_delay_alu instid0(VALU_DEP_1) | instskip(NEXT) | instid1(VALU_DEP_1)
	v_add_nc_u32_e32 v6, v6, v7
	v_mov_b32_dpp v7, v6 row_shr:4 row_mask:0xf bank_mask:0xf
	s_delay_alu instid0(VALU_DEP_1) | instskip(NEXT) | instid1(VALU_DEP_1)
	v_cndmask_b32_e64 v7, 0, v7, s4
	v_add_nc_u32_e32 v6, v6, v7
	s_delay_alu instid0(VALU_DEP_1) | instskip(NEXT) | instid1(VALU_DEP_1)
	v_mov_b32_dpp v7, v6 row_shr:8 row_mask:0xf bank_mask:0xf
	v_cndmask_b32_e64 v7, 0, v7, s1
	s_delay_alu instid0(VALU_DEP_1) | instskip(SKIP_3) | instid1(VALU_DEP_1)
	v_add_nc_u32_e32 v6, v6, v7
	ds_swizzle_b32 v7, v6 offset:swizzle(BROADCAST,32,15)
	s_wait_dscnt 0x0
	v_cndmask_b32_e64 v7, v7, 0, s6
	v_add_nc_u32_e32 v6, v6, v7
	s_and_saveexec_b32 s6, s5
; %bb.77:
	v_lshlrev_b32_e32 v7, 2, v41
	ds_store_b32 v7, v6
; %bb.78:
	s_or_b32 exec_lo, exec_lo, s6
	s_delay_alu instid0(SALU_CYCLE_1)
	s_mov_b32 s5, exec_lo
	s_wait_dscnt 0x0
	s_barrier_signal -1
	s_barrier_wait -1
	v_cmpx_gt_u32_e32 16, v0
	s_cbranch_execz .LBB710_80
; %bb.79:
	v_mad_i32_i24 v7, 0xffffffcc, v0, v32
	ds_load_b32 v18, v7
	s_wait_dscnt 0x0
	v_mov_b32_dpp v19, v18 row_shr:1 row_mask:0xf bank_mask:0xf
	s_delay_alu instid0(VALU_DEP_1) | instskip(NEXT) | instid1(VALU_DEP_1)
	v_cndmask_b32_e64 v19, v19, 0, s0
	v_add_nc_u32_e32 v18, v19, v18
	s_delay_alu instid0(VALU_DEP_1) | instskip(NEXT) | instid1(VALU_DEP_1)
	v_mov_b32_dpp v19, v18 row_shr:2 row_mask:0xf bank_mask:0xf
	v_cndmask_b32_e64 v19, 0, v19, s3
	s_delay_alu instid0(VALU_DEP_1) | instskip(NEXT) | instid1(VALU_DEP_1)
	v_add_nc_u32_e32 v18, v18, v19
	v_mov_b32_dpp v19, v18 row_shr:4 row_mask:0xf bank_mask:0xf
	s_delay_alu instid0(VALU_DEP_1) | instskip(NEXT) | instid1(VALU_DEP_1)
	v_cndmask_b32_e64 v19, 0, v19, s4
	v_add_nc_u32_e32 v18, v18, v19
	s_delay_alu instid0(VALU_DEP_1) | instskip(NEXT) | instid1(VALU_DEP_1)
	v_mov_b32_dpp v19, v18 row_shr:8 row_mask:0xf bank_mask:0xf
	v_cndmask_b32_e64 v19, 0, v19, s1
	s_delay_alu instid0(VALU_DEP_1)
	v_add_nc_u32_e32 v18, v18, v19
	ds_store_b32 v7, v18
.LBB710_80:
	s_or_b32 exec_lo, exec_lo, s5
	v_dual_mov_b32 v7, 0 :: v_dual_mov_b32 v18, 0
	s_mov_b32 s0, exec_lo
	s_wait_dscnt 0x0
	s_barrier_signal -1
	s_barrier_wait -1
	v_cmpx_lt_u32_e32 31, v0
; %bb.81:
	v_lshl_add_u32 v18, v41, 2, -4
	ds_load_b32 v18, v18
; %bb.82:
	s_or_b32 exec_lo, exec_lo, s0
	v_sub_co_u32 v19, vcc_lo, v40, 1
	s_wait_dscnt 0x0
	v_add_nc_u32_e32 v6, v18, v6
	s_delay_alu instid0(VALU_DEP_2) | instskip(NEXT) | instid1(VALU_DEP_1)
	v_cmp_gt_i32_e64 s0, 0, v19
	v_cndmask_b32_e64 v19, v19, v40, s0
	s_delay_alu instid0(VALU_DEP_1)
	v_lshlrev_b32_e32 v19, 2, v19
	ds_bpermute_b32 v19, v19, v6
	ds_load_b32 v6, v7 offset:60
	s_and_saveexec_b32 s0, s2
	s_cbranch_execz .LBB710_84
; %bb.83:
	v_dual_mov_b32 v20, 0 :: v_dual_mov_b32 v7, 2
	s_wait_dscnt 0x0
	global_store_b64 v20, v[6:7], s[16:17] offset:256 scope:SCOPE_DEV
.LBB710_84:
	s_wait_xcnt 0x0
	s_or_b32 exec_lo, exec_lo, s0
	s_wait_dscnt 0x1
	v_cndmask_b32_e32 v7, v19, v18, vcc_lo
	s_wait_storecnt_dscnt 0x0
	s_barrier_signal -1
	s_barrier_wait -1
	s_delay_alu instid0(VALU_DEP_1) | instskip(NEXT) | instid1(VALU_DEP_1)
	v_cndmask_b32_e64 v48, v7, 0, s2
	v_dual_mov_b32 v18, 0 :: v_dual_add_nc_u32 v47, v48, v29
	s_delay_alu instid0(VALU_DEP_1) | instskip(NEXT) | instid1(VALU_DEP_1)
	v_add_nc_u32_e32 v46, v47, v35
	v_add_nc_u32_e32 v45, v46, v36
	s_delay_alu instid0(VALU_DEP_1) | instskip(NEXT) | instid1(VALU_DEP_1)
	v_add_nc_u32_e32 v44, v45, v37
	v_add_nc_u32_e32 v43, v44, v38
	s_delay_alu instid0(VALU_DEP_1)
	v_add_nc_u32_e32 v19, v43, v39
.LBB710_85:
	v_and_b32_e32 v7, 1, v26
	v_cmp_gt_u32_e32 vcc_lo, 0x201, v6
	v_lshlrev_b64_e32 v[20:21], 3, v[22:23]
	s_mov_b32 s1, -1
	s_delay_alu instid0(VALU_DEP_3)
	v_cmp_eq_u32_e64 s0, 1, v7
	s_cbranch_vccnz .LBB710_89
; %bb.86:
	s_and_b32 vcc_lo, exec_lo, s1
	s_cbranch_vccnz .LBB710_104
.LBB710_87:
	s_and_b32 s0, s2, s9
	s_delay_alu instid0(SALU_CYCLE_1)
	s_and_saveexec_b32 s1, s0
	s_cbranch_execnz .LBB710_121
.LBB710_88:
	s_endpgm
.LBB710_89:
	v_add_nc_u32_e32 v26, v18, v6
	v_add_nc_u64_e32 v[30:31], s[10:11], v[20:21]
	s_delay_alu instid0(VALU_DEP_2) | instskip(SKIP_1) | instid1(SALU_CYCLE_1)
	v_cmp_lt_u32_e32 vcc_lo, v48, v26
	s_or_b32 s1, s14, vcc_lo
	s_and_b32 s1, s1, s0
	s_delay_alu instid0(SALU_CYCLE_1)
	s_and_saveexec_b32 s0, s1
	s_cbranch_execz .LBB710_91
; %bb.90:
	s_delay_alu instid0(VALU_DEP_2)
	v_readfirstlane_b32 s4, v30
	v_readfirstlane_b32 s5, v31
	global_store_b64 v48, v[14:15], s[4:5] scale_offset
.LBB710_91:
	s_wait_xcnt 0x0
	s_or_b32 exec_lo, exec_lo, s0
	v_and_b32_e32 v29, 1, v34
	v_cmp_lt_u32_e32 vcc_lo, v47, v26
	s_delay_alu instid0(VALU_DEP_2) | instskip(SKIP_1) | instid1(SALU_CYCLE_1)
	v_cmp_eq_u32_e64 s0, 1, v29
	s_or_b32 s1, s14, vcc_lo
	s_and_b32 s1, s1, s0
	s_delay_alu instid0(SALU_CYCLE_1)
	s_and_saveexec_b32 s0, s1
	s_cbranch_execz .LBB710_93
; %bb.92:
	v_readfirstlane_b32 s4, v30
	v_readfirstlane_b32 s5, v31
	global_store_b64 v47, v[16:17], s[4:5] scale_offset
.LBB710_93:
	s_wait_xcnt 0x0
	s_or_b32 exec_lo, exec_lo, s0
	v_and_b32_e32 v29, 1, v33
	v_cmp_lt_u32_e32 vcc_lo, v46, v26
	s_delay_alu instid0(VALU_DEP_2) | instskip(SKIP_1) | instid1(SALU_CYCLE_1)
	v_cmp_eq_u32_e64 s0, 1, v29
	s_or_b32 s1, s14, vcc_lo
	s_and_b32 s1, s1, s0
	s_delay_alu instid0(SALU_CYCLE_1)
	s_and_saveexec_b32 s0, s1
	s_cbranch_execz .LBB710_95
; %bb.94:
	v_readfirstlane_b32 s4, v30
	v_readfirstlane_b32 s5, v31
	global_store_b64 v46, v[10:11], s[4:5] scale_offset
.LBB710_95:
	;; [unrolled: 16-line block ×6, first 2 shown]
	s_wait_xcnt 0x0
	s_or_b32 exec_lo, exec_lo, s0
	s_branch .LBB710_87
.LBB710_104:
	s_mov_b32 s0, exec_lo
	v_cmpx_eq_u32_e32 1, v7
; %bb.105:
	v_sub_nc_u32_e32 v7, v48, v18
	s_delay_alu instid0(VALU_DEP_1)
	v_lshlrev_b32_e32 v7, 3, v7
	ds_store_b64 v7, v[14:15]
; %bb.106:
	s_or_b32 exec_lo, exec_lo, s0
	v_and_b32_e32 v7, 1, v34
	s_mov_b32 s0, exec_lo
	s_delay_alu instid0(VALU_DEP_1)
	v_cmpx_eq_u32_e32 1, v7
; %bb.107:
	v_sub_nc_u32_e32 v7, v47, v18
	s_delay_alu instid0(VALU_DEP_1)
	v_lshlrev_b32_e32 v7, 3, v7
	ds_store_b64 v7, v[16:17]
; %bb.108:
	s_or_b32 exec_lo, exec_lo, s0
	v_and_b32_e32 v7, 1, v33
	s_mov_b32 s0, exec_lo
	s_delay_alu instid0(VALU_DEP_1)
	;; [unrolled: 11-line block ×6, first 2 shown]
	v_cmpx_eq_u32_e32 1, v1
; %bb.117:
	v_sub_nc_u32_e32 v1, v19, v18
	s_delay_alu instid0(VALU_DEP_1)
	v_lshlrev_b32_e32 v1, 3, v1
	ds_store_b64 v1, v[4:5]
; %bb.118:
	s_or_b32 exec_lo, exec_lo, s0
	v_mov_b32_e32 v19, 0
	s_mov_b32 s0, 0
	s_wait_storecnt_dscnt 0x0
	s_barrier_signal -1
	s_barrier_wait -1
	v_lshlrev_b64_e32 v[2:3], 3, v[18:19]
	v_mov_b32_e32 v25, v19
	s_delay_alu instid0(VALU_DEP_2) | instskip(NEXT) | instid1(VALU_DEP_1)
	v_add_nc_u64_e32 v[2:3], v[20:21], v[2:3]
	v_add_nc_u64_e32 v[2:3], s[10:11], v[2:3]
	s_delay_alu instid0(VALU_DEP_1)
	v_add_nc_u64_e32 v[2:3], v[2:3], v[24:25]
.LBB710_119:                            ; =>This Inner Loop Header: Depth=1
	ds_load_b64 v[4:5], v24
	v_add_nc_u32_e32 v0, 0x200, v0
	v_add_nc_u32_e32 v24, 0x1000, v24
	s_delay_alu instid0(VALU_DEP_2)
	v_cmp_ge_u32_e32 vcc_lo, v0, v6
	s_or_b32 s0, vcc_lo, s0
	s_wait_dscnt 0x0
	global_store_b64 v[2:3], v[4:5], off
	s_wait_xcnt 0x0
	v_add_nc_u64_e32 v[2:3], 0x1000, v[2:3]
	s_and_not1_b32 exec_lo, exec_lo, s0
	s_cbranch_execnz .LBB710_119
; %bb.120:
	s_or_b32 exec_lo, exec_lo, s0
	s_and_b32 s0, s2, s9
	s_delay_alu instid0(SALU_CYCLE_1)
	s_and_saveexec_b32 s1, s0
	s_cbranch_execz .LBB710_88
.LBB710_121:
	v_mov_b32_e32 v7, 0
	s_delay_alu instid0(VALU_DEP_1) | instskip(SKIP_1) | instid1(VALU_DEP_1)
	v_add_nc_u64_e32 v[0:1], v[22:23], v[6:7]
	v_mov_b32_e32 v19, v7
	v_add_nc_u64_e32 v[0:1], v[0:1], v[18:19]
	global_store_b64 v7, v[0:1], s[12:13]
	s_endpgm
	.section	.rodata,"a",@progbits
	.p2align	6, 0x0
	.amdhsa_kernel _ZN7rocprim17ROCPRIM_400000_NS6detail17trampoline_kernelINS0_14default_configENS1_25partition_config_selectorILNS1_17partition_subalgoE8EmNS0_10empty_typeEbEEZZNS1_14partition_implILS5_8ELb0ES3_jPKmPS6_PKS6_NS0_5tupleIJPmS6_EEENSE_IJSB_SB_EEENS0_18inequality_wrapperIN6hipcub16HIPCUB_304000_NS8EqualityEEEPlJS6_EEE10hipError_tPvRmT3_T4_T5_T6_T7_T9_mT8_P12ihipStream_tbDpT10_ENKUlT_T0_E_clISt17integral_constantIbLb0EES16_IbLb1EEEEDaS12_S13_EUlS12_E_NS1_11comp_targetILNS1_3genE0ELNS1_11target_archE4294967295ELNS1_3gpuE0ELNS1_3repE0EEENS1_30default_config_static_selectorELNS0_4arch9wavefront6targetE0EEEvT1_
		.amdhsa_group_segment_fixed_size 28680
		.amdhsa_private_segment_fixed_size 0
		.amdhsa_kernarg_size 128
		.amdhsa_user_sgpr_count 2
		.amdhsa_user_sgpr_dispatch_ptr 0
		.amdhsa_user_sgpr_queue_ptr 0
		.amdhsa_user_sgpr_kernarg_segment_ptr 1
		.amdhsa_user_sgpr_dispatch_id 0
		.amdhsa_user_sgpr_kernarg_preload_length 0
		.amdhsa_user_sgpr_kernarg_preload_offset 0
		.amdhsa_user_sgpr_private_segment_size 0
		.amdhsa_wavefront_size32 1
		.amdhsa_uses_dynamic_stack 0
		.amdhsa_enable_private_segment 0
		.amdhsa_system_sgpr_workgroup_id_x 1
		.amdhsa_system_sgpr_workgroup_id_y 0
		.amdhsa_system_sgpr_workgroup_id_z 0
		.amdhsa_system_sgpr_workgroup_info 0
		.amdhsa_system_vgpr_workitem_id 0
		.amdhsa_next_free_vgpr 56
		.amdhsa_next_free_sgpr 22
		.amdhsa_named_barrier_count 0
		.amdhsa_reserve_vcc 1
		.amdhsa_float_round_mode_32 0
		.amdhsa_float_round_mode_16_64 0
		.amdhsa_float_denorm_mode_32 3
		.amdhsa_float_denorm_mode_16_64 3
		.amdhsa_fp16_overflow 0
		.amdhsa_memory_ordered 1
		.amdhsa_forward_progress 1
		.amdhsa_inst_pref_size 47
		.amdhsa_round_robin_scheduling 0
		.amdhsa_exception_fp_ieee_invalid_op 0
		.amdhsa_exception_fp_denorm_src 0
		.amdhsa_exception_fp_ieee_div_zero 0
		.amdhsa_exception_fp_ieee_overflow 0
		.amdhsa_exception_fp_ieee_underflow 0
		.amdhsa_exception_fp_ieee_inexact 0
		.amdhsa_exception_int_div_zero 0
	.end_amdhsa_kernel
	.section	.text._ZN7rocprim17ROCPRIM_400000_NS6detail17trampoline_kernelINS0_14default_configENS1_25partition_config_selectorILNS1_17partition_subalgoE8EmNS0_10empty_typeEbEEZZNS1_14partition_implILS5_8ELb0ES3_jPKmPS6_PKS6_NS0_5tupleIJPmS6_EEENSE_IJSB_SB_EEENS0_18inequality_wrapperIN6hipcub16HIPCUB_304000_NS8EqualityEEEPlJS6_EEE10hipError_tPvRmT3_T4_T5_T6_T7_T9_mT8_P12ihipStream_tbDpT10_ENKUlT_T0_E_clISt17integral_constantIbLb0EES16_IbLb1EEEEDaS12_S13_EUlS12_E_NS1_11comp_targetILNS1_3genE0ELNS1_11target_archE4294967295ELNS1_3gpuE0ELNS1_3repE0EEENS1_30default_config_static_selectorELNS0_4arch9wavefront6targetE0EEEvT1_,"axG",@progbits,_ZN7rocprim17ROCPRIM_400000_NS6detail17trampoline_kernelINS0_14default_configENS1_25partition_config_selectorILNS1_17partition_subalgoE8EmNS0_10empty_typeEbEEZZNS1_14partition_implILS5_8ELb0ES3_jPKmPS6_PKS6_NS0_5tupleIJPmS6_EEENSE_IJSB_SB_EEENS0_18inequality_wrapperIN6hipcub16HIPCUB_304000_NS8EqualityEEEPlJS6_EEE10hipError_tPvRmT3_T4_T5_T6_T7_T9_mT8_P12ihipStream_tbDpT10_ENKUlT_T0_E_clISt17integral_constantIbLb0EES16_IbLb1EEEEDaS12_S13_EUlS12_E_NS1_11comp_targetILNS1_3genE0ELNS1_11target_archE4294967295ELNS1_3gpuE0ELNS1_3repE0EEENS1_30default_config_static_selectorELNS0_4arch9wavefront6targetE0EEEvT1_,comdat
.Lfunc_end710:
	.size	_ZN7rocprim17ROCPRIM_400000_NS6detail17trampoline_kernelINS0_14default_configENS1_25partition_config_selectorILNS1_17partition_subalgoE8EmNS0_10empty_typeEbEEZZNS1_14partition_implILS5_8ELb0ES3_jPKmPS6_PKS6_NS0_5tupleIJPmS6_EEENSE_IJSB_SB_EEENS0_18inequality_wrapperIN6hipcub16HIPCUB_304000_NS8EqualityEEEPlJS6_EEE10hipError_tPvRmT3_T4_T5_T6_T7_T9_mT8_P12ihipStream_tbDpT10_ENKUlT_T0_E_clISt17integral_constantIbLb0EES16_IbLb1EEEEDaS12_S13_EUlS12_E_NS1_11comp_targetILNS1_3genE0ELNS1_11target_archE4294967295ELNS1_3gpuE0ELNS1_3repE0EEENS1_30default_config_static_selectorELNS0_4arch9wavefront6targetE0EEEvT1_, .Lfunc_end710-_ZN7rocprim17ROCPRIM_400000_NS6detail17trampoline_kernelINS0_14default_configENS1_25partition_config_selectorILNS1_17partition_subalgoE8EmNS0_10empty_typeEbEEZZNS1_14partition_implILS5_8ELb0ES3_jPKmPS6_PKS6_NS0_5tupleIJPmS6_EEENSE_IJSB_SB_EEENS0_18inequality_wrapperIN6hipcub16HIPCUB_304000_NS8EqualityEEEPlJS6_EEE10hipError_tPvRmT3_T4_T5_T6_T7_T9_mT8_P12ihipStream_tbDpT10_ENKUlT_T0_E_clISt17integral_constantIbLb0EES16_IbLb1EEEEDaS12_S13_EUlS12_E_NS1_11comp_targetILNS1_3genE0ELNS1_11target_archE4294967295ELNS1_3gpuE0ELNS1_3repE0EEENS1_30default_config_static_selectorELNS0_4arch9wavefront6targetE0EEEvT1_
                                        ; -- End function
	.set _ZN7rocprim17ROCPRIM_400000_NS6detail17trampoline_kernelINS0_14default_configENS1_25partition_config_selectorILNS1_17partition_subalgoE8EmNS0_10empty_typeEbEEZZNS1_14partition_implILS5_8ELb0ES3_jPKmPS6_PKS6_NS0_5tupleIJPmS6_EEENSE_IJSB_SB_EEENS0_18inequality_wrapperIN6hipcub16HIPCUB_304000_NS8EqualityEEEPlJS6_EEE10hipError_tPvRmT3_T4_T5_T6_T7_T9_mT8_P12ihipStream_tbDpT10_ENKUlT_T0_E_clISt17integral_constantIbLb0EES16_IbLb1EEEEDaS12_S13_EUlS12_E_NS1_11comp_targetILNS1_3genE0ELNS1_11target_archE4294967295ELNS1_3gpuE0ELNS1_3repE0EEENS1_30default_config_static_selectorELNS0_4arch9wavefront6targetE0EEEvT1_.num_vgpr, 56
	.set _ZN7rocprim17ROCPRIM_400000_NS6detail17trampoline_kernelINS0_14default_configENS1_25partition_config_selectorILNS1_17partition_subalgoE8EmNS0_10empty_typeEbEEZZNS1_14partition_implILS5_8ELb0ES3_jPKmPS6_PKS6_NS0_5tupleIJPmS6_EEENSE_IJSB_SB_EEENS0_18inequality_wrapperIN6hipcub16HIPCUB_304000_NS8EqualityEEEPlJS6_EEE10hipError_tPvRmT3_T4_T5_T6_T7_T9_mT8_P12ihipStream_tbDpT10_ENKUlT_T0_E_clISt17integral_constantIbLb0EES16_IbLb1EEEEDaS12_S13_EUlS12_E_NS1_11comp_targetILNS1_3genE0ELNS1_11target_archE4294967295ELNS1_3gpuE0ELNS1_3repE0EEENS1_30default_config_static_selectorELNS0_4arch9wavefront6targetE0EEEvT1_.num_agpr, 0
	.set _ZN7rocprim17ROCPRIM_400000_NS6detail17trampoline_kernelINS0_14default_configENS1_25partition_config_selectorILNS1_17partition_subalgoE8EmNS0_10empty_typeEbEEZZNS1_14partition_implILS5_8ELb0ES3_jPKmPS6_PKS6_NS0_5tupleIJPmS6_EEENSE_IJSB_SB_EEENS0_18inequality_wrapperIN6hipcub16HIPCUB_304000_NS8EqualityEEEPlJS6_EEE10hipError_tPvRmT3_T4_T5_T6_T7_T9_mT8_P12ihipStream_tbDpT10_ENKUlT_T0_E_clISt17integral_constantIbLb0EES16_IbLb1EEEEDaS12_S13_EUlS12_E_NS1_11comp_targetILNS1_3genE0ELNS1_11target_archE4294967295ELNS1_3gpuE0ELNS1_3repE0EEENS1_30default_config_static_selectorELNS0_4arch9wavefront6targetE0EEEvT1_.numbered_sgpr, 22
	.set _ZN7rocprim17ROCPRIM_400000_NS6detail17trampoline_kernelINS0_14default_configENS1_25partition_config_selectorILNS1_17partition_subalgoE8EmNS0_10empty_typeEbEEZZNS1_14partition_implILS5_8ELb0ES3_jPKmPS6_PKS6_NS0_5tupleIJPmS6_EEENSE_IJSB_SB_EEENS0_18inequality_wrapperIN6hipcub16HIPCUB_304000_NS8EqualityEEEPlJS6_EEE10hipError_tPvRmT3_T4_T5_T6_T7_T9_mT8_P12ihipStream_tbDpT10_ENKUlT_T0_E_clISt17integral_constantIbLb0EES16_IbLb1EEEEDaS12_S13_EUlS12_E_NS1_11comp_targetILNS1_3genE0ELNS1_11target_archE4294967295ELNS1_3gpuE0ELNS1_3repE0EEENS1_30default_config_static_selectorELNS0_4arch9wavefront6targetE0EEEvT1_.num_named_barrier, 0
	.set _ZN7rocprim17ROCPRIM_400000_NS6detail17trampoline_kernelINS0_14default_configENS1_25partition_config_selectorILNS1_17partition_subalgoE8EmNS0_10empty_typeEbEEZZNS1_14partition_implILS5_8ELb0ES3_jPKmPS6_PKS6_NS0_5tupleIJPmS6_EEENSE_IJSB_SB_EEENS0_18inequality_wrapperIN6hipcub16HIPCUB_304000_NS8EqualityEEEPlJS6_EEE10hipError_tPvRmT3_T4_T5_T6_T7_T9_mT8_P12ihipStream_tbDpT10_ENKUlT_T0_E_clISt17integral_constantIbLb0EES16_IbLb1EEEEDaS12_S13_EUlS12_E_NS1_11comp_targetILNS1_3genE0ELNS1_11target_archE4294967295ELNS1_3gpuE0ELNS1_3repE0EEENS1_30default_config_static_selectorELNS0_4arch9wavefront6targetE0EEEvT1_.private_seg_size, 0
	.set _ZN7rocprim17ROCPRIM_400000_NS6detail17trampoline_kernelINS0_14default_configENS1_25partition_config_selectorILNS1_17partition_subalgoE8EmNS0_10empty_typeEbEEZZNS1_14partition_implILS5_8ELb0ES3_jPKmPS6_PKS6_NS0_5tupleIJPmS6_EEENSE_IJSB_SB_EEENS0_18inequality_wrapperIN6hipcub16HIPCUB_304000_NS8EqualityEEEPlJS6_EEE10hipError_tPvRmT3_T4_T5_T6_T7_T9_mT8_P12ihipStream_tbDpT10_ENKUlT_T0_E_clISt17integral_constantIbLb0EES16_IbLb1EEEEDaS12_S13_EUlS12_E_NS1_11comp_targetILNS1_3genE0ELNS1_11target_archE4294967295ELNS1_3gpuE0ELNS1_3repE0EEENS1_30default_config_static_selectorELNS0_4arch9wavefront6targetE0EEEvT1_.uses_vcc, 1
	.set _ZN7rocprim17ROCPRIM_400000_NS6detail17trampoline_kernelINS0_14default_configENS1_25partition_config_selectorILNS1_17partition_subalgoE8EmNS0_10empty_typeEbEEZZNS1_14partition_implILS5_8ELb0ES3_jPKmPS6_PKS6_NS0_5tupleIJPmS6_EEENSE_IJSB_SB_EEENS0_18inequality_wrapperIN6hipcub16HIPCUB_304000_NS8EqualityEEEPlJS6_EEE10hipError_tPvRmT3_T4_T5_T6_T7_T9_mT8_P12ihipStream_tbDpT10_ENKUlT_T0_E_clISt17integral_constantIbLb0EES16_IbLb1EEEEDaS12_S13_EUlS12_E_NS1_11comp_targetILNS1_3genE0ELNS1_11target_archE4294967295ELNS1_3gpuE0ELNS1_3repE0EEENS1_30default_config_static_selectorELNS0_4arch9wavefront6targetE0EEEvT1_.uses_flat_scratch, 0
	.set _ZN7rocprim17ROCPRIM_400000_NS6detail17trampoline_kernelINS0_14default_configENS1_25partition_config_selectorILNS1_17partition_subalgoE8EmNS0_10empty_typeEbEEZZNS1_14partition_implILS5_8ELb0ES3_jPKmPS6_PKS6_NS0_5tupleIJPmS6_EEENSE_IJSB_SB_EEENS0_18inequality_wrapperIN6hipcub16HIPCUB_304000_NS8EqualityEEEPlJS6_EEE10hipError_tPvRmT3_T4_T5_T6_T7_T9_mT8_P12ihipStream_tbDpT10_ENKUlT_T0_E_clISt17integral_constantIbLb0EES16_IbLb1EEEEDaS12_S13_EUlS12_E_NS1_11comp_targetILNS1_3genE0ELNS1_11target_archE4294967295ELNS1_3gpuE0ELNS1_3repE0EEENS1_30default_config_static_selectorELNS0_4arch9wavefront6targetE0EEEvT1_.has_dyn_sized_stack, 0
	.set _ZN7rocprim17ROCPRIM_400000_NS6detail17trampoline_kernelINS0_14default_configENS1_25partition_config_selectorILNS1_17partition_subalgoE8EmNS0_10empty_typeEbEEZZNS1_14partition_implILS5_8ELb0ES3_jPKmPS6_PKS6_NS0_5tupleIJPmS6_EEENSE_IJSB_SB_EEENS0_18inequality_wrapperIN6hipcub16HIPCUB_304000_NS8EqualityEEEPlJS6_EEE10hipError_tPvRmT3_T4_T5_T6_T7_T9_mT8_P12ihipStream_tbDpT10_ENKUlT_T0_E_clISt17integral_constantIbLb0EES16_IbLb1EEEEDaS12_S13_EUlS12_E_NS1_11comp_targetILNS1_3genE0ELNS1_11target_archE4294967295ELNS1_3gpuE0ELNS1_3repE0EEENS1_30default_config_static_selectorELNS0_4arch9wavefront6targetE0EEEvT1_.has_recursion, 0
	.set _ZN7rocprim17ROCPRIM_400000_NS6detail17trampoline_kernelINS0_14default_configENS1_25partition_config_selectorILNS1_17partition_subalgoE8EmNS0_10empty_typeEbEEZZNS1_14partition_implILS5_8ELb0ES3_jPKmPS6_PKS6_NS0_5tupleIJPmS6_EEENSE_IJSB_SB_EEENS0_18inequality_wrapperIN6hipcub16HIPCUB_304000_NS8EqualityEEEPlJS6_EEE10hipError_tPvRmT3_T4_T5_T6_T7_T9_mT8_P12ihipStream_tbDpT10_ENKUlT_T0_E_clISt17integral_constantIbLb0EES16_IbLb1EEEEDaS12_S13_EUlS12_E_NS1_11comp_targetILNS1_3genE0ELNS1_11target_archE4294967295ELNS1_3gpuE0ELNS1_3repE0EEENS1_30default_config_static_selectorELNS0_4arch9wavefront6targetE0EEEvT1_.has_indirect_call, 0
	.section	.AMDGPU.csdata,"",@progbits
; Kernel info:
; codeLenInByte = 5932
; TotalNumSgprs: 24
; NumVgprs: 56
; ScratchSize: 0
; MemoryBound: 0
; FloatMode: 240
; IeeeMode: 1
; LDSByteSize: 28680 bytes/workgroup (compile time only)
; SGPRBlocks: 0
; VGPRBlocks: 3
; NumSGPRsForWavesPerEU: 24
; NumVGPRsForWavesPerEU: 56
; NamedBarCnt: 0
; Occupancy: 16
; WaveLimiterHint : 1
; COMPUTE_PGM_RSRC2:SCRATCH_EN: 0
; COMPUTE_PGM_RSRC2:USER_SGPR: 2
; COMPUTE_PGM_RSRC2:TRAP_HANDLER: 0
; COMPUTE_PGM_RSRC2:TGID_X_EN: 1
; COMPUTE_PGM_RSRC2:TGID_Y_EN: 0
; COMPUTE_PGM_RSRC2:TGID_Z_EN: 0
; COMPUTE_PGM_RSRC2:TIDIG_COMP_CNT: 0
	.section	.text._ZN7rocprim17ROCPRIM_400000_NS6detail17trampoline_kernelINS0_14default_configENS1_25partition_config_selectorILNS1_17partition_subalgoE8EmNS0_10empty_typeEbEEZZNS1_14partition_implILS5_8ELb0ES3_jPKmPS6_PKS6_NS0_5tupleIJPmS6_EEENSE_IJSB_SB_EEENS0_18inequality_wrapperIN6hipcub16HIPCUB_304000_NS8EqualityEEEPlJS6_EEE10hipError_tPvRmT3_T4_T5_T6_T7_T9_mT8_P12ihipStream_tbDpT10_ENKUlT_T0_E_clISt17integral_constantIbLb0EES16_IbLb1EEEEDaS12_S13_EUlS12_E_NS1_11comp_targetILNS1_3genE5ELNS1_11target_archE942ELNS1_3gpuE9ELNS1_3repE0EEENS1_30default_config_static_selectorELNS0_4arch9wavefront6targetE0EEEvT1_,"axG",@progbits,_ZN7rocprim17ROCPRIM_400000_NS6detail17trampoline_kernelINS0_14default_configENS1_25partition_config_selectorILNS1_17partition_subalgoE8EmNS0_10empty_typeEbEEZZNS1_14partition_implILS5_8ELb0ES3_jPKmPS6_PKS6_NS0_5tupleIJPmS6_EEENSE_IJSB_SB_EEENS0_18inequality_wrapperIN6hipcub16HIPCUB_304000_NS8EqualityEEEPlJS6_EEE10hipError_tPvRmT3_T4_T5_T6_T7_T9_mT8_P12ihipStream_tbDpT10_ENKUlT_T0_E_clISt17integral_constantIbLb0EES16_IbLb1EEEEDaS12_S13_EUlS12_E_NS1_11comp_targetILNS1_3genE5ELNS1_11target_archE942ELNS1_3gpuE9ELNS1_3repE0EEENS1_30default_config_static_selectorELNS0_4arch9wavefront6targetE0EEEvT1_,comdat
	.protected	_ZN7rocprim17ROCPRIM_400000_NS6detail17trampoline_kernelINS0_14default_configENS1_25partition_config_selectorILNS1_17partition_subalgoE8EmNS0_10empty_typeEbEEZZNS1_14partition_implILS5_8ELb0ES3_jPKmPS6_PKS6_NS0_5tupleIJPmS6_EEENSE_IJSB_SB_EEENS0_18inequality_wrapperIN6hipcub16HIPCUB_304000_NS8EqualityEEEPlJS6_EEE10hipError_tPvRmT3_T4_T5_T6_T7_T9_mT8_P12ihipStream_tbDpT10_ENKUlT_T0_E_clISt17integral_constantIbLb0EES16_IbLb1EEEEDaS12_S13_EUlS12_E_NS1_11comp_targetILNS1_3genE5ELNS1_11target_archE942ELNS1_3gpuE9ELNS1_3repE0EEENS1_30default_config_static_selectorELNS0_4arch9wavefront6targetE0EEEvT1_ ; -- Begin function _ZN7rocprim17ROCPRIM_400000_NS6detail17trampoline_kernelINS0_14default_configENS1_25partition_config_selectorILNS1_17partition_subalgoE8EmNS0_10empty_typeEbEEZZNS1_14partition_implILS5_8ELb0ES3_jPKmPS6_PKS6_NS0_5tupleIJPmS6_EEENSE_IJSB_SB_EEENS0_18inequality_wrapperIN6hipcub16HIPCUB_304000_NS8EqualityEEEPlJS6_EEE10hipError_tPvRmT3_T4_T5_T6_T7_T9_mT8_P12ihipStream_tbDpT10_ENKUlT_T0_E_clISt17integral_constantIbLb0EES16_IbLb1EEEEDaS12_S13_EUlS12_E_NS1_11comp_targetILNS1_3genE5ELNS1_11target_archE942ELNS1_3gpuE9ELNS1_3repE0EEENS1_30default_config_static_selectorELNS0_4arch9wavefront6targetE0EEEvT1_
	.globl	_ZN7rocprim17ROCPRIM_400000_NS6detail17trampoline_kernelINS0_14default_configENS1_25partition_config_selectorILNS1_17partition_subalgoE8EmNS0_10empty_typeEbEEZZNS1_14partition_implILS5_8ELb0ES3_jPKmPS6_PKS6_NS0_5tupleIJPmS6_EEENSE_IJSB_SB_EEENS0_18inequality_wrapperIN6hipcub16HIPCUB_304000_NS8EqualityEEEPlJS6_EEE10hipError_tPvRmT3_T4_T5_T6_T7_T9_mT8_P12ihipStream_tbDpT10_ENKUlT_T0_E_clISt17integral_constantIbLb0EES16_IbLb1EEEEDaS12_S13_EUlS12_E_NS1_11comp_targetILNS1_3genE5ELNS1_11target_archE942ELNS1_3gpuE9ELNS1_3repE0EEENS1_30default_config_static_selectorELNS0_4arch9wavefront6targetE0EEEvT1_
	.p2align	8
	.type	_ZN7rocprim17ROCPRIM_400000_NS6detail17trampoline_kernelINS0_14default_configENS1_25partition_config_selectorILNS1_17partition_subalgoE8EmNS0_10empty_typeEbEEZZNS1_14partition_implILS5_8ELb0ES3_jPKmPS6_PKS6_NS0_5tupleIJPmS6_EEENSE_IJSB_SB_EEENS0_18inequality_wrapperIN6hipcub16HIPCUB_304000_NS8EqualityEEEPlJS6_EEE10hipError_tPvRmT3_T4_T5_T6_T7_T9_mT8_P12ihipStream_tbDpT10_ENKUlT_T0_E_clISt17integral_constantIbLb0EES16_IbLb1EEEEDaS12_S13_EUlS12_E_NS1_11comp_targetILNS1_3genE5ELNS1_11target_archE942ELNS1_3gpuE9ELNS1_3repE0EEENS1_30default_config_static_selectorELNS0_4arch9wavefront6targetE0EEEvT1_,@function
_ZN7rocprim17ROCPRIM_400000_NS6detail17trampoline_kernelINS0_14default_configENS1_25partition_config_selectorILNS1_17partition_subalgoE8EmNS0_10empty_typeEbEEZZNS1_14partition_implILS5_8ELb0ES3_jPKmPS6_PKS6_NS0_5tupleIJPmS6_EEENSE_IJSB_SB_EEENS0_18inequality_wrapperIN6hipcub16HIPCUB_304000_NS8EqualityEEEPlJS6_EEE10hipError_tPvRmT3_T4_T5_T6_T7_T9_mT8_P12ihipStream_tbDpT10_ENKUlT_T0_E_clISt17integral_constantIbLb0EES16_IbLb1EEEEDaS12_S13_EUlS12_E_NS1_11comp_targetILNS1_3genE5ELNS1_11target_archE942ELNS1_3gpuE9ELNS1_3repE0EEENS1_30default_config_static_selectorELNS0_4arch9wavefront6targetE0EEEvT1_: ; @_ZN7rocprim17ROCPRIM_400000_NS6detail17trampoline_kernelINS0_14default_configENS1_25partition_config_selectorILNS1_17partition_subalgoE8EmNS0_10empty_typeEbEEZZNS1_14partition_implILS5_8ELb0ES3_jPKmPS6_PKS6_NS0_5tupleIJPmS6_EEENSE_IJSB_SB_EEENS0_18inequality_wrapperIN6hipcub16HIPCUB_304000_NS8EqualityEEEPlJS6_EEE10hipError_tPvRmT3_T4_T5_T6_T7_T9_mT8_P12ihipStream_tbDpT10_ENKUlT_T0_E_clISt17integral_constantIbLb0EES16_IbLb1EEEEDaS12_S13_EUlS12_E_NS1_11comp_targetILNS1_3genE5ELNS1_11target_archE942ELNS1_3gpuE9ELNS1_3repE0EEENS1_30default_config_static_selectorELNS0_4arch9wavefront6targetE0EEEvT1_
; %bb.0:
	.section	.rodata,"a",@progbits
	.p2align	6, 0x0
	.amdhsa_kernel _ZN7rocprim17ROCPRIM_400000_NS6detail17trampoline_kernelINS0_14default_configENS1_25partition_config_selectorILNS1_17partition_subalgoE8EmNS0_10empty_typeEbEEZZNS1_14partition_implILS5_8ELb0ES3_jPKmPS6_PKS6_NS0_5tupleIJPmS6_EEENSE_IJSB_SB_EEENS0_18inequality_wrapperIN6hipcub16HIPCUB_304000_NS8EqualityEEEPlJS6_EEE10hipError_tPvRmT3_T4_T5_T6_T7_T9_mT8_P12ihipStream_tbDpT10_ENKUlT_T0_E_clISt17integral_constantIbLb0EES16_IbLb1EEEEDaS12_S13_EUlS12_E_NS1_11comp_targetILNS1_3genE5ELNS1_11target_archE942ELNS1_3gpuE9ELNS1_3repE0EEENS1_30default_config_static_selectorELNS0_4arch9wavefront6targetE0EEEvT1_
		.amdhsa_group_segment_fixed_size 0
		.amdhsa_private_segment_fixed_size 0
		.amdhsa_kernarg_size 128
		.amdhsa_user_sgpr_count 2
		.amdhsa_user_sgpr_dispatch_ptr 0
		.amdhsa_user_sgpr_queue_ptr 0
		.amdhsa_user_sgpr_kernarg_segment_ptr 1
		.amdhsa_user_sgpr_dispatch_id 0
		.amdhsa_user_sgpr_kernarg_preload_length 0
		.amdhsa_user_sgpr_kernarg_preload_offset 0
		.amdhsa_user_sgpr_private_segment_size 0
		.amdhsa_wavefront_size32 1
		.amdhsa_uses_dynamic_stack 0
		.amdhsa_enable_private_segment 0
		.amdhsa_system_sgpr_workgroup_id_x 1
		.amdhsa_system_sgpr_workgroup_id_y 0
		.amdhsa_system_sgpr_workgroup_id_z 0
		.amdhsa_system_sgpr_workgroup_info 0
		.amdhsa_system_vgpr_workitem_id 0
		.amdhsa_next_free_vgpr 1
		.amdhsa_next_free_sgpr 1
		.amdhsa_named_barrier_count 0
		.amdhsa_reserve_vcc 0
		.amdhsa_float_round_mode_32 0
		.amdhsa_float_round_mode_16_64 0
		.amdhsa_float_denorm_mode_32 3
		.amdhsa_float_denorm_mode_16_64 3
		.amdhsa_fp16_overflow 0
		.amdhsa_memory_ordered 1
		.amdhsa_forward_progress 1
		.amdhsa_inst_pref_size 0
		.amdhsa_round_robin_scheduling 0
		.amdhsa_exception_fp_ieee_invalid_op 0
		.amdhsa_exception_fp_denorm_src 0
		.amdhsa_exception_fp_ieee_div_zero 0
		.amdhsa_exception_fp_ieee_overflow 0
		.amdhsa_exception_fp_ieee_underflow 0
		.amdhsa_exception_fp_ieee_inexact 0
		.amdhsa_exception_int_div_zero 0
	.end_amdhsa_kernel
	.section	.text._ZN7rocprim17ROCPRIM_400000_NS6detail17trampoline_kernelINS0_14default_configENS1_25partition_config_selectorILNS1_17partition_subalgoE8EmNS0_10empty_typeEbEEZZNS1_14partition_implILS5_8ELb0ES3_jPKmPS6_PKS6_NS0_5tupleIJPmS6_EEENSE_IJSB_SB_EEENS0_18inequality_wrapperIN6hipcub16HIPCUB_304000_NS8EqualityEEEPlJS6_EEE10hipError_tPvRmT3_T4_T5_T6_T7_T9_mT8_P12ihipStream_tbDpT10_ENKUlT_T0_E_clISt17integral_constantIbLb0EES16_IbLb1EEEEDaS12_S13_EUlS12_E_NS1_11comp_targetILNS1_3genE5ELNS1_11target_archE942ELNS1_3gpuE9ELNS1_3repE0EEENS1_30default_config_static_selectorELNS0_4arch9wavefront6targetE0EEEvT1_,"axG",@progbits,_ZN7rocprim17ROCPRIM_400000_NS6detail17trampoline_kernelINS0_14default_configENS1_25partition_config_selectorILNS1_17partition_subalgoE8EmNS0_10empty_typeEbEEZZNS1_14partition_implILS5_8ELb0ES3_jPKmPS6_PKS6_NS0_5tupleIJPmS6_EEENSE_IJSB_SB_EEENS0_18inequality_wrapperIN6hipcub16HIPCUB_304000_NS8EqualityEEEPlJS6_EEE10hipError_tPvRmT3_T4_T5_T6_T7_T9_mT8_P12ihipStream_tbDpT10_ENKUlT_T0_E_clISt17integral_constantIbLb0EES16_IbLb1EEEEDaS12_S13_EUlS12_E_NS1_11comp_targetILNS1_3genE5ELNS1_11target_archE942ELNS1_3gpuE9ELNS1_3repE0EEENS1_30default_config_static_selectorELNS0_4arch9wavefront6targetE0EEEvT1_,comdat
.Lfunc_end711:
	.size	_ZN7rocprim17ROCPRIM_400000_NS6detail17trampoline_kernelINS0_14default_configENS1_25partition_config_selectorILNS1_17partition_subalgoE8EmNS0_10empty_typeEbEEZZNS1_14partition_implILS5_8ELb0ES3_jPKmPS6_PKS6_NS0_5tupleIJPmS6_EEENSE_IJSB_SB_EEENS0_18inequality_wrapperIN6hipcub16HIPCUB_304000_NS8EqualityEEEPlJS6_EEE10hipError_tPvRmT3_T4_T5_T6_T7_T9_mT8_P12ihipStream_tbDpT10_ENKUlT_T0_E_clISt17integral_constantIbLb0EES16_IbLb1EEEEDaS12_S13_EUlS12_E_NS1_11comp_targetILNS1_3genE5ELNS1_11target_archE942ELNS1_3gpuE9ELNS1_3repE0EEENS1_30default_config_static_selectorELNS0_4arch9wavefront6targetE0EEEvT1_, .Lfunc_end711-_ZN7rocprim17ROCPRIM_400000_NS6detail17trampoline_kernelINS0_14default_configENS1_25partition_config_selectorILNS1_17partition_subalgoE8EmNS0_10empty_typeEbEEZZNS1_14partition_implILS5_8ELb0ES3_jPKmPS6_PKS6_NS0_5tupleIJPmS6_EEENSE_IJSB_SB_EEENS0_18inequality_wrapperIN6hipcub16HIPCUB_304000_NS8EqualityEEEPlJS6_EEE10hipError_tPvRmT3_T4_T5_T6_T7_T9_mT8_P12ihipStream_tbDpT10_ENKUlT_T0_E_clISt17integral_constantIbLb0EES16_IbLb1EEEEDaS12_S13_EUlS12_E_NS1_11comp_targetILNS1_3genE5ELNS1_11target_archE942ELNS1_3gpuE9ELNS1_3repE0EEENS1_30default_config_static_selectorELNS0_4arch9wavefront6targetE0EEEvT1_
                                        ; -- End function
	.set _ZN7rocprim17ROCPRIM_400000_NS6detail17trampoline_kernelINS0_14default_configENS1_25partition_config_selectorILNS1_17partition_subalgoE8EmNS0_10empty_typeEbEEZZNS1_14partition_implILS5_8ELb0ES3_jPKmPS6_PKS6_NS0_5tupleIJPmS6_EEENSE_IJSB_SB_EEENS0_18inequality_wrapperIN6hipcub16HIPCUB_304000_NS8EqualityEEEPlJS6_EEE10hipError_tPvRmT3_T4_T5_T6_T7_T9_mT8_P12ihipStream_tbDpT10_ENKUlT_T0_E_clISt17integral_constantIbLb0EES16_IbLb1EEEEDaS12_S13_EUlS12_E_NS1_11comp_targetILNS1_3genE5ELNS1_11target_archE942ELNS1_3gpuE9ELNS1_3repE0EEENS1_30default_config_static_selectorELNS0_4arch9wavefront6targetE0EEEvT1_.num_vgpr, 0
	.set _ZN7rocprim17ROCPRIM_400000_NS6detail17trampoline_kernelINS0_14default_configENS1_25partition_config_selectorILNS1_17partition_subalgoE8EmNS0_10empty_typeEbEEZZNS1_14partition_implILS5_8ELb0ES3_jPKmPS6_PKS6_NS0_5tupleIJPmS6_EEENSE_IJSB_SB_EEENS0_18inequality_wrapperIN6hipcub16HIPCUB_304000_NS8EqualityEEEPlJS6_EEE10hipError_tPvRmT3_T4_T5_T6_T7_T9_mT8_P12ihipStream_tbDpT10_ENKUlT_T0_E_clISt17integral_constantIbLb0EES16_IbLb1EEEEDaS12_S13_EUlS12_E_NS1_11comp_targetILNS1_3genE5ELNS1_11target_archE942ELNS1_3gpuE9ELNS1_3repE0EEENS1_30default_config_static_selectorELNS0_4arch9wavefront6targetE0EEEvT1_.num_agpr, 0
	.set _ZN7rocprim17ROCPRIM_400000_NS6detail17trampoline_kernelINS0_14default_configENS1_25partition_config_selectorILNS1_17partition_subalgoE8EmNS0_10empty_typeEbEEZZNS1_14partition_implILS5_8ELb0ES3_jPKmPS6_PKS6_NS0_5tupleIJPmS6_EEENSE_IJSB_SB_EEENS0_18inequality_wrapperIN6hipcub16HIPCUB_304000_NS8EqualityEEEPlJS6_EEE10hipError_tPvRmT3_T4_T5_T6_T7_T9_mT8_P12ihipStream_tbDpT10_ENKUlT_T0_E_clISt17integral_constantIbLb0EES16_IbLb1EEEEDaS12_S13_EUlS12_E_NS1_11comp_targetILNS1_3genE5ELNS1_11target_archE942ELNS1_3gpuE9ELNS1_3repE0EEENS1_30default_config_static_selectorELNS0_4arch9wavefront6targetE0EEEvT1_.numbered_sgpr, 0
	.set _ZN7rocprim17ROCPRIM_400000_NS6detail17trampoline_kernelINS0_14default_configENS1_25partition_config_selectorILNS1_17partition_subalgoE8EmNS0_10empty_typeEbEEZZNS1_14partition_implILS5_8ELb0ES3_jPKmPS6_PKS6_NS0_5tupleIJPmS6_EEENSE_IJSB_SB_EEENS0_18inequality_wrapperIN6hipcub16HIPCUB_304000_NS8EqualityEEEPlJS6_EEE10hipError_tPvRmT3_T4_T5_T6_T7_T9_mT8_P12ihipStream_tbDpT10_ENKUlT_T0_E_clISt17integral_constantIbLb0EES16_IbLb1EEEEDaS12_S13_EUlS12_E_NS1_11comp_targetILNS1_3genE5ELNS1_11target_archE942ELNS1_3gpuE9ELNS1_3repE0EEENS1_30default_config_static_selectorELNS0_4arch9wavefront6targetE0EEEvT1_.num_named_barrier, 0
	.set _ZN7rocprim17ROCPRIM_400000_NS6detail17trampoline_kernelINS0_14default_configENS1_25partition_config_selectorILNS1_17partition_subalgoE8EmNS0_10empty_typeEbEEZZNS1_14partition_implILS5_8ELb0ES3_jPKmPS6_PKS6_NS0_5tupleIJPmS6_EEENSE_IJSB_SB_EEENS0_18inequality_wrapperIN6hipcub16HIPCUB_304000_NS8EqualityEEEPlJS6_EEE10hipError_tPvRmT3_T4_T5_T6_T7_T9_mT8_P12ihipStream_tbDpT10_ENKUlT_T0_E_clISt17integral_constantIbLb0EES16_IbLb1EEEEDaS12_S13_EUlS12_E_NS1_11comp_targetILNS1_3genE5ELNS1_11target_archE942ELNS1_3gpuE9ELNS1_3repE0EEENS1_30default_config_static_selectorELNS0_4arch9wavefront6targetE0EEEvT1_.private_seg_size, 0
	.set _ZN7rocprim17ROCPRIM_400000_NS6detail17trampoline_kernelINS0_14default_configENS1_25partition_config_selectorILNS1_17partition_subalgoE8EmNS0_10empty_typeEbEEZZNS1_14partition_implILS5_8ELb0ES3_jPKmPS6_PKS6_NS0_5tupleIJPmS6_EEENSE_IJSB_SB_EEENS0_18inequality_wrapperIN6hipcub16HIPCUB_304000_NS8EqualityEEEPlJS6_EEE10hipError_tPvRmT3_T4_T5_T6_T7_T9_mT8_P12ihipStream_tbDpT10_ENKUlT_T0_E_clISt17integral_constantIbLb0EES16_IbLb1EEEEDaS12_S13_EUlS12_E_NS1_11comp_targetILNS1_3genE5ELNS1_11target_archE942ELNS1_3gpuE9ELNS1_3repE0EEENS1_30default_config_static_selectorELNS0_4arch9wavefront6targetE0EEEvT1_.uses_vcc, 0
	.set _ZN7rocprim17ROCPRIM_400000_NS6detail17trampoline_kernelINS0_14default_configENS1_25partition_config_selectorILNS1_17partition_subalgoE8EmNS0_10empty_typeEbEEZZNS1_14partition_implILS5_8ELb0ES3_jPKmPS6_PKS6_NS0_5tupleIJPmS6_EEENSE_IJSB_SB_EEENS0_18inequality_wrapperIN6hipcub16HIPCUB_304000_NS8EqualityEEEPlJS6_EEE10hipError_tPvRmT3_T4_T5_T6_T7_T9_mT8_P12ihipStream_tbDpT10_ENKUlT_T0_E_clISt17integral_constantIbLb0EES16_IbLb1EEEEDaS12_S13_EUlS12_E_NS1_11comp_targetILNS1_3genE5ELNS1_11target_archE942ELNS1_3gpuE9ELNS1_3repE0EEENS1_30default_config_static_selectorELNS0_4arch9wavefront6targetE0EEEvT1_.uses_flat_scratch, 0
	.set _ZN7rocprim17ROCPRIM_400000_NS6detail17trampoline_kernelINS0_14default_configENS1_25partition_config_selectorILNS1_17partition_subalgoE8EmNS0_10empty_typeEbEEZZNS1_14partition_implILS5_8ELb0ES3_jPKmPS6_PKS6_NS0_5tupleIJPmS6_EEENSE_IJSB_SB_EEENS0_18inequality_wrapperIN6hipcub16HIPCUB_304000_NS8EqualityEEEPlJS6_EEE10hipError_tPvRmT3_T4_T5_T6_T7_T9_mT8_P12ihipStream_tbDpT10_ENKUlT_T0_E_clISt17integral_constantIbLb0EES16_IbLb1EEEEDaS12_S13_EUlS12_E_NS1_11comp_targetILNS1_3genE5ELNS1_11target_archE942ELNS1_3gpuE9ELNS1_3repE0EEENS1_30default_config_static_selectorELNS0_4arch9wavefront6targetE0EEEvT1_.has_dyn_sized_stack, 0
	.set _ZN7rocprim17ROCPRIM_400000_NS6detail17trampoline_kernelINS0_14default_configENS1_25partition_config_selectorILNS1_17partition_subalgoE8EmNS0_10empty_typeEbEEZZNS1_14partition_implILS5_8ELb0ES3_jPKmPS6_PKS6_NS0_5tupleIJPmS6_EEENSE_IJSB_SB_EEENS0_18inequality_wrapperIN6hipcub16HIPCUB_304000_NS8EqualityEEEPlJS6_EEE10hipError_tPvRmT3_T4_T5_T6_T7_T9_mT8_P12ihipStream_tbDpT10_ENKUlT_T0_E_clISt17integral_constantIbLb0EES16_IbLb1EEEEDaS12_S13_EUlS12_E_NS1_11comp_targetILNS1_3genE5ELNS1_11target_archE942ELNS1_3gpuE9ELNS1_3repE0EEENS1_30default_config_static_selectorELNS0_4arch9wavefront6targetE0EEEvT1_.has_recursion, 0
	.set _ZN7rocprim17ROCPRIM_400000_NS6detail17trampoline_kernelINS0_14default_configENS1_25partition_config_selectorILNS1_17partition_subalgoE8EmNS0_10empty_typeEbEEZZNS1_14partition_implILS5_8ELb0ES3_jPKmPS6_PKS6_NS0_5tupleIJPmS6_EEENSE_IJSB_SB_EEENS0_18inequality_wrapperIN6hipcub16HIPCUB_304000_NS8EqualityEEEPlJS6_EEE10hipError_tPvRmT3_T4_T5_T6_T7_T9_mT8_P12ihipStream_tbDpT10_ENKUlT_T0_E_clISt17integral_constantIbLb0EES16_IbLb1EEEEDaS12_S13_EUlS12_E_NS1_11comp_targetILNS1_3genE5ELNS1_11target_archE942ELNS1_3gpuE9ELNS1_3repE0EEENS1_30default_config_static_selectorELNS0_4arch9wavefront6targetE0EEEvT1_.has_indirect_call, 0
	.section	.AMDGPU.csdata,"",@progbits
; Kernel info:
; codeLenInByte = 0
; TotalNumSgprs: 0
; NumVgprs: 0
; ScratchSize: 0
; MemoryBound: 0
; FloatMode: 240
; IeeeMode: 1
; LDSByteSize: 0 bytes/workgroup (compile time only)
; SGPRBlocks: 0
; VGPRBlocks: 0
; NumSGPRsForWavesPerEU: 1
; NumVGPRsForWavesPerEU: 1
; NamedBarCnt: 0
; Occupancy: 16
; WaveLimiterHint : 0
; COMPUTE_PGM_RSRC2:SCRATCH_EN: 0
; COMPUTE_PGM_RSRC2:USER_SGPR: 2
; COMPUTE_PGM_RSRC2:TRAP_HANDLER: 0
; COMPUTE_PGM_RSRC2:TGID_X_EN: 1
; COMPUTE_PGM_RSRC2:TGID_Y_EN: 0
; COMPUTE_PGM_RSRC2:TGID_Z_EN: 0
; COMPUTE_PGM_RSRC2:TIDIG_COMP_CNT: 0
	.section	.text._ZN7rocprim17ROCPRIM_400000_NS6detail17trampoline_kernelINS0_14default_configENS1_25partition_config_selectorILNS1_17partition_subalgoE8EmNS0_10empty_typeEbEEZZNS1_14partition_implILS5_8ELb0ES3_jPKmPS6_PKS6_NS0_5tupleIJPmS6_EEENSE_IJSB_SB_EEENS0_18inequality_wrapperIN6hipcub16HIPCUB_304000_NS8EqualityEEEPlJS6_EEE10hipError_tPvRmT3_T4_T5_T6_T7_T9_mT8_P12ihipStream_tbDpT10_ENKUlT_T0_E_clISt17integral_constantIbLb0EES16_IbLb1EEEEDaS12_S13_EUlS12_E_NS1_11comp_targetILNS1_3genE4ELNS1_11target_archE910ELNS1_3gpuE8ELNS1_3repE0EEENS1_30default_config_static_selectorELNS0_4arch9wavefront6targetE0EEEvT1_,"axG",@progbits,_ZN7rocprim17ROCPRIM_400000_NS6detail17trampoline_kernelINS0_14default_configENS1_25partition_config_selectorILNS1_17partition_subalgoE8EmNS0_10empty_typeEbEEZZNS1_14partition_implILS5_8ELb0ES3_jPKmPS6_PKS6_NS0_5tupleIJPmS6_EEENSE_IJSB_SB_EEENS0_18inequality_wrapperIN6hipcub16HIPCUB_304000_NS8EqualityEEEPlJS6_EEE10hipError_tPvRmT3_T4_T5_T6_T7_T9_mT8_P12ihipStream_tbDpT10_ENKUlT_T0_E_clISt17integral_constantIbLb0EES16_IbLb1EEEEDaS12_S13_EUlS12_E_NS1_11comp_targetILNS1_3genE4ELNS1_11target_archE910ELNS1_3gpuE8ELNS1_3repE0EEENS1_30default_config_static_selectorELNS0_4arch9wavefront6targetE0EEEvT1_,comdat
	.protected	_ZN7rocprim17ROCPRIM_400000_NS6detail17trampoline_kernelINS0_14default_configENS1_25partition_config_selectorILNS1_17partition_subalgoE8EmNS0_10empty_typeEbEEZZNS1_14partition_implILS5_8ELb0ES3_jPKmPS6_PKS6_NS0_5tupleIJPmS6_EEENSE_IJSB_SB_EEENS0_18inequality_wrapperIN6hipcub16HIPCUB_304000_NS8EqualityEEEPlJS6_EEE10hipError_tPvRmT3_T4_T5_T6_T7_T9_mT8_P12ihipStream_tbDpT10_ENKUlT_T0_E_clISt17integral_constantIbLb0EES16_IbLb1EEEEDaS12_S13_EUlS12_E_NS1_11comp_targetILNS1_3genE4ELNS1_11target_archE910ELNS1_3gpuE8ELNS1_3repE0EEENS1_30default_config_static_selectorELNS0_4arch9wavefront6targetE0EEEvT1_ ; -- Begin function _ZN7rocprim17ROCPRIM_400000_NS6detail17trampoline_kernelINS0_14default_configENS1_25partition_config_selectorILNS1_17partition_subalgoE8EmNS0_10empty_typeEbEEZZNS1_14partition_implILS5_8ELb0ES3_jPKmPS6_PKS6_NS0_5tupleIJPmS6_EEENSE_IJSB_SB_EEENS0_18inequality_wrapperIN6hipcub16HIPCUB_304000_NS8EqualityEEEPlJS6_EEE10hipError_tPvRmT3_T4_T5_T6_T7_T9_mT8_P12ihipStream_tbDpT10_ENKUlT_T0_E_clISt17integral_constantIbLb0EES16_IbLb1EEEEDaS12_S13_EUlS12_E_NS1_11comp_targetILNS1_3genE4ELNS1_11target_archE910ELNS1_3gpuE8ELNS1_3repE0EEENS1_30default_config_static_selectorELNS0_4arch9wavefront6targetE0EEEvT1_
	.globl	_ZN7rocprim17ROCPRIM_400000_NS6detail17trampoline_kernelINS0_14default_configENS1_25partition_config_selectorILNS1_17partition_subalgoE8EmNS0_10empty_typeEbEEZZNS1_14partition_implILS5_8ELb0ES3_jPKmPS6_PKS6_NS0_5tupleIJPmS6_EEENSE_IJSB_SB_EEENS0_18inequality_wrapperIN6hipcub16HIPCUB_304000_NS8EqualityEEEPlJS6_EEE10hipError_tPvRmT3_T4_T5_T6_T7_T9_mT8_P12ihipStream_tbDpT10_ENKUlT_T0_E_clISt17integral_constantIbLb0EES16_IbLb1EEEEDaS12_S13_EUlS12_E_NS1_11comp_targetILNS1_3genE4ELNS1_11target_archE910ELNS1_3gpuE8ELNS1_3repE0EEENS1_30default_config_static_selectorELNS0_4arch9wavefront6targetE0EEEvT1_
	.p2align	8
	.type	_ZN7rocprim17ROCPRIM_400000_NS6detail17trampoline_kernelINS0_14default_configENS1_25partition_config_selectorILNS1_17partition_subalgoE8EmNS0_10empty_typeEbEEZZNS1_14partition_implILS5_8ELb0ES3_jPKmPS6_PKS6_NS0_5tupleIJPmS6_EEENSE_IJSB_SB_EEENS0_18inequality_wrapperIN6hipcub16HIPCUB_304000_NS8EqualityEEEPlJS6_EEE10hipError_tPvRmT3_T4_T5_T6_T7_T9_mT8_P12ihipStream_tbDpT10_ENKUlT_T0_E_clISt17integral_constantIbLb0EES16_IbLb1EEEEDaS12_S13_EUlS12_E_NS1_11comp_targetILNS1_3genE4ELNS1_11target_archE910ELNS1_3gpuE8ELNS1_3repE0EEENS1_30default_config_static_selectorELNS0_4arch9wavefront6targetE0EEEvT1_,@function
_ZN7rocprim17ROCPRIM_400000_NS6detail17trampoline_kernelINS0_14default_configENS1_25partition_config_selectorILNS1_17partition_subalgoE8EmNS0_10empty_typeEbEEZZNS1_14partition_implILS5_8ELb0ES3_jPKmPS6_PKS6_NS0_5tupleIJPmS6_EEENSE_IJSB_SB_EEENS0_18inequality_wrapperIN6hipcub16HIPCUB_304000_NS8EqualityEEEPlJS6_EEE10hipError_tPvRmT3_T4_T5_T6_T7_T9_mT8_P12ihipStream_tbDpT10_ENKUlT_T0_E_clISt17integral_constantIbLb0EES16_IbLb1EEEEDaS12_S13_EUlS12_E_NS1_11comp_targetILNS1_3genE4ELNS1_11target_archE910ELNS1_3gpuE8ELNS1_3repE0EEENS1_30default_config_static_selectorELNS0_4arch9wavefront6targetE0EEEvT1_: ; @_ZN7rocprim17ROCPRIM_400000_NS6detail17trampoline_kernelINS0_14default_configENS1_25partition_config_selectorILNS1_17partition_subalgoE8EmNS0_10empty_typeEbEEZZNS1_14partition_implILS5_8ELb0ES3_jPKmPS6_PKS6_NS0_5tupleIJPmS6_EEENSE_IJSB_SB_EEENS0_18inequality_wrapperIN6hipcub16HIPCUB_304000_NS8EqualityEEEPlJS6_EEE10hipError_tPvRmT3_T4_T5_T6_T7_T9_mT8_P12ihipStream_tbDpT10_ENKUlT_T0_E_clISt17integral_constantIbLb0EES16_IbLb1EEEEDaS12_S13_EUlS12_E_NS1_11comp_targetILNS1_3genE4ELNS1_11target_archE910ELNS1_3gpuE8ELNS1_3repE0EEENS1_30default_config_static_selectorELNS0_4arch9wavefront6targetE0EEEvT1_
; %bb.0:
	.section	.rodata,"a",@progbits
	.p2align	6, 0x0
	.amdhsa_kernel _ZN7rocprim17ROCPRIM_400000_NS6detail17trampoline_kernelINS0_14default_configENS1_25partition_config_selectorILNS1_17partition_subalgoE8EmNS0_10empty_typeEbEEZZNS1_14partition_implILS5_8ELb0ES3_jPKmPS6_PKS6_NS0_5tupleIJPmS6_EEENSE_IJSB_SB_EEENS0_18inequality_wrapperIN6hipcub16HIPCUB_304000_NS8EqualityEEEPlJS6_EEE10hipError_tPvRmT3_T4_T5_T6_T7_T9_mT8_P12ihipStream_tbDpT10_ENKUlT_T0_E_clISt17integral_constantIbLb0EES16_IbLb1EEEEDaS12_S13_EUlS12_E_NS1_11comp_targetILNS1_3genE4ELNS1_11target_archE910ELNS1_3gpuE8ELNS1_3repE0EEENS1_30default_config_static_selectorELNS0_4arch9wavefront6targetE0EEEvT1_
		.amdhsa_group_segment_fixed_size 0
		.amdhsa_private_segment_fixed_size 0
		.amdhsa_kernarg_size 128
		.amdhsa_user_sgpr_count 2
		.amdhsa_user_sgpr_dispatch_ptr 0
		.amdhsa_user_sgpr_queue_ptr 0
		.amdhsa_user_sgpr_kernarg_segment_ptr 1
		.amdhsa_user_sgpr_dispatch_id 0
		.amdhsa_user_sgpr_kernarg_preload_length 0
		.amdhsa_user_sgpr_kernarg_preload_offset 0
		.amdhsa_user_sgpr_private_segment_size 0
		.amdhsa_wavefront_size32 1
		.amdhsa_uses_dynamic_stack 0
		.amdhsa_enable_private_segment 0
		.amdhsa_system_sgpr_workgroup_id_x 1
		.amdhsa_system_sgpr_workgroup_id_y 0
		.amdhsa_system_sgpr_workgroup_id_z 0
		.amdhsa_system_sgpr_workgroup_info 0
		.amdhsa_system_vgpr_workitem_id 0
		.amdhsa_next_free_vgpr 1
		.amdhsa_next_free_sgpr 1
		.amdhsa_named_barrier_count 0
		.amdhsa_reserve_vcc 0
		.amdhsa_float_round_mode_32 0
		.amdhsa_float_round_mode_16_64 0
		.amdhsa_float_denorm_mode_32 3
		.amdhsa_float_denorm_mode_16_64 3
		.amdhsa_fp16_overflow 0
		.amdhsa_memory_ordered 1
		.amdhsa_forward_progress 1
		.amdhsa_inst_pref_size 0
		.amdhsa_round_robin_scheduling 0
		.amdhsa_exception_fp_ieee_invalid_op 0
		.amdhsa_exception_fp_denorm_src 0
		.amdhsa_exception_fp_ieee_div_zero 0
		.amdhsa_exception_fp_ieee_overflow 0
		.amdhsa_exception_fp_ieee_underflow 0
		.amdhsa_exception_fp_ieee_inexact 0
		.amdhsa_exception_int_div_zero 0
	.end_amdhsa_kernel
	.section	.text._ZN7rocprim17ROCPRIM_400000_NS6detail17trampoline_kernelINS0_14default_configENS1_25partition_config_selectorILNS1_17partition_subalgoE8EmNS0_10empty_typeEbEEZZNS1_14partition_implILS5_8ELb0ES3_jPKmPS6_PKS6_NS0_5tupleIJPmS6_EEENSE_IJSB_SB_EEENS0_18inequality_wrapperIN6hipcub16HIPCUB_304000_NS8EqualityEEEPlJS6_EEE10hipError_tPvRmT3_T4_T5_T6_T7_T9_mT8_P12ihipStream_tbDpT10_ENKUlT_T0_E_clISt17integral_constantIbLb0EES16_IbLb1EEEEDaS12_S13_EUlS12_E_NS1_11comp_targetILNS1_3genE4ELNS1_11target_archE910ELNS1_3gpuE8ELNS1_3repE0EEENS1_30default_config_static_selectorELNS0_4arch9wavefront6targetE0EEEvT1_,"axG",@progbits,_ZN7rocprim17ROCPRIM_400000_NS6detail17trampoline_kernelINS0_14default_configENS1_25partition_config_selectorILNS1_17partition_subalgoE8EmNS0_10empty_typeEbEEZZNS1_14partition_implILS5_8ELb0ES3_jPKmPS6_PKS6_NS0_5tupleIJPmS6_EEENSE_IJSB_SB_EEENS0_18inequality_wrapperIN6hipcub16HIPCUB_304000_NS8EqualityEEEPlJS6_EEE10hipError_tPvRmT3_T4_T5_T6_T7_T9_mT8_P12ihipStream_tbDpT10_ENKUlT_T0_E_clISt17integral_constantIbLb0EES16_IbLb1EEEEDaS12_S13_EUlS12_E_NS1_11comp_targetILNS1_3genE4ELNS1_11target_archE910ELNS1_3gpuE8ELNS1_3repE0EEENS1_30default_config_static_selectorELNS0_4arch9wavefront6targetE0EEEvT1_,comdat
.Lfunc_end712:
	.size	_ZN7rocprim17ROCPRIM_400000_NS6detail17trampoline_kernelINS0_14default_configENS1_25partition_config_selectorILNS1_17partition_subalgoE8EmNS0_10empty_typeEbEEZZNS1_14partition_implILS5_8ELb0ES3_jPKmPS6_PKS6_NS0_5tupleIJPmS6_EEENSE_IJSB_SB_EEENS0_18inequality_wrapperIN6hipcub16HIPCUB_304000_NS8EqualityEEEPlJS6_EEE10hipError_tPvRmT3_T4_T5_T6_T7_T9_mT8_P12ihipStream_tbDpT10_ENKUlT_T0_E_clISt17integral_constantIbLb0EES16_IbLb1EEEEDaS12_S13_EUlS12_E_NS1_11comp_targetILNS1_3genE4ELNS1_11target_archE910ELNS1_3gpuE8ELNS1_3repE0EEENS1_30default_config_static_selectorELNS0_4arch9wavefront6targetE0EEEvT1_, .Lfunc_end712-_ZN7rocprim17ROCPRIM_400000_NS6detail17trampoline_kernelINS0_14default_configENS1_25partition_config_selectorILNS1_17partition_subalgoE8EmNS0_10empty_typeEbEEZZNS1_14partition_implILS5_8ELb0ES3_jPKmPS6_PKS6_NS0_5tupleIJPmS6_EEENSE_IJSB_SB_EEENS0_18inequality_wrapperIN6hipcub16HIPCUB_304000_NS8EqualityEEEPlJS6_EEE10hipError_tPvRmT3_T4_T5_T6_T7_T9_mT8_P12ihipStream_tbDpT10_ENKUlT_T0_E_clISt17integral_constantIbLb0EES16_IbLb1EEEEDaS12_S13_EUlS12_E_NS1_11comp_targetILNS1_3genE4ELNS1_11target_archE910ELNS1_3gpuE8ELNS1_3repE0EEENS1_30default_config_static_selectorELNS0_4arch9wavefront6targetE0EEEvT1_
                                        ; -- End function
	.set _ZN7rocprim17ROCPRIM_400000_NS6detail17trampoline_kernelINS0_14default_configENS1_25partition_config_selectorILNS1_17partition_subalgoE8EmNS0_10empty_typeEbEEZZNS1_14partition_implILS5_8ELb0ES3_jPKmPS6_PKS6_NS0_5tupleIJPmS6_EEENSE_IJSB_SB_EEENS0_18inequality_wrapperIN6hipcub16HIPCUB_304000_NS8EqualityEEEPlJS6_EEE10hipError_tPvRmT3_T4_T5_T6_T7_T9_mT8_P12ihipStream_tbDpT10_ENKUlT_T0_E_clISt17integral_constantIbLb0EES16_IbLb1EEEEDaS12_S13_EUlS12_E_NS1_11comp_targetILNS1_3genE4ELNS1_11target_archE910ELNS1_3gpuE8ELNS1_3repE0EEENS1_30default_config_static_selectorELNS0_4arch9wavefront6targetE0EEEvT1_.num_vgpr, 0
	.set _ZN7rocprim17ROCPRIM_400000_NS6detail17trampoline_kernelINS0_14default_configENS1_25partition_config_selectorILNS1_17partition_subalgoE8EmNS0_10empty_typeEbEEZZNS1_14partition_implILS5_8ELb0ES3_jPKmPS6_PKS6_NS0_5tupleIJPmS6_EEENSE_IJSB_SB_EEENS0_18inequality_wrapperIN6hipcub16HIPCUB_304000_NS8EqualityEEEPlJS6_EEE10hipError_tPvRmT3_T4_T5_T6_T7_T9_mT8_P12ihipStream_tbDpT10_ENKUlT_T0_E_clISt17integral_constantIbLb0EES16_IbLb1EEEEDaS12_S13_EUlS12_E_NS1_11comp_targetILNS1_3genE4ELNS1_11target_archE910ELNS1_3gpuE8ELNS1_3repE0EEENS1_30default_config_static_selectorELNS0_4arch9wavefront6targetE0EEEvT1_.num_agpr, 0
	.set _ZN7rocprim17ROCPRIM_400000_NS6detail17trampoline_kernelINS0_14default_configENS1_25partition_config_selectorILNS1_17partition_subalgoE8EmNS0_10empty_typeEbEEZZNS1_14partition_implILS5_8ELb0ES3_jPKmPS6_PKS6_NS0_5tupleIJPmS6_EEENSE_IJSB_SB_EEENS0_18inequality_wrapperIN6hipcub16HIPCUB_304000_NS8EqualityEEEPlJS6_EEE10hipError_tPvRmT3_T4_T5_T6_T7_T9_mT8_P12ihipStream_tbDpT10_ENKUlT_T0_E_clISt17integral_constantIbLb0EES16_IbLb1EEEEDaS12_S13_EUlS12_E_NS1_11comp_targetILNS1_3genE4ELNS1_11target_archE910ELNS1_3gpuE8ELNS1_3repE0EEENS1_30default_config_static_selectorELNS0_4arch9wavefront6targetE0EEEvT1_.numbered_sgpr, 0
	.set _ZN7rocprim17ROCPRIM_400000_NS6detail17trampoline_kernelINS0_14default_configENS1_25partition_config_selectorILNS1_17partition_subalgoE8EmNS0_10empty_typeEbEEZZNS1_14partition_implILS5_8ELb0ES3_jPKmPS6_PKS6_NS0_5tupleIJPmS6_EEENSE_IJSB_SB_EEENS0_18inequality_wrapperIN6hipcub16HIPCUB_304000_NS8EqualityEEEPlJS6_EEE10hipError_tPvRmT3_T4_T5_T6_T7_T9_mT8_P12ihipStream_tbDpT10_ENKUlT_T0_E_clISt17integral_constantIbLb0EES16_IbLb1EEEEDaS12_S13_EUlS12_E_NS1_11comp_targetILNS1_3genE4ELNS1_11target_archE910ELNS1_3gpuE8ELNS1_3repE0EEENS1_30default_config_static_selectorELNS0_4arch9wavefront6targetE0EEEvT1_.num_named_barrier, 0
	.set _ZN7rocprim17ROCPRIM_400000_NS6detail17trampoline_kernelINS0_14default_configENS1_25partition_config_selectorILNS1_17partition_subalgoE8EmNS0_10empty_typeEbEEZZNS1_14partition_implILS5_8ELb0ES3_jPKmPS6_PKS6_NS0_5tupleIJPmS6_EEENSE_IJSB_SB_EEENS0_18inequality_wrapperIN6hipcub16HIPCUB_304000_NS8EqualityEEEPlJS6_EEE10hipError_tPvRmT3_T4_T5_T6_T7_T9_mT8_P12ihipStream_tbDpT10_ENKUlT_T0_E_clISt17integral_constantIbLb0EES16_IbLb1EEEEDaS12_S13_EUlS12_E_NS1_11comp_targetILNS1_3genE4ELNS1_11target_archE910ELNS1_3gpuE8ELNS1_3repE0EEENS1_30default_config_static_selectorELNS0_4arch9wavefront6targetE0EEEvT1_.private_seg_size, 0
	.set _ZN7rocprim17ROCPRIM_400000_NS6detail17trampoline_kernelINS0_14default_configENS1_25partition_config_selectorILNS1_17partition_subalgoE8EmNS0_10empty_typeEbEEZZNS1_14partition_implILS5_8ELb0ES3_jPKmPS6_PKS6_NS0_5tupleIJPmS6_EEENSE_IJSB_SB_EEENS0_18inequality_wrapperIN6hipcub16HIPCUB_304000_NS8EqualityEEEPlJS6_EEE10hipError_tPvRmT3_T4_T5_T6_T7_T9_mT8_P12ihipStream_tbDpT10_ENKUlT_T0_E_clISt17integral_constantIbLb0EES16_IbLb1EEEEDaS12_S13_EUlS12_E_NS1_11comp_targetILNS1_3genE4ELNS1_11target_archE910ELNS1_3gpuE8ELNS1_3repE0EEENS1_30default_config_static_selectorELNS0_4arch9wavefront6targetE0EEEvT1_.uses_vcc, 0
	.set _ZN7rocprim17ROCPRIM_400000_NS6detail17trampoline_kernelINS0_14default_configENS1_25partition_config_selectorILNS1_17partition_subalgoE8EmNS0_10empty_typeEbEEZZNS1_14partition_implILS5_8ELb0ES3_jPKmPS6_PKS6_NS0_5tupleIJPmS6_EEENSE_IJSB_SB_EEENS0_18inequality_wrapperIN6hipcub16HIPCUB_304000_NS8EqualityEEEPlJS6_EEE10hipError_tPvRmT3_T4_T5_T6_T7_T9_mT8_P12ihipStream_tbDpT10_ENKUlT_T0_E_clISt17integral_constantIbLb0EES16_IbLb1EEEEDaS12_S13_EUlS12_E_NS1_11comp_targetILNS1_3genE4ELNS1_11target_archE910ELNS1_3gpuE8ELNS1_3repE0EEENS1_30default_config_static_selectorELNS0_4arch9wavefront6targetE0EEEvT1_.uses_flat_scratch, 0
	.set _ZN7rocprim17ROCPRIM_400000_NS6detail17trampoline_kernelINS0_14default_configENS1_25partition_config_selectorILNS1_17partition_subalgoE8EmNS0_10empty_typeEbEEZZNS1_14partition_implILS5_8ELb0ES3_jPKmPS6_PKS6_NS0_5tupleIJPmS6_EEENSE_IJSB_SB_EEENS0_18inequality_wrapperIN6hipcub16HIPCUB_304000_NS8EqualityEEEPlJS6_EEE10hipError_tPvRmT3_T4_T5_T6_T7_T9_mT8_P12ihipStream_tbDpT10_ENKUlT_T0_E_clISt17integral_constantIbLb0EES16_IbLb1EEEEDaS12_S13_EUlS12_E_NS1_11comp_targetILNS1_3genE4ELNS1_11target_archE910ELNS1_3gpuE8ELNS1_3repE0EEENS1_30default_config_static_selectorELNS0_4arch9wavefront6targetE0EEEvT1_.has_dyn_sized_stack, 0
	.set _ZN7rocprim17ROCPRIM_400000_NS6detail17trampoline_kernelINS0_14default_configENS1_25partition_config_selectorILNS1_17partition_subalgoE8EmNS0_10empty_typeEbEEZZNS1_14partition_implILS5_8ELb0ES3_jPKmPS6_PKS6_NS0_5tupleIJPmS6_EEENSE_IJSB_SB_EEENS0_18inequality_wrapperIN6hipcub16HIPCUB_304000_NS8EqualityEEEPlJS6_EEE10hipError_tPvRmT3_T4_T5_T6_T7_T9_mT8_P12ihipStream_tbDpT10_ENKUlT_T0_E_clISt17integral_constantIbLb0EES16_IbLb1EEEEDaS12_S13_EUlS12_E_NS1_11comp_targetILNS1_3genE4ELNS1_11target_archE910ELNS1_3gpuE8ELNS1_3repE0EEENS1_30default_config_static_selectorELNS0_4arch9wavefront6targetE0EEEvT1_.has_recursion, 0
	.set _ZN7rocprim17ROCPRIM_400000_NS6detail17trampoline_kernelINS0_14default_configENS1_25partition_config_selectorILNS1_17partition_subalgoE8EmNS0_10empty_typeEbEEZZNS1_14partition_implILS5_8ELb0ES3_jPKmPS6_PKS6_NS0_5tupleIJPmS6_EEENSE_IJSB_SB_EEENS0_18inequality_wrapperIN6hipcub16HIPCUB_304000_NS8EqualityEEEPlJS6_EEE10hipError_tPvRmT3_T4_T5_T6_T7_T9_mT8_P12ihipStream_tbDpT10_ENKUlT_T0_E_clISt17integral_constantIbLb0EES16_IbLb1EEEEDaS12_S13_EUlS12_E_NS1_11comp_targetILNS1_3genE4ELNS1_11target_archE910ELNS1_3gpuE8ELNS1_3repE0EEENS1_30default_config_static_selectorELNS0_4arch9wavefront6targetE0EEEvT1_.has_indirect_call, 0
	.section	.AMDGPU.csdata,"",@progbits
; Kernel info:
; codeLenInByte = 0
; TotalNumSgprs: 0
; NumVgprs: 0
; ScratchSize: 0
; MemoryBound: 0
; FloatMode: 240
; IeeeMode: 1
; LDSByteSize: 0 bytes/workgroup (compile time only)
; SGPRBlocks: 0
; VGPRBlocks: 0
; NumSGPRsForWavesPerEU: 1
; NumVGPRsForWavesPerEU: 1
; NamedBarCnt: 0
; Occupancy: 16
; WaveLimiterHint : 0
; COMPUTE_PGM_RSRC2:SCRATCH_EN: 0
; COMPUTE_PGM_RSRC2:USER_SGPR: 2
; COMPUTE_PGM_RSRC2:TRAP_HANDLER: 0
; COMPUTE_PGM_RSRC2:TGID_X_EN: 1
; COMPUTE_PGM_RSRC2:TGID_Y_EN: 0
; COMPUTE_PGM_RSRC2:TGID_Z_EN: 0
; COMPUTE_PGM_RSRC2:TIDIG_COMP_CNT: 0
	.section	.text._ZN7rocprim17ROCPRIM_400000_NS6detail17trampoline_kernelINS0_14default_configENS1_25partition_config_selectorILNS1_17partition_subalgoE8EmNS0_10empty_typeEbEEZZNS1_14partition_implILS5_8ELb0ES3_jPKmPS6_PKS6_NS0_5tupleIJPmS6_EEENSE_IJSB_SB_EEENS0_18inequality_wrapperIN6hipcub16HIPCUB_304000_NS8EqualityEEEPlJS6_EEE10hipError_tPvRmT3_T4_T5_T6_T7_T9_mT8_P12ihipStream_tbDpT10_ENKUlT_T0_E_clISt17integral_constantIbLb0EES16_IbLb1EEEEDaS12_S13_EUlS12_E_NS1_11comp_targetILNS1_3genE3ELNS1_11target_archE908ELNS1_3gpuE7ELNS1_3repE0EEENS1_30default_config_static_selectorELNS0_4arch9wavefront6targetE0EEEvT1_,"axG",@progbits,_ZN7rocprim17ROCPRIM_400000_NS6detail17trampoline_kernelINS0_14default_configENS1_25partition_config_selectorILNS1_17partition_subalgoE8EmNS0_10empty_typeEbEEZZNS1_14partition_implILS5_8ELb0ES3_jPKmPS6_PKS6_NS0_5tupleIJPmS6_EEENSE_IJSB_SB_EEENS0_18inequality_wrapperIN6hipcub16HIPCUB_304000_NS8EqualityEEEPlJS6_EEE10hipError_tPvRmT3_T4_T5_T6_T7_T9_mT8_P12ihipStream_tbDpT10_ENKUlT_T0_E_clISt17integral_constantIbLb0EES16_IbLb1EEEEDaS12_S13_EUlS12_E_NS1_11comp_targetILNS1_3genE3ELNS1_11target_archE908ELNS1_3gpuE7ELNS1_3repE0EEENS1_30default_config_static_selectorELNS0_4arch9wavefront6targetE0EEEvT1_,comdat
	.protected	_ZN7rocprim17ROCPRIM_400000_NS6detail17trampoline_kernelINS0_14default_configENS1_25partition_config_selectorILNS1_17partition_subalgoE8EmNS0_10empty_typeEbEEZZNS1_14partition_implILS5_8ELb0ES3_jPKmPS6_PKS6_NS0_5tupleIJPmS6_EEENSE_IJSB_SB_EEENS0_18inequality_wrapperIN6hipcub16HIPCUB_304000_NS8EqualityEEEPlJS6_EEE10hipError_tPvRmT3_T4_T5_T6_T7_T9_mT8_P12ihipStream_tbDpT10_ENKUlT_T0_E_clISt17integral_constantIbLb0EES16_IbLb1EEEEDaS12_S13_EUlS12_E_NS1_11comp_targetILNS1_3genE3ELNS1_11target_archE908ELNS1_3gpuE7ELNS1_3repE0EEENS1_30default_config_static_selectorELNS0_4arch9wavefront6targetE0EEEvT1_ ; -- Begin function _ZN7rocprim17ROCPRIM_400000_NS6detail17trampoline_kernelINS0_14default_configENS1_25partition_config_selectorILNS1_17partition_subalgoE8EmNS0_10empty_typeEbEEZZNS1_14partition_implILS5_8ELb0ES3_jPKmPS6_PKS6_NS0_5tupleIJPmS6_EEENSE_IJSB_SB_EEENS0_18inequality_wrapperIN6hipcub16HIPCUB_304000_NS8EqualityEEEPlJS6_EEE10hipError_tPvRmT3_T4_T5_T6_T7_T9_mT8_P12ihipStream_tbDpT10_ENKUlT_T0_E_clISt17integral_constantIbLb0EES16_IbLb1EEEEDaS12_S13_EUlS12_E_NS1_11comp_targetILNS1_3genE3ELNS1_11target_archE908ELNS1_3gpuE7ELNS1_3repE0EEENS1_30default_config_static_selectorELNS0_4arch9wavefront6targetE0EEEvT1_
	.globl	_ZN7rocprim17ROCPRIM_400000_NS6detail17trampoline_kernelINS0_14default_configENS1_25partition_config_selectorILNS1_17partition_subalgoE8EmNS0_10empty_typeEbEEZZNS1_14partition_implILS5_8ELb0ES3_jPKmPS6_PKS6_NS0_5tupleIJPmS6_EEENSE_IJSB_SB_EEENS0_18inequality_wrapperIN6hipcub16HIPCUB_304000_NS8EqualityEEEPlJS6_EEE10hipError_tPvRmT3_T4_T5_T6_T7_T9_mT8_P12ihipStream_tbDpT10_ENKUlT_T0_E_clISt17integral_constantIbLb0EES16_IbLb1EEEEDaS12_S13_EUlS12_E_NS1_11comp_targetILNS1_3genE3ELNS1_11target_archE908ELNS1_3gpuE7ELNS1_3repE0EEENS1_30default_config_static_selectorELNS0_4arch9wavefront6targetE0EEEvT1_
	.p2align	8
	.type	_ZN7rocprim17ROCPRIM_400000_NS6detail17trampoline_kernelINS0_14default_configENS1_25partition_config_selectorILNS1_17partition_subalgoE8EmNS0_10empty_typeEbEEZZNS1_14partition_implILS5_8ELb0ES3_jPKmPS6_PKS6_NS0_5tupleIJPmS6_EEENSE_IJSB_SB_EEENS0_18inequality_wrapperIN6hipcub16HIPCUB_304000_NS8EqualityEEEPlJS6_EEE10hipError_tPvRmT3_T4_T5_T6_T7_T9_mT8_P12ihipStream_tbDpT10_ENKUlT_T0_E_clISt17integral_constantIbLb0EES16_IbLb1EEEEDaS12_S13_EUlS12_E_NS1_11comp_targetILNS1_3genE3ELNS1_11target_archE908ELNS1_3gpuE7ELNS1_3repE0EEENS1_30default_config_static_selectorELNS0_4arch9wavefront6targetE0EEEvT1_,@function
_ZN7rocprim17ROCPRIM_400000_NS6detail17trampoline_kernelINS0_14default_configENS1_25partition_config_selectorILNS1_17partition_subalgoE8EmNS0_10empty_typeEbEEZZNS1_14partition_implILS5_8ELb0ES3_jPKmPS6_PKS6_NS0_5tupleIJPmS6_EEENSE_IJSB_SB_EEENS0_18inequality_wrapperIN6hipcub16HIPCUB_304000_NS8EqualityEEEPlJS6_EEE10hipError_tPvRmT3_T4_T5_T6_T7_T9_mT8_P12ihipStream_tbDpT10_ENKUlT_T0_E_clISt17integral_constantIbLb0EES16_IbLb1EEEEDaS12_S13_EUlS12_E_NS1_11comp_targetILNS1_3genE3ELNS1_11target_archE908ELNS1_3gpuE7ELNS1_3repE0EEENS1_30default_config_static_selectorELNS0_4arch9wavefront6targetE0EEEvT1_: ; @_ZN7rocprim17ROCPRIM_400000_NS6detail17trampoline_kernelINS0_14default_configENS1_25partition_config_selectorILNS1_17partition_subalgoE8EmNS0_10empty_typeEbEEZZNS1_14partition_implILS5_8ELb0ES3_jPKmPS6_PKS6_NS0_5tupleIJPmS6_EEENSE_IJSB_SB_EEENS0_18inequality_wrapperIN6hipcub16HIPCUB_304000_NS8EqualityEEEPlJS6_EEE10hipError_tPvRmT3_T4_T5_T6_T7_T9_mT8_P12ihipStream_tbDpT10_ENKUlT_T0_E_clISt17integral_constantIbLb0EES16_IbLb1EEEEDaS12_S13_EUlS12_E_NS1_11comp_targetILNS1_3genE3ELNS1_11target_archE908ELNS1_3gpuE7ELNS1_3repE0EEENS1_30default_config_static_selectorELNS0_4arch9wavefront6targetE0EEEvT1_
; %bb.0:
	.section	.rodata,"a",@progbits
	.p2align	6, 0x0
	.amdhsa_kernel _ZN7rocprim17ROCPRIM_400000_NS6detail17trampoline_kernelINS0_14default_configENS1_25partition_config_selectorILNS1_17partition_subalgoE8EmNS0_10empty_typeEbEEZZNS1_14partition_implILS5_8ELb0ES3_jPKmPS6_PKS6_NS0_5tupleIJPmS6_EEENSE_IJSB_SB_EEENS0_18inequality_wrapperIN6hipcub16HIPCUB_304000_NS8EqualityEEEPlJS6_EEE10hipError_tPvRmT3_T4_T5_T6_T7_T9_mT8_P12ihipStream_tbDpT10_ENKUlT_T0_E_clISt17integral_constantIbLb0EES16_IbLb1EEEEDaS12_S13_EUlS12_E_NS1_11comp_targetILNS1_3genE3ELNS1_11target_archE908ELNS1_3gpuE7ELNS1_3repE0EEENS1_30default_config_static_selectorELNS0_4arch9wavefront6targetE0EEEvT1_
		.amdhsa_group_segment_fixed_size 0
		.amdhsa_private_segment_fixed_size 0
		.amdhsa_kernarg_size 128
		.amdhsa_user_sgpr_count 2
		.amdhsa_user_sgpr_dispatch_ptr 0
		.amdhsa_user_sgpr_queue_ptr 0
		.amdhsa_user_sgpr_kernarg_segment_ptr 1
		.amdhsa_user_sgpr_dispatch_id 0
		.amdhsa_user_sgpr_kernarg_preload_length 0
		.amdhsa_user_sgpr_kernarg_preload_offset 0
		.amdhsa_user_sgpr_private_segment_size 0
		.amdhsa_wavefront_size32 1
		.amdhsa_uses_dynamic_stack 0
		.amdhsa_enable_private_segment 0
		.amdhsa_system_sgpr_workgroup_id_x 1
		.amdhsa_system_sgpr_workgroup_id_y 0
		.amdhsa_system_sgpr_workgroup_id_z 0
		.amdhsa_system_sgpr_workgroup_info 0
		.amdhsa_system_vgpr_workitem_id 0
		.amdhsa_next_free_vgpr 1
		.amdhsa_next_free_sgpr 1
		.amdhsa_named_barrier_count 0
		.amdhsa_reserve_vcc 0
		.amdhsa_float_round_mode_32 0
		.amdhsa_float_round_mode_16_64 0
		.amdhsa_float_denorm_mode_32 3
		.amdhsa_float_denorm_mode_16_64 3
		.amdhsa_fp16_overflow 0
		.amdhsa_memory_ordered 1
		.amdhsa_forward_progress 1
		.amdhsa_inst_pref_size 0
		.amdhsa_round_robin_scheduling 0
		.amdhsa_exception_fp_ieee_invalid_op 0
		.amdhsa_exception_fp_denorm_src 0
		.amdhsa_exception_fp_ieee_div_zero 0
		.amdhsa_exception_fp_ieee_overflow 0
		.amdhsa_exception_fp_ieee_underflow 0
		.amdhsa_exception_fp_ieee_inexact 0
		.amdhsa_exception_int_div_zero 0
	.end_amdhsa_kernel
	.section	.text._ZN7rocprim17ROCPRIM_400000_NS6detail17trampoline_kernelINS0_14default_configENS1_25partition_config_selectorILNS1_17partition_subalgoE8EmNS0_10empty_typeEbEEZZNS1_14partition_implILS5_8ELb0ES3_jPKmPS6_PKS6_NS0_5tupleIJPmS6_EEENSE_IJSB_SB_EEENS0_18inequality_wrapperIN6hipcub16HIPCUB_304000_NS8EqualityEEEPlJS6_EEE10hipError_tPvRmT3_T4_T5_T6_T7_T9_mT8_P12ihipStream_tbDpT10_ENKUlT_T0_E_clISt17integral_constantIbLb0EES16_IbLb1EEEEDaS12_S13_EUlS12_E_NS1_11comp_targetILNS1_3genE3ELNS1_11target_archE908ELNS1_3gpuE7ELNS1_3repE0EEENS1_30default_config_static_selectorELNS0_4arch9wavefront6targetE0EEEvT1_,"axG",@progbits,_ZN7rocprim17ROCPRIM_400000_NS6detail17trampoline_kernelINS0_14default_configENS1_25partition_config_selectorILNS1_17partition_subalgoE8EmNS0_10empty_typeEbEEZZNS1_14partition_implILS5_8ELb0ES3_jPKmPS6_PKS6_NS0_5tupleIJPmS6_EEENSE_IJSB_SB_EEENS0_18inequality_wrapperIN6hipcub16HIPCUB_304000_NS8EqualityEEEPlJS6_EEE10hipError_tPvRmT3_T4_T5_T6_T7_T9_mT8_P12ihipStream_tbDpT10_ENKUlT_T0_E_clISt17integral_constantIbLb0EES16_IbLb1EEEEDaS12_S13_EUlS12_E_NS1_11comp_targetILNS1_3genE3ELNS1_11target_archE908ELNS1_3gpuE7ELNS1_3repE0EEENS1_30default_config_static_selectorELNS0_4arch9wavefront6targetE0EEEvT1_,comdat
.Lfunc_end713:
	.size	_ZN7rocprim17ROCPRIM_400000_NS6detail17trampoline_kernelINS0_14default_configENS1_25partition_config_selectorILNS1_17partition_subalgoE8EmNS0_10empty_typeEbEEZZNS1_14partition_implILS5_8ELb0ES3_jPKmPS6_PKS6_NS0_5tupleIJPmS6_EEENSE_IJSB_SB_EEENS0_18inequality_wrapperIN6hipcub16HIPCUB_304000_NS8EqualityEEEPlJS6_EEE10hipError_tPvRmT3_T4_T5_T6_T7_T9_mT8_P12ihipStream_tbDpT10_ENKUlT_T0_E_clISt17integral_constantIbLb0EES16_IbLb1EEEEDaS12_S13_EUlS12_E_NS1_11comp_targetILNS1_3genE3ELNS1_11target_archE908ELNS1_3gpuE7ELNS1_3repE0EEENS1_30default_config_static_selectorELNS0_4arch9wavefront6targetE0EEEvT1_, .Lfunc_end713-_ZN7rocprim17ROCPRIM_400000_NS6detail17trampoline_kernelINS0_14default_configENS1_25partition_config_selectorILNS1_17partition_subalgoE8EmNS0_10empty_typeEbEEZZNS1_14partition_implILS5_8ELb0ES3_jPKmPS6_PKS6_NS0_5tupleIJPmS6_EEENSE_IJSB_SB_EEENS0_18inequality_wrapperIN6hipcub16HIPCUB_304000_NS8EqualityEEEPlJS6_EEE10hipError_tPvRmT3_T4_T5_T6_T7_T9_mT8_P12ihipStream_tbDpT10_ENKUlT_T0_E_clISt17integral_constantIbLb0EES16_IbLb1EEEEDaS12_S13_EUlS12_E_NS1_11comp_targetILNS1_3genE3ELNS1_11target_archE908ELNS1_3gpuE7ELNS1_3repE0EEENS1_30default_config_static_selectorELNS0_4arch9wavefront6targetE0EEEvT1_
                                        ; -- End function
	.set _ZN7rocprim17ROCPRIM_400000_NS6detail17trampoline_kernelINS0_14default_configENS1_25partition_config_selectorILNS1_17partition_subalgoE8EmNS0_10empty_typeEbEEZZNS1_14partition_implILS5_8ELb0ES3_jPKmPS6_PKS6_NS0_5tupleIJPmS6_EEENSE_IJSB_SB_EEENS0_18inequality_wrapperIN6hipcub16HIPCUB_304000_NS8EqualityEEEPlJS6_EEE10hipError_tPvRmT3_T4_T5_T6_T7_T9_mT8_P12ihipStream_tbDpT10_ENKUlT_T0_E_clISt17integral_constantIbLb0EES16_IbLb1EEEEDaS12_S13_EUlS12_E_NS1_11comp_targetILNS1_3genE3ELNS1_11target_archE908ELNS1_3gpuE7ELNS1_3repE0EEENS1_30default_config_static_selectorELNS0_4arch9wavefront6targetE0EEEvT1_.num_vgpr, 0
	.set _ZN7rocprim17ROCPRIM_400000_NS6detail17trampoline_kernelINS0_14default_configENS1_25partition_config_selectorILNS1_17partition_subalgoE8EmNS0_10empty_typeEbEEZZNS1_14partition_implILS5_8ELb0ES3_jPKmPS6_PKS6_NS0_5tupleIJPmS6_EEENSE_IJSB_SB_EEENS0_18inequality_wrapperIN6hipcub16HIPCUB_304000_NS8EqualityEEEPlJS6_EEE10hipError_tPvRmT3_T4_T5_T6_T7_T9_mT8_P12ihipStream_tbDpT10_ENKUlT_T0_E_clISt17integral_constantIbLb0EES16_IbLb1EEEEDaS12_S13_EUlS12_E_NS1_11comp_targetILNS1_3genE3ELNS1_11target_archE908ELNS1_3gpuE7ELNS1_3repE0EEENS1_30default_config_static_selectorELNS0_4arch9wavefront6targetE0EEEvT1_.num_agpr, 0
	.set _ZN7rocprim17ROCPRIM_400000_NS6detail17trampoline_kernelINS0_14default_configENS1_25partition_config_selectorILNS1_17partition_subalgoE8EmNS0_10empty_typeEbEEZZNS1_14partition_implILS5_8ELb0ES3_jPKmPS6_PKS6_NS0_5tupleIJPmS6_EEENSE_IJSB_SB_EEENS0_18inequality_wrapperIN6hipcub16HIPCUB_304000_NS8EqualityEEEPlJS6_EEE10hipError_tPvRmT3_T4_T5_T6_T7_T9_mT8_P12ihipStream_tbDpT10_ENKUlT_T0_E_clISt17integral_constantIbLb0EES16_IbLb1EEEEDaS12_S13_EUlS12_E_NS1_11comp_targetILNS1_3genE3ELNS1_11target_archE908ELNS1_3gpuE7ELNS1_3repE0EEENS1_30default_config_static_selectorELNS0_4arch9wavefront6targetE0EEEvT1_.numbered_sgpr, 0
	.set _ZN7rocprim17ROCPRIM_400000_NS6detail17trampoline_kernelINS0_14default_configENS1_25partition_config_selectorILNS1_17partition_subalgoE8EmNS0_10empty_typeEbEEZZNS1_14partition_implILS5_8ELb0ES3_jPKmPS6_PKS6_NS0_5tupleIJPmS6_EEENSE_IJSB_SB_EEENS0_18inequality_wrapperIN6hipcub16HIPCUB_304000_NS8EqualityEEEPlJS6_EEE10hipError_tPvRmT3_T4_T5_T6_T7_T9_mT8_P12ihipStream_tbDpT10_ENKUlT_T0_E_clISt17integral_constantIbLb0EES16_IbLb1EEEEDaS12_S13_EUlS12_E_NS1_11comp_targetILNS1_3genE3ELNS1_11target_archE908ELNS1_3gpuE7ELNS1_3repE0EEENS1_30default_config_static_selectorELNS0_4arch9wavefront6targetE0EEEvT1_.num_named_barrier, 0
	.set _ZN7rocprim17ROCPRIM_400000_NS6detail17trampoline_kernelINS0_14default_configENS1_25partition_config_selectorILNS1_17partition_subalgoE8EmNS0_10empty_typeEbEEZZNS1_14partition_implILS5_8ELb0ES3_jPKmPS6_PKS6_NS0_5tupleIJPmS6_EEENSE_IJSB_SB_EEENS0_18inequality_wrapperIN6hipcub16HIPCUB_304000_NS8EqualityEEEPlJS6_EEE10hipError_tPvRmT3_T4_T5_T6_T7_T9_mT8_P12ihipStream_tbDpT10_ENKUlT_T0_E_clISt17integral_constantIbLb0EES16_IbLb1EEEEDaS12_S13_EUlS12_E_NS1_11comp_targetILNS1_3genE3ELNS1_11target_archE908ELNS1_3gpuE7ELNS1_3repE0EEENS1_30default_config_static_selectorELNS0_4arch9wavefront6targetE0EEEvT1_.private_seg_size, 0
	.set _ZN7rocprim17ROCPRIM_400000_NS6detail17trampoline_kernelINS0_14default_configENS1_25partition_config_selectorILNS1_17partition_subalgoE8EmNS0_10empty_typeEbEEZZNS1_14partition_implILS5_8ELb0ES3_jPKmPS6_PKS6_NS0_5tupleIJPmS6_EEENSE_IJSB_SB_EEENS0_18inequality_wrapperIN6hipcub16HIPCUB_304000_NS8EqualityEEEPlJS6_EEE10hipError_tPvRmT3_T4_T5_T6_T7_T9_mT8_P12ihipStream_tbDpT10_ENKUlT_T0_E_clISt17integral_constantIbLb0EES16_IbLb1EEEEDaS12_S13_EUlS12_E_NS1_11comp_targetILNS1_3genE3ELNS1_11target_archE908ELNS1_3gpuE7ELNS1_3repE0EEENS1_30default_config_static_selectorELNS0_4arch9wavefront6targetE0EEEvT1_.uses_vcc, 0
	.set _ZN7rocprim17ROCPRIM_400000_NS6detail17trampoline_kernelINS0_14default_configENS1_25partition_config_selectorILNS1_17partition_subalgoE8EmNS0_10empty_typeEbEEZZNS1_14partition_implILS5_8ELb0ES3_jPKmPS6_PKS6_NS0_5tupleIJPmS6_EEENSE_IJSB_SB_EEENS0_18inequality_wrapperIN6hipcub16HIPCUB_304000_NS8EqualityEEEPlJS6_EEE10hipError_tPvRmT3_T4_T5_T6_T7_T9_mT8_P12ihipStream_tbDpT10_ENKUlT_T0_E_clISt17integral_constantIbLb0EES16_IbLb1EEEEDaS12_S13_EUlS12_E_NS1_11comp_targetILNS1_3genE3ELNS1_11target_archE908ELNS1_3gpuE7ELNS1_3repE0EEENS1_30default_config_static_selectorELNS0_4arch9wavefront6targetE0EEEvT1_.uses_flat_scratch, 0
	.set _ZN7rocprim17ROCPRIM_400000_NS6detail17trampoline_kernelINS0_14default_configENS1_25partition_config_selectorILNS1_17partition_subalgoE8EmNS0_10empty_typeEbEEZZNS1_14partition_implILS5_8ELb0ES3_jPKmPS6_PKS6_NS0_5tupleIJPmS6_EEENSE_IJSB_SB_EEENS0_18inequality_wrapperIN6hipcub16HIPCUB_304000_NS8EqualityEEEPlJS6_EEE10hipError_tPvRmT3_T4_T5_T6_T7_T9_mT8_P12ihipStream_tbDpT10_ENKUlT_T0_E_clISt17integral_constantIbLb0EES16_IbLb1EEEEDaS12_S13_EUlS12_E_NS1_11comp_targetILNS1_3genE3ELNS1_11target_archE908ELNS1_3gpuE7ELNS1_3repE0EEENS1_30default_config_static_selectorELNS0_4arch9wavefront6targetE0EEEvT1_.has_dyn_sized_stack, 0
	.set _ZN7rocprim17ROCPRIM_400000_NS6detail17trampoline_kernelINS0_14default_configENS1_25partition_config_selectorILNS1_17partition_subalgoE8EmNS0_10empty_typeEbEEZZNS1_14partition_implILS5_8ELb0ES3_jPKmPS6_PKS6_NS0_5tupleIJPmS6_EEENSE_IJSB_SB_EEENS0_18inequality_wrapperIN6hipcub16HIPCUB_304000_NS8EqualityEEEPlJS6_EEE10hipError_tPvRmT3_T4_T5_T6_T7_T9_mT8_P12ihipStream_tbDpT10_ENKUlT_T0_E_clISt17integral_constantIbLb0EES16_IbLb1EEEEDaS12_S13_EUlS12_E_NS1_11comp_targetILNS1_3genE3ELNS1_11target_archE908ELNS1_3gpuE7ELNS1_3repE0EEENS1_30default_config_static_selectorELNS0_4arch9wavefront6targetE0EEEvT1_.has_recursion, 0
	.set _ZN7rocprim17ROCPRIM_400000_NS6detail17trampoline_kernelINS0_14default_configENS1_25partition_config_selectorILNS1_17partition_subalgoE8EmNS0_10empty_typeEbEEZZNS1_14partition_implILS5_8ELb0ES3_jPKmPS6_PKS6_NS0_5tupleIJPmS6_EEENSE_IJSB_SB_EEENS0_18inequality_wrapperIN6hipcub16HIPCUB_304000_NS8EqualityEEEPlJS6_EEE10hipError_tPvRmT3_T4_T5_T6_T7_T9_mT8_P12ihipStream_tbDpT10_ENKUlT_T0_E_clISt17integral_constantIbLb0EES16_IbLb1EEEEDaS12_S13_EUlS12_E_NS1_11comp_targetILNS1_3genE3ELNS1_11target_archE908ELNS1_3gpuE7ELNS1_3repE0EEENS1_30default_config_static_selectorELNS0_4arch9wavefront6targetE0EEEvT1_.has_indirect_call, 0
	.section	.AMDGPU.csdata,"",@progbits
; Kernel info:
; codeLenInByte = 0
; TotalNumSgprs: 0
; NumVgprs: 0
; ScratchSize: 0
; MemoryBound: 0
; FloatMode: 240
; IeeeMode: 1
; LDSByteSize: 0 bytes/workgroup (compile time only)
; SGPRBlocks: 0
; VGPRBlocks: 0
; NumSGPRsForWavesPerEU: 1
; NumVGPRsForWavesPerEU: 1
; NamedBarCnt: 0
; Occupancy: 16
; WaveLimiterHint : 0
; COMPUTE_PGM_RSRC2:SCRATCH_EN: 0
; COMPUTE_PGM_RSRC2:USER_SGPR: 2
; COMPUTE_PGM_RSRC2:TRAP_HANDLER: 0
; COMPUTE_PGM_RSRC2:TGID_X_EN: 1
; COMPUTE_PGM_RSRC2:TGID_Y_EN: 0
; COMPUTE_PGM_RSRC2:TGID_Z_EN: 0
; COMPUTE_PGM_RSRC2:TIDIG_COMP_CNT: 0
	.section	.text._ZN7rocprim17ROCPRIM_400000_NS6detail17trampoline_kernelINS0_14default_configENS1_25partition_config_selectorILNS1_17partition_subalgoE8EmNS0_10empty_typeEbEEZZNS1_14partition_implILS5_8ELb0ES3_jPKmPS6_PKS6_NS0_5tupleIJPmS6_EEENSE_IJSB_SB_EEENS0_18inequality_wrapperIN6hipcub16HIPCUB_304000_NS8EqualityEEEPlJS6_EEE10hipError_tPvRmT3_T4_T5_T6_T7_T9_mT8_P12ihipStream_tbDpT10_ENKUlT_T0_E_clISt17integral_constantIbLb0EES16_IbLb1EEEEDaS12_S13_EUlS12_E_NS1_11comp_targetILNS1_3genE2ELNS1_11target_archE906ELNS1_3gpuE6ELNS1_3repE0EEENS1_30default_config_static_selectorELNS0_4arch9wavefront6targetE0EEEvT1_,"axG",@progbits,_ZN7rocprim17ROCPRIM_400000_NS6detail17trampoline_kernelINS0_14default_configENS1_25partition_config_selectorILNS1_17partition_subalgoE8EmNS0_10empty_typeEbEEZZNS1_14partition_implILS5_8ELb0ES3_jPKmPS6_PKS6_NS0_5tupleIJPmS6_EEENSE_IJSB_SB_EEENS0_18inequality_wrapperIN6hipcub16HIPCUB_304000_NS8EqualityEEEPlJS6_EEE10hipError_tPvRmT3_T4_T5_T6_T7_T9_mT8_P12ihipStream_tbDpT10_ENKUlT_T0_E_clISt17integral_constantIbLb0EES16_IbLb1EEEEDaS12_S13_EUlS12_E_NS1_11comp_targetILNS1_3genE2ELNS1_11target_archE906ELNS1_3gpuE6ELNS1_3repE0EEENS1_30default_config_static_selectorELNS0_4arch9wavefront6targetE0EEEvT1_,comdat
	.protected	_ZN7rocprim17ROCPRIM_400000_NS6detail17trampoline_kernelINS0_14default_configENS1_25partition_config_selectorILNS1_17partition_subalgoE8EmNS0_10empty_typeEbEEZZNS1_14partition_implILS5_8ELb0ES3_jPKmPS6_PKS6_NS0_5tupleIJPmS6_EEENSE_IJSB_SB_EEENS0_18inequality_wrapperIN6hipcub16HIPCUB_304000_NS8EqualityEEEPlJS6_EEE10hipError_tPvRmT3_T4_T5_T6_T7_T9_mT8_P12ihipStream_tbDpT10_ENKUlT_T0_E_clISt17integral_constantIbLb0EES16_IbLb1EEEEDaS12_S13_EUlS12_E_NS1_11comp_targetILNS1_3genE2ELNS1_11target_archE906ELNS1_3gpuE6ELNS1_3repE0EEENS1_30default_config_static_selectorELNS0_4arch9wavefront6targetE0EEEvT1_ ; -- Begin function _ZN7rocprim17ROCPRIM_400000_NS6detail17trampoline_kernelINS0_14default_configENS1_25partition_config_selectorILNS1_17partition_subalgoE8EmNS0_10empty_typeEbEEZZNS1_14partition_implILS5_8ELb0ES3_jPKmPS6_PKS6_NS0_5tupleIJPmS6_EEENSE_IJSB_SB_EEENS0_18inequality_wrapperIN6hipcub16HIPCUB_304000_NS8EqualityEEEPlJS6_EEE10hipError_tPvRmT3_T4_T5_T6_T7_T9_mT8_P12ihipStream_tbDpT10_ENKUlT_T0_E_clISt17integral_constantIbLb0EES16_IbLb1EEEEDaS12_S13_EUlS12_E_NS1_11comp_targetILNS1_3genE2ELNS1_11target_archE906ELNS1_3gpuE6ELNS1_3repE0EEENS1_30default_config_static_selectorELNS0_4arch9wavefront6targetE0EEEvT1_
	.globl	_ZN7rocprim17ROCPRIM_400000_NS6detail17trampoline_kernelINS0_14default_configENS1_25partition_config_selectorILNS1_17partition_subalgoE8EmNS0_10empty_typeEbEEZZNS1_14partition_implILS5_8ELb0ES3_jPKmPS6_PKS6_NS0_5tupleIJPmS6_EEENSE_IJSB_SB_EEENS0_18inequality_wrapperIN6hipcub16HIPCUB_304000_NS8EqualityEEEPlJS6_EEE10hipError_tPvRmT3_T4_T5_T6_T7_T9_mT8_P12ihipStream_tbDpT10_ENKUlT_T0_E_clISt17integral_constantIbLb0EES16_IbLb1EEEEDaS12_S13_EUlS12_E_NS1_11comp_targetILNS1_3genE2ELNS1_11target_archE906ELNS1_3gpuE6ELNS1_3repE0EEENS1_30default_config_static_selectorELNS0_4arch9wavefront6targetE0EEEvT1_
	.p2align	8
	.type	_ZN7rocprim17ROCPRIM_400000_NS6detail17trampoline_kernelINS0_14default_configENS1_25partition_config_selectorILNS1_17partition_subalgoE8EmNS0_10empty_typeEbEEZZNS1_14partition_implILS5_8ELb0ES3_jPKmPS6_PKS6_NS0_5tupleIJPmS6_EEENSE_IJSB_SB_EEENS0_18inequality_wrapperIN6hipcub16HIPCUB_304000_NS8EqualityEEEPlJS6_EEE10hipError_tPvRmT3_T4_T5_T6_T7_T9_mT8_P12ihipStream_tbDpT10_ENKUlT_T0_E_clISt17integral_constantIbLb0EES16_IbLb1EEEEDaS12_S13_EUlS12_E_NS1_11comp_targetILNS1_3genE2ELNS1_11target_archE906ELNS1_3gpuE6ELNS1_3repE0EEENS1_30default_config_static_selectorELNS0_4arch9wavefront6targetE0EEEvT1_,@function
_ZN7rocprim17ROCPRIM_400000_NS6detail17trampoline_kernelINS0_14default_configENS1_25partition_config_selectorILNS1_17partition_subalgoE8EmNS0_10empty_typeEbEEZZNS1_14partition_implILS5_8ELb0ES3_jPKmPS6_PKS6_NS0_5tupleIJPmS6_EEENSE_IJSB_SB_EEENS0_18inequality_wrapperIN6hipcub16HIPCUB_304000_NS8EqualityEEEPlJS6_EEE10hipError_tPvRmT3_T4_T5_T6_T7_T9_mT8_P12ihipStream_tbDpT10_ENKUlT_T0_E_clISt17integral_constantIbLb0EES16_IbLb1EEEEDaS12_S13_EUlS12_E_NS1_11comp_targetILNS1_3genE2ELNS1_11target_archE906ELNS1_3gpuE6ELNS1_3repE0EEENS1_30default_config_static_selectorELNS0_4arch9wavefront6targetE0EEEvT1_: ; @_ZN7rocprim17ROCPRIM_400000_NS6detail17trampoline_kernelINS0_14default_configENS1_25partition_config_selectorILNS1_17partition_subalgoE8EmNS0_10empty_typeEbEEZZNS1_14partition_implILS5_8ELb0ES3_jPKmPS6_PKS6_NS0_5tupleIJPmS6_EEENSE_IJSB_SB_EEENS0_18inequality_wrapperIN6hipcub16HIPCUB_304000_NS8EqualityEEEPlJS6_EEE10hipError_tPvRmT3_T4_T5_T6_T7_T9_mT8_P12ihipStream_tbDpT10_ENKUlT_T0_E_clISt17integral_constantIbLb0EES16_IbLb1EEEEDaS12_S13_EUlS12_E_NS1_11comp_targetILNS1_3genE2ELNS1_11target_archE906ELNS1_3gpuE6ELNS1_3repE0EEENS1_30default_config_static_selectorELNS0_4arch9wavefront6targetE0EEEvT1_
; %bb.0:
	.section	.rodata,"a",@progbits
	.p2align	6, 0x0
	.amdhsa_kernel _ZN7rocprim17ROCPRIM_400000_NS6detail17trampoline_kernelINS0_14default_configENS1_25partition_config_selectorILNS1_17partition_subalgoE8EmNS0_10empty_typeEbEEZZNS1_14partition_implILS5_8ELb0ES3_jPKmPS6_PKS6_NS0_5tupleIJPmS6_EEENSE_IJSB_SB_EEENS0_18inequality_wrapperIN6hipcub16HIPCUB_304000_NS8EqualityEEEPlJS6_EEE10hipError_tPvRmT3_T4_T5_T6_T7_T9_mT8_P12ihipStream_tbDpT10_ENKUlT_T0_E_clISt17integral_constantIbLb0EES16_IbLb1EEEEDaS12_S13_EUlS12_E_NS1_11comp_targetILNS1_3genE2ELNS1_11target_archE906ELNS1_3gpuE6ELNS1_3repE0EEENS1_30default_config_static_selectorELNS0_4arch9wavefront6targetE0EEEvT1_
		.amdhsa_group_segment_fixed_size 0
		.amdhsa_private_segment_fixed_size 0
		.amdhsa_kernarg_size 128
		.amdhsa_user_sgpr_count 2
		.amdhsa_user_sgpr_dispatch_ptr 0
		.amdhsa_user_sgpr_queue_ptr 0
		.amdhsa_user_sgpr_kernarg_segment_ptr 1
		.amdhsa_user_sgpr_dispatch_id 0
		.amdhsa_user_sgpr_kernarg_preload_length 0
		.amdhsa_user_sgpr_kernarg_preload_offset 0
		.amdhsa_user_sgpr_private_segment_size 0
		.amdhsa_wavefront_size32 1
		.amdhsa_uses_dynamic_stack 0
		.amdhsa_enable_private_segment 0
		.amdhsa_system_sgpr_workgroup_id_x 1
		.amdhsa_system_sgpr_workgroup_id_y 0
		.amdhsa_system_sgpr_workgroup_id_z 0
		.amdhsa_system_sgpr_workgroup_info 0
		.amdhsa_system_vgpr_workitem_id 0
		.amdhsa_next_free_vgpr 1
		.amdhsa_next_free_sgpr 1
		.amdhsa_named_barrier_count 0
		.amdhsa_reserve_vcc 0
		.amdhsa_float_round_mode_32 0
		.amdhsa_float_round_mode_16_64 0
		.amdhsa_float_denorm_mode_32 3
		.amdhsa_float_denorm_mode_16_64 3
		.amdhsa_fp16_overflow 0
		.amdhsa_memory_ordered 1
		.amdhsa_forward_progress 1
		.amdhsa_inst_pref_size 0
		.amdhsa_round_robin_scheduling 0
		.amdhsa_exception_fp_ieee_invalid_op 0
		.amdhsa_exception_fp_denorm_src 0
		.amdhsa_exception_fp_ieee_div_zero 0
		.amdhsa_exception_fp_ieee_overflow 0
		.amdhsa_exception_fp_ieee_underflow 0
		.amdhsa_exception_fp_ieee_inexact 0
		.amdhsa_exception_int_div_zero 0
	.end_amdhsa_kernel
	.section	.text._ZN7rocprim17ROCPRIM_400000_NS6detail17trampoline_kernelINS0_14default_configENS1_25partition_config_selectorILNS1_17partition_subalgoE8EmNS0_10empty_typeEbEEZZNS1_14partition_implILS5_8ELb0ES3_jPKmPS6_PKS6_NS0_5tupleIJPmS6_EEENSE_IJSB_SB_EEENS0_18inequality_wrapperIN6hipcub16HIPCUB_304000_NS8EqualityEEEPlJS6_EEE10hipError_tPvRmT3_T4_T5_T6_T7_T9_mT8_P12ihipStream_tbDpT10_ENKUlT_T0_E_clISt17integral_constantIbLb0EES16_IbLb1EEEEDaS12_S13_EUlS12_E_NS1_11comp_targetILNS1_3genE2ELNS1_11target_archE906ELNS1_3gpuE6ELNS1_3repE0EEENS1_30default_config_static_selectorELNS0_4arch9wavefront6targetE0EEEvT1_,"axG",@progbits,_ZN7rocprim17ROCPRIM_400000_NS6detail17trampoline_kernelINS0_14default_configENS1_25partition_config_selectorILNS1_17partition_subalgoE8EmNS0_10empty_typeEbEEZZNS1_14partition_implILS5_8ELb0ES3_jPKmPS6_PKS6_NS0_5tupleIJPmS6_EEENSE_IJSB_SB_EEENS0_18inequality_wrapperIN6hipcub16HIPCUB_304000_NS8EqualityEEEPlJS6_EEE10hipError_tPvRmT3_T4_T5_T6_T7_T9_mT8_P12ihipStream_tbDpT10_ENKUlT_T0_E_clISt17integral_constantIbLb0EES16_IbLb1EEEEDaS12_S13_EUlS12_E_NS1_11comp_targetILNS1_3genE2ELNS1_11target_archE906ELNS1_3gpuE6ELNS1_3repE0EEENS1_30default_config_static_selectorELNS0_4arch9wavefront6targetE0EEEvT1_,comdat
.Lfunc_end714:
	.size	_ZN7rocprim17ROCPRIM_400000_NS6detail17trampoline_kernelINS0_14default_configENS1_25partition_config_selectorILNS1_17partition_subalgoE8EmNS0_10empty_typeEbEEZZNS1_14partition_implILS5_8ELb0ES3_jPKmPS6_PKS6_NS0_5tupleIJPmS6_EEENSE_IJSB_SB_EEENS0_18inequality_wrapperIN6hipcub16HIPCUB_304000_NS8EqualityEEEPlJS6_EEE10hipError_tPvRmT3_T4_T5_T6_T7_T9_mT8_P12ihipStream_tbDpT10_ENKUlT_T0_E_clISt17integral_constantIbLb0EES16_IbLb1EEEEDaS12_S13_EUlS12_E_NS1_11comp_targetILNS1_3genE2ELNS1_11target_archE906ELNS1_3gpuE6ELNS1_3repE0EEENS1_30default_config_static_selectorELNS0_4arch9wavefront6targetE0EEEvT1_, .Lfunc_end714-_ZN7rocprim17ROCPRIM_400000_NS6detail17trampoline_kernelINS0_14default_configENS1_25partition_config_selectorILNS1_17partition_subalgoE8EmNS0_10empty_typeEbEEZZNS1_14partition_implILS5_8ELb0ES3_jPKmPS6_PKS6_NS0_5tupleIJPmS6_EEENSE_IJSB_SB_EEENS0_18inequality_wrapperIN6hipcub16HIPCUB_304000_NS8EqualityEEEPlJS6_EEE10hipError_tPvRmT3_T4_T5_T6_T7_T9_mT8_P12ihipStream_tbDpT10_ENKUlT_T0_E_clISt17integral_constantIbLb0EES16_IbLb1EEEEDaS12_S13_EUlS12_E_NS1_11comp_targetILNS1_3genE2ELNS1_11target_archE906ELNS1_3gpuE6ELNS1_3repE0EEENS1_30default_config_static_selectorELNS0_4arch9wavefront6targetE0EEEvT1_
                                        ; -- End function
	.set _ZN7rocprim17ROCPRIM_400000_NS6detail17trampoline_kernelINS0_14default_configENS1_25partition_config_selectorILNS1_17partition_subalgoE8EmNS0_10empty_typeEbEEZZNS1_14partition_implILS5_8ELb0ES3_jPKmPS6_PKS6_NS0_5tupleIJPmS6_EEENSE_IJSB_SB_EEENS0_18inequality_wrapperIN6hipcub16HIPCUB_304000_NS8EqualityEEEPlJS6_EEE10hipError_tPvRmT3_T4_T5_T6_T7_T9_mT8_P12ihipStream_tbDpT10_ENKUlT_T0_E_clISt17integral_constantIbLb0EES16_IbLb1EEEEDaS12_S13_EUlS12_E_NS1_11comp_targetILNS1_3genE2ELNS1_11target_archE906ELNS1_3gpuE6ELNS1_3repE0EEENS1_30default_config_static_selectorELNS0_4arch9wavefront6targetE0EEEvT1_.num_vgpr, 0
	.set _ZN7rocprim17ROCPRIM_400000_NS6detail17trampoline_kernelINS0_14default_configENS1_25partition_config_selectorILNS1_17partition_subalgoE8EmNS0_10empty_typeEbEEZZNS1_14partition_implILS5_8ELb0ES3_jPKmPS6_PKS6_NS0_5tupleIJPmS6_EEENSE_IJSB_SB_EEENS0_18inequality_wrapperIN6hipcub16HIPCUB_304000_NS8EqualityEEEPlJS6_EEE10hipError_tPvRmT3_T4_T5_T6_T7_T9_mT8_P12ihipStream_tbDpT10_ENKUlT_T0_E_clISt17integral_constantIbLb0EES16_IbLb1EEEEDaS12_S13_EUlS12_E_NS1_11comp_targetILNS1_3genE2ELNS1_11target_archE906ELNS1_3gpuE6ELNS1_3repE0EEENS1_30default_config_static_selectorELNS0_4arch9wavefront6targetE0EEEvT1_.num_agpr, 0
	.set _ZN7rocprim17ROCPRIM_400000_NS6detail17trampoline_kernelINS0_14default_configENS1_25partition_config_selectorILNS1_17partition_subalgoE8EmNS0_10empty_typeEbEEZZNS1_14partition_implILS5_8ELb0ES3_jPKmPS6_PKS6_NS0_5tupleIJPmS6_EEENSE_IJSB_SB_EEENS0_18inequality_wrapperIN6hipcub16HIPCUB_304000_NS8EqualityEEEPlJS6_EEE10hipError_tPvRmT3_T4_T5_T6_T7_T9_mT8_P12ihipStream_tbDpT10_ENKUlT_T0_E_clISt17integral_constantIbLb0EES16_IbLb1EEEEDaS12_S13_EUlS12_E_NS1_11comp_targetILNS1_3genE2ELNS1_11target_archE906ELNS1_3gpuE6ELNS1_3repE0EEENS1_30default_config_static_selectorELNS0_4arch9wavefront6targetE0EEEvT1_.numbered_sgpr, 0
	.set _ZN7rocprim17ROCPRIM_400000_NS6detail17trampoline_kernelINS0_14default_configENS1_25partition_config_selectorILNS1_17partition_subalgoE8EmNS0_10empty_typeEbEEZZNS1_14partition_implILS5_8ELb0ES3_jPKmPS6_PKS6_NS0_5tupleIJPmS6_EEENSE_IJSB_SB_EEENS0_18inequality_wrapperIN6hipcub16HIPCUB_304000_NS8EqualityEEEPlJS6_EEE10hipError_tPvRmT3_T4_T5_T6_T7_T9_mT8_P12ihipStream_tbDpT10_ENKUlT_T0_E_clISt17integral_constantIbLb0EES16_IbLb1EEEEDaS12_S13_EUlS12_E_NS1_11comp_targetILNS1_3genE2ELNS1_11target_archE906ELNS1_3gpuE6ELNS1_3repE0EEENS1_30default_config_static_selectorELNS0_4arch9wavefront6targetE0EEEvT1_.num_named_barrier, 0
	.set _ZN7rocprim17ROCPRIM_400000_NS6detail17trampoline_kernelINS0_14default_configENS1_25partition_config_selectorILNS1_17partition_subalgoE8EmNS0_10empty_typeEbEEZZNS1_14partition_implILS5_8ELb0ES3_jPKmPS6_PKS6_NS0_5tupleIJPmS6_EEENSE_IJSB_SB_EEENS0_18inequality_wrapperIN6hipcub16HIPCUB_304000_NS8EqualityEEEPlJS6_EEE10hipError_tPvRmT3_T4_T5_T6_T7_T9_mT8_P12ihipStream_tbDpT10_ENKUlT_T0_E_clISt17integral_constantIbLb0EES16_IbLb1EEEEDaS12_S13_EUlS12_E_NS1_11comp_targetILNS1_3genE2ELNS1_11target_archE906ELNS1_3gpuE6ELNS1_3repE0EEENS1_30default_config_static_selectorELNS0_4arch9wavefront6targetE0EEEvT1_.private_seg_size, 0
	.set _ZN7rocprim17ROCPRIM_400000_NS6detail17trampoline_kernelINS0_14default_configENS1_25partition_config_selectorILNS1_17partition_subalgoE8EmNS0_10empty_typeEbEEZZNS1_14partition_implILS5_8ELb0ES3_jPKmPS6_PKS6_NS0_5tupleIJPmS6_EEENSE_IJSB_SB_EEENS0_18inequality_wrapperIN6hipcub16HIPCUB_304000_NS8EqualityEEEPlJS6_EEE10hipError_tPvRmT3_T4_T5_T6_T7_T9_mT8_P12ihipStream_tbDpT10_ENKUlT_T0_E_clISt17integral_constantIbLb0EES16_IbLb1EEEEDaS12_S13_EUlS12_E_NS1_11comp_targetILNS1_3genE2ELNS1_11target_archE906ELNS1_3gpuE6ELNS1_3repE0EEENS1_30default_config_static_selectorELNS0_4arch9wavefront6targetE0EEEvT1_.uses_vcc, 0
	.set _ZN7rocprim17ROCPRIM_400000_NS6detail17trampoline_kernelINS0_14default_configENS1_25partition_config_selectorILNS1_17partition_subalgoE8EmNS0_10empty_typeEbEEZZNS1_14partition_implILS5_8ELb0ES3_jPKmPS6_PKS6_NS0_5tupleIJPmS6_EEENSE_IJSB_SB_EEENS0_18inequality_wrapperIN6hipcub16HIPCUB_304000_NS8EqualityEEEPlJS6_EEE10hipError_tPvRmT3_T4_T5_T6_T7_T9_mT8_P12ihipStream_tbDpT10_ENKUlT_T0_E_clISt17integral_constantIbLb0EES16_IbLb1EEEEDaS12_S13_EUlS12_E_NS1_11comp_targetILNS1_3genE2ELNS1_11target_archE906ELNS1_3gpuE6ELNS1_3repE0EEENS1_30default_config_static_selectorELNS0_4arch9wavefront6targetE0EEEvT1_.uses_flat_scratch, 0
	.set _ZN7rocprim17ROCPRIM_400000_NS6detail17trampoline_kernelINS0_14default_configENS1_25partition_config_selectorILNS1_17partition_subalgoE8EmNS0_10empty_typeEbEEZZNS1_14partition_implILS5_8ELb0ES3_jPKmPS6_PKS6_NS0_5tupleIJPmS6_EEENSE_IJSB_SB_EEENS0_18inequality_wrapperIN6hipcub16HIPCUB_304000_NS8EqualityEEEPlJS6_EEE10hipError_tPvRmT3_T4_T5_T6_T7_T9_mT8_P12ihipStream_tbDpT10_ENKUlT_T0_E_clISt17integral_constantIbLb0EES16_IbLb1EEEEDaS12_S13_EUlS12_E_NS1_11comp_targetILNS1_3genE2ELNS1_11target_archE906ELNS1_3gpuE6ELNS1_3repE0EEENS1_30default_config_static_selectorELNS0_4arch9wavefront6targetE0EEEvT1_.has_dyn_sized_stack, 0
	.set _ZN7rocprim17ROCPRIM_400000_NS6detail17trampoline_kernelINS0_14default_configENS1_25partition_config_selectorILNS1_17partition_subalgoE8EmNS0_10empty_typeEbEEZZNS1_14partition_implILS5_8ELb0ES3_jPKmPS6_PKS6_NS0_5tupleIJPmS6_EEENSE_IJSB_SB_EEENS0_18inequality_wrapperIN6hipcub16HIPCUB_304000_NS8EqualityEEEPlJS6_EEE10hipError_tPvRmT3_T4_T5_T6_T7_T9_mT8_P12ihipStream_tbDpT10_ENKUlT_T0_E_clISt17integral_constantIbLb0EES16_IbLb1EEEEDaS12_S13_EUlS12_E_NS1_11comp_targetILNS1_3genE2ELNS1_11target_archE906ELNS1_3gpuE6ELNS1_3repE0EEENS1_30default_config_static_selectorELNS0_4arch9wavefront6targetE0EEEvT1_.has_recursion, 0
	.set _ZN7rocprim17ROCPRIM_400000_NS6detail17trampoline_kernelINS0_14default_configENS1_25partition_config_selectorILNS1_17partition_subalgoE8EmNS0_10empty_typeEbEEZZNS1_14partition_implILS5_8ELb0ES3_jPKmPS6_PKS6_NS0_5tupleIJPmS6_EEENSE_IJSB_SB_EEENS0_18inequality_wrapperIN6hipcub16HIPCUB_304000_NS8EqualityEEEPlJS6_EEE10hipError_tPvRmT3_T4_T5_T6_T7_T9_mT8_P12ihipStream_tbDpT10_ENKUlT_T0_E_clISt17integral_constantIbLb0EES16_IbLb1EEEEDaS12_S13_EUlS12_E_NS1_11comp_targetILNS1_3genE2ELNS1_11target_archE906ELNS1_3gpuE6ELNS1_3repE0EEENS1_30default_config_static_selectorELNS0_4arch9wavefront6targetE0EEEvT1_.has_indirect_call, 0
	.section	.AMDGPU.csdata,"",@progbits
; Kernel info:
; codeLenInByte = 0
; TotalNumSgprs: 0
; NumVgprs: 0
; ScratchSize: 0
; MemoryBound: 0
; FloatMode: 240
; IeeeMode: 1
; LDSByteSize: 0 bytes/workgroup (compile time only)
; SGPRBlocks: 0
; VGPRBlocks: 0
; NumSGPRsForWavesPerEU: 1
; NumVGPRsForWavesPerEU: 1
; NamedBarCnt: 0
; Occupancy: 16
; WaveLimiterHint : 0
; COMPUTE_PGM_RSRC2:SCRATCH_EN: 0
; COMPUTE_PGM_RSRC2:USER_SGPR: 2
; COMPUTE_PGM_RSRC2:TRAP_HANDLER: 0
; COMPUTE_PGM_RSRC2:TGID_X_EN: 1
; COMPUTE_PGM_RSRC2:TGID_Y_EN: 0
; COMPUTE_PGM_RSRC2:TGID_Z_EN: 0
; COMPUTE_PGM_RSRC2:TIDIG_COMP_CNT: 0
	.section	.text._ZN7rocprim17ROCPRIM_400000_NS6detail17trampoline_kernelINS0_14default_configENS1_25partition_config_selectorILNS1_17partition_subalgoE8EmNS0_10empty_typeEbEEZZNS1_14partition_implILS5_8ELb0ES3_jPKmPS6_PKS6_NS0_5tupleIJPmS6_EEENSE_IJSB_SB_EEENS0_18inequality_wrapperIN6hipcub16HIPCUB_304000_NS8EqualityEEEPlJS6_EEE10hipError_tPvRmT3_T4_T5_T6_T7_T9_mT8_P12ihipStream_tbDpT10_ENKUlT_T0_E_clISt17integral_constantIbLb0EES16_IbLb1EEEEDaS12_S13_EUlS12_E_NS1_11comp_targetILNS1_3genE10ELNS1_11target_archE1200ELNS1_3gpuE4ELNS1_3repE0EEENS1_30default_config_static_selectorELNS0_4arch9wavefront6targetE0EEEvT1_,"axG",@progbits,_ZN7rocprim17ROCPRIM_400000_NS6detail17trampoline_kernelINS0_14default_configENS1_25partition_config_selectorILNS1_17partition_subalgoE8EmNS0_10empty_typeEbEEZZNS1_14partition_implILS5_8ELb0ES3_jPKmPS6_PKS6_NS0_5tupleIJPmS6_EEENSE_IJSB_SB_EEENS0_18inequality_wrapperIN6hipcub16HIPCUB_304000_NS8EqualityEEEPlJS6_EEE10hipError_tPvRmT3_T4_T5_T6_T7_T9_mT8_P12ihipStream_tbDpT10_ENKUlT_T0_E_clISt17integral_constantIbLb0EES16_IbLb1EEEEDaS12_S13_EUlS12_E_NS1_11comp_targetILNS1_3genE10ELNS1_11target_archE1200ELNS1_3gpuE4ELNS1_3repE0EEENS1_30default_config_static_selectorELNS0_4arch9wavefront6targetE0EEEvT1_,comdat
	.protected	_ZN7rocprim17ROCPRIM_400000_NS6detail17trampoline_kernelINS0_14default_configENS1_25partition_config_selectorILNS1_17partition_subalgoE8EmNS0_10empty_typeEbEEZZNS1_14partition_implILS5_8ELb0ES3_jPKmPS6_PKS6_NS0_5tupleIJPmS6_EEENSE_IJSB_SB_EEENS0_18inequality_wrapperIN6hipcub16HIPCUB_304000_NS8EqualityEEEPlJS6_EEE10hipError_tPvRmT3_T4_T5_T6_T7_T9_mT8_P12ihipStream_tbDpT10_ENKUlT_T0_E_clISt17integral_constantIbLb0EES16_IbLb1EEEEDaS12_S13_EUlS12_E_NS1_11comp_targetILNS1_3genE10ELNS1_11target_archE1200ELNS1_3gpuE4ELNS1_3repE0EEENS1_30default_config_static_selectorELNS0_4arch9wavefront6targetE0EEEvT1_ ; -- Begin function _ZN7rocprim17ROCPRIM_400000_NS6detail17trampoline_kernelINS0_14default_configENS1_25partition_config_selectorILNS1_17partition_subalgoE8EmNS0_10empty_typeEbEEZZNS1_14partition_implILS5_8ELb0ES3_jPKmPS6_PKS6_NS0_5tupleIJPmS6_EEENSE_IJSB_SB_EEENS0_18inequality_wrapperIN6hipcub16HIPCUB_304000_NS8EqualityEEEPlJS6_EEE10hipError_tPvRmT3_T4_T5_T6_T7_T9_mT8_P12ihipStream_tbDpT10_ENKUlT_T0_E_clISt17integral_constantIbLb0EES16_IbLb1EEEEDaS12_S13_EUlS12_E_NS1_11comp_targetILNS1_3genE10ELNS1_11target_archE1200ELNS1_3gpuE4ELNS1_3repE0EEENS1_30default_config_static_selectorELNS0_4arch9wavefront6targetE0EEEvT1_
	.globl	_ZN7rocprim17ROCPRIM_400000_NS6detail17trampoline_kernelINS0_14default_configENS1_25partition_config_selectorILNS1_17partition_subalgoE8EmNS0_10empty_typeEbEEZZNS1_14partition_implILS5_8ELb0ES3_jPKmPS6_PKS6_NS0_5tupleIJPmS6_EEENSE_IJSB_SB_EEENS0_18inequality_wrapperIN6hipcub16HIPCUB_304000_NS8EqualityEEEPlJS6_EEE10hipError_tPvRmT3_T4_T5_T6_T7_T9_mT8_P12ihipStream_tbDpT10_ENKUlT_T0_E_clISt17integral_constantIbLb0EES16_IbLb1EEEEDaS12_S13_EUlS12_E_NS1_11comp_targetILNS1_3genE10ELNS1_11target_archE1200ELNS1_3gpuE4ELNS1_3repE0EEENS1_30default_config_static_selectorELNS0_4arch9wavefront6targetE0EEEvT1_
	.p2align	8
	.type	_ZN7rocprim17ROCPRIM_400000_NS6detail17trampoline_kernelINS0_14default_configENS1_25partition_config_selectorILNS1_17partition_subalgoE8EmNS0_10empty_typeEbEEZZNS1_14partition_implILS5_8ELb0ES3_jPKmPS6_PKS6_NS0_5tupleIJPmS6_EEENSE_IJSB_SB_EEENS0_18inequality_wrapperIN6hipcub16HIPCUB_304000_NS8EqualityEEEPlJS6_EEE10hipError_tPvRmT3_T4_T5_T6_T7_T9_mT8_P12ihipStream_tbDpT10_ENKUlT_T0_E_clISt17integral_constantIbLb0EES16_IbLb1EEEEDaS12_S13_EUlS12_E_NS1_11comp_targetILNS1_3genE10ELNS1_11target_archE1200ELNS1_3gpuE4ELNS1_3repE0EEENS1_30default_config_static_selectorELNS0_4arch9wavefront6targetE0EEEvT1_,@function
_ZN7rocprim17ROCPRIM_400000_NS6detail17trampoline_kernelINS0_14default_configENS1_25partition_config_selectorILNS1_17partition_subalgoE8EmNS0_10empty_typeEbEEZZNS1_14partition_implILS5_8ELb0ES3_jPKmPS6_PKS6_NS0_5tupleIJPmS6_EEENSE_IJSB_SB_EEENS0_18inequality_wrapperIN6hipcub16HIPCUB_304000_NS8EqualityEEEPlJS6_EEE10hipError_tPvRmT3_T4_T5_T6_T7_T9_mT8_P12ihipStream_tbDpT10_ENKUlT_T0_E_clISt17integral_constantIbLb0EES16_IbLb1EEEEDaS12_S13_EUlS12_E_NS1_11comp_targetILNS1_3genE10ELNS1_11target_archE1200ELNS1_3gpuE4ELNS1_3repE0EEENS1_30default_config_static_selectorELNS0_4arch9wavefront6targetE0EEEvT1_: ; @_ZN7rocprim17ROCPRIM_400000_NS6detail17trampoline_kernelINS0_14default_configENS1_25partition_config_selectorILNS1_17partition_subalgoE8EmNS0_10empty_typeEbEEZZNS1_14partition_implILS5_8ELb0ES3_jPKmPS6_PKS6_NS0_5tupleIJPmS6_EEENSE_IJSB_SB_EEENS0_18inequality_wrapperIN6hipcub16HIPCUB_304000_NS8EqualityEEEPlJS6_EEE10hipError_tPvRmT3_T4_T5_T6_T7_T9_mT8_P12ihipStream_tbDpT10_ENKUlT_T0_E_clISt17integral_constantIbLb0EES16_IbLb1EEEEDaS12_S13_EUlS12_E_NS1_11comp_targetILNS1_3genE10ELNS1_11target_archE1200ELNS1_3gpuE4ELNS1_3repE0EEENS1_30default_config_static_selectorELNS0_4arch9wavefront6targetE0EEEvT1_
; %bb.0:
	.section	.rodata,"a",@progbits
	.p2align	6, 0x0
	.amdhsa_kernel _ZN7rocprim17ROCPRIM_400000_NS6detail17trampoline_kernelINS0_14default_configENS1_25partition_config_selectorILNS1_17partition_subalgoE8EmNS0_10empty_typeEbEEZZNS1_14partition_implILS5_8ELb0ES3_jPKmPS6_PKS6_NS0_5tupleIJPmS6_EEENSE_IJSB_SB_EEENS0_18inequality_wrapperIN6hipcub16HIPCUB_304000_NS8EqualityEEEPlJS6_EEE10hipError_tPvRmT3_T4_T5_T6_T7_T9_mT8_P12ihipStream_tbDpT10_ENKUlT_T0_E_clISt17integral_constantIbLb0EES16_IbLb1EEEEDaS12_S13_EUlS12_E_NS1_11comp_targetILNS1_3genE10ELNS1_11target_archE1200ELNS1_3gpuE4ELNS1_3repE0EEENS1_30default_config_static_selectorELNS0_4arch9wavefront6targetE0EEEvT1_
		.amdhsa_group_segment_fixed_size 0
		.amdhsa_private_segment_fixed_size 0
		.amdhsa_kernarg_size 128
		.amdhsa_user_sgpr_count 2
		.amdhsa_user_sgpr_dispatch_ptr 0
		.amdhsa_user_sgpr_queue_ptr 0
		.amdhsa_user_sgpr_kernarg_segment_ptr 1
		.amdhsa_user_sgpr_dispatch_id 0
		.amdhsa_user_sgpr_kernarg_preload_length 0
		.amdhsa_user_sgpr_kernarg_preload_offset 0
		.amdhsa_user_sgpr_private_segment_size 0
		.amdhsa_wavefront_size32 1
		.amdhsa_uses_dynamic_stack 0
		.amdhsa_enable_private_segment 0
		.amdhsa_system_sgpr_workgroup_id_x 1
		.amdhsa_system_sgpr_workgroup_id_y 0
		.amdhsa_system_sgpr_workgroup_id_z 0
		.amdhsa_system_sgpr_workgroup_info 0
		.amdhsa_system_vgpr_workitem_id 0
		.amdhsa_next_free_vgpr 1
		.amdhsa_next_free_sgpr 1
		.amdhsa_named_barrier_count 0
		.amdhsa_reserve_vcc 0
		.amdhsa_float_round_mode_32 0
		.amdhsa_float_round_mode_16_64 0
		.amdhsa_float_denorm_mode_32 3
		.amdhsa_float_denorm_mode_16_64 3
		.amdhsa_fp16_overflow 0
		.amdhsa_memory_ordered 1
		.amdhsa_forward_progress 1
		.amdhsa_inst_pref_size 0
		.amdhsa_round_robin_scheduling 0
		.amdhsa_exception_fp_ieee_invalid_op 0
		.amdhsa_exception_fp_denorm_src 0
		.amdhsa_exception_fp_ieee_div_zero 0
		.amdhsa_exception_fp_ieee_overflow 0
		.amdhsa_exception_fp_ieee_underflow 0
		.amdhsa_exception_fp_ieee_inexact 0
		.amdhsa_exception_int_div_zero 0
	.end_amdhsa_kernel
	.section	.text._ZN7rocprim17ROCPRIM_400000_NS6detail17trampoline_kernelINS0_14default_configENS1_25partition_config_selectorILNS1_17partition_subalgoE8EmNS0_10empty_typeEbEEZZNS1_14partition_implILS5_8ELb0ES3_jPKmPS6_PKS6_NS0_5tupleIJPmS6_EEENSE_IJSB_SB_EEENS0_18inequality_wrapperIN6hipcub16HIPCUB_304000_NS8EqualityEEEPlJS6_EEE10hipError_tPvRmT3_T4_T5_T6_T7_T9_mT8_P12ihipStream_tbDpT10_ENKUlT_T0_E_clISt17integral_constantIbLb0EES16_IbLb1EEEEDaS12_S13_EUlS12_E_NS1_11comp_targetILNS1_3genE10ELNS1_11target_archE1200ELNS1_3gpuE4ELNS1_3repE0EEENS1_30default_config_static_selectorELNS0_4arch9wavefront6targetE0EEEvT1_,"axG",@progbits,_ZN7rocprim17ROCPRIM_400000_NS6detail17trampoline_kernelINS0_14default_configENS1_25partition_config_selectorILNS1_17partition_subalgoE8EmNS0_10empty_typeEbEEZZNS1_14partition_implILS5_8ELb0ES3_jPKmPS6_PKS6_NS0_5tupleIJPmS6_EEENSE_IJSB_SB_EEENS0_18inequality_wrapperIN6hipcub16HIPCUB_304000_NS8EqualityEEEPlJS6_EEE10hipError_tPvRmT3_T4_T5_T6_T7_T9_mT8_P12ihipStream_tbDpT10_ENKUlT_T0_E_clISt17integral_constantIbLb0EES16_IbLb1EEEEDaS12_S13_EUlS12_E_NS1_11comp_targetILNS1_3genE10ELNS1_11target_archE1200ELNS1_3gpuE4ELNS1_3repE0EEENS1_30default_config_static_selectorELNS0_4arch9wavefront6targetE0EEEvT1_,comdat
.Lfunc_end715:
	.size	_ZN7rocprim17ROCPRIM_400000_NS6detail17trampoline_kernelINS0_14default_configENS1_25partition_config_selectorILNS1_17partition_subalgoE8EmNS0_10empty_typeEbEEZZNS1_14partition_implILS5_8ELb0ES3_jPKmPS6_PKS6_NS0_5tupleIJPmS6_EEENSE_IJSB_SB_EEENS0_18inequality_wrapperIN6hipcub16HIPCUB_304000_NS8EqualityEEEPlJS6_EEE10hipError_tPvRmT3_T4_T5_T6_T7_T9_mT8_P12ihipStream_tbDpT10_ENKUlT_T0_E_clISt17integral_constantIbLb0EES16_IbLb1EEEEDaS12_S13_EUlS12_E_NS1_11comp_targetILNS1_3genE10ELNS1_11target_archE1200ELNS1_3gpuE4ELNS1_3repE0EEENS1_30default_config_static_selectorELNS0_4arch9wavefront6targetE0EEEvT1_, .Lfunc_end715-_ZN7rocprim17ROCPRIM_400000_NS6detail17trampoline_kernelINS0_14default_configENS1_25partition_config_selectorILNS1_17partition_subalgoE8EmNS0_10empty_typeEbEEZZNS1_14partition_implILS5_8ELb0ES3_jPKmPS6_PKS6_NS0_5tupleIJPmS6_EEENSE_IJSB_SB_EEENS0_18inequality_wrapperIN6hipcub16HIPCUB_304000_NS8EqualityEEEPlJS6_EEE10hipError_tPvRmT3_T4_T5_T6_T7_T9_mT8_P12ihipStream_tbDpT10_ENKUlT_T0_E_clISt17integral_constantIbLb0EES16_IbLb1EEEEDaS12_S13_EUlS12_E_NS1_11comp_targetILNS1_3genE10ELNS1_11target_archE1200ELNS1_3gpuE4ELNS1_3repE0EEENS1_30default_config_static_selectorELNS0_4arch9wavefront6targetE0EEEvT1_
                                        ; -- End function
	.set _ZN7rocprim17ROCPRIM_400000_NS6detail17trampoline_kernelINS0_14default_configENS1_25partition_config_selectorILNS1_17partition_subalgoE8EmNS0_10empty_typeEbEEZZNS1_14partition_implILS5_8ELb0ES3_jPKmPS6_PKS6_NS0_5tupleIJPmS6_EEENSE_IJSB_SB_EEENS0_18inequality_wrapperIN6hipcub16HIPCUB_304000_NS8EqualityEEEPlJS6_EEE10hipError_tPvRmT3_T4_T5_T6_T7_T9_mT8_P12ihipStream_tbDpT10_ENKUlT_T0_E_clISt17integral_constantIbLb0EES16_IbLb1EEEEDaS12_S13_EUlS12_E_NS1_11comp_targetILNS1_3genE10ELNS1_11target_archE1200ELNS1_3gpuE4ELNS1_3repE0EEENS1_30default_config_static_selectorELNS0_4arch9wavefront6targetE0EEEvT1_.num_vgpr, 0
	.set _ZN7rocprim17ROCPRIM_400000_NS6detail17trampoline_kernelINS0_14default_configENS1_25partition_config_selectorILNS1_17partition_subalgoE8EmNS0_10empty_typeEbEEZZNS1_14partition_implILS5_8ELb0ES3_jPKmPS6_PKS6_NS0_5tupleIJPmS6_EEENSE_IJSB_SB_EEENS0_18inequality_wrapperIN6hipcub16HIPCUB_304000_NS8EqualityEEEPlJS6_EEE10hipError_tPvRmT3_T4_T5_T6_T7_T9_mT8_P12ihipStream_tbDpT10_ENKUlT_T0_E_clISt17integral_constantIbLb0EES16_IbLb1EEEEDaS12_S13_EUlS12_E_NS1_11comp_targetILNS1_3genE10ELNS1_11target_archE1200ELNS1_3gpuE4ELNS1_3repE0EEENS1_30default_config_static_selectorELNS0_4arch9wavefront6targetE0EEEvT1_.num_agpr, 0
	.set _ZN7rocprim17ROCPRIM_400000_NS6detail17trampoline_kernelINS0_14default_configENS1_25partition_config_selectorILNS1_17partition_subalgoE8EmNS0_10empty_typeEbEEZZNS1_14partition_implILS5_8ELb0ES3_jPKmPS6_PKS6_NS0_5tupleIJPmS6_EEENSE_IJSB_SB_EEENS0_18inequality_wrapperIN6hipcub16HIPCUB_304000_NS8EqualityEEEPlJS6_EEE10hipError_tPvRmT3_T4_T5_T6_T7_T9_mT8_P12ihipStream_tbDpT10_ENKUlT_T0_E_clISt17integral_constantIbLb0EES16_IbLb1EEEEDaS12_S13_EUlS12_E_NS1_11comp_targetILNS1_3genE10ELNS1_11target_archE1200ELNS1_3gpuE4ELNS1_3repE0EEENS1_30default_config_static_selectorELNS0_4arch9wavefront6targetE0EEEvT1_.numbered_sgpr, 0
	.set _ZN7rocprim17ROCPRIM_400000_NS6detail17trampoline_kernelINS0_14default_configENS1_25partition_config_selectorILNS1_17partition_subalgoE8EmNS0_10empty_typeEbEEZZNS1_14partition_implILS5_8ELb0ES3_jPKmPS6_PKS6_NS0_5tupleIJPmS6_EEENSE_IJSB_SB_EEENS0_18inequality_wrapperIN6hipcub16HIPCUB_304000_NS8EqualityEEEPlJS6_EEE10hipError_tPvRmT3_T4_T5_T6_T7_T9_mT8_P12ihipStream_tbDpT10_ENKUlT_T0_E_clISt17integral_constantIbLb0EES16_IbLb1EEEEDaS12_S13_EUlS12_E_NS1_11comp_targetILNS1_3genE10ELNS1_11target_archE1200ELNS1_3gpuE4ELNS1_3repE0EEENS1_30default_config_static_selectorELNS0_4arch9wavefront6targetE0EEEvT1_.num_named_barrier, 0
	.set _ZN7rocprim17ROCPRIM_400000_NS6detail17trampoline_kernelINS0_14default_configENS1_25partition_config_selectorILNS1_17partition_subalgoE8EmNS0_10empty_typeEbEEZZNS1_14partition_implILS5_8ELb0ES3_jPKmPS6_PKS6_NS0_5tupleIJPmS6_EEENSE_IJSB_SB_EEENS0_18inequality_wrapperIN6hipcub16HIPCUB_304000_NS8EqualityEEEPlJS6_EEE10hipError_tPvRmT3_T4_T5_T6_T7_T9_mT8_P12ihipStream_tbDpT10_ENKUlT_T0_E_clISt17integral_constantIbLb0EES16_IbLb1EEEEDaS12_S13_EUlS12_E_NS1_11comp_targetILNS1_3genE10ELNS1_11target_archE1200ELNS1_3gpuE4ELNS1_3repE0EEENS1_30default_config_static_selectorELNS0_4arch9wavefront6targetE0EEEvT1_.private_seg_size, 0
	.set _ZN7rocprim17ROCPRIM_400000_NS6detail17trampoline_kernelINS0_14default_configENS1_25partition_config_selectorILNS1_17partition_subalgoE8EmNS0_10empty_typeEbEEZZNS1_14partition_implILS5_8ELb0ES3_jPKmPS6_PKS6_NS0_5tupleIJPmS6_EEENSE_IJSB_SB_EEENS0_18inequality_wrapperIN6hipcub16HIPCUB_304000_NS8EqualityEEEPlJS6_EEE10hipError_tPvRmT3_T4_T5_T6_T7_T9_mT8_P12ihipStream_tbDpT10_ENKUlT_T0_E_clISt17integral_constantIbLb0EES16_IbLb1EEEEDaS12_S13_EUlS12_E_NS1_11comp_targetILNS1_3genE10ELNS1_11target_archE1200ELNS1_3gpuE4ELNS1_3repE0EEENS1_30default_config_static_selectorELNS0_4arch9wavefront6targetE0EEEvT1_.uses_vcc, 0
	.set _ZN7rocprim17ROCPRIM_400000_NS6detail17trampoline_kernelINS0_14default_configENS1_25partition_config_selectorILNS1_17partition_subalgoE8EmNS0_10empty_typeEbEEZZNS1_14partition_implILS5_8ELb0ES3_jPKmPS6_PKS6_NS0_5tupleIJPmS6_EEENSE_IJSB_SB_EEENS0_18inequality_wrapperIN6hipcub16HIPCUB_304000_NS8EqualityEEEPlJS6_EEE10hipError_tPvRmT3_T4_T5_T6_T7_T9_mT8_P12ihipStream_tbDpT10_ENKUlT_T0_E_clISt17integral_constantIbLb0EES16_IbLb1EEEEDaS12_S13_EUlS12_E_NS1_11comp_targetILNS1_3genE10ELNS1_11target_archE1200ELNS1_3gpuE4ELNS1_3repE0EEENS1_30default_config_static_selectorELNS0_4arch9wavefront6targetE0EEEvT1_.uses_flat_scratch, 0
	.set _ZN7rocprim17ROCPRIM_400000_NS6detail17trampoline_kernelINS0_14default_configENS1_25partition_config_selectorILNS1_17partition_subalgoE8EmNS0_10empty_typeEbEEZZNS1_14partition_implILS5_8ELb0ES3_jPKmPS6_PKS6_NS0_5tupleIJPmS6_EEENSE_IJSB_SB_EEENS0_18inequality_wrapperIN6hipcub16HIPCUB_304000_NS8EqualityEEEPlJS6_EEE10hipError_tPvRmT3_T4_T5_T6_T7_T9_mT8_P12ihipStream_tbDpT10_ENKUlT_T0_E_clISt17integral_constantIbLb0EES16_IbLb1EEEEDaS12_S13_EUlS12_E_NS1_11comp_targetILNS1_3genE10ELNS1_11target_archE1200ELNS1_3gpuE4ELNS1_3repE0EEENS1_30default_config_static_selectorELNS0_4arch9wavefront6targetE0EEEvT1_.has_dyn_sized_stack, 0
	.set _ZN7rocprim17ROCPRIM_400000_NS6detail17trampoline_kernelINS0_14default_configENS1_25partition_config_selectorILNS1_17partition_subalgoE8EmNS0_10empty_typeEbEEZZNS1_14partition_implILS5_8ELb0ES3_jPKmPS6_PKS6_NS0_5tupleIJPmS6_EEENSE_IJSB_SB_EEENS0_18inequality_wrapperIN6hipcub16HIPCUB_304000_NS8EqualityEEEPlJS6_EEE10hipError_tPvRmT3_T4_T5_T6_T7_T9_mT8_P12ihipStream_tbDpT10_ENKUlT_T0_E_clISt17integral_constantIbLb0EES16_IbLb1EEEEDaS12_S13_EUlS12_E_NS1_11comp_targetILNS1_3genE10ELNS1_11target_archE1200ELNS1_3gpuE4ELNS1_3repE0EEENS1_30default_config_static_selectorELNS0_4arch9wavefront6targetE0EEEvT1_.has_recursion, 0
	.set _ZN7rocprim17ROCPRIM_400000_NS6detail17trampoline_kernelINS0_14default_configENS1_25partition_config_selectorILNS1_17partition_subalgoE8EmNS0_10empty_typeEbEEZZNS1_14partition_implILS5_8ELb0ES3_jPKmPS6_PKS6_NS0_5tupleIJPmS6_EEENSE_IJSB_SB_EEENS0_18inequality_wrapperIN6hipcub16HIPCUB_304000_NS8EqualityEEEPlJS6_EEE10hipError_tPvRmT3_T4_T5_T6_T7_T9_mT8_P12ihipStream_tbDpT10_ENKUlT_T0_E_clISt17integral_constantIbLb0EES16_IbLb1EEEEDaS12_S13_EUlS12_E_NS1_11comp_targetILNS1_3genE10ELNS1_11target_archE1200ELNS1_3gpuE4ELNS1_3repE0EEENS1_30default_config_static_selectorELNS0_4arch9wavefront6targetE0EEEvT1_.has_indirect_call, 0
	.section	.AMDGPU.csdata,"",@progbits
; Kernel info:
; codeLenInByte = 0
; TotalNumSgprs: 0
; NumVgprs: 0
; ScratchSize: 0
; MemoryBound: 0
; FloatMode: 240
; IeeeMode: 1
; LDSByteSize: 0 bytes/workgroup (compile time only)
; SGPRBlocks: 0
; VGPRBlocks: 0
; NumSGPRsForWavesPerEU: 1
; NumVGPRsForWavesPerEU: 1
; NamedBarCnt: 0
; Occupancy: 16
; WaveLimiterHint : 0
; COMPUTE_PGM_RSRC2:SCRATCH_EN: 0
; COMPUTE_PGM_RSRC2:USER_SGPR: 2
; COMPUTE_PGM_RSRC2:TRAP_HANDLER: 0
; COMPUTE_PGM_RSRC2:TGID_X_EN: 1
; COMPUTE_PGM_RSRC2:TGID_Y_EN: 0
; COMPUTE_PGM_RSRC2:TGID_Z_EN: 0
; COMPUTE_PGM_RSRC2:TIDIG_COMP_CNT: 0
	.section	.text._ZN7rocprim17ROCPRIM_400000_NS6detail17trampoline_kernelINS0_14default_configENS1_25partition_config_selectorILNS1_17partition_subalgoE8EmNS0_10empty_typeEbEEZZNS1_14partition_implILS5_8ELb0ES3_jPKmPS6_PKS6_NS0_5tupleIJPmS6_EEENSE_IJSB_SB_EEENS0_18inequality_wrapperIN6hipcub16HIPCUB_304000_NS8EqualityEEEPlJS6_EEE10hipError_tPvRmT3_T4_T5_T6_T7_T9_mT8_P12ihipStream_tbDpT10_ENKUlT_T0_E_clISt17integral_constantIbLb0EES16_IbLb1EEEEDaS12_S13_EUlS12_E_NS1_11comp_targetILNS1_3genE9ELNS1_11target_archE1100ELNS1_3gpuE3ELNS1_3repE0EEENS1_30default_config_static_selectorELNS0_4arch9wavefront6targetE0EEEvT1_,"axG",@progbits,_ZN7rocprim17ROCPRIM_400000_NS6detail17trampoline_kernelINS0_14default_configENS1_25partition_config_selectorILNS1_17partition_subalgoE8EmNS0_10empty_typeEbEEZZNS1_14partition_implILS5_8ELb0ES3_jPKmPS6_PKS6_NS0_5tupleIJPmS6_EEENSE_IJSB_SB_EEENS0_18inequality_wrapperIN6hipcub16HIPCUB_304000_NS8EqualityEEEPlJS6_EEE10hipError_tPvRmT3_T4_T5_T6_T7_T9_mT8_P12ihipStream_tbDpT10_ENKUlT_T0_E_clISt17integral_constantIbLb0EES16_IbLb1EEEEDaS12_S13_EUlS12_E_NS1_11comp_targetILNS1_3genE9ELNS1_11target_archE1100ELNS1_3gpuE3ELNS1_3repE0EEENS1_30default_config_static_selectorELNS0_4arch9wavefront6targetE0EEEvT1_,comdat
	.protected	_ZN7rocprim17ROCPRIM_400000_NS6detail17trampoline_kernelINS0_14default_configENS1_25partition_config_selectorILNS1_17partition_subalgoE8EmNS0_10empty_typeEbEEZZNS1_14partition_implILS5_8ELb0ES3_jPKmPS6_PKS6_NS0_5tupleIJPmS6_EEENSE_IJSB_SB_EEENS0_18inequality_wrapperIN6hipcub16HIPCUB_304000_NS8EqualityEEEPlJS6_EEE10hipError_tPvRmT3_T4_T5_T6_T7_T9_mT8_P12ihipStream_tbDpT10_ENKUlT_T0_E_clISt17integral_constantIbLb0EES16_IbLb1EEEEDaS12_S13_EUlS12_E_NS1_11comp_targetILNS1_3genE9ELNS1_11target_archE1100ELNS1_3gpuE3ELNS1_3repE0EEENS1_30default_config_static_selectorELNS0_4arch9wavefront6targetE0EEEvT1_ ; -- Begin function _ZN7rocprim17ROCPRIM_400000_NS6detail17trampoline_kernelINS0_14default_configENS1_25partition_config_selectorILNS1_17partition_subalgoE8EmNS0_10empty_typeEbEEZZNS1_14partition_implILS5_8ELb0ES3_jPKmPS6_PKS6_NS0_5tupleIJPmS6_EEENSE_IJSB_SB_EEENS0_18inequality_wrapperIN6hipcub16HIPCUB_304000_NS8EqualityEEEPlJS6_EEE10hipError_tPvRmT3_T4_T5_T6_T7_T9_mT8_P12ihipStream_tbDpT10_ENKUlT_T0_E_clISt17integral_constantIbLb0EES16_IbLb1EEEEDaS12_S13_EUlS12_E_NS1_11comp_targetILNS1_3genE9ELNS1_11target_archE1100ELNS1_3gpuE3ELNS1_3repE0EEENS1_30default_config_static_selectorELNS0_4arch9wavefront6targetE0EEEvT1_
	.globl	_ZN7rocprim17ROCPRIM_400000_NS6detail17trampoline_kernelINS0_14default_configENS1_25partition_config_selectorILNS1_17partition_subalgoE8EmNS0_10empty_typeEbEEZZNS1_14partition_implILS5_8ELb0ES3_jPKmPS6_PKS6_NS0_5tupleIJPmS6_EEENSE_IJSB_SB_EEENS0_18inequality_wrapperIN6hipcub16HIPCUB_304000_NS8EqualityEEEPlJS6_EEE10hipError_tPvRmT3_T4_T5_T6_T7_T9_mT8_P12ihipStream_tbDpT10_ENKUlT_T0_E_clISt17integral_constantIbLb0EES16_IbLb1EEEEDaS12_S13_EUlS12_E_NS1_11comp_targetILNS1_3genE9ELNS1_11target_archE1100ELNS1_3gpuE3ELNS1_3repE0EEENS1_30default_config_static_selectorELNS0_4arch9wavefront6targetE0EEEvT1_
	.p2align	8
	.type	_ZN7rocprim17ROCPRIM_400000_NS6detail17trampoline_kernelINS0_14default_configENS1_25partition_config_selectorILNS1_17partition_subalgoE8EmNS0_10empty_typeEbEEZZNS1_14partition_implILS5_8ELb0ES3_jPKmPS6_PKS6_NS0_5tupleIJPmS6_EEENSE_IJSB_SB_EEENS0_18inequality_wrapperIN6hipcub16HIPCUB_304000_NS8EqualityEEEPlJS6_EEE10hipError_tPvRmT3_T4_T5_T6_T7_T9_mT8_P12ihipStream_tbDpT10_ENKUlT_T0_E_clISt17integral_constantIbLb0EES16_IbLb1EEEEDaS12_S13_EUlS12_E_NS1_11comp_targetILNS1_3genE9ELNS1_11target_archE1100ELNS1_3gpuE3ELNS1_3repE0EEENS1_30default_config_static_selectorELNS0_4arch9wavefront6targetE0EEEvT1_,@function
_ZN7rocprim17ROCPRIM_400000_NS6detail17trampoline_kernelINS0_14default_configENS1_25partition_config_selectorILNS1_17partition_subalgoE8EmNS0_10empty_typeEbEEZZNS1_14partition_implILS5_8ELb0ES3_jPKmPS6_PKS6_NS0_5tupleIJPmS6_EEENSE_IJSB_SB_EEENS0_18inequality_wrapperIN6hipcub16HIPCUB_304000_NS8EqualityEEEPlJS6_EEE10hipError_tPvRmT3_T4_T5_T6_T7_T9_mT8_P12ihipStream_tbDpT10_ENKUlT_T0_E_clISt17integral_constantIbLb0EES16_IbLb1EEEEDaS12_S13_EUlS12_E_NS1_11comp_targetILNS1_3genE9ELNS1_11target_archE1100ELNS1_3gpuE3ELNS1_3repE0EEENS1_30default_config_static_selectorELNS0_4arch9wavefront6targetE0EEEvT1_: ; @_ZN7rocprim17ROCPRIM_400000_NS6detail17trampoline_kernelINS0_14default_configENS1_25partition_config_selectorILNS1_17partition_subalgoE8EmNS0_10empty_typeEbEEZZNS1_14partition_implILS5_8ELb0ES3_jPKmPS6_PKS6_NS0_5tupleIJPmS6_EEENSE_IJSB_SB_EEENS0_18inequality_wrapperIN6hipcub16HIPCUB_304000_NS8EqualityEEEPlJS6_EEE10hipError_tPvRmT3_T4_T5_T6_T7_T9_mT8_P12ihipStream_tbDpT10_ENKUlT_T0_E_clISt17integral_constantIbLb0EES16_IbLb1EEEEDaS12_S13_EUlS12_E_NS1_11comp_targetILNS1_3genE9ELNS1_11target_archE1100ELNS1_3gpuE3ELNS1_3repE0EEENS1_30default_config_static_selectorELNS0_4arch9wavefront6targetE0EEEvT1_
; %bb.0:
	.section	.rodata,"a",@progbits
	.p2align	6, 0x0
	.amdhsa_kernel _ZN7rocprim17ROCPRIM_400000_NS6detail17trampoline_kernelINS0_14default_configENS1_25partition_config_selectorILNS1_17partition_subalgoE8EmNS0_10empty_typeEbEEZZNS1_14partition_implILS5_8ELb0ES3_jPKmPS6_PKS6_NS0_5tupleIJPmS6_EEENSE_IJSB_SB_EEENS0_18inequality_wrapperIN6hipcub16HIPCUB_304000_NS8EqualityEEEPlJS6_EEE10hipError_tPvRmT3_T4_T5_T6_T7_T9_mT8_P12ihipStream_tbDpT10_ENKUlT_T0_E_clISt17integral_constantIbLb0EES16_IbLb1EEEEDaS12_S13_EUlS12_E_NS1_11comp_targetILNS1_3genE9ELNS1_11target_archE1100ELNS1_3gpuE3ELNS1_3repE0EEENS1_30default_config_static_selectorELNS0_4arch9wavefront6targetE0EEEvT1_
		.amdhsa_group_segment_fixed_size 0
		.amdhsa_private_segment_fixed_size 0
		.amdhsa_kernarg_size 128
		.amdhsa_user_sgpr_count 2
		.amdhsa_user_sgpr_dispatch_ptr 0
		.amdhsa_user_sgpr_queue_ptr 0
		.amdhsa_user_sgpr_kernarg_segment_ptr 1
		.amdhsa_user_sgpr_dispatch_id 0
		.amdhsa_user_sgpr_kernarg_preload_length 0
		.amdhsa_user_sgpr_kernarg_preload_offset 0
		.amdhsa_user_sgpr_private_segment_size 0
		.amdhsa_wavefront_size32 1
		.amdhsa_uses_dynamic_stack 0
		.amdhsa_enable_private_segment 0
		.amdhsa_system_sgpr_workgroup_id_x 1
		.amdhsa_system_sgpr_workgroup_id_y 0
		.amdhsa_system_sgpr_workgroup_id_z 0
		.amdhsa_system_sgpr_workgroup_info 0
		.amdhsa_system_vgpr_workitem_id 0
		.amdhsa_next_free_vgpr 1
		.amdhsa_next_free_sgpr 1
		.amdhsa_named_barrier_count 0
		.amdhsa_reserve_vcc 0
		.amdhsa_float_round_mode_32 0
		.amdhsa_float_round_mode_16_64 0
		.amdhsa_float_denorm_mode_32 3
		.amdhsa_float_denorm_mode_16_64 3
		.amdhsa_fp16_overflow 0
		.amdhsa_memory_ordered 1
		.amdhsa_forward_progress 1
		.amdhsa_inst_pref_size 0
		.amdhsa_round_robin_scheduling 0
		.amdhsa_exception_fp_ieee_invalid_op 0
		.amdhsa_exception_fp_denorm_src 0
		.amdhsa_exception_fp_ieee_div_zero 0
		.amdhsa_exception_fp_ieee_overflow 0
		.amdhsa_exception_fp_ieee_underflow 0
		.amdhsa_exception_fp_ieee_inexact 0
		.amdhsa_exception_int_div_zero 0
	.end_amdhsa_kernel
	.section	.text._ZN7rocprim17ROCPRIM_400000_NS6detail17trampoline_kernelINS0_14default_configENS1_25partition_config_selectorILNS1_17partition_subalgoE8EmNS0_10empty_typeEbEEZZNS1_14partition_implILS5_8ELb0ES3_jPKmPS6_PKS6_NS0_5tupleIJPmS6_EEENSE_IJSB_SB_EEENS0_18inequality_wrapperIN6hipcub16HIPCUB_304000_NS8EqualityEEEPlJS6_EEE10hipError_tPvRmT3_T4_T5_T6_T7_T9_mT8_P12ihipStream_tbDpT10_ENKUlT_T0_E_clISt17integral_constantIbLb0EES16_IbLb1EEEEDaS12_S13_EUlS12_E_NS1_11comp_targetILNS1_3genE9ELNS1_11target_archE1100ELNS1_3gpuE3ELNS1_3repE0EEENS1_30default_config_static_selectorELNS0_4arch9wavefront6targetE0EEEvT1_,"axG",@progbits,_ZN7rocprim17ROCPRIM_400000_NS6detail17trampoline_kernelINS0_14default_configENS1_25partition_config_selectorILNS1_17partition_subalgoE8EmNS0_10empty_typeEbEEZZNS1_14partition_implILS5_8ELb0ES3_jPKmPS6_PKS6_NS0_5tupleIJPmS6_EEENSE_IJSB_SB_EEENS0_18inequality_wrapperIN6hipcub16HIPCUB_304000_NS8EqualityEEEPlJS6_EEE10hipError_tPvRmT3_T4_T5_T6_T7_T9_mT8_P12ihipStream_tbDpT10_ENKUlT_T0_E_clISt17integral_constantIbLb0EES16_IbLb1EEEEDaS12_S13_EUlS12_E_NS1_11comp_targetILNS1_3genE9ELNS1_11target_archE1100ELNS1_3gpuE3ELNS1_3repE0EEENS1_30default_config_static_selectorELNS0_4arch9wavefront6targetE0EEEvT1_,comdat
.Lfunc_end716:
	.size	_ZN7rocprim17ROCPRIM_400000_NS6detail17trampoline_kernelINS0_14default_configENS1_25partition_config_selectorILNS1_17partition_subalgoE8EmNS0_10empty_typeEbEEZZNS1_14partition_implILS5_8ELb0ES3_jPKmPS6_PKS6_NS0_5tupleIJPmS6_EEENSE_IJSB_SB_EEENS0_18inequality_wrapperIN6hipcub16HIPCUB_304000_NS8EqualityEEEPlJS6_EEE10hipError_tPvRmT3_T4_T5_T6_T7_T9_mT8_P12ihipStream_tbDpT10_ENKUlT_T0_E_clISt17integral_constantIbLb0EES16_IbLb1EEEEDaS12_S13_EUlS12_E_NS1_11comp_targetILNS1_3genE9ELNS1_11target_archE1100ELNS1_3gpuE3ELNS1_3repE0EEENS1_30default_config_static_selectorELNS0_4arch9wavefront6targetE0EEEvT1_, .Lfunc_end716-_ZN7rocprim17ROCPRIM_400000_NS6detail17trampoline_kernelINS0_14default_configENS1_25partition_config_selectorILNS1_17partition_subalgoE8EmNS0_10empty_typeEbEEZZNS1_14partition_implILS5_8ELb0ES3_jPKmPS6_PKS6_NS0_5tupleIJPmS6_EEENSE_IJSB_SB_EEENS0_18inequality_wrapperIN6hipcub16HIPCUB_304000_NS8EqualityEEEPlJS6_EEE10hipError_tPvRmT3_T4_T5_T6_T7_T9_mT8_P12ihipStream_tbDpT10_ENKUlT_T0_E_clISt17integral_constantIbLb0EES16_IbLb1EEEEDaS12_S13_EUlS12_E_NS1_11comp_targetILNS1_3genE9ELNS1_11target_archE1100ELNS1_3gpuE3ELNS1_3repE0EEENS1_30default_config_static_selectorELNS0_4arch9wavefront6targetE0EEEvT1_
                                        ; -- End function
	.set _ZN7rocprim17ROCPRIM_400000_NS6detail17trampoline_kernelINS0_14default_configENS1_25partition_config_selectorILNS1_17partition_subalgoE8EmNS0_10empty_typeEbEEZZNS1_14partition_implILS5_8ELb0ES3_jPKmPS6_PKS6_NS0_5tupleIJPmS6_EEENSE_IJSB_SB_EEENS0_18inequality_wrapperIN6hipcub16HIPCUB_304000_NS8EqualityEEEPlJS6_EEE10hipError_tPvRmT3_T4_T5_T6_T7_T9_mT8_P12ihipStream_tbDpT10_ENKUlT_T0_E_clISt17integral_constantIbLb0EES16_IbLb1EEEEDaS12_S13_EUlS12_E_NS1_11comp_targetILNS1_3genE9ELNS1_11target_archE1100ELNS1_3gpuE3ELNS1_3repE0EEENS1_30default_config_static_selectorELNS0_4arch9wavefront6targetE0EEEvT1_.num_vgpr, 0
	.set _ZN7rocprim17ROCPRIM_400000_NS6detail17trampoline_kernelINS0_14default_configENS1_25partition_config_selectorILNS1_17partition_subalgoE8EmNS0_10empty_typeEbEEZZNS1_14partition_implILS5_8ELb0ES3_jPKmPS6_PKS6_NS0_5tupleIJPmS6_EEENSE_IJSB_SB_EEENS0_18inequality_wrapperIN6hipcub16HIPCUB_304000_NS8EqualityEEEPlJS6_EEE10hipError_tPvRmT3_T4_T5_T6_T7_T9_mT8_P12ihipStream_tbDpT10_ENKUlT_T0_E_clISt17integral_constantIbLb0EES16_IbLb1EEEEDaS12_S13_EUlS12_E_NS1_11comp_targetILNS1_3genE9ELNS1_11target_archE1100ELNS1_3gpuE3ELNS1_3repE0EEENS1_30default_config_static_selectorELNS0_4arch9wavefront6targetE0EEEvT1_.num_agpr, 0
	.set _ZN7rocprim17ROCPRIM_400000_NS6detail17trampoline_kernelINS0_14default_configENS1_25partition_config_selectorILNS1_17partition_subalgoE8EmNS0_10empty_typeEbEEZZNS1_14partition_implILS5_8ELb0ES3_jPKmPS6_PKS6_NS0_5tupleIJPmS6_EEENSE_IJSB_SB_EEENS0_18inequality_wrapperIN6hipcub16HIPCUB_304000_NS8EqualityEEEPlJS6_EEE10hipError_tPvRmT3_T4_T5_T6_T7_T9_mT8_P12ihipStream_tbDpT10_ENKUlT_T0_E_clISt17integral_constantIbLb0EES16_IbLb1EEEEDaS12_S13_EUlS12_E_NS1_11comp_targetILNS1_3genE9ELNS1_11target_archE1100ELNS1_3gpuE3ELNS1_3repE0EEENS1_30default_config_static_selectorELNS0_4arch9wavefront6targetE0EEEvT1_.numbered_sgpr, 0
	.set _ZN7rocprim17ROCPRIM_400000_NS6detail17trampoline_kernelINS0_14default_configENS1_25partition_config_selectorILNS1_17partition_subalgoE8EmNS0_10empty_typeEbEEZZNS1_14partition_implILS5_8ELb0ES3_jPKmPS6_PKS6_NS0_5tupleIJPmS6_EEENSE_IJSB_SB_EEENS0_18inequality_wrapperIN6hipcub16HIPCUB_304000_NS8EqualityEEEPlJS6_EEE10hipError_tPvRmT3_T4_T5_T6_T7_T9_mT8_P12ihipStream_tbDpT10_ENKUlT_T0_E_clISt17integral_constantIbLb0EES16_IbLb1EEEEDaS12_S13_EUlS12_E_NS1_11comp_targetILNS1_3genE9ELNS1_11target_archE1100ELNS1_3gpuE3ELNS1_3repE0EEENS1_30default_config_static_selectorELNS0_4arch9wavefront6targetE0EEEvT1_.num_named_barrier, 0
	.set _ZN7rocprim17ROCPRIM_400000_NS6detail17trampoline_kernelINS0_14default_configENS1_25partition_config_selectorILNS1_17partition_subalgoE8EmNS0_10empty_typeEbEEZZNS1_14partition_implILS5_8ELb0ES3_jPKmPS6_PKS6_NS0_5tupleIJPmS6_EEENSE_IJSB_SB_EEENS0_18inequality_wrapperIN6hipcub16HIPCUB_304000_NS8EqualityEEEPlJS6_EEE10hipError_tPvRmT3_T4_T5_T6_T7_T9_mT8_P12ihipStream_tbDpT10_ENKUlT_T0_E_clISt17integral_constantIbLb0EES16_IbLb1EEEEDaS12_S13_EUlS12_E_NS1_11comp_targetILNS1_3genE9ELNS1_11target_archE1100ELNS1_3gpuE3ELNS1_3repE0EEENS1_30default_config_static_selectorELNS0_4arch9wavefront6targetE0EEEvT1_.private_seg_size, 0
	.set _ZN7rocprim17ROCPRIM_400000_NS6detail17trampoline_kernelINS0_14default_configENS1_25partition_config_selectorILNS1_17partition_subalgoE8EmNS0_10empty_typeEbEEZZNS1_14partition_implILS5_8ELb0ES3_jPKmPS6_PKS6_NS0_5tupleIJPmS6_EEENSE_IJSB_SB_EEENS0_18inequality_wrapperIN6hipcub16HIPCUB_304000_NS8EqualityEEEPlJS6_EEE10hipError_tPvRmT3_T4_T5_T6_T7_T9_mT8_P12ihipStream_tbDpT10_ENKUlT_T0_E_clISt17integral_constantIbLb0EES16_IbLb1EEEEDaS12_S13_EUlS12_E_NS1_11comp_targetILNS1_3genE9ELNS1_11target_archE1100ELNS1_3gpuE3ELNS1_3repE0EEENS1_30default_config_static_selectorELNS0_4arch9wavefront6targetE0EEEvT1_.uses_vcc, 0
	.set _ZN7rocprim17ROCPRIM_400000_NS6detail17trampoline_kernelINS0_14default_configENS1_25partition_config_selectorILNS1_17partition_subalgoE8EmNS0_10empty_typeEbEEZZNS1_14partition_implILS5_8ELb0ES3_jPKmPS6_PKS6_NS0_5tupleIJPmS6_EEENSE_IJSB_SB_EEENS0_18inequality_wrapperIN6hipcub16HIPCUB_304000_NS8EqualityEEEPlJS6_EEE10hipError_tPvRmT3_T4_T5_T6_T7_T9_mT8_P12ihipStream_tbDpT10_ENKUlT_T0_E_clISt17integral_constantIbLb0EES16_IbLb1EEEEDaS12_S13_EUlS12_E_NS1_11comp_targetILNS1_3genE9ELNS1_11target_archE1100ELNS1_3gpuE3ELNS1_3repE0EEENS1_30default_config_static_selectorELNS0_4arch9wavefront6targetE0EEEvT1_.uses_flat_scratch, 0
	.set _ZN7rocprim17ROCPRIM_400000_NS6detail17trampoline_kernelINS0_14default_configENS1_25partition_config_selectorILNS1_17partition_subalgoE8EmNS0_10empty_typeEbEEZZNS1_14partition_implILS5_8ELb0ES3_jPKmPS6_PKS6_NS0_5tupleIJPmS6_EEENSE_IJSB_SB_EEENS0_18inequality_wrapperIN6hipcub16HIPCUB_304000_NS8EqualityEEEPlJS6_EEE10hipError_tPvRmT3_T4_T5_T6_T7_T9_mT8_P12ihipStream_tbDpT10_ENKUlT_T0_E_clISt17integral_constantIbLb0EES16_IbLb1EEEEDaS12_S13_EUlS12_E_NS1_11comp_targetILNS1_3genE9ELNS1_11target_archE1100ELNS1_3gpuE3ELNS1_3repE0EEENS1_30default_config_static_selectorELNS0_4arch9wavefront6targetE0EEEvT1_.has_dyn_sized_stack, 0
	.set _ZN7rocprim17ROCPRIM_400000_NS6detail17trampoline_kernelINS0_14default_configENS1_25partition_config_selectorILNS1_17partition_subalgoE8EmNS0_10empty_typeEbEEZZNS1_14partition_implILS5_8ELb0ES3_jPKmPS6_PKS6_NS0_5tupleIJPmS6_EEENSE_IJSB_SB_EEENS0_18inequality_wrapperIN6hipcub16HIPCUB_304000_NS8EqualityEEEPlJS6_EEE10hipError_tPvRmT3_T4_T5_T6_T7_T9_mT8_P12ihipStream_tbDpT10_ENKUlT_T0_E_clISt17integral_constantIbLb0EES16_IbLb1EEEEDaS12_S13_EUlS12_E_NS1_11comp_targetILNS1_3genE9ELNS1_11target_archE1100ELNS1_3gpuE3ELNS1_3repE0EEENS1_30default_config_static_selectorELNS0_4arch9wavefront6targetE0EEEvT1_.has_recursion, 0
	.set _ZN7rocprim17ROCPRIM_400000_NS6detail17trampoline_kernelINS0_14default_configENS1_25partition_config_selectorILNS1_17partition_subalgoE8EmNS0_10empty_typeEbEEZZNS1_14partition_implILS5_8ELb0ES3_jPKmPS6_PKS6_NS0_5tupleIJPmS6_EEENSE_IJSB_SB_EEENS0_18inequality_wrapperIN6hipcub16HIPCUB_304000_NS8EqualityEEEPlJS6_EEE10hipError_tPvRmT3_T4_T5_T6_T7_T9_mT8_P12ihipStream_tbDpT10_ENKUlT_T0_E_clISt17integral_constantIbLb0EES16_IbLb1EEEEDaS12_S13_EUlS12_E_NS1_11comp_targetILNS1_3genE9ELNS1_11target_archE1100ELNS1_3gpuE3ELNS1_3repE0EEENS1_30default_config_static_selectorELNS0_4arch9wavefront6targetE0EEEvT1_.has_indirect_call, 0
	.section	.AMDGPU.csdata,"",@progbits
; Kernel info:
; codeLenInByte = 0
; TotalNumSgprs: 0
; NumVgprs: 0
; ScratchSize: 0
; MemoryBound: 0
; FloatMode: 240
; IeeeMode: 1
; LDSByteSize: 0 bytes/workgroup (compile time only)
; SGPRBlocks: 0
; VGPRBlocks: 0
; NumSGPRsForWavesPerEU: 1
; NumVGPRsForWavesPerEU: 1
; NamedBarCnt: 0
; Occupancy: 16
; WaveLimiterHint : 0
; COMPUTE_PGM_RSRC2:SCRATCH_EN: 0
; COMPUTE_PGM_RSRC2:USER_SGPR: 2
; COMPUTE_PGM_RSRC2:TRAP_HANDLER: 0
; COMPUTE_PGM_RSRC2:TGID_X_EN: 1
; COMPUTE_PGM_RSRC2:TGID_Y_EN: 0
; COMPUTE_PGM_RSRC2:TGID_Z_EN: 0
; COMPUTE_PGM_RSRC2:TIDIG_COMP_CNT: 0
	.section	.text._ZN7rocprim17ROCPRIM_400000_NS6detail17trampoline_kernelINS0_14default_configENS1_25partition_config_selectorILNS1_17partition_subalgoE8EmNS0_10empty_typeEbEEZZNS1_14partition_implILS5_8ELb0ES3_jPKmPS6_PKS6_NS0_5tupleIJPmS6_EEENSE_IJSB_SB_EEENS0_18inequality_wrapperIN6hipcub16HIPCUB_304000_NS8EqualityEEEPlJS6_EEE10hipError_tPvRmT3_T4_T5_T6_T7_T9_mT8_P12ihipStream_tbDpT10_ENKUlT_T0_E_clISt17integral_constantIbLb0EES16_IbLb1EEEEDaS12_S13_EUlS12_E_NS1_11comp_targetILNS1_3genE8ELNS1_11target_archE1030ELNS1_3gpuE2ELNS1_3repE0EEENS1_30default_config_static_selectorELNS0_4arch9wavefront6targetE0EEEvT1_,"axG",@progbits,_ZN7rocprim17ROCPRIM_400000_NS6detail17trampoline_kernelINS0_14default_configENS1_25partition_config_selectorILNS1_17partition_subalgoE8EmNS0_10empty_typeEbEEZZNS1_14partition_implILS5_8ELb0ES3_jPKmPS6_PKS6_NS0_5tupleIJPmS6_EEENSE_IJSB_SB_EEENS0_18inequality_wrapperIN6hipcub16HIPCUB_304000_NS8EqualityEEEPlJS6_EEE10hipError_tPvRmT3_T4_T5_T6_T7_T9_mT8_P12ihipStream_tbDpT10_ENKUlT_T0_E_clISt17integral_constantIbLb0EES16_IbLb1EEEEDaS12_S13_EUlS12_E_NS1_11comp_targetILNS1_3genE8ELNS1_11target_archE1030ELNS1_3gpuE2ELNS1_3repE0EEENS1_30default_config_static_selectorELNS0_4arch9wavefront6targetE0EEEvT1_,comdat
	.protected	_ZN7rocprim17ROCPRIM_400000_NS6detail17trampoline_kernelINS0_14default_configENS1_25partition_config_selectorILNS1_17partition_subalgoE8EmNS0_10empty_typeEbEEZZNS1_14partition_implILS5_8ELb0ES3_jPKmPS6_PKS6_NS0_5tupleIJPmS6_EEENSE_IJSB_SB_EEENS0_18inequality_wrapperIN6hipcub16HIPCUB_304000_NS8EqualityEEEPlJS6_EEE10hipError_tPvRmT3_T4_T5_T6_T7_T9_mT8_P12ihipStream_tbDpT10_ENKUlT_T0_E_clISt17integral_constantIbLb0EES16_IbLb1EEEEDaS12_S13_EUlS12_E_NS1_11comp_targetILNS1_3genE8ELNS1_11target_archE1030ELNS1_3gpuE2ELNS1_3repE0EEENS1_30default_config_static_selectorELNS0_4arch9wavefront6targetE0EEEvT1_ ; -- Begin function _ZN7rocprim17ROCPRIM_400000_NS6detail17trampoline_kernelINS0_14default_configENS1_25partition_config_selectorILNS1_17partition_subalgoE8EmNS0_10empty_typeEbEEZZNS1_14partition_implILS5_8ELb0ES3_jPKmPS6_PKS6_NS0_5tupleIJPmS6_EEENSE_IJSB_SB_EEENS0_18inequality_wrapperIN6hipcub16HIPCUB_304000_NS8EqualityEEEPlJS6_EEE10hipError_tPvRmT3_T4_T5_T6_T7_T9_mT8_P12ihipStream_tbDpT10_ENKUlT_T0_E_clISt17integral_constantIbLb0EES16_IbLb1EEEEDaS12_S13_EUlS12_E_NS1_11comp_targetILNS1_3genE8ELNS1_11target_archE1030ELNS1_3gpuE2ELNS1_3repE0EEENS1_30default_config_static_selectorELNS0_4arch9wavefront6targetE0EEEvT1_
	.globl	_ZN7rocprim17ROCPRIM_400000_NS6detail17trampoline_kernelINS0_14default_configENS1_25partition_config_selectorILNS1_17partition_subalgoE8EmNS0_10empty_typeEbEEZZNS1_14partition_implILS5_8ELb0ES3_jPKmPS6_PKS6_NS0_5tupleIJPmS6_EEENSE_IJSB_SB_EEENS0_18inequality_wrapperIN6hipcub16HIPCUB_304000_NS8EqualityEEEPlJS6_EEE10hipError_tPvRmT3_T4_T5_T6_T7_T9_mT8_P12ihipStream_tbDpT10_ENKUlT_T0_E_clISt17integral_constantIbLb0EES16_IbLb1EEEEDaS12_S13_EUlS12_E_NS1_11comp_targetILNS1_3genE8ELNS1_11target_archE1030ELNS1_3gpuE2ELNS1_3repE0EEENS1_30default_config_static_selectorELNS0_4arch9wavefront6targetE0EEEvT1_
	.p2align	8
	.type	_ZN7rocprim17ROCPRIM_400000_NS6detail17trampoline_kernelINS0_14default_configENS1_25partition_config_selectorILNS1_17partition_subalgoE8EmNS0_10empty_typeEbEEZZNS1_14partition_implILS5_8ELb0ES3_jPKmPS6_PKS6_NS0_5tupleIJPmS6_EEENSE_IJSB_SB_EEENS0_18inequality_wrapperIN6hipcub16HIPCUB_304000_NS8EqualityEEEPlJS6_EEE10hipError_tPvRmT3_T4_T5_T6_T7_T9_mT8_P12ihipStream_tbDpT10_ENKUlT_T0_E_clISt17integral_constantIbLb0EES16_IbLb1EEEEDaS12_S13_EUlS12_E_NS1_11comp_targetILNS1_3genE8ELNS1_11target_archE1030ELNS1_3gpuE2ELNS1_3repE0EEENS1_30default_config_static_selectorELNS0_4arch9wavefront6targetE0EEEvT1_,@function
_ZN7rocprim17ROCPRIM_400000_NS6detail17trampoline_kernelINS0_14default_configENS1_25partition_config_selectorILNS1_17partition_subalgoE8EmNS0_10empty_typeEbEEZZNS1_14partition_implILS5_8ELb0ES3_jPKmPS6_PKS6_NS0_5tupleIJPmS6_EEENSE_IJSB_SB_EEENS0_18inequality_wrapperIN6hipcub16HIPCUB_304000_NS8EqualityEEEPlJS6_EEE10hipError_tPvRmT3_T4_T5_T6_T7_T9_mT8_P12ihipStream_tbDpT10_ENKUlT_T0_E_clISt17integral_constantIbLb0EES16_IbLb1EEEEDaS12_S13_EUlS12_E_NS1_11comp_targetILNS1_3genE8ELNS1_11target_archE1030ELNS1_3gpuE2ELNS1_3repE0EEENS1_30default_config_static_selectorELNS0_4arch9wavefront6targetE0EEEvT1_: ; @_ZN7rocprim17ROCPRIM_400000_NS6detail17trampoline_kernelINS0_14default_configENS1_25partition_config_selectorILNS1_17partition_subalgoE8EmNS0_10empty_typeEbEEZZNS1_14partition_implILS5_8ELb0ES3_jPKmPS6_PKS6_NS0_5tupleIJPmS6_EEENSE_IJSB_SB_EEENS0_18inequality_wrapperIN6hipcub16HIPCUB_304000_NS8EqualityEEEPlJS6_EEE10hipError_tPvRmT3_T4_T5_T6_T7_T9_mT8_P12ihipStream_tbDpT10_ENKUlT_T0_E_clISt17integral_constantIbLb0EES16_IbLb1EEEEDaS12_S13_EUlS12_E_NS1_11comp_targetILNS1_3genE8ELNS1_11target_archE1030ELNS1_3gpuE2ELNS1_3repE0EEENS1_30default_config_static_selectorELNS0_4arch9wavefront6targetE0EEEvT1_
; %bb.0:
	.section	.rodata,"a",@progbits
	.p2align	6, 0x0
	.amdhsa_kernel _ZN7rocprim17ROCPRIM_400000_NS6detail17trampoline_kernelINS0_14default_configENS1_25partition_config_selectorILNS1_17partition_subalgoE8EmNS0_10empty_typeEbEEZZNS1_14partition_implILS5_8ELb0ES3_jPKmPS6_PKS6_NS0_5tupleIJPmS6_EEENSE_IJSB_SB_EEENS0_18inequality_wrapperIN6hipcub16HIPCUB_304000_NS8EqualityEEEPlJS6_EEE10hipError_tPvRmT3_T4_T5_T6_T7_T9_mT8_P12ihipStream_tbDpT10_ENKUlT_T0_E_clISt17integral_constantIbLb0EES16_IbLb1EEEEDaS12_S13_EUlS12_E_NS1_11comp_targetILNS1_3genE8ELNS1_11target_archE1030ELNS1_3gpuE2ELNS1_3repE0EEENS1_30default_config_static_selectorELNS0_4arch9wavefront6targetE0EEEvT1_
		.amdhsa_group_segment_fixed_size 0
		.amdhsa_private_segment_fixed_size 0
		.amdhsa_kernarg_size 128
		.amdhsa_user_sgpr_count 2
		.amdhsa_user_sgpr_dispatch_ptr 0
		.amdhsa_user_sgpr_queue_ptr 0
		.amdhsa_user_sgpr_kernarg_segment_ptr 1
		.amdhsa_user_sgpr_dispatch_id 0
		.amdhsa_user_sgpr_kernarg_preload_length 0
		.amdhsa_user_sgpr_kernarg_preload_offset 0
		.amdhsa_user_sgpr_private_segment_size 0
		.amdhsa_wavefront_size32 1
		.amdhsa_uses_dynamic_stack 0
		.amdhsa_enable_private_segment 0
		.amdhsa_system_sgpr_workgroup_id_x 1
		.amdhsa_system_sgpr_workgroup_id_y 0
		.amdhsa_system_sgpr_workgroup_id_z 0
		.amdhsa_system_sgpr_workgroup_info 0
		.amdhsa_system_vgpr_workitem_id 0
		.amdhsa_next_free_vgpr 1
		.amdhsa_next_free_sgpr 1
		.amdhsa_named_barrier_count 0
		.amdhsa_reserve_vcc 0
		.amdhsa_float_round_mode_32 0
		.amdhsa_float_round_mode_16_64 0
		.amdhsa_float_denorm_mode_32 3
		.amdhsa_float_denorm_mode_16_64 3
		.amdhsa_fp16_overflow 0
		.amdhsa_memory_ordered 1
		.amdhsa_forward_progress 1
		.amdhsa_inst_pref_size 0
		.amdhsa_round_robin_scheduling 0
		.amdhsa_exception_fp_ieee_invalid_op 0
		.amdhsa_exception_fp_denorm_src 0
		.amdhsa_exception_fp_ieee_div_zero 0
		.amdhsa_exception_fp_ieee_overflow 0
		.amdhsa_exception_fp_ieee_underflow 0
		.amdhsa_exception_fp_ieee_inexact 0
		.amdhsa_exception_int_div_zero 0
	.end_amdhsa_kernel
	.section	.text._ZN7rocprim17ROCPRIM_400000_NS6detail17trampoline_kernelINS0_14default_configENS1_25partition_config_selectorILNS1_17partition_subalgoE8EmNS0_10empty_typeEbEEZZNS1_14partition_implILS5_8ELb0ES3_jPKmPS6_PKS6_NS0_5tupleIJPmS6_EEENSE_IJSB_SB_EEENS0_18inequality_wrapperIN6hipcub16HIPCUB_304000_NS8EqualityEEEPlJS6_EEE10hipError_tPvRmT3_T4_T5_T6_T7_T9_mT8_P12ihipStream_tbDpT10_ENKUlT_T0_E_clISt17integral_constantIbLb0EES16_IbLb1EEEEDaS12_S13_EUlS12_E_NS1_11comp_targetILNS1_3genE8ELNS1_11target_archE1030ELNS1_3gpuE2ELNS1_3repE0EEENS1_30default_config_static_selectorELNS0_4arch9wavefront6targetE0EEEvT1_,"axG",@progbits,_ZN7rocprim17ROCPRIM_400000_NS6detail17trampoline_kernelINS0_14default_configENS1_25partition_config_selectorILNS1_17partition_subalgoE8EmNS0_10empty_typeEbEEZZNS1_14partition_implILS5_8ELb0ES3_jPKmPS6_PKS6_NS0_5tupleIJPmS6_EEENSE_IJSB_SB_EEENS0_18inequality_wrapperIN6hipcub16HIPCUB_304000_NS8EqualityEEEPlJS6_EEE10hipError_tPvRmT3_T4_T5_T6_T7_T9_mT8_P12ihipStream_tbDpT10_ENKUlT_T0_E_clISt17integral_constantIbLb0EES16_IbLb1EEEEDaS12_S13_EUlS12_E_NS1_11comp_targetILNS1_3genE8ELNS1_11target_archE1030ELNS1_3gpuE2ELNS1_3repE0EEENS1_30default_config_static_selectorELNS0_4arch9wavefront6targetE0EEEvT1_,comdat
.Lfunc_end717:
	.size	_ZN7rocprim17ROCPRIM_400000_NS6detail17trampoline_kernelINS0_14default_configENS1_25partition_config_selectorILNS1_17partition_subalgoE8EmNS0_10empty_typeEbEEZZNS1_14partition_implILS5_8ELb0ES3_jPKmPS6_PKS6_NS0_5tupleIJPmS6_EEENSE_IJSB_SB_EEENS0_18inequality_wrapperIN6hipcub16HIPCUB_304000_NS8EqualityEEEPlJS6_EEE10hipError_tPvRmT3_T4_T5_T6_T7_T9_mT8_P12ihipStream_tbDpT10_ENKUlT_T0_E_clISt17integral_constantIbLb0EES16_IbLb1EEEEDaS12_S13_EUlS12_E_NS1_11comp_targetILNS1_3genE8ELNS1_11target_archE1030ELNS1_3gpuE2ELNS1_3repE0EEENS1_30default_config_static_selectorELNS0_4arch9wavefront6targetE0EEEvT1_, .Lfunc_end717-_ZN7rocprim17ROCPRIM_400000_NS6detail17trampoline_kernelINS0_14default_configENS1_25partition_config_selectorILNS1_17partition_subalgoE8EmNS0_10empty_typeEbEEZZNS1_14partition_implILS5_8ELb0ES3_jPKmPS6_PKS6_NS0_5tupleIJPmS6_EEENSE_IJSB_SB_EEENS0_18inequality_wrapperIN6hipcub16HIPCUB_304000_NS8EqualityEEEPlJS6_EEE10hipError_tPvRmT3_T4_T5_T6_T7_T9_mT8_P12ihipStream_tbDpT10_ENKUlT_T0_E_clISt17integral_constantIbLb0EES16_IbLb1EEEEDaS12_S13_EUlS12_E_NS1_11comp_targetILNS1_3genE8ELNS1_11target_archE1030ELNS1_3gpuE2ELNS1_3repE0EEENS1_30default_config_static_selectorELNS0_4arch9wavefront6targetE0EEEvT1_
                                        ; -- End function
	.set _ZN7rocprim17ROCPRIM_400000_NS6detail17trampoline_kernelINS0_14default_configENS1_25partition_config_selectorILNS1_17partition_subalgoE8EmNS0_10empty_typeEbEEZZNS1_14partition_implILS5_8ELb0ES3_jPKmPS6_PKS6_NS0_5tupleIJPmS6_EEENSE_IJSB_SB_EEENS0_18inequality_wrapperIN6hipcub16HIPCUB_304000_NS8EqualityEEEPlJS6_EEE10hipError_tPvRmT3_T4_T5_T6_T7_T9_mT8_P12ihipStream_tbDpT10_ENKUlT_T0_E_clISt17integral_constantIbLb0EES16_IbLb1EEEEDaS12_S13_EUlS12_E_NS1_11comp_targetILNS1_3genE8ELNS1_11target_archE1030ELNS1_3gpuE2ELNS1_3repE0EEENS1_30default_config_static_selectorELNS0_4arch9wavefront6targetE0EEEvT1_.num_vgpr, 0
	.set _ZN7rocprim17ROCPRIM_400000_NS6detail17trampoline_kernelINS0_14default_configENS1_25partition_config_selectorILNS1_17partition_subalgoE8EmNS0_10empty_typeEbEEZZNS1_14partition_implILS5_8ELb0ES3_jPKmPS6_PKS6_NS0_5tupleIJPmS6_EEENSE_IJSB_SB_EEENS0_18inequality_wrapperIN6hipcub16HIPCUB_304000_NS8EqualityEEEPlJS6_EEE10hipError_tPvRmT3_T4_T5_T6_T7_T9_mT8_P12ihipStream_tbDpT10_ENKUlT_T0_E_clISt17integral_constantIbLb0EES16_IbLb1EEEEDaS12_S13_EUlS12_E_NS1_11comp_targetILNS1_3genE8ELNS1_11target_archE1030ELNS1_3gpuE2ELNS1_3repE0EEENS1_30default_config_static_selectorELNS0_4arch9wavefront6targetE0EEEvT1_.num_agpr, 0
	.set _ZN7rocprim17ROCPRIM_400000_NS6detail17trampoline_kernelINS0_14default_configENS1_25partition_config_selectorILNS1_17partition_subalgoE8EmNS0_10empty_typeEbEEZZNS1_14partition_implILS5_8ELb0ES3_jPKmPS6_PKS6_NS0_5tupleIJPmS6_EEENSE_IJSB_SB_EEENS0_18inequality_wrapperIN6hipcub16HIPCUB_304000_NS8EqualityEEEPlJS6_EEE10hipError_tPvRmT3_T4_T5_T6_T7_T9_mT8_P12ihipStream_tbDpT10_ENKUlT_T0_E_clISt17integral_constantIbLb0EES16_IbLb1EEEEDaS12_S13_EUlS12_E_NS1_11comp_targetILNS1_3genE8ELNS1_11target_archE1030ELNS1_3gpuE2ELNS1_3repE0EEENS1_30default_config_static_selectorELNS0_4arch9wavefront6targetE0EEEvT1_.numbered_sgpr, 0
	.set _ZN7rocprim17ROCPRIM_400000_NS6detail17trampoline_kernelINS0_14default_configENS1_25partition_config_selectorILNS1_17partition_subalgoE8EmNS0_10empty_typeEbEEZZNS1_14partition_implILS5_8ELb0ES3_jPKmPS6_PKS6_NS0_5tupleIJPmS6_EEENSE_IJSB_SB_EEENS0_18inequality_wrapperIN6hipcub16HIPCUB_304000_NS8EqualityEEEPlJS6_EEE10hipError_tPvRmT3_T4_T5_T6_T7_T9_mT8_P12ihipStream_tbDpT10_ENKUlT_T0_E_clISt17integral_constantIbLb0EES16_IbLb1EEEEDaS12_S13_EUlS12_E_NS1_11comp_targetILNS1_3genE8ELNS1_11target_archE1030ELNS1_3gpuE2ELNS1_3repE0EEENS1_30default_config_static_selectorELNS0_4arch9wavefront6targetE0EEEvT1_.num_named_barrier, 0
	.set _ZN7rocprim17ROCPRIM_400000_NS6detail17trampoline_kernelINS0_14default_configENS1_25partition_config_selectorILNS1_17partition_subalgoE8EmNS0_10empty_typeEbEEZZNS1_14partition_implILS5_8ELb0ES3_jPKmPS6_PKS6_NS0_5tupleIJPmS6_EEENSE_IJSB_SB_EEENS0_18inequality_wrapperIN6hipcub16HIPCUB_304000_NS8EqualityEEEPlJS6_EEE10hipError_tPvRmT3_T4_T5_T6_T7_T9_mT8_P12ihipStream_tbDpT10_ENKUlT_T0_E_clISt17integral_constantIbLb0EES16_IbLb1EEEEDaS12_S13_EUlS12_E_NS1_11comp_targetILNS1_3genE8ELNS1_11target_archE1030ELNS1_3gpuE2ELNS1_3repE0EEENS1_30default_config_static_selectorELNS0_4arch9wavefront6targetE0EEEvT1_.private_seg_size, 0
	.set _ZN7rocprim17ROCPRIM_400000_NS6detail17trampoline_kernelINS0_14default_configENS1_25partition_config_selectorILNS1_17partition_subalgoE8EmNS0_10empty_typeEbEEZZNS1_14partition_implILS5_8ELb0ES3_jPKmPS6_PKS6_NS0_5tupleIJPmS6_EEENSE_IJSB_SB_EEENS0_18inequality_wrapperIN6hipcub16HIPCUB_304000_NS8EqualityEEEPlJS6_EEE10hipError_tPvRmT3_T4_T5_T6_T7_T9_mT8_P12ihipStream_tbDpT10_ENKUlT_T0_E_clISt17integral_constantIbLb0EES16_IbLb1EEEEDaS12_S13_EUlS12_E_NS1_11comp_targetILNS1_3genE8ELNS1_11target_archE1030ELNS1_3gpuE2ELNS1_3repE0EEENS1_30default_config_static_selectorELNS0_4arch9wavefront6targetE0EEEvT1_.uses_vcc, 0
	.set _ZN7rocprim17ROCPRIM_400000_NS6detail17trampoline_kernelINS0_14default_configENS1_25partition_config_selectorILNS1_17partition_subalgoE8EmNS0_10empty_typeEbEEZZNS1_14partition_implILS5_8ELb0ES3_jPKmPS6_PKS6_NS0_5tupleIJPmS6_EEENSE_IJSB_SB_EEENS0_18inequality_wrapperIN6hipcub16HIPCUB_304000_NS8EqualityEEEPlJS6_EEE10hipError_tPvRmT3_T4_T5_T6_T7_T9_mT8_P12ihipStream_tbDpT10_ENKUlT_T0_E_clISt17integral_constantIbLb0EES16_IbLb1EEEEDaS12_S13_EUlS12_E_NS1_11comp_targetILNS1_3genE8ELNS1_11target_archE1030ELNS1_3gpuE2ELNS1_3repE0EEENS1_30default_config_static_selectorELNS0_4arch9wavefront6targetE0EEEvT1_.uses_flat_scratch, 0
	.set _ZN7rocprim17ROCPRIM_400000_NS6detail17trampoline_kernelINS0_14default_configENS1_25partition_config_selectorILNS1_17partition_subalgoE8EmNS0_10empty_typeEbEEZZNS1_14partition_implILS5_8ELb0ES3_jPKmPS6_PKS6_NS0_5tupleIJPmS6_EEENSE_IJSB_SB_EEENS0_18inequality_wrapperIN6hipcub16HIPCUB_304000_NS8EqualityEEEPlJS6_EEE10hipError_tPvRmT3_T4_T5_T6_T7_T9_mT8_P12ihipStream_tbDpT10_ENKUlT_T0_E_clISt17integral_constantIbLb0EES16_IbLb1EEEEDaS12_S13_EUlS12_E_NS1_11comp_targetILNS1_3genE8ELNS1_11target_archE1030ELNS1_3gpuE2ELNS1_3repE0EEENS1_30default_config_static_selectorELNS0_4arch9wavefront6targetE0EEEvT1_.has_dyn_sized_stack, 0
	.set _ZN7rocprim17ROCPRIM_400000_NS6detail17trampoline_kernelINS0_14default_configENS1_25partition_config_selectorILNS1_17partition_subalgoE8EmNS0_10empty_typeEbEEZZNS1_14partition_implILS5_8ELb0ES3_jPKmPS6_PKS6_NS0_5tupleIJPmS6_EEENSE_IJSB_SB_EEENS0_18inequality_wrapperIN6hipcub16HIPCUB_304000_NS8EqualityEEEPlJS6_EEE10hipError_tPvRmT3_T4_T5_T6_T7_T9_mT8_P12ihipStream_tbDpT10_ENKUlT_T0_E_clISt17integral_constantIbLb0EES16_IbLb1EEEEDaS12_S13_EUlS12_E_NS1_11comp_targetILNS1_3genE8ELNS1_11target_archE1030ELNS1_3gpuE2ELNS1_3repE0EEENS1_30default_config_static_selectorELNS0_4arch9wavefront6targetE0EEEvT1_.has_recursion, 0
	.set _ZN7rocprim17ROCPRIM_400000_NS6detail17trampoline_kernelINS0_14default_configENS1_25partition_config_selectorILNS1_17partition_subalgoE8EmNS0_10empty_typeEbEEZZNS1_14partition_implILS5_8ELb0ES3_jPKmPS6_PKS6_NS0_5tupleIJPmS6_EEENSE_IJSB_SB_EEENS0_18inequality_wrapperIN6hipcub16HIPCUB_304000_NS8EqualityEEEPlJS6_EEE10hipError_tPvRmT3_T4_T5_T6_T7_T9_mT8_P12ihipStream_tbDpT10_ENKUlT_T0_E_clISt17integral_constantIbLb0EES16_IbLb1EEEEDaS12_S13_EUlS12_E_NS1_11comp_targetILNS1_3genE8ELNS1_11target_archE1030ELNS1_3gpuE2ELNS1_3repE0EEENS1_30default_config_static_selectorELNS0_4arch9wavefront6targetE0EEEvT1_.has_indirect_call, 0
	.section	.AMDGPU.csdata,"",@progbits
; Kernel info:
; codeLenInByte = 0
; TotalNumSgprs: 0
; NumVgprs: 0
; ScratchSize: 0
; MemoryBound: 0
; FloatMode: 240
; IeeeMode: 1
; LDSByteSize: 0 bytes/workgroup (compile time only)
; SGPRBlocks: 0
; VGPRBlocks: 0
; NumSGPRsForWavesPerEU: 1
; NumVGPRsForWavesPerEU: 1
; NamedBarCnt: 0
; Occupancy: 16
; WaveLimiterHint : 0
; COMPUTE_PGM_RSRC2:SCRATCH_EN: 0
; COMPUTE_PGM_RSRC2:USER_SGPR: 2
; COMPUTE_PGM_RSRC2:TRAP_HANDLER: 0
; COMPUTE_PGM_RSRC2:TGID_X_EN: 1
; COMPUTE_PGM_RSRC2:TGID_Y_EN: 0
; COMPUTE_PGM_RSRC2:TGID_Z_EN: 0
; COMPUTE_PGM_RSRC2:TIDIG_COMP_CNT: 0
	.section	.text._ZN7rocprim17ROCPRIM_400000_NS6detail17trampoline_kernelINS0_14default_configENS1_33run_length_encode_config_selectorImjNS0_4plusIjEEEEZZNS1_33reduce_by_key_impl_wrapped_configILNS1_25lookback_scan_determinismE0ES3_S7_PKmNS0_17constant_iteratorIjlEEPmPlSF_S6_NS0_8equal_toImEEEE10hipError_tPvRmT2_T3_mT4_T5_T6_T7_T8_P12ihipStream_tbENKUlT_T0_E_clISt17integral_constantIbLb0EESZ_EEDaSU_SV_EUlSU_E_NS1_11comp_targetILNS1_3genE0ELNS1_11target_archE4294967295ELNS1_3gpuE0ELNS1_3repE0EEENS1_30default_config_static_selectorELNS0_4arch9wavefront6targetE0EEEvT1_,"axG",@progbits,_ZN7rocprim17ROCPRIM_400000_NS6detail17trampoline_kernelINS0_14default_configENS1_33run_length_encode_config_selectorImjNS0_4plusIjEEEEZZNS1_33reduce_by_key_impl_wrapped_configILNS1_25lookback_scan_determinismE0ES3_S7_PKmNS0_17constant_iteratorIjlEEPmPlSF_S6_NS0_8equal_toImEEEE10hipError_tPvRmT2_T3_mT4_T5_T6_T7_T8_P12ihipStream_tbENKUlT_T0_E_clISt17integral_constantIbLb0EESZ_EEDaSU_SV_EUlSU_E_NS1_11comp_targetILNS1_3genE0ELNS1_11target_archE4294967295ELNS1_3gpuE0ELNS1_3repE0EEENS1_30default_config_static_selectorELNS0_4arch9wavefront6targetE0EEEvT1_,comdat
	.protected	_ZN7rocprim17ROCPRIM_400000_NS6detail17trampoline_kernelINS0_14default_configENS1_33run_length_encode_config_selectorImjNS0_4plusIjEEEEZZNS1_33reduce_by_key_impl_wrapped_configILNS1_25lookback_scan_determinismE0ES3_S7_PKmNS0_17constant_iteratorIjlEEPmPlSF_S6_NS0_8equal_toImEEEE10hipError_tPvRmT2_T3_mT4_T5_T6_T7_T8_P12ihipStream_tbENKUlT_T0_E_clISt17integral_constantIbLb0EESZ_EEDaSU_SV_EUlSU_E_NS1_11comp_targetILNS1_3genE0ELNS1_11target_archE4294967295ELNS1_3gpuE0ELNS1_3repE0EEENS1_30default_config_static_selectorELNS0_4arch9wavefront6targetE0EEEvT1_ ; -- Begin function _ZN7rocprim17ROCPRIM_400000_NS6detail17trampoline_kernelINS0_14default_configENS1_33run_length_encode_config_selectorImjNS0_4plusIjEEEEZZNS1_33reduce_by_key_impl_wrapped_configILNS1_25lookback_scan_determinismE0ES3_S7_PKmNS0_17constant_iteratorIjlEEPmPlSF_S6_NS0_8equal_toImEEEE10hipError_tPvRmT2_T3_mT4_T5_T6_T7_T8_P12ihipStream_tbENKUlT_T0_E_clISt17integral_constantIbLb0EESZ_EEDaSU_SV_EUlSU_E_NS1_11comp_targetILNS1_3genE0ELNS1_11target_archE4294967295ELNS1_3gpuE0ELNS1_3repE0EEENS1_30default_config_static_selectorELNS0_4arch9wavefront6targetE0EEEvT1_
	.globl	_ZN7rocprim17ROCPRIM_400000_NS6detail17trampoline_kernelINS0_14default_configENS1_33run_length_encode_config_selectorImjNS0_4plusIjEEEEZZNS1_33reduce_by_key_impl_wrapped_configILNS1_25lookback_scan_determinismE0ES3_S7_PKmNS0_17constant_iteratorIjlEEPmPlSF_S6_NS0_8equal_toImEEEE10hipError_tPvRmT2_T3_mT4_T5_T6_T7_T8_P12ihipStream_tbENKUlT_T0_E_clISt17integral_constantIbLb0EESZ_EEDaSU_SV_EUlSU_E_NS1_11comp_targetILNS1_3genE0ELNS1_11target_archE4294967295ELNS1_3gpuE0ELNS1_3repE0EEENS1_30default_config_static_selectorELNS0_4arch9wavefront6targetE0EEEvT1_
	.p2align	8
	.type	_ZN7rocprim17ROCPRIM_400000_NS6detail17trampoline_kernelINS0_14default_configENS1_33run_length_encode_config_selectorImjNS0_4plusIjEEEEZZNS1_33reduce_by_key_impl_wrapped_configILNS1_25lookback_scan_determinismE0ES3_S7_PKmNS0_17constant_iteratorIjlEEPmPlSF_S6_NS0_8equal_toImEEEE10hipError_tPvRmT2_T3_mT4_T5_T6_T7_T8_P12ihipStream_tbENKUlT_T0_E_clISt17integral_constantIbLb0EESZ_EEDaSU_SV_EUlSU_E_NS1_11comp_targetILNS1_3genE0ELNS1_11target_archE4294967295ELNS1_3gpuE0ELNS1_3repE0EEENS1_30default_config_static_selectorELNS0_4arch9wavefront6targetE0EEEvT1_,@function
_ZN7rocprim17ROCPRIM_400000_NS6detail17trampoline_kernelINS0_14default_configENS1_33run_length_encode_config_selectorImjNS0_4plusIjEEEEZZNS1_33reduce_by_key_impl_wrapped_configILNS1_25lookback_scan_determinismE0ES3_S7_PKmNS0_17constant_iteratorIjlEEPmPlSF_S6_NS0_8equal_toImEEEE10hipError_tPvRmT2_T3_mT4_T5_T6_T7_T8_P12ihipStream_tbENKUlT_T0_E_clISt17integral_constantIbLb0EESZ_EEDaSU_SV_EUlSU_E_NS1_11comp_targetILNS1_3genE0ELNS1_11target_archE4294967295ELNS1_3gpuE0ELNS1_3repE0EEENS1_30default_config_static_selectorELNS0_4arch9wavefront6targetE0EEEvT1_: ; @_ZN7rocprim17ROCPRIM_400000_NS6detail17trampoline_kernelINS0_14default_configENS1_33run_length_encode_config_selectorImjNS0_4plusIjEEEEZZNS1_33reduce_by_key_impl_wrapped_configILNS1_25lookback_scan_determinismE0ES3_S7_PKmNS0_17constant_iteratorIjlEEPmPlSF_S6_NS0_8equal_toImEEEE10hipError_tPvRmT2_T3_mT4_T5_T6_T7_T8_P12ihipStream_tbENKUlT_T0_E_clISt17integral_constantIbLb0EESZ_EEDaSU_SV_EUlSU_E_NS1_11comp_targetILNS1_3genE0ELNS1_11target_archE4294967295ELNS1_3gpuE0ELNS1_3repE0EEENS1_30default_config_static_selectorELNS0_4arch9wavefront6targetE0EEEvT1_
; %bb.0:
	s_clause 0x1
	s_load_b128 s[8:11], s[0:1], 0x0
	s_load_b256 s[20:27], s[0:1], 0x40
	s_bfe_u32 s5, ttmp6, 0x4000c
	s_clause 0x1
	s_load_b32 s4, s[0:1], 0x10
	s_load_b128 s[28:31], s[0:1], 0x60
	s_add_co_i32 s5, s5, 1
	s_and_b32 s2, ttmp6, 15
	s_mul_i32 s5, ttmp9, s5
	s_getreg_b32 s12, hwreg(HW_REG_IB_STS2, 6, 4)
	s_add_co_i32 s2, s2, s5
	s_mov_b32 s3, 0
	s_delay_alu instid0(SALU_CYCLE_1)
	s_mov_b32 s35, s3
	s_wait_kmcnt 0x0
	s_lshl_b64 s[6:7], s[10:11], 3
	s_cmp_eq_u32 s12, 0
	s_mul_u64 s[10:11], s[24:25], s[22:23]
	s_cselect_b32 s34, ttmp9, s2
	s_add_nc_u64 s[12:13], s[26:27], -1
	s_mul_i32 s2, s34, 0xf00
	s_add_nc_u64 s[16:17], s[10:11], s[34:35]
	s_lshl_b64 s[10:11], s[2:3], 3
	s_cmp_eq_u64 s[16:17], s[12:13]
	s_add_nc_u64 s[6:7], s[8:9], s[6:7]
	s_cselect_b32 s33, -1, 0
	s_cmp_lg_u64 s[16:17], s[12:13]
	s_add_nc_u64 s[18:19], s[6:7], s[10:11]
	s_cselect_b32 s2, -1, 0
	s_and_b32 vcc_lo, exec_lo, s33
	s_mul_i32 s35, s12, 0xfffff100
	s_cbranch_vccnz .LBB718_2
; %bb.1:
	s_clause 0xe
	global_load_b64 v[2:3], v0, s[18:19] scale_offset
	global_load_b64 v[4:5], v0, s[18:19] offset:2048 scale_offset
	global_load_b64 v[6:7], v0, s[18:19] offset:4096 scale_offset
	global_load_b64 v[8:9], v0, s[18:19] offset:6144 scale_offset
	global_load_b64 v[10:11], v0, s[18:19] offset:8192 scale_offset
	global_load_b64 v[12:13], v0, s[18:19] offset:10240 scale_offset
	global_load_b64 v[14:15], v0, s[18:19] offset:12288 scale_offset
	global_load_b64 v[16:17], v0, s[18:19] offset:14336 scale_offset
	global_load_b64 v[18:19], v0, s[18:19] offset:16384 scale_offset
	global_load_b64 v[20:21], v0, s[18:19] offset:18432 scale_offset
	global_load_b64 v[22:23], v0, s[18:19] offset:20480 scale_offset
	global_load_b64 v[24:25], v0, s[18:19] offset:22528 scale_offset
	global_load_b64 v[26:27], v0, s[18:19] offset:24576 scale_offset
	global_load_b64 v[28:29], v0, s[18:19] offset:26624 scale_offset
	global_load_b64 v[30:31], v0, s[18:19] offset:28672 scale_offset
	v_lshlrev_b32_e32 v1, 3, v0
	s_mov_b32 s5, 0
	s_mov_b32 s3, -1
	s_wait_loadcnt 0xd
	ds_store_2addr_stride64_b64 v1, v[2:3], v[4:5] offset1:4
	s_wait_loadcnt 0xb
	ds_store_2addr_stride64_b64 v1, v[6:7], v[8:9] offset0:8 offset1:12
	s_wait_loadcnt 0x9
	ds_store_2addr_stride64_b64 v1, v[10:11], v[12:13] offset0:16 offset1:20
	;; [unrolled: 2-line block ×6, first 2 shown]
	s_wait_loadcnt 0x0
	ds_store_b64 v1, v[30:31] offset:28672
	v_mad_u32_u24 v32, 0x70, v0, v1
	s_wait_dscnt 0x0
	s_barrier_signal -1
	s_barrier_wait -1
	ds_load_2addr_b64 v[26:29], v32 offset1:1
	ds_load_2addr_b64 v[22:25], v32 offset0:2 offset1:3
	ds_load_2addr_b64 v[18:21], v32 offset0:4 offset1:5
	;; [unrolled: 1-line block ×6, first 2 shown]
	ds_load_b64 v[42:43], v32 offset:112
	s_wait_dscnt 0x7
	v_dual_mov_b32 v30, v26 :: v_dual_mov_b32 v31, v27
	s_wait_dscnt 0x6
	v_dual_mov_b32 v32, v22 :: v_dual_mov_b32 v33, v23
	s_wait_dscnt 0x5
	v_dual_mov_b32 v34, v18 :: v_dual_mov_b32 v35, v19
	s_wait_dscnt 0x4
	v_dual_mov_b32 v36, v14 :: v_dual_mov_b32 v37, v15
	s_wait_dscnt 0x3
	v_dual_mov_b32 v38, v10 :: v_dual_mov_b32 v39, v11
	s_wait_dscnt 0x2
	v_dual_mov_b32 v40, v6 :: v_dual_mov_b32 v41, v7
	s_wait_dscnt 0x1
	v_dual_mov_b32 v44, v2 :: v_dual_mov_b32 v45, v3
	s_branch .LBB718_3
.LBB718_2:
	s_mov_b32 s5, -1
                                        ; implicit-def: $vgpr42_vgpr43
                                        ; implicit-def: $vgpr2_vgpr3
                                        ; implicit-def: $vgpr6_vgpr7
                                        ; implicit-def: $vgpr10_vgpr11
                                        ; implicit-def: $vgpr14_vgpr15
                                        ; implicit-def: $vgpr18_vgpr19
                                        ; implicit-def: $vgpr22_vgpr23
                                        ; implicit-def: $vgpr26_vgpr27
                                        ; implicit-def: $vgpr38_vgpr39_vgpr40_vgpr41
                                        ; implicit-def: $vgpr34_vgpr35_vgpr36_vgpr37
                                        ; implicit-def: $vgpr30_vgpr31_vgpr32_vgpr33
                                        ; implicit-def: $vgpr44_vgpr45
.LBB718_3:
	v_dual_mov_b32 v68, s4 :: v_dual_mov_b32 v69, s4
	v_dual_mov_b32 v70, s4 :: v_dual_mov_b32 v71, s4
	;; [unrolled: 1-line block ×7, first 2 shown]
	s_and_not1_b32 vcc_lo, exec_lo, s5
	s_add_co_i32 s35, s35, s28
                                        ; implicit-def: $vgpr96
	s_cbranch_vccnz .LBB718_35
; %bb.4:
	s_mov_b32 s3, exec_lo
                                        ; implicit-def: $vgpr2_vgpr3
	v_cmpx_gt_u32_e64 s35, v0
	s_cbranch_execz .LBB718_6
; %bb.5:
	global_load_b64 v[2:3], v0, s[18:19] scale_offset
.LBB718_6:
	s_wait_xcnt 0x0
	s_or_b32 exec_lo, exec_lo, s3
	v_or_b32_e32 v1, 0x100, v0
	s_mov_b32 s3, exec_lo
                                        ; implicit-def: $vgpr4_vgpr5
	s_delay_alu instid0(VALU_DEP_1)
	v_cmpx_gt_u32_e64 s35, v1
	s_cbranch_execz .LBB718_8
; %bb.7:
	global_load_b64 v[4:5], v0, s[18:19] offset:2048 scale_offset
.LBB718_8:
	s_wait_xcnt 0x0
	s_or_b32 exec_lo, exec_lo, s3
	v_or_b32_e32 v1, 0x200, v0
	s_mov_b32 s3, exec_lo
                                        ; implicit-def: $vgpr6_vgpr7
	s_delay_alu instid0(VALU_DEP_1)
	v_cmpx_gt_u32_e64 s35, v1
	s_cbranch_execz .LBB718_10
; %bb.9:
	global_load_b64 v[6:7], v0, s[18:19] offset:4096 scale_offset
.LBB718_10:
	s_wait_xcnt 0x0
	s_or_b32 exec_lo, exec_lo, s3
	v_or_b32_e32 v1, 0x300, v0
	s_mov_b32 s3, exec_lo
                                        ; implicit-def: $vgpr8_vgpr9
	s_delay_alu instid0(VALU_DEP_1)
	v_cmpx_gt_u32_e64 s35, v1
	s_cbranch_execz .LBB718_12
; %bb.11:
	global_load_b64 v[8:9], v0, s[18:19] offset:6144 scale_offset
.LBB718_12:
	s_wait_xcnt 0x0
	s_or_b32 exec_lo, exec_lo, s3
	v_or_b32_e32 v1, 0x400, v0
	s_mov_b32 s3, exec_lo
                                        ; implicit-def: $vgpr10_vgpr11
	s_delay_alu instid0(VALU_DEP_1)
	v_cmpx_gt_u32_e64 s35, v1
	s_cbranch_execz .LBB718_14
; %bb.13:
	global_load_b64 v[10:11], v0, s[18:19] offset:8192 scale_offset
.LBB718_14:
	s_wait_xcnt 0x0
	s_or_b32 exec_lo, exec_lo, s3
	v_or_b32_e32 v1, 0x500, v0
	s_mov_b32 s3, exec_lo
                                        ; implicit-def: $vgpr12_vgpr13
	s_delay_alu instid0(VALU_DEP_1)
	v_cmpx_gt_u32_e64 s35, v1
	s_cbranch_execz .LBB718_16
; %bb.15:
	global_load_b64 v[12:13], v0, s[18:19] offset:10240 scale_offset
.LBB718_16:
	s_wait_xcnt 0x0
	s_or_b32 exec_lo, exec_lo, s3
	v_or_b32_e32 v1, 0x600, v0
	s_mov_b32 s3, exec_lo
                                        ; implicit-def: $vgpr14_vgpr15
	s_delay_alu instid0(VALU_DEP_1)
	v_cmpx_gt_u32_e64 s35, v1
	s_cbranch_execz .LBB718_18
; %bb.17:
	global_load_b64 v[14:15], v0, s[18:19] offset:12288 scale_offset
.LBB718_18:
	s_wait_xcnt 0x0
	s_or_b32 exec_lo, exec_lo, s3
	v_or_b32_e32 v1, 0x700, v0
	s_mov_b32 s3, exec_lo
                                        ; implicit-def: $vgpr16_vgpr17
	s_delay_alu instid0(VALU_DEP_1)
	v_cmpx_gt_u32_e64 s35, v1
	s_cbranch_execz .LBB718_20
; %bb.19:
	global_load_b64 v[16:17], v0, s[18:19] offset:14336 scale_offset
.LBB718_20:
	s_wait_xcnt 0x0
	s_or_b32 exec_lo, exec_lo, s3
	v_or_b32_e32 v1, 0x800, v0
	s_mov_b32 s3, exec_lo
                                        ; implicit-def: $vgpr18_vgpr19
	s_delay_alu instid0(VALU_DEP_1)
	v_cmpx_gt_u32_e64 s35, v1
	s_cbranch_execz .LBB718_22
; %bb.21:
	global_load_b64 v[18:19], v0, s[18:19] offset:16384 scale_offset
.LBB718_22:
	s_wait_xcnt 0x0
	s_or_b32 exec_lo, exec_lo, s3
	v_or_b32_e32 v1, 0x900, v0
	s_mov_b32 s3, exec_lo
                                        ; implicit-def: $vgpr20_vgpr21
	s_delay_alu instid0(VALU_DEP_1)
	v_cmpx_gt_u32_e64 s35, v1
	s_cbranch_execz .LBB718_24
; %bb.23:
	global_load_b64 v[20:21], v0, s[18:19] offset:18432 scale_offset
.LBB718_24:
	s_wait_xcnt 0x0
	s_or_b32 exec_lo, exec_lo, s3
	v_or_b32_e32 v1, 0xa00, v0
	s_mov_b32 s3, exec_lo
                                        ; implicit-def: $vgpr22_vgpr23
	s_delay_alu instid0(VALU_DEP_1)
	v_cmpx_gt_u32_e64 s35, v1
	s_cbranch_execz .LBB718_26
; %bb.25:
	global_load_b64 v[22:23], v0, s[18:19] offset:20480 scale_offset
.LBB718_26:
	s_wait_xcnt 0x0
	s_or_b32 exec_lo, exec_lo, s3
	v_or_b32_e32 v1, 0xb00, v0
	s_mov_b32 s3, exec_lo
                                        ; implicit-def: $vgpr24_vgpr25
	s_delay_alu instid0(VALU_DEP_1)
	v_cmpx_gt_u32_e64 s35, v1
	s_cbranch_execz .LBB718_28
; %bb.27:
	global_load_b64 v[24:25], v0, s[18:19] offset:22528 scale_offset
.LBB718_28:
	s_wait_xcnt 0x0
	s_or_b32 exec_lo, exec_lo, s3
	v_or_b32_e32 v1, 0xc00, v0
	s_mov_b32 s3, exec_lo
                                        ; implicit-def: $vgpr26_vgpr27
	s_delay_alu instid0(VALU_DEP_1)
	v_cmpx_gt_u32_e64 s35, v1
	s_cbranch_execz .LBB718_30
; %bb.29:
	global_load_b64 v[26:27], v0, s[18:19] offset:24576 scale_offset
.LBB718_30:
	s_wait_xcnt 0x0
	s_or_b32 exec_lo, exec_lo, s3
	v_or_b32_e32 v1, 0xd00, v0
	s_mov_b32 s3, exec_lo
                                        ; implicit-def: $vgpr28_vgpr29
	s_delay_alu instid0(VALU_DEP_1)
	v_cmpx_gt_u32_e64 s35, v1
	s_cbranch_execz .LBB718_32
; %bb.31:
	global_load_b64 v[28:29], v0, s[18:19] offset:26624 scale_offset
.LBB718_32:
	s_wait_xcnt 0x0
	s_or_b32 exec_lo, exec_lo, s3
	v_or_b32_e32 v1, 0xe00, v0
	s_mov_b32 s3, exec_lo
                                        ; implicit-def: $vgpr30_vgpr31
	s_delay_alu instid0(VALU_DEP_1)
	v_cmpx_gt_u32_e64 s35, v1
	s_cbranch_execz .LBB718_34
; %bb.33:
	global_load_b64 v[30:31], v0, s[18:19] offset:28672 scale_offset
.LBB718_34:
	s_wait_xcnt 0x0
	s_or_b32 exec_lo, exec_lo, s3
	v_lshlrev_b32_e32 v1, 3, v0
	s_wait_loadcnt 0x0
	ds_store_2addr_stride64_b64 v1, v[2:3], v[4:5] offset1:4
	ds_store_2addr_stride64_b64 v1, v[6:7], v[8:9] offset0:8 offset1:12
	ds_store_2addr_stride64_b64 v1, v[10:11], v[12:13] offset0:16 offset1:20
	;; [unrolled: 1-line block ×6, first 2 shown]
	ds_store_b64 v1, v[30:31] offset:28672
	v_mul_u32_u24_e32 v30, 15, v0
	v_mad_u32_u24 v1, 0x70, v0, v1
	v_mad_u32_u24 v31, v0, 15, 1
	s_wait_dscnt 0x0
	s_barrier_signal -1
	v_cmp_gt_u32_e32 vcc_lo, s35, v30
	s_barrier_wait -1
	ds_load_2addr_b64 v[26:29], v1 offset1:1
	ds_load_2addr_b64 v[22:25], v1 offset0:2 offset1:3
	ds_load_2addr_b64 v[18:21], v1 offset0:4 offset1:5
	;; [unrolled: 1-line block ×6, first 2 shown]
	ds_load_b64 v[42:43], v1 offset:112
	v_mad_u32_u24 v1, v0, 15, 2
	v_cndmask_b32_e64 v75, 0, s4, vcc_lo
	v_cmp_gt_u32_e32 vcc_lo, s35, v31
	v_mad_u32_u24 v30, v0, 15, 3
	v_mad_u32_u24 v31, v0, 15, 5
	v_mov_b32_e32 v96, 0
	v_cndmask_b32_e64 v72, 0, s4, vcc_lo
	v_cmp_gt_u32_e32 vcc_lo, s35, v1
	v_mad_u32_u24 v1, v0, 15, 4
	v_cndmask_b32_e64 v74, 0, s4, vcc_lo
	v_cmp_gt_u32_e32 vcc_lo, s35, v30
	v_mad_u32_u24 v30, v0, 15, 6
	s_wait_dscnt 0x5
	v_dual_mov_b32 v33, v23 :: v_dual_mov_b32 v34, v18
	s_wait_dscnt 0x4
	v_dual_mov_b32 v35, v19 :: v_dual_mov_b32 v36, v14
	v_cndmask_b32_e64 v92, 0, s4, vcc_lo
	v_cmp_gt_u32_e32 vcc_lo, s35, v1
	v_mad_u32_u24 v1, v0, 15, 7
	s_wait_dscnt 0x3
	v_dual_mov_b32 v37, v15 :: v_dual_mov_b32 v38, v10
	s_wait_dscnt 0x2
	v_dual_mov_b32 v39, v11 :: v_dual_mov_b32 v40, v6
	v_cndmask_b32_e64 v94, 0, s4, vcc_lo
	v_cmp_gt_u32_e32 vcc_lo, s35, v31
	v_mad_u32_u24 v31, v0, 15, 9
	s_wait_dscnt 0x1
	v_dual_mov_b32 v41, v7 :: v_dual_mov_b32 v44, v2
	v_mov_b32_e32 v45, v3
	v_cndmask_b32_e64 v90, 0, s4, vcc_lo
	v_cmp_gt_u32_e32 vcc_lo, s35, v30
	v_mad_u32_u24 v30, v0, 15, 8
	v_mov_b32_e32 v32, v22
	v_cndmask_b32_e64 v89, 0, s4, vcc_lo
	v_cmp_gt_u32_e32 vcc_lo, s35, v1
	v_mad_u32_u24 v1, v0, 15, 10
	v_cndmask_b32_e64 v93, 0, s4, vcc_lo
	v_cmp_gt_u32_e32 vcc_lo, s35, v30
	v_mad_u32_u24 v30, v0, 15, 11
	;; [unrolled: 3-line block ×5, first 2 shown]
	v_cndmask_b32_e64 v70, 0, s4, vcc_lo
	v_cmp_gt_u32_e32 vcc_lo, s35, v1
	s_delay_alu instid0(VALU_DEP_3)
	v_cmp_gt_u32_e64 s3, s35, v30
	v_mov_b32_e32 v30, v26
	v_cndmask_b32_e64 v69, 0, s4, vcc_lo
	v_cmp_gt_u32_e32 vcc_lo, s35, v31
	v_mov_b32_e32 v31, v27
	v_cndmask_b32_e64 v68, 0, s4, vcc_lo
.LBB718_35:
	s_and_saveexec_b32 s5, s3
; %bb.36:
	v_mov_b32_e32 v96, s4
; %bb.37:
	s_or_b32 exec_lo, exec_lo, s5
	s_load_b64 s[26:27], s[0:1], 0x70
	s_cmp_eq_u64 s[16:17], 0
	s_wait_dscnt 0x0
	s_cselect_b32 s36, -1, 0
	s_cmp_lg_u64 s[16:17], 0
	s_barrier_signal -1
	s_cselect_b32 s24, -1, 0
	s_and_b32 vcc_lo, exec_lo, s2
	s_barrier_wait -1
	s_cbranch_vccz .LBB718_42
; %bb.38:
	s_and_b32 vcc_lo, exec_lo, s24
	s_cbranch_vccz .LBB718_43
; %bb.39:
	s_add_nc_u64 s[2:3], s[18:19], -8
	v_lshlrev_b32_e32 v1, 3, v0
	s_load_b64 s[2:3], s[2:3], 0x0
	ds_store_b64 v1, v[42:43]
	s_wait_dscnt 0x0
	s_barrier_signal -1
	s_barrier_wait -1
	s_wait_kmcnt 0x0
	v_mov_b64_e32 v[46:47], s[2:3]
	s_mov_b32 s2, 0
	s_mov_b32 s3, exec_lo
	v_cmpx_ne_u32_e32 0, v0
; %bb.40:
	v_add_nc_u32_e32 v1, -8, v1
	ds_load_b64 v[46:47], v1
; %bb.41:
	s_or_b32 exec_lo, exec_lo, s3
	v_cmp_ne_u64_e32 vcc_lo, v[30:31], v[28:29]
	s_wait_dscnt 0x0
	v_cmp_ne_u64_e64 s38, v[46:47], v[26:27]
	s_mov_b32 s37, -1
	v_cndmask_b32_e64 v88, 0, 1, vcc_lo
	v_cmp_ne_u64_e32 vcc_lo, v[32:33], v[28:29]
	v_cndmask_b32_e64 v87, 0, 1, vcc_lo
	v_cmp_ne_u64_e32 vcc_lo, v[32:33], v[24:25]
	;; [unrolled: 2-line block ×13, first 2 shown]
	v_cndmask_b32_e64 v86, 0, 1, vcc_lo
	s_and_b32 vcc_lo, exec_lo, s2
	s_cbranch_vccnz .LBB718_44
	s_branch .LBB718_47
.LBB718_42:
	s_mov_b32 s37, 0
                                        ; implicit-def: $sgpr38
                                        ; implicit-def: $vgpr86
                                        ; implicit-def: $vgpr81
                                        ; implicit-def: $vgpr82
                                        ; implicit-def: $vgpr76
                                        ; implicit-def: $vgpr1
                                        ; implicit-def: $vgpr77
                                        ; implicit-def: $vgpr78
                                        ; implicit-def: $vgpr79
                                        ; implicit-def: $vgpr83
                                        ; implicit-def: $vgpr80
                                        ; implicit-def: $vgpr84
                                        ; implicit-def: $vgpr85
                                        ; implicit-def: $vgpr87
                                        ; implicit-def: $vgpr88
	s_cbranch_execnz .LBB718_48
	s_branch .LBB718_56
.LBB718_43:
	s_mov_b32 s37, 0
                                        ; implicit-def: $sgpr38
                                        ; implicit-def: $vgpr86
                                        ; implicit-def: $vgpr81
                                        ; implicit-def: $vgpr82
                                        ; implicit-def: $vgpr76
                                        ; implicit-def: $vgpr1
                                        ; implicit-def: $vgpr77
                                        ; implicit-def: $vgpr78
                                        ; implicit-def: $vgpr79
                                        ; implicit-def: $vgpr83
                                        ; implicit-def: $vgpr80
                                        ; implicit-def: $vgpr84
                                        ; implicit-def: $vgpr85
                                        ; implicit-def: $vgpr87
                                        ; implicit-def: $vgpr88
	s_cbranch_execz .LBB718_47
.LBB718_44:
	v_cmp_ne_u64_e64 s2, v[4:5], v[44:45]
	v_cmp_ne_u64_e64 s3, v[44:45], v[8:9]
	;; [unrolled: 1-line block ×13, first 2 shown]
	v_lshlrev_b32_e32 v1, 3, v0
	v_cmp_ne_u32_e64 s15, 0, v0
	v_cmp_ne_u64_e32 vcc_lo, v[4:5], v[42:43]
                                        ; implicit-def: $sgpr38
	ds_store_b64 v1, v[42:43]
	s_wait_dscnt 0x0
	s_barrier_signal -1
	s_barrier_wait -1
	s_and_saveexec_b32 s25, s15
	s_delay_alu instid0(SALU_CYCLE_1)
	s_xor_b32 s15, exec_lo, s25
	s_cbranch_execz .LBB718_46
; %bb.45:
	v_add_nc_u32_e32 v1, -8, v1
	s_or_b32 s37, s37, exec_lo
	ds_load_b64 v[30:31], v1
	s_wait_dscnt 0x0
	v_cmp_ne_u64_e64 s38, v[30:31], v[26:27]
.LBB718_46:
	s_or_b32 exec_lo, exec_lo, s15
	v_cndmask_b32_e64 v88, 0, 1, s14
	v_cndmask_b32_e64 v87, 0, 1, s13
	;; [unrolled: 1-line block ×13, first 2 shown]
	v_cndmask_b32_e64 v86, 0, 1, vcc_lo
.LBB718_47:
	s_branch .LBB718_56
.LBB718_48:
	s_mov_b64 s[2:3], 0xfffffffffffff100
	v_cmp_ne_u64_e64 s15, v[4:5], v[42:43]
	s_mul_u64 s[38:39], s[16:17], s[2:3]
	v_cmp_ne_u64_e64 s16, v[2:3], v[4:5]
	v_cmp_ne_u64_e64 s13, v[8:9], v[2:3]
	v_cmp_ne_u64_e64 s14, v[6:7], v[8:9]
	v_cmp_ne_u64_e64 s10, v[12:13], v[6:7]
	v_cmp_ne_u64_e64 s11, v[10:11], v[12:13]
	v_cmp_ne_u64_e64 s12, v[16:17], v[10:11]
	v_cmp_ne_u64_e64 s2, v[14:15], v[16:17]
	v_cmp_ne_u64_e64 s3, v[20:21], v[14:15]
	v_cmp_ne_u64_e64 s4, v[18:19], v[20:21]
	v_cmp_ne_u64_e64 s5, v[24:25], v[18:19]
	v_cmp_ne_u64_e64 s6, v[22:23], v[24:25]
	v_cmp_ne_u64_e64 s7, v[28:29], v[22:23]
	v_cmp_ne_u64_e64 s8, v[26:27], v[28:29]
	v_mad_u32_u24 v30, v0, 15, 14
	v_mad_u32_u24 v58, v0, 15, 13
	;; [unrolled: 1-line block ×14, first 2 shown]
	v_cmp_ne_u32_e64 s9, 0, v0
	s_and_b32 vcc_lo, exec_lo, s24
	s_add_nc_u64 s[24:25], s[38:39], s[28:29]
	s_cbranch_vccz .LBB718_52
; %bb.49:
	v_dual_mov_b32 v31, 0 :: v_dual_lshlrev_b32 v1, 3, v0
	s_add_nc_u64 s[18:19], s[18:19], -8
	v_mul_u32_u24_e32 v60, 15, v0
	s_load_b64 s[38:39], s[18:19], 0x0
	s_delay_alu instid0(VALU_DEP_2) | instskip(SKIP_2) | instid1(VALU_DEP_3)
	v_dual_mov_b32 v59, v31 :: v_dual_mov_b32 v57, v31
	v_cmp_gt_u64_e32 vcc_lo, s[24:25], v[30:31]
	v_dual_mov_b32 v55, v31 :: v_dual_mov_b32 v53, v31
	v_cmp_gt_u64_e64 s17, s[24:25], v[58:59]
	v_dual_mov_b32 v51, v31 :: v_dual_mov_b32 v49, v31
	s_wait_xcnt 0x0
	v_cmp_gt_u64_e64 s18, s[24:25], v[56:57]
	v_cmp_gt_u64_e64 s19, s[24:25], v[54:55]
	s_and_b32 s28, vcc_lo, s15
	v_cmp_gt_u64_e32 vcc_lo, s[24:25], v[52:53]
	s_and_b32 s29, s17, s16
	v_cmp_gt_u64_e64 s15, s[24:25], v[50:51]
	v_cmp_gt_u64_e64 s16, s[24:25], v[48:49]
	v_dual_mov_b32 v47, v31 :: v_dual_mov_b32 v45, v31
	v_dual_mov_b32 v41, v31 :: v_dual_mov_b32 v39, v31
	;; [unrolled: 1-line block ×3, first 2 shown]
	v_mov_b32_e32 v33, v31
	s_and_b32 s18, s18, s13
	s_and_b32 s19, s19, s14
	s_and_b32 s37, vcc_lo, s10
	s_and_b32 s17, s15, s11
	s_and_b32 s16, s16, s12
	v_cmp_gt_u64_e32 vcc_lo, s[24:25], v[46:47]
	v_cmp_gt_u64_e64 s10, s[24:25], v[44:45]
	v_cmp_gt_u64_e64 s11, s[24:25], v[40:41]
	;; [unrolled: 1-line block ×6, first 2 shown]
	s_wait_kmcnt 0x0
	v_mov_b64_e32 v[62:63], s[38:39]
	s_and_b32 s2, vcc_lo, s2
	s_and_b32 s10, s10, s3
	s_and_b32 s4, s11, s4
	;; [unrolled: 1-line block ×6, first 2 shown]
	s_mov_b32 s3, 0
	ds_store_b64 v1, v[42:43]
	s_wait_dscnt 0x0
	s_barrier_signal -1
	s_barrier_wait -1
	s_and_saveexec_b32 s11, s9
; %bb.50:
	v_add_nc_u32_e32 v1, -8, v1
	ds_load_b64 v[62:63], v1
; %bb.51:
	s_or_b32 exec_lo, exec_lo, s11
	v_mov_b32_e32 v61, v31
	v_cndmask_b32_e64 v79, 0, 1, s2
	s_wait_dscnt 0x0
	v_cmp_ne_u64_e64 s2, v[62:63], v[26:27]
	v_cndmask_b32_e64 v86, 0, 1, s28
	v_cndmask_b32_e64 v81, 0, 1, s29
	v_cmp_gt_u64_e32 vcc_lo, s[24:25], v[60:61]
	v_cndmask_b32_e64 v82, 0, 1, s18
	v_cndmask_b32_e64 v76, 0, 1, s19
	;; [unrolled: 1-line block ×11, first 2 shown]
	s_and_b32 s38, vcc_lo, s2
	s_mov_b32 s37, -1
	s_and_b32 vcc_lo, exec_lo, s3
	s_cbranch_vccnz .LBB718_53
	s_branch .LBB718_56
.LBB718_52:
                                        ; implicit-def: $sgpr38
                                        ; implicit-def: $vgpr86
                                        ; implicit-def: $vgpr81
                                        ; implicit-def: $vgpr82
                                        ; implicit-def: $vgpr76
                                        ; implicit-def: $vgpr1
                                        ; implicit-def: $vgpr77
                                        ; implicit-def: $vgpr78
                                        ; implicit-def: $vgpr79
                                        ; implicit-def: $vgpr83
                                        ; implicit-def: $vgpr80
                                        ; implicit-def: $vgpr84
                                        ; implicit-def: $vgpr85
                                        ; implicit-def: $vgpr87
                                        ; implicit-def: $vgpr88
	s_cbranch_execz .LBB718_56
.LBB718_53:
	v_dual_mov_b32 v31, 0 :: v_dual_lshlrev_b32 v1, 3, v0
	v_cmp_ne_u64_e32 vcc_lo, v[4:5], v[42:43]
	v_cmp_ne_u64_e64 s2, v[2:3], v[4:5]
	v_cmp_ne_u64_e64 s3, v[8:9], v[2:3]
	s_delay_alu instid0(VALU_DEP_4) | instskip(SKIP_2) | instid1(VALU_DEP_3)
	v_dual_mov_b32 v59, v31 :: v_dual_mov_b32 v57, v31
	v_cmp_gt_u64_e64 s5, s[24:25], v[30:31]
	v_dual_mov_b32 v55, v31 :: v_dual_mov_b32 v53, v31
	v_cmp_gt_u64_e64 s6, s[24:25], v[58:59]
	v_dual_mov_b32 v51, v31 :: v_dual_mov_b32 v49, v31
	v_cmp_ne_u64_e64 s4, v[6:7], v[8:9]
	v_cmp_gt_u64_e64 s7, s[24:25], v[56:57]
	v_cmp_gt_u64_e64 s8, s[24:25], v[54:55]
	s_and_b32 s15, s5, vcc_lo
	s_and_b32 s16, s6, s2
	v_cmp_gt_u64_e32 vcc_lo, s[24:25], v[52:53]
	v_cmp_ne_u64_e64 s2, v[12:13], v[6:7]
	v_cmp_gt_u64_e64 s5, s[24:25], v[50:51]
	v_cmp_ne_u64_e64 s6, v[10:11], v[12:13]
	v_cmp_gt_u64_e64 s9, s[24:25], v[48:49]
	v_cmp_ne_u64_e64 s10, v[16:17], v[10:11]
	v_dual_mov_b32 v47, v31 :: v_dual_mov_b32 v45, v31
	v_dual_mov_b32 v41, v31 :: v_dual_mov_b32 v39, v31
	v_dual_mov_b32 v37, v31 :: v_dual_mov_b32 v35, v31
	v_mov_b32_e32 v33, v31
	s_and_b32 s17, s7, s3
	s_and_b32 s18, s8, s4
	s_and_b32 s19, vcc_lo, s2
	s_and_b32 s28, s5, s6
	s_and_b32 s29, s9, s10
	v_cmp_gt_u64_e32 vcc_lo, s[24:25], v[46:47]
	v_cmp_ne_u64_e64 s2, v[14:15], v[16:17]
	v_cmp_gt_u64_e64 s3, s[24:25], v[44:45]
	v_cmp_ne_u64_e64 s4, v[20:21], v[14:15]
	v_cmp_gt_u64_e64 s5, s[24:25], v[40:41]
	;; [unrolled: 2-line block ×6, first 2 shown]
	v_cmp_ne_u64_e64 s14, v[26:27], v[28:29]
	s_and_b32 s39, vcc_lo, s2
	s_and_b32 s3, s3, s4
	s_and_b32 s4, s5, s6
	;; [unrolled: 1-line block ×6, first 2 shown]
	s_mov_b32 s9, exec_lo
	ds_store_b64 v1, v[42:43]
	s_wait_dscnt 0x0
	s_barrier_signal -1
	s_barrier_wait -1
                                        ; implicit-def: $sgpr38
	v_cmpx_ne_u32_e32 0, v0
	s_cbranch_execz .LBB718_55
; %bb.54:
	v_add_nc_u32_e32 v1, -8, v1
	v_mul_u32_u24_e32 v30, 15, v0
	s_or_b32 s37, s37, exec_lo
	ds_load_b64 v[32:33], v1
	v_cmp_gt_u64_e32 vcc_lo, s[24:25], v[30:31]
	s_wait_dscnt 0x0
	v_cmp_ne_u64_e64 s2, v[32:33], v[26:27]
	s_and_b32 s38, vcc_lo, s2
.LBB718_55:
	s_or_b32 exec_lo, exec_lo, s9
	v_cndmask_b32_e64 v86, 0, 1, s15
	v_cndmask_b32_e64 v81, 0, 1, s16
	;; [unrolled: 1-line block ×14, first 2 shown]
.LBB718_56:
	v_mov_b32_e32 v95, 1
	s_and_saveexec_b32 s2, s37
; %bb.57:
	v_cndmask_b32_e64 v95, 0, 1, s38
; %bb.58:
	s_or_b32 exec_lo, exec_lo, s2
	s_clause 0x1
	s_load_b128 s[16:19], s[0:1], 0x20
	s_load_b64 s[24:25], s[0:1], 0x30
	v_add3_u32 v30, v88, v95, v87
	v_cmp_eq_u32_e64 s12, 0, v88
	v_cmp_eq_u32_e64 s11, 0, v87
	;; [unrolled: 1-line block ×4, first 2 shown]
	v_add3_u32 v100, v30, v85, v84
	v_cmp_eq_u32_e64 s8, 0, v80
	v_cmp_eq_u32_e64 s7, 0, v83
	;; [unrolled: 1-line block ×7, first 2 shown]
	s_wait_xcnt 0x0
	v_cmp_eq_u32_e64 s1, 0, v82
	v_cmp_eq_u32_e64 s0, 0, v81
	v_mbcnt_lo_u32_b32 v97, -1, 0
	v_dual_lshrrev_b32 v98, 5, v0 :: v_dual_bitop2_b32 v99, 31, v0 bitop3:0x54
	s_cmp_eq_u64 s[22:23], 0
	v_cmp_eq_u32_e32 vcc_lo, 0, v86
	s_cselect_b32 s22, -1, 0
	s_cmp_lg_u32 s34, 0
	s_cbranch_scc0 .LBB718_79
; %bb.59:
	v_dual_cndmask_b32 v30, 0, v75, s12 :: v_dual_bitop2_b32 v33, 15, v97 bitop3:0x40
	v_add3_u32 v31, v100, v80, v83
	s_delay_alu instid0(VALU_DEP_2) | instskip(NEXT) | instid1(VALU_DEP_2)
	v_add_nc_u32_e32 v30, v30, v72
	v_add3_u32 v31, v31, v79, v78
	s_delay_alu instid0(VALU_DEP_2) | instskip(NEXT) | instid1(VALU_DEP_2)
	v_cndmask_b32_e64 v30, 0, v30, s11
	v_add3_u32 v31, v31, v77, v1
	s_delay_alu instid0(VALU_DEP_2) | instskip(NEXT) | instid1(VALU_DEP_2)
	v_add_nc_u32_e32 v30, v30, v74
	v_add3_u32 v31, v31, v76, v82
	s_delay_alu instid0(VALU_DEP_1) | instskip(NEXT) | instid1(VALU_DEP_3)
	v_add3_u32 v31, v31, v81, v86
	v_cndmask_b32_e64 v30, 0, v30, s10
	s_delay_alu instid0(VALU_DEP_2) | instskip(NEXT) | instid1(VALU_DEP_2)
	v_mov_b32_dpp v34, v31 row_shr:1 row_mask:0xf bank_mask:0xf
	v_add_nc_u32_e32 v30, v30, v92
	s_delay_alu instid0(VALU_DEP_1) | instskip(NEXT) | instid1(VALU_DEP_1)
	v_cndmask_b32_e64 v30, 0, v30, s9
	v_add_nc_u32_e32 v30, v30, v94
	s_delay_alu instid0(VALU_DEP_1) | instskip(NEXT) | instid1(VALU_DEP_1)
	v_cndmask_b32_e64 v30, 0, v30, s8
	;; [unrolled: 3-line block ×10, first 2 shown]
	v_add_nc_u32_e32 v30, v30, v68
	s_delay_alu instid0(VALU_DEP_1) | instskip(SKIP_1) | instid1(VALU_DEP_2)
	v_cndmask_b32_e32 v30, 0, v30, vcc_lo
	v_cmp_eq_u32_e32 vcc_lo, 0, v31
	v_add_nc_u32_e32 v30, v30, v96
	s_delay_alu instid0(VALU_DEP_1) | instskip(NEXT) | instid1(VALU_DEP_1)
	v_mov_b32_dpp v32, v30 row_shr:1 row_mask:0xf bank_mask:0xf
	v_cndmask_b32_e32 v32, 0, v32, vcc_lo
	v_cmp_eq_u32_e32 vcc_lo, 0, v33
	v_cndmask_b32_e64 v34, v34, 0, vcc_lo
	s_delay_alu instid0(VALU_DEP_3) | instskip(SKIP_1) | instid1(VALU_DEP_2)
	v_cndmask_b32_e64 v32, v32, 0, vcc_lo
	v_cmp_lt_u32_e32 vcc_lo, 1, v33
	v_dual_add_nc_u32 v31, v34, v31 :: v_dual_add_nc_u32 v30, v32, v30
	s_delay_alu instid0(VALU_DEP_1) | instskip(SKIP_1) | instid1(VALU_DEP_3)
	v_mov_b32_dpp v32, v31 row_shr:2 row_mask:0xf bank_mask:0xf
	v_cmp_eq_u32_e64 s13, 0, v31
	v_mov_b32_dpp v34, v30 row_shr:2 row_mask:0xf bank_mask:0xf
	s_delay_alu instid0(VALU_DEP_3) | instskip(SKIP_1) | instid1(VALU_DEP_2)
	v_cndmask_b32_e32 v32, 0, v32, vcc_lo
	s_and_b32 vcc_lo, vcc_lo, s13
	v_cndmask_b32_e32 v34, 0, v34, vcc_lo
	v_cmp_lt_u32_e32 vcc_lo, 3, v33
	s_delay_alu instid0(VALU_DEP_2) | instskip(NEXT) | instid1(VALU_DEP_1)
	v_dual_add_nc_u32 v31, v31, v32 :: v_dual_add_nc_u32 v30, v34, v30
	v_mov_b32_dpp v32, v31 row_shr:4 row_mask:0xf bank_mask:0xf
	v_cmp_eq_u32_e64 s13, 0, v31
	s_delay_alu instid0(VALU_DEP_3) | instskip(NEXT) | instid1(VALU_DEP_3)
	v_mov_b32_dpp v34, v30 row_shr:4 row_mask:0xf bank_mask:0xf
	v_cndmask_b32_e32 v32, 0, v32, vcc_lo
	s_and_b32 vcc_lo, vcc_lo, s13
	s_delay_alu instid0(VALU_DEP_2) | instskip(SKIP_1) | instid1(VALU_DEP_2)
	v_cndmask_b32_e32 v34, 0, v34, vcc_lo
	v_cmp_lt_u32_e32 vcc_lo, 7, v33
	v_dual_add_nc_u32 v31, v32, v31 :: v_dual_add_nc_u32 v30, v30, v34
	v_bfe_i32 v34, v97, 4, 1
	s_delay_alu instid0(VALU_DEP_2) | instskip(SKIP_1) | instid1(VALU_DEP_4)
	v_mov_b32_dpp v32, v31 row_shr:8 row_mask:0xf bank_mask:0xf
	v_cmp_eq_u32_e64 s13, 0, v31
	v_mov_b32_dpp v33, v30 row_shr:8 row_mask:0xf bank_mask:0xf
	s_delay_alu instid0(VALU_DEP_3) | instskip(SKIP_2) | instid1(VALU_DEP_2)
	v_cndmask_b32_e32 v32, 0, v32, vcc_lo
	s_and_b32 vcc_lo, vcc_lo, s13
	s_mov_b32 s13, exec_lo
	v_cndmask_b32_e32 v33, 0, v33, vcc_lo
	s_delay_alu instid0(VALU_DEP_1)
	v_dual_add_nc_u32 v33, v33, v30 :: v_dual_add_nc_u32 v30, v32, v31
	ds_swizzle_b32 v31, v33 offset:swizzle(BROADCAST,32,15)
	ds_swizzle_b32 v32, v30 offset:swizzle(BROADCAST,32,15)
	v_cmp_eq_u32_e32 vcc_lo, 0, v30
	s_wait_dscnt 0x0
	v_dual_cndmask_b32 v31, 0, v31, vcc_lo :: v_dual_bitop2_b32 v32, v34, v32 bitop3:0x40
	s_delay_alu instid0(VALU_DEP_1) | instskip(NEXT) | instid1(VALU_DEP_1)
	v_dual_add_nc_u32 v30, v32, v30 :: v_dual_bitop2_b32 v31, v34, v31 bitop3:0x40
	v_dual_lshlrev_b32 v32, 3, v98 :: v_dual_add_nc_u32 v31, v31, v33
	v_cmpx_eq_u32_e64 v0, v99
; %bb.60:
	ds_store_b64 v32, v[30:31] offset:4112
; %bb.61:
	s_or_b32 exec_lo, exec_lo, s13
	s_delay_alu instid0(SALU_CYCLE_1)
	s_mov_b32 s14, exec_lo
	s_wait_dscnt 0x0
	s_barrier_signal -1
	s_barrier_wait -1
	v_cmpx_gt_u32_e32 8, v0
	s_cbranch_execz .LBB718_63
; %bb.62:
	v_dual_lshlrev_b32 v33, 3, v0 :: v_dual_bitop2_b32 v37, 7, v97 bitop3:0x40
	ds_load_b64 v[34:35], v33 offset:4112
	s_wait_dscnt 0x0
	v_mov_b32_dpp v36, v35 row_shr:1 row_mask:0xf bank_mask:0xf
	v_cmp_eq_u32_e32 vcc_lo, 0, v34
	v_mov_b32_dpp v38, v34 row_shr:1 row_mask:0xf bank_mask:0xf
	s_delay_alu instid0(VALU_DEP_3) | instskip(SKIP_1) | instid1(VALU_DEP_3)
	v_cndmask_b32_e32 v36, 0, v36, vcc_lo
	v_cmp_eq_u32_e32 vcc_lo, 0, v37
	v_cndmask_b32_e64 v38, v38, 0, vcc_lo
	s_delay_alu instid0(VALU_DEP_1) | instskip(NEXT) | instid1(VALU_DEP_4)
	v_add_nc_u32_e32 v34, v38, v34
	v_cndmask_b32_e64 v36, v36, 0, vcc_lo
	v_cmp_lt_u32_e32 vcc_lo, 1, v37
	s_delay_alu instid0(VALU_DEP_3) | instskip(NEXT) | instid1(VALU_DEP_3)
	v_cmp_eq_u32_e64 s13, 0, v34
	v_add_nc_u32_e32 v35, v36, v35
	v_mov_b32_dpp v36, v34 row_shr:2 row_mask:0xf bank_mask:0xf
	s_delay_alu instid0(VALU_DEP_1) | instskip(NEXT) | instid1(VALU_DEP_3)
	v_cndmask_b32_e32 v36, 0, v36, vcc_lo
	v_mov_b32_dpp v38, v35 row_shr:2 row_mask:0xf bank_mask:0xf
	s_and_b32 vcc_lo, vcc_lo, s13
	s_delay_alu instid0(VALU_DEP_2) | instskip(NEXT) | instid1(VALU_DEP_1)
	v_add_nc_u32_e32 v34, v36, v34
	v_mov_b32_dpp v36, v34 row_shr:4 row_mask:0xf bank_mask:0xf
	s_delay_alu instid0(VALU_DEP_3) | instskip(SKIP_1) | instid1(VALU_DEP_2)
	v_cndmask_b32_e32 v38, 0, v38, vcc_lo
	v_cmp_lt_u32_e32 vcc_lo, 3, v37
	v_dual_cndmask_b32 v36, 0, v36 :: v_dual_add_nc_u32 v35, v38, v35
	v_cmp_eq_u32_e64 s13, 0, v34
	s_delay_alu instid0(VALU_DEP_2) | instskip(NEXT) | instid1(VALU_DEP_3)
	v_add_nc_u32_e32 v34, v36, v34
	v_mov_b32_dpp v37, v35 row_shr:4 row_mask:0xf bank_mask:0xf
	s_and_b32 vcc_lo, vcc_lo, s13
	s_delay_alu instid0(VALU_DEP_1) | instskip(NEXT) | instid1(VALU_DEP_1)
	v_cndmask_b32_e32 v37, 0, v37, vcc_lo
	v_add_nc_u32_e32 v35, v37, v35
	ds_store_b64 v33, v[34:35] offset:4112
.LBB718_63:
	s_or_b32 exec_lo, exec_lo, s14
	v_dual_mov_b32 v38, 0 :: v_dual_mov_b32 v39, 0
	s_mov_b32 s14, exec_lo
	v_cmp_gt_u32_e32 vcc_lo, 32, v0
	s_wait_dscnt 0x0
	s_barrier_signal -1
	s_barrier_wait -1
	v_cmpx_lt_u32_e32 31, v0
	s_cbranch_execz .LBB718_65
; %bb.64:
	ds_load_b64 v[38:39], v32 offset:4104
	v_cmp_eq_u32_e64 s13, 0, v30
	s_wait_dscnt 0x0
	s_delay_alu instid0(VALU_DEP_1) | instskip(NEXT) | instid1(VALU_DEP_1)
	v_dual_cndmask_b32 v32, 0, v39, s13 :: v_dual_add_nc_u32 v30, v38, v30
	v_add_nc_u32_e32 v31, v32, v31
.LBB718_65:
	s_or_b32 exec_lo, exec_lo, s14
	v_sub_co_u32 v32, s13, v97, 1
	s_delay_alu instid0(VALU_DEP_1) | instskip(NEXT) | instid1(VALU_DEP_1)
	v_cmp_gt_i32_e64 s14, 0, v32
	v_cndmask_b32_e64 v32, v32, v97, s14
	s_delay_alu instid0(VALU_DEP_1)
	v_lshlrev_b32_e32 v32, 2, v32
	ds_bpermute_b32 v46, v32, v30
	ds_bpermute_b32 v47, v32, v31
	s_and_saveexec_b32 s23, vcc_lo
	s_cbranch_execz .LBB718_84
; %bb.66:
	v_mov_b32_e32 v33, 0
	ds_load_b64 v[30:31], v33 offset:4168
	s_and_saveexec_b32 s14, s13
	s_cbranch_execz .LBB718_68
; %bb.67:
	s_add_co_i32 s28, s34, 32
	s_mov_b32 s29, 0
	v_mov_b32_e32 v32, 1
	s_lshl_b64 s[28:29], s[28:29], 4
	s_delay_alu instid0(SALU_CYCLE_1) | instskip(NEXT) | instid1(SALU_CYCLE_1)
	s_add_nc_u64 s[28:29], s[20:21], s[28:29]
	v_mov_b64_e32 v[34:35], s[28:29]
	s_wait_dscnt 0x0
	;;#ASMSTART
	global_store_b128 v[34:35], v[30:33] off scope:SCOPE_DEV	
s_wait_storecnt 0x0
	;;#ASMEND
.LBB718_68:
	s_or_b32 exec_lo, exec_lo, s14
	v_xad_u32 v40, v97, -1, s34
	s_mov_b32 s15, 0
	s_mov_b32 s14, exec_lo
	s_delay_alu instid0(VALU_DEP_1) | instskip(NEXT) | instid1(VALU_DEP_1)
	v_add_nc_u32_e32 v32, 32, v40
	v_lshl_add_u64 v[32:33], v[32:33], 4, s[20:21]
	;;#ASMSTART
	global_load_b128 v[34:37], v[32:33] off scope:SCOPE_DEV	
s_wait_loadcnt 0x0
	;;#ASMEND
	v_and_b32_e32 v37, 0xff, v36
	s_delay_alu instid0(VALU_DEP_1)
	v_cmpx_eq_u16_e32 0, v37
	s_cbranch_execz .LBB718_71
.LBB718_69:                             ; =>This Inner Loop Header: Depth=1
	;;#ASMSTART
	global_load_b128 v[34:37], v[32:33] off scope:SCOPE_DEV	
s_wait_loadcnt 0x0
	;;#ASMEND
	v_and_b32_e32 v37, 0xff, v36
	s_delay_alu instid0(VALU_DEP_1) | instskip(SKIP_1) | instid1(SALU_CYCLE_1)
	v_cmp_ne_u16_e32 vcc_lo, 0, v37
	s_or_b32 s15, vcc_lo, s15
	s_and_not1_b32 exec_lo, exec_lo, s15
	s_cbranch_execnz .LBB718_69
; %bb.70:
	s_or_b32 exec_lo, exec_lo, s15
.LBB718_71:
	s_delay_alu instid0(SALU_CYCLE_1)
	s_or_b32 exec_lo, exec_lo, s14
	v_cmp_ne_u32_e32 vcc_lo, 31, v97
	v_lshlrev_b32_e64 v49, v97, -1
	v_cmp_gt_u32_e64 s15, 30, v97
	v_lshl_or_b32 v56, v97, 2, 64
	v_add_nc_u32_e32 v51, 2, v97
	v_add_co_ci_u32_e64 v32, null, 0, v97, vcc_lo
	s_delay_alu instid0(VALU_DEP_4) | instskip(SKIP_1) | instid1(VALU_DEP_3)
	v_cndmask_b32_e64 v41, 0, 2, s15
	v_dual_add_nc_u32 v53, 4, v97 :: v_dual_add_nc_u32 v55, 8, v97
	v_lshlrev_b32_e32 v48, 2, v32
	v_and_b32_e32 v32, 0xff, v36
	s_delay_alu instid0(VALU_DEP_4)
	v_add_lshl_u32 v50, v41, v97, 2
	v_add_nc_u32_e32 v57, 16, v97
	ds_bpermute_b32 v33, v48, v34
	v_cmp_eq_u16_e32 vcc_lo, 2, v32
	v_and_or_b32 v37, vcc_lo, v49, 0x80000000
	v_cmp_eq_u32_e32 vcc_lo, 0, v34
	s_delay_alu instid0(VALU_DEP_2) | instskip(NEXT) | instid1(VALU_DEP_1)
	v_ctz_i32_b32_e32 v37, v37
	v_cmp_lt_u32_e64 s14, v97, v37
	s_wait_dscnt 0x0
	s_delay_alu instid0(VALU_DEP_1) | instskip(SKIP_4) | instid1(VALU_DEP_1)
	v_cndmask_b32_e64 v33, 0, v33, s14
	ds_bpermute_b32 v32, v48, v35
	s_and_b32 vcc_lo, s14, vcc_lo
	s_wait_dscnt 0x0
	v_dual_cndmask_b32 v32, 0, v32 :: v_dual_add_nc_u32 v33, v33, v34
	v_cmp_eq_u32_e32 vcc_lo, 0, v33
	s_delay_alu instid0(VALU_DEP_2)
	v_add_nc_u32_e32 v32, v32, v35
	ds_bpermute_b32 v35, v50, v32
	s_wait_dscnt 0x0
	v_cndmask_b32_e32 v34, 0, v35, vcc_lo
	ds_bpermute_b32 v35, v50, v33
	v_cmp_gt_u32_e32 vcc_lo, 28, v97
	v_cndmask_b32_e64 v41, 0, 4, vcc_lo
	v_cmp_gt_u32_e32 vcc_lo, v51, v37
	s_delay_alu instid0(VALU_DEP_2) | instskip(SKIP_2) | instid1(VALU_DEP_1)
	v_add_lshl_u32 v52, v41, v97, 2
	s_wait_dscnt 0x0
	v_cndmask_b32_e64 v35, v35, 0, vcc_lo
	v_add_nc_u32_e32 v33, v33, v35
	v_cndmask_b32_e64 v34, v34, 0, vcc_lo
	ds_bpermute_b32 v35, v52, v33
	v_add_nc_u32_e32 v32, v34, v32
	v_cmp_eq_u32_e32 vcc_lo, 0, v33
	ds_bpermute_b32 v34, v52, v32
	s_wait_dscnt 0x0
	v_cndmask_b32_e32 v34, 0, v34, vcc_lo
	v_cmp_gt_u32_e32 vcc_lo, 24, v97
	v_cndmask_b32_e64 v41, 0, 8, vcc_lo
	v_cmp_gt_u32_e32 vcc_lo, v53, v37
	s_delay_alu instid0(VALU_DEP_2) | instskip(SKIP_1) | instid1(VALU_DEP_1)
	v_add_lshl_u32 v54, v41, v97, 2
	v_cndmask_b32_e64 v35, v35, 0, vcc_lo
	v_dual_mov_b32 v41, 0 :: v_dual_add_nc_u32 v33, v33, v35
	v_cndmask_b32_e64 v34, v34, 0, vcc_lo
	ds_bpermute_b32 v35, v54, v33
	v_add_nc_u32_e32 v32, v32, v34
	v_cmp_eq_u32_e32 vcc_lo, 0, v33
	ds_bpermute_b32 v34, v54, v32
	s_wait_dscnt 0x0
	v_cndmask_b32_e32 v34, 0, v34, vcc_lo
	v_cmp_gt_u32_e32 vcc_lo, v55, v37
	s_delay_alu instid0(VALU_DEP_2) | instskip(NEXT) | instid1(VALU_DEP_1)
	v_cndmask_b32_e64 v34, v34, 0, vcc_lo
	v_add_nc_u32_e32 v32, v32, v34
	v_cndmask_b32_e64 v34, v35, 0, vcc_lo
	s_delay_alu instid0(VALU_DEP_1)
	v_add_nc_u32_e32 v33, v33, v34
	ds_bpermute_b32 v35, v56, v32
	ds_bpermute_b32 v34, v56, v33
	v_cmp_eq_u32_e32 vcc_lo, 0, v33
	s_wait_dscnt 0x1
	v_cndmask_b32_e32 v35, 0, v35, vcc_lo
	v_cmp_gt_u32_e32 vcc_lo, v57, v37
	s_wait_dscnt 0x0
	v_cndmask_b32_e64 v34, v34, 0, vcc_lo
	s_delay_alu instid0(VALU_DEP_1) | instskip(SKIP_1) | instid1(VALU_DEP_1)
	v_add_nc_u32_e32 v34, v34, v33
	v_cndmask_b32_e64 v35, v35, 0, vcc_lo
	v_add_nc_u32_e32 v35, v35, v32
	s_branch .LBB718_75
.LBB718_72:                             ;   in Loop: Header=BB718_75 Depth=1
	s_or_b32 exec_lo, exec_lo, s15
.LBB718_73:                             ;   in Loop: Header=BB718_75 Depth=1
	s_delay_alu instid0(SALU_CYCLE_1)
	s_or_b32 exec_lo, exec_lo, s14
	v_and_b32_e32 v37, 0xff, v36
	ds_bpermute_b32 v44, v48, v34
	v_subrev_nc_u32_e32 v40, 32, v40
	v_cmp_eq_u16_e32 vcc_lo, 2, v37
	ds_bpermute_b32 v37, v48, v35
	v_and_or_b32 v45, vcc_lo, v49, 0x80000000
	v_cmp_eq_u32_e32 vcc_lo, 0, v34
	s_delay_alu instid0(VALU_DEP_2) | instskip(NEXT) | instid1(VALU_DEP_1)
	v_ctz_i32_b32_e32 v45, v45
	v_cmp_lt_u32_e64 s14, v97, v45
	s_and_b32 vcc_lo, s14, vcc_lo
	s_wait_dscnt 0x0
	v_dual_cndmask_b32 v44, 0, v44, s14 :: v_dual_cndmask_b32 v37, 0, v37, vcc_lo
	s_mov_b32 s14, 0
	s_delay_alu instid0(VALU_DEP_1)
	v_dual_add_nc_u32 v34, v44, v34 :: v_dual_add_nc_u32 v35, v37, v35
	ds_bpermute_b32 v44, v50, v34
	ds_bpermute_b32 v37, v50, v35
	v_cmp_eq_u32_e32 vcc_lo, 0, v34
	s_wait_dscnt 0x0
	v_cndmask_b32_e32 v37, 0, v37, vcc_lo
	v_cmp_gt_u32_e32 vcc_lo, v51, v45
	v_cndmask_b32_e64 v44, v44, 0, vcc_lo
	s_delay_alu instid0(VALU_DEP_1) | instskip(NEXT) | instid1(VALU_DEP_4)
	v_add_nc_u32_e32 v34, v34, v44
	v_cndmask_b32_e64 v37, v37, 0, vcc_lo
	s_delay_alu instid0(VALU_DEP_2) | instskip(NEXT) | instid1(VALU_DEP_2)
	v_cmp_eq_u32_e32 vcc_lo, 0, v34
	v_add_nc_u32_e32 v35, v37, v35
	ds_bpermute_b32 v44, v52, v34
	ds_bpermute_b32 v37, v52, v35
	s_wait_dscnt 0x0
	v_cndmask_b32_e32 v37, 0, v37, vcc_lo
	v_cmp_gt_u32_e32 vcc_lo, v53, v45
	s_delay_alu instid0(VALU_DEP_2) | instskip(SKIP_1) | instid1(VALU_DEP_1)
	v_cndmask_b32_e64 v37, v37, 0, vcc_lo
	v_cndmask_b32_e64 v44, v44, 0, vcc_lo
	v_dual_add_nc_u32 v35, v35, v37 :: v_dual_add_nc_u32 v34, v34, v44
	ds_bpermute_b32 v37, v54, v35
	ds_bpermute_b32 v44, v54, v34
	v_cmp_eq_u32_e32 vcc_lo, 0, v34
	s_wait_dscnt 0x1
	v_cndmask_b32_e32 v37, 0, v37, vcc_lo
	v_cmp_gt_u32_e32 vcc_lo, v55, v45
	s_wait_dscnt 0x0
	v_cndmask_b32_e64 v44, v44, 0, vcc_lo
	s_delay_alu instid0(VALU_DEP_1) | instskip(SKIP_1) | instid1(VALU_DEP_2)
	v_add_nc_u32_e32 v34, v34, v44
	v_cndmask_b32_e64 v37, v37, 0, vcc_lo
	v_cmp_eq_u32_e32 vcc_lo, 0, v34
	s_delay_alu instid0(VALU_DEP_2)
	v_add_nc_u32_e32 v35, v35, v37
	ds_bpermute_b32 v44, v56, v34
	ds_bpermute_b32 v37, v56, v35
	s_wait_dscnt 0x0
	v_cndmask_b32_e32 v37, 0, v37, vcc_lo
	v_cmp_gt_u32_e32 vcc_lo, v57, v45
	s_delay_alu instid0(VALU_DEP_2) | instskip(NEXT) | instid1(VALU_DEP_1)
	v_cndmask_b32_e64 v37, v37, 0, vcc_lo
	v_add_nc_u32_e32 v35, v37, v35
	v_cndmask_b32_e64 v37, v44, 0, vcc_lo
	v_cmp_eq_u32_e32 vcc_lo, 0, v32
	s_delay_alu instid0(VALU_DEP_2) | instskip(NEXT) | instid1(VALU_DEP_4)
	v_add3_u32 v34, v34, v32, v37
	v_cndmask_b32_e32 v35, 0, v35, vcc_lo
	s_delay_alu instid0(VALU_DEP_1)
	v_add_nc_u32_e32 v35, v35, v33
.LBB718_74:                             ;   in Loop: Header=BB718_75 Depth=1
	s_and_b32 vcc_lo, exec_lo, s14
	s_cbranch_vccnz .LBB718_80
.LBB718_75:                             ; =>This Loop Header: Depth=1
                                        ;     Child Loop BB718_78 Depth 2
	v_and_b32_e32 v32, 0xff, v36
	s_delay_alu instid0(VALU_DEP_2) | instskip(SKIP_1) | instid1(VALU_DEP_2)
	v_mov_b32_e32 v33, v35
	s_mov_b32 s14, -1
                                        ; implicit-def: $vgpr35
                                        ; implicit-def: $vgpr36
	v_cmp_ne_u16_e32 vcc_lo, 2, v32
	v_mov_b32_e32 v32, v34
                                        ; implicit-def: $vgpr34
	s_cmp_lg_u32 vcc_lo, exec_lo
	s_cbranch_scc1 .LBB718_74
; %bb.76:                               ;   in Loop: Header=BB718_75 Depth=1
	v_lshl_add_u64 v[44:45], v[40:41], 4, s[20:21]
	;;#ASMSTART
	global_load_b128 v[34:37], v[44:45] off scope:SCOPE_DEV	
s_wait_loadcnt 0x0
	;;#ASMEND
	v_and_b32_e32 v37, 0xff, v36
	s_mov_b32 s14, exec_lo
	s_delay_alu instid0(VALU_DEP_1)
	v_cmpx_eq_u16_e32 0, v37
	s_cbranch_execz .LBB718_73
; %bb.77:                               ;   in Loop: Header=BB718_75 Depth=1
	s_mov_b32 s15, 0
.LBB718_78:                             ;   Parent Loop BB718_75 Depth=1
                                        ; =>  This Inner Loop Header: Depth=2
	;;#ASMSTART
	global_load_b128 v[34:37], v[44:45] off scope:SCOPE_DEV	
s_wait_loadcnt 0x0
	;;#ASMEND
	v_and_b32_e32 v37, 0xff, v36
	s_delay_alu instid0(VALU_DEP_1) | instskip(SKIP_1) | instid1(SALU_CYCLE_1)
	v_cmp_ne_u16_e32 vcc_lo, 0, v37
	s_or_b32 s15, vcc_lo, s15
	s_and_not1_b32 exec_lo, exec_lo, s15
	s_cbranch_execnz .LBB718_78
	s_branch .LBB718_72
.LBB718_79:
                                        ; implicit-def: $vgpr30
                                        ; implicit-def: $vgpr34
                                        ; implicit-def: $vgpr36_vgpr37
                                        ; implicit-def: $vgpr44_vgpr45
                                        ; implicit-def: $vgpr50_vgpr51
                                        ; implicit-def: $vgpr46_vgpr47
                                        ; implicit-def: $vgpr62_vgpr63
                                        ; implicit-def: $vgpr66_vgpr67
                                        ; implicit-def: $vgpr64_vgpr65
                                        ; implicit-def: $vgpr60_vgpr61
                                        ; implicit-def: $vgpr56_vgpr57
                                        ; implicit-def: $vgpr52_vgpr53
                                        ; implicit-def: $vgpr48_vgpr49
                                        ; implicit-def: $vgpr54_vgpr55
                                        ; implicit-def: $vgpr58_vgpr59
                                        ; implicit-def: $vgpr38_vgpr39
                                        ; implicit-def: $vgpr40_vgpr41
	s_cbranch_execnz .LBB718_85
	s_branch .LBB718_96
.LBB718_80:
	s_and_saveexec_b32 s14, s13
	s_cbranch_execz .LBB718_82
; %bb.81:
	v_cmp_eq_u32_e32 vcc_lo, 0, v30
	s_mov_b32 s29, 0
	s_add_co_i32 s28, s34, 32
	v_mov_b32_e32 v37, 0
	s_lshl_b64 s[28:29], s[28:29], 4
	v_dual_cndmask_b32 v35, 0, v33 :: v_dual_add_nc_u32 v34, v32, v30
	s_add_nc_u64 s[28:29], s[20:21], s[28:29]
	v_mov_b32_e32 v36, 2
	v_mov_b64_e32 v[40:41], s[28:29]
	s_delay_alu instid0(VALU_DEP_3)
	v_add_nc_u32_e32 v35, v35, v31
	;;#ASMSTART
	global_store_b128 v[40:41], v[34:37] off scope:SCOPE_DEV	
s_wait_storecnt 0x0
	;;#ASMEND
	ds_store_b128 v37, v[30:33] offset:4096
.LBB718_82:
	s_or_b32 exec_lo, exec_lo, s14
	v_cmp_eq_u32_e32 vcc_lo, 0, v0
	s_and_b32 exec_lo, exec_lo, vcc_lo
; %bb.83:
	v_mov_b32_e32 v30, 0
	ds_store_b64 v30, v[32:33] offset:4168
.LBB718_84:
	s_or_b32 exec_lo, exec_lo, s23
	s_wait_dscnt 0x1
	v_dual_mov_b32 v32, 0 :: v_dual_cndmask_b32 v33, v46, v38, s13
	s_wait_dscnt 0x0
	s_barrier_signal -1
	s_barrier_wait -1
	ds_load_b64 v[30:31], v32 offset:4168
	v_cmp_eq_u32_e32 vcc_lo, 0, v33
	v_cndmask_b32_e64 v34, v47, v39, s13
	v_cmp_eq_u32_e64 s13, 0, v95
	s_wait_dscnt 0x0
	s_barrier_signal -1
	s_barrier_wait -1
	v_cndmask_b32_e32 v35, 0, v31, vcc_lo
	v_cmp_eq_u32_e32 vcc_lo, 0, v0
	s_delay_alu instid0(VALU_DEP_2) | instskip(NEXT) | instid1(VALU_DEP_1)
	v_add_nc_u32_e32 v34, v35, v34
	v_cndmask_b32_e32 v63, v34, v31, vcc_lo
	s_delay_alu instid0(VALU_DEP_1) | instskip(NEXT) | instid1(VALU_DEP_1)
	v_cndmask_b32_e64 v31, 0, v63, s13
	v_add_nc_u32_e32 v67, v31, v75
	s_delay_alu instid0(VALU_DEP_1) | instskip(NEXT) | instid1(VALU_DEP_1)
	v_cndmask_b32_e64 v31, 0, v67, s12
	v_add_nc_u32_e32 v65, v31, v72
	;; [unrolled: 3-line block ×6, first 2 shown]
	v_cndmask_b32_e64 v31, v33, 0, vcc_lo
	s_delay_alu instid0(VALU_DEP_1) | instskip(NEXT) | instid1(VALU_DEP_1)
	v_dual_cndmask_b32 v33, 0, v49, s7 :: v_dual_add_nc_u32 v62, v30, v31
	v_dual_add_nc_u32 v55, v33, v89 :: v_dual_add_nc_u32 v66, v62, v95
	s_delay_alu instid0(VALU_DEP_1) | instskip(NEXT) | instid1(VALU_DEP_1)
	v_dual_cndmask_b32 v30, 0, v55, s6 :: v_dual_add_nc_u32 v64, v66, v88
	v_dual_add_nc_u32 v59, v30, v93 :: v_dual_add_nc_u32 v60, v64, v87
	;; [unrolled: 3-line block ×4, first 2 shown]
	s_delay_alu instid0(VALU_DEP_1) | instskip(NEXT) | instid1(VALU_DEP_1)
	v_dual_cndmask_b32 v30, 0, v41, s3 :: v_dual_add_nc_u32 v58, v54, v79
	v_add_nc_u32_e32 v38, v58, v78
	s_delay_alu instid0(VALU_DEP_1) | instskip(NEXT) | instid1(VALU_DEP_3)
	v_add_nc_u32_e32 v40, v38, v77
	v_add_nc_u32_e32 v47, v30, v71
	ds_load_b128 v[30:33], v32 offset:4096
	v_dual_add_nc_u32 v46, v40, v1 :: v_dual_cndmask_b32 v34, 0, v47, s2
	s_delay_alu instid0(VALU_DEP_1) | instskip(NEXT) | instid1(VALU_DEP_1)
	v_add_nc_u32_e32 v51, v34, v70
	v_cndmask_b32_e64 v34, 0, v51, s1
	s_delay_alu instid0(VALU_DEP_1) | instskip(NEXT) | instid1(VALU_DEP_4)
	v_add_nc_u32_e32 v45, v34, v69
	v_add_nc_u32_e32 v50, v46, v76
	s_wait_dscnt 0x0
	v_cmp_eq_u32_e32 vcc_lo, 0, v30
	s_delay_alu instid0(VALU_DEP_2) | instskip(SKIP_1) | instid1(VALU_DEP_2)
	v_dual_cndmask_b32 v34, 0, v45, s0 :: v_dual_add_nc_u32 v44, v50, v82
	v_cndmask_b32_e32 v33, 0, v33, vcc_lo
	v_dual_add_nc_u32 v37, v34, v68 :: v_dual_add_nc_u32 v36, v44, v81
	s_delay_alu instid0(VALU_DEP_2)
	v_add_nc_u32_e32 v34, v33, v31
	s_branch .LBB718_96
.LBB718_85:
	s_wait_kmcnt 0x0
	s_cmp_eq_u64 s[26:27], 0
	v_mov_b32_e32 v34, v75
	s_cselect_b32 s0, -1, 0
	s_delay_alu instid0(SALU_CYCLE_1) | instskip(NEXT) | instid1(SALU_CYCLE_1)
	s_or_b32 s0, s22, s0
	s_and_b32 vcc_lo, exec_lo, s0
	s_cbranch_vccnz .LBB718_87
; %bb.86:
	v_mov_b32_e32 v30, 0
	global_load_b32 v34, v30, s[26:27]
.LBB718_87:
	v_add3_u32 v31, v100, v80, v83
	v_cmp_eq_u32_e64 s6, 0, v88
	v_cmp_eq_u32_e64 s7, 0, v87
	;; [unrolled: 1-line block ×4, first 2 shown]
	v_add3_u32 v31, v31, v79, v78
	s_wait_xcnt 0x0
	v_dual_cndmask_b32 v30, 0, v75, s6 :: v_dual_bitop2_b32 v33, 15, v97 bitop3:0x40
	v_cmp_eq_u32_e64 s10, 0, v80
	v_cmp_eq_u32_e64 s11, 0, v83
	v_add3_u32 v31, v31, v77, v1
	v_cmp_eq_u32_e64 s5, 0, v79
	v_cmp_eq_u32_e64 s4, 0, v78
	;; [unrolled: 1-line block ×4, first 2 shown]
	v_add3_u32 v31, v31, v76, v82
	v_cmp_eq_u32_e64 s1, 0, v76
	v_cmp_eq_u32_e32 vcc_lo, 0, v82
	v_cmp_eq_u32_e64 s0, 0, v81
	v_cmp_eq_u32_e64 s12, 0, v86
	v_add3_u32 v31, v31, v81, v86
	v_add_nc_u32_e32 v30, v30, v72
	s_delay_alu instid0(VALU_DEP_2) | instskip(NEXT) | instid1(VALU_DEP_2)
	v_mov_b32_dpp v35, v31 row_shr:1 row_mask:0xf bank_mask:0xf
	v_cndmask_b32_e64 v30, 0, v30, s7
	s_delay_alu instid0(VALU_DEP_1) | instskip(NEXT) | instid1(VALU_DEP_1)
	v_add_nc_u32_e32 v30, v30, v74
	v_cndmask_b32_e64 v30, 0, v30, s8
	s_delay_alu instid0(VALU_DEP_1) | instskip(NEXT) | instid1(VALU_DEP_1)
	v_add_nc_u32_e32 v30, v30, v92
	;; [unrolled: 3-line block ×10, first 2 shown]
	v_cndmask_b32_e32 v30, 0, v30, vcc_lo
	s_delay_alu instid0(VALU_DEP_1) | instskip(NEXT) | instid1(VALU_DEP_1)
	v_add_nc_u32_e32 v30, v30, v69
	v_cndmask_b32_e64 v30, 0, v30, s0
	s_delay_alu instid0(VALU_DEP_1) | instskip(NEXT) | instid1(VALU_DEP_1)
	v_add_nc_u32_e32 v30, v30, v68
	v_cndmask_b32_e64 v30, 0, v30, s12
	v_cmp_eq_u32_e64 s12, 0, v31
	s_delay_alu instid0(VALU_DEP_2) | instskip(NEXT) | instid1(VALU_DEP_1)
	v_add_nc_u32_e32 v30, v30, v96
	v_mov_b32_dpp v32, v30 row_shr:1 row_mask:0xf bank_mask:0xf
	s_delay_alu instid0(VALU_DEP_1) | instskip(SKIP_1) | instid1(VALU_DEP_1)
	v_cndmask_b32_e64 v32, 0, v32, s12
	v_cmp_eq_u32_e64 s12, 0, v33
	v_cndmask_b32_e64 v35, v35, 0, s12
	s_delay_alu instid0(VALU_DEP_3) | instskip(SKIP_1) | instid1(VALU_DEP_2)
	v_cndmask_b32_e64 v32, v32, 0, s12
	v_cmp_lt_u32_e64 s12, 1, v33
	v_dual_add_nc_u32 v31, v35, v31 :: v_dual_add_nc_u32 v30, v32, v30
	s_delay_alu instid0(VALU_DEP_1) | instskip(SKIP_1) | instid1(VALU_DEP_3)
	v_mov_b32_dpp v32, v31 row_shr:2 row_mask:0xf bank_mask:0xf
	v_cmp_eq_u32_e64 s13, 0, v31
	v_mov_b32_dpp v35, v30 row_shr:2 row_mask:0xf bank_mask:0xf
	s_delay_alu instid0(VALU_DEP_3)
	v_cndmask_b32_e64 v32, 0, v32, s12
	s_and_b32 s12, s12, s13
	s_delay_alu instid0(VALU_DEP_2) | instid1(SALU_CYCLE_1)
	v_cndmask_b32_e64 v35, 0, v35, s12
	v_cmp_lt_u32_e64 s12, 3, v33
	s_delay_alu instid0(VALU_DEP_3) | instskip(NEXT) | instid1(VALU_DEP_3)
	v_add_nc_u32_e32 v31, v31, v32
	v_add_nc_u32_e32 v30, v35, v30
	s_delay_alu instid0(VALU_DEP_2) | instskip(SKIP_1) | instid1(VALU_DEP_3)
	v_mov_b32_dpp v32, v31 row_shr:4 row_mask:0xf bank_mask:0xf
	v_cmp_eq_u32_e64 s13, 0, v31
	v_mov_b32_dpp v35, v30 row_shr:4 row_mask:0xf bank_mask:0xf
	s_delay_alu instid0(VALU_DEP_3)
	v_cndmask_b32_e64 v32, 0, v32, s12
	s_and_b32 s12, s12, s13
	s_delay_alu instid0(VALU_DEP_2) | instid1(SALU_CYCLE_1)
	v_cndmask_b32_e64 v35, 0, v35, s12
	v_cmp_lt_u32_e64 s12, 7, v33
	s_delay_alu instid0(VALU_DEP_3) | instskip(NEXT) | instid1(VALU_DEP_3)
	v_add_nc_u32_e32 v31, v32, v31
	v_add_nc_u32_e32 v30, v30, v35
	v_bfe_i32 v35, v97, 4, 1
	s_delay_alu instid0(VALU_DEP_3) | instskip(SKIP_1) | instid1(VALU_DEP_4)
	v_mov_b32_dpp v32, v31 row_shr:8 row_mask:0xf bank_mask:0xf
	v_cmp_eq_u32_e64 s13, 0, v31
	v_mov_b32_dpp v33, v30 row_shr:8 row_mask:0xf bank_mask:0xf
	s_delay_alu instid0(VALU_DEP_3) | instskip(SKIP_2) | instid1(VALU_DEP_2)
	v_cndmask_b32_e64 v32, 0, v32, s12
	s_and_b32 s12, s12, s13
	s_mov_b32 s13, exec_lo
	v_cndmask_b32_e64 v33, 0, v33, s12
	s_delay_alu instid0(VALU_DEP_1) | instskip(SKIP_4) | instid1(VALU_DEP_1)
	v_dual_add_nc_u32 v33, v33, v30 :: v_dual_add_nc_u32 v30, v32, v31
	ds_swizzle_b32 v31, v33 offset:swizzle(BROADCAST,32,15)
	ds_swizzle_b32 v32, v30 offset:swizzle(BROADCAST,32,15)
	v_cmp_eq_u32_e64 s12, 0, v30
	s_wait_dscnt 0x0
	v_dual_cndmask_b32 v31, 0, v31, s12 :: v_dual_bitop2_b32 v32, v35, v32 bitop3:0x40
	s_delay_alu instid0(VALU_DEP_1) | instskip(NEXT) | instid1(VALU_DEP_1)
	v_dual_add_nc_u32 v30, v32, v30 :: v_dual_bitop2_b32 v31, v35, v31 bitop3:0x40
	v_dual_add_nc_u32 v31, v31, v33 :: v_dual_lshlrev_b32 v33, 3, v98
	v_cmpx_eq_u32_e64 v0, v99
; %bb.88:
	ds_store_b64 v33, v[30:31] offset:4112
; %bb.89:
	s_or_b32 exec_lo, exec_lo, s13
	s_delay_alu instid0(SALU_CYCLE_1)
	s_mov_b32 s14, exec_lo
	s_wait_loadcnt_dscnt 0x0
	s_barrier_signal -1
	s_barrier_wait -1
	v_cmpx_gt_u32_e32 8, v0
	s_cbranch_execz .LBB718_91
; %bb.90:
	v_dual_lshlrev_b32 v32, 3, v0 :: v_dual_bitop2_b32 v38, 7, v97 bitop3:0x40
	ds_load_b64 v[36:37], v32 offset:4112
	s_wait_dscnt 0x0
	v_mov_b32_dpp v35, v37 row_shr:1 row_mask:0xf bank_mask:0xf
	v_cmp_eq_u32_e64 s12, 0, v36
	v_mov_b32_dpp v39, v36 row_shr:1 row_mask:0xf bank_mask:0xf
	s_delay_alu instid0(VALU_DEP_2) | instskip(SKIP_1) | instid1(VALU_DEP_1)
	v_cndmask_b32_e64 v35, 0, v35, s12
	v_cmp_eq_u32_e64 s12, 0, v38
	v_cndmask_b32_e64 v39, v39, 0, s12
	s_delay_alu instid0(VALU_DEP_1) | instskip(NEXT) | instid1(VALU_DEP_4)
	v_add_nc_u32_e32 v36, v39, v36
	v_cndmask_b32_e64 v35, v35, 0, s12
	v_cmp_lt_u32_e64 s12, 1, v38
	s_delay_alu instid0(VALU_DEP_3) | instskip(NEXT) | instid1(VALU_DEP_3)
	v_cmp_eq_u32_e64 s13, 0, v36
	v_add_nc_u32_e32 v35, v35, v37
	v_mov_b32_dpp v37, v36 row_shr:2 row_mask:0xf bank_mask:0xf
	s_delay_alu instid0(VALU_DEP_1) | instskip(NEXT) | instid1(VALU_DEP_3)
	v_cndmask_b32_e64 v37, 0, v37, s12
	v_mov_b32_dpp v39, v35 row_shr:2 row_mask:0xf bank_mask:0xf
	s_and_b32 s12, s12, s13
	s_delay_alu instid0(VALU_DEP_1) | instid1(SALU_CYCLE_1)
	v_dual_add_nc_u32 v36, v37, v36 :: v_dual_cndmask_b32 v39, 0, v39, s12
	v_cmp_lt_u32_e64 s12, 3, v38
	s_delay_alu instid0(VALU_DEP_2) | instskip(NEXT) | instid1(VALU_DEP_3)
	v_mov_b32_dpp v37, v36 row_shr:4 row_mask:0xf bank_mask:0xf
	v_add_nc_u32_e32 v35, v39, v35
	v_cmp_eq_u32_e64 s13, 0, v36
	s_delay_alu instid0(VALU_DEP_3) | instskip(NEXT) | instid1(VALU_DEP_3)
	v_cndmask_b32_e64 v37, 0, v37, s12
	v_mov_b32_dpp v38, v35 row_shr:4 row_mask:0xf bank_mask:0xf
	s_and_b32 s12, s12, s13
	s_delay_alu instid0(VALU_DEP_1) | instid1(SALU_CYCLE_1)
	v_dual_add_nc_u32 v36, v37, v36 :: v_dual_cndmask_b32 v38, 0, v38, s12
	s_delay_alu instid0(VALU_DEP_1)
	v_add_nc_u32_e32 v37, v38, v35
	ds_store_b64 v32, v[36:37] offset:4112
.LBB718_91:
	s_or_b32 exec_lo, exec_lo, s14
	v_dual_mov_b32 v35, 0 :: v_dual_mov_b32 v32, 0
	v_mov_b32_e32 v36, v34
	s_mov_b32 s13, exec_lo
	s_wait_dscnt 0x0
	s_barrier_signal -1
	s_barrier_wait -1
	v_cmpx_lt_u32_e32 31, v0
	s_cbranch_execz .LBB718_93
; %bb.92:
	ds_load_b64 v[32:33], v33 offset:4104
	s_wait_dscnt 0x0
	v_cmp_eq_u32_e64 s12, 0, v32
	s_delay_alu instid0(VALU_DEP_1) | instskip(NEXT) | instid1(VALU_DEP_1)
	v_cndmask_b32_e64 v36, 0, v34, s12
	v_add_nc_u32_e32 v36, v36, v33
.LBB718_93:
	s_or_b32 exec_lo, exec_lo, s13
	v_sub_co_u32 v33, s12, v97, 1
	s_delay_alu instid0(VALU_DEP_1) | instskip(NEXT) | instid1(VALU_DEP_1)
	v_cmp_gt_i32_e64 s13, 0, v33
	v_cndmask_b32_e64 v33, v33, v97, s13
	v_cmp_eq_u32_e64 s13, 0, v30
	s_delay_alu instid0(VALU_DEP_1) | instskip(NEXT) | instid1(VALU_DEP_3)
	v_dual_cndmask_b32 v37, 0, v36, s13 :: v_dual_add_nc_u32 v30, v32, v30
	v_lshlrev_b32_e32 v33, 2, v33
	v_cmp_eq_u32_e64 s13, 0, v95
	ds_bpermute_b32 v30, v33, v30
	s_wait_dscnt 0x0
	v_dual_add_nc_u32 v31, v37, v31 :: v_dual_cndmask_b32 v30, v30, v32, s12
	ds_bpermute_b32 v31, v33, v31
	s_wait_dscnt 0x0
	v_cndmask_b32_e64 v31, v31, v36, s12
	v_cmp_eq_u32_e64 s12, 0, v0
	s_delay_alu instid0(VALU_DEP_1) | instskip(NEXT) | instid1(VALU_DEP_1)
	v_cndmask_b32_e64 v62, v30, 0, s12
	v_dual_add_nc_u32 v66, v62, v95 :: v_dual_cndmask_b32 v63, v31, v34, s12
	s_delay_alu instid0(VALU_DEP_1) | instskip(NEXT) | instid1(VALU_DEP_1)
	v_dual_add_nc_u32 v64, v66, v88 :: v_dual_cndmask_b32 v31, 0, v63, s13
	v_add_nc_u32_e32 v60, v64, v87
	s_delay_alu instid0(VALU_DEP_1) | instskip(NEXT) | instid1(VALU_DEP_1)
	v_dual_add_nc_u32 v67, v31, v75 :: v_dual_add_nc_u32 v56, v60, v85
	v_dual_cndmask_b32 v31, 0, v67, s6 :: v_dual_add_nc_u32 v52, v56, v84
	s_delay_alu instid0(VALU_DEP_1) | instskip(NEXT) | instid1(VALU_DEP_1)
	v_add_nc_u32_e32 v65, v31, v72
	v_cndmask_b32_e64 v31, 0, v65, s7
	s_delay_alu instid0(VALU_DEP_1) | instskip(NEXT) | instid1(VALU_DEP_1)
	v_add_nc_u32_e32 v61, v31, v74
	v_cndmask_b32_e64 v31, 0, v61, s8
	;; [unrolled: 3-line block ×7, first 2 shown]
	s_delay_alu instid0(VALU_DEP_1) | instskip(NEXT) | instid1(VALU_DEP_1)
	v_add_nc_u32_e32 v39, v30, v91
	v_dual_cndmask_b32 v30, 0, v39, s3 :: v_dual_add_nc_u32 v48, v52, v80
	s_delay_alu instid0(VALU_DEP_1) | instskip(NEXT) | instid1(VALU_DEP_1)
	v_dual_add_nc_u32 v41, v30, v73 :: v_dual_add_nc_u32 v54, v48, v83
	v_cndmask_b32_e64 v30, 0, v41, s2
	s_delay_alu instid0(VALU_DEP_1) | instskip(SKIP_2) | instid1(VALU_DEP_1)
	v_add_nc_u32_e32 v47, v30, v71
	ds_load_b64 v[30:31], v35 offset:4168
	v_cndmask_b32_e64 v32, 0, v47, s1
	v_dual_add_nc_u32 v58, v54, v79 :: v_dual_add_nc_u32 v51, v32, v70
	s_delay_alu instid0(VALU_DEP_1) | instskip(NEXT) | instid1(VALU_DEP_1)
	v_dual_add_nc_u32 v38, v58, v78 :: v_dual_cndmask_b32 v32, 0, v51, vcc_lo
	v_add_nc_u32_e32 v40, v38, v77
	s_delay_alu instid0(VALU_DEP_2) | instskip(NEXT) | instid1(VALU_DEP_2)
	v_add_nc_u32_e32 v45, v32, v69
	v_add_nc_u32_e32 v46, v40, v1
	s_wait_dscnt 0x0
	v_cmp_eq_u32_e32 vcc_lo, 0, v30
	s_delay_alu instid0(VALU_DEP_2) | instskip(NEXT) | instid1(VALU_DEP_1)
	v_dual_cndmask_b32 v32, 0, v45, s0 :: v_dual_add_nc_u32 v50, v46, v76
	v_add_nc_u32_e32 v44, v50, v82
	s_delay_alu instid0(VALU_DEP_1) | instskip(NEXT) | instid1(VALU_DEP_1)
	v_dual_cndmask_b32 v33, 0, v34 :: v_dual_add_nc_u32 v36, v44, v81
	v_dual_add_nc_u32 v37, v32, v68 :: v_dual_add_nc_u32 v34, v33, v31
	s_and_saveexec_b32 s0, s12
	s_cbranch_execz .LBB718_95
; %bb.94:
	s_add_nc_u64 s[2:3], s[20:21], 0x200
	v_dual_mov_b32 v32, 2 :: v_dual_mov_b32 v33, 0
	v_mov_b32_e32 v31, v34
	v_mov_b64_e32 v[68:69], s[2:3]
	;;#ASMSTART
	global_store_b128 v[68:69], v[30:33] off scope:SCOPE_DEV	
s_wait_storecnt 0x0
	;;#ASMEND
.LBB718_95:
	s_or_b32 exec_lo, exec_lo, s0
	v_mov_b32_e32 v32, 0
.LBB718_96:
	s_cmp_eq_u64 s[30:31], 0
	v_mov_b64_e32 v[68:69], 0
	s_cselect_b32 s0, -1, 0
	s_delay_alu instid0(SALU_CYCLE_1)
	s_or_b32 s0, s22, s0
	s_barrier_signal -1
	s_and_b32 vcc_lo, exec_lo, s0
	s_barrier_wait -1
	s_cbranch_vccnz .LBB718_98
; %bb.97:
	v_mov_b32_e32 v31, 0
	global_load_b64 v[68:69], v31, s[30:31]
.LBB718_98:
	v_cmp_eq_u32_e32 vcc_lo, 0, v95
	s_wait_loadcnt 0x0
	v_lshlrev_b64_e32 v[70:71], 3, v[68:69]
	v_cmp_ne_u32_e64 s14, 0, v95
	v_cmp_ne_u32_e64 s13, 0, v88
	;; [unrolled: 1-line block ×3, first 2 shown]
	v_cndmask_b32_e64 v31, 1, 2, vcc_lo
	v_cmp_eq_u32_e32 vcc_lo, 0, v88
	v_cmp_ne_u32_e64 s11, 0, v85
	s_wait_kmcnt 0x0
	v_add_nc_u64_e32 v[74:75], s[16:17], v[70:71]
	v_cmp_ne_u32_e64 s10, 0, v84
	v_cmp_ne_u32_e64 s9, 0, v80
	v_cndmask_b32_e64 v33, 1, 2, vcc_lo
	v_cmp_eq_u32_e32 vcc_lo, 0, v87
	v_cmp_ne_u32_e64 s8, 0, v83
	v_cmp_ne_u32_e64 s7, 0, v79
	;; [unrolled: 1-line block ×4, first 2 shown]
	v_cndmask_b32_e64 v35, 1, 2, vcc_lo
	v_cmp_eq_u32_e32 vcc_lo, 0, v85
	v_cmp_ne_u32_e64 s4, 0, v1
	v_cmp_ne_u32_e64 s3, 0, v76
	;; [unrolled: 1-line block ×3, first 2 shown]
	v_bitop3_b16 v31, v33, v35, v31 bitop3:0x80
	v_cndmask_b32_e64 v35, 1, 2, vcc_lo
	v_cmp_eq_u32_e32 vcc_lo, 0, v84
	v_mov_b32_e32 v33, 0
	v_cmp_ne_u32_e64 s1, 0, v81
	v_cmp_ne_u32_e64 s0, 0, v86
	s_mov_b32 s16, -1
	v_cndmask_b32_e64 v72, 1, 2, vcc_lo
	v_cmp_eq_u32_e32 vcc_lo, 0, v80
	s_delay_alu instid0(VALU_DEP_2)
	v_bitop3_b16 v31, v31, v72, v35 bitop3:0x80
	v_cndmask_b32_e64 v35, 1, 2, vcc_lo
	v_cmp_eq_u32_e32 vcc_lo, 0, v83
	v_lshlrev_b64_e32 v[72:73], 3, v[32:33]
	v_cndmask_b32_e64 v89, 1, 2, vcc_lo
	v_cmp_eq_u32_e32 vcc_lo, 0, v79
	s_delay_alu instid0(VALU_DEP_3) | instskip(NEXT) | instid1(VALU_DEP_3)
	v_add_nc_u64_e32 v[74:75], v[74:75], v[72:73]
	v_bitop3_b16 v31, v31, v89, v35 bitop3:0x80
	v_cndmask_b32_e64 v35, 1, 2, vcc_lo
	v_cmp_eq_u32_e32 vcc_lo, 0, v78
	v_cndmask_b32_e64 v89, 1, 2, vcc_lo
	v_cmp_eq_u32_e32 vcc_lo, 0, v77
	s_delay_alu instid0(VALU_DEP_2) | instskip(SKIP_4) | instid1(VALU_DEP_2)
	v_bitop3_b16 v31, v31, v89, v35 bitop3:0x80
	v_cndmask_b32_e64 v35, 1, 2, vcc_lo
	v_cmp_eq_u32_e32 vcc_lo, 0, v1
	v_cndmask_b32_e64 v89, 1, 2, vcc_lo
	v_cmp_eq_u32_e32 vcc_lo, 0, v76
	v_bitop3_b16 v31, v31, v89, v35 bitop3:0x80
	v_cndmask_b32_e64 v35, 1, 2, vcc_lo
	v_cmp_eq_u32_e32 vcc_lo, 0, v82
	v_cndmask_b32_e64 v89, 1, 2, vcc_lo
	v_cmp_eq_u32_e32 vcc_lo, 0, v81
	s_delay_alu instid0(VALU_DEP_2) | instskip(SKIP_4) | instid1(VALU_DEP_2)
	v_bitop3_b16 v31, v31, v89, v35 bitop3:0x80
	v_cndmask_b32_e64 v35, 1, 2, vcc_lo
	v_cmp_eq_u32_e32 vcc_lo, 0, v86
	v_cndmask_b32_e64 v89, 1, 2, vcc_lo
	v_cmp_gt_u32_e32 vcc_lo, 0x100, v30
	v_bitop3_b16 v31, v31, v89, v35 bitop3:0x80
	s_delay_alu instid0(VALU_DEP_1)
	v_cmp_gt_i16_e64 s15, 2, v31
	s_cbranch_vccz .LBB718_105
; %bb.99:
	s_and_saveexec_b32 s16, s15
	s_cbranch_execz .LBB718_104
; %bb.100:
	s_mov_b32 s17, 0
	s_mov_b32 s15, exec_lo
	v_cmpx_ne_u16_e32 1, v31
	s_xor_b32 s15, exec_lo, s15
	s_cbranch_execnz .LBB718_136
; %bb.101:
	s_and_not1_saveexec_b32 s15, s15
	s_cbranch_execnz .LBB718_152
.LBB718_102:
	s_or_b32 exec_lo, exec_lo, s15
	s_delay_alu instid0(SALU_CYCLE_1)
	s_and_b32 exec_lo, exec_lo, s17
	s_cbranch_execz .LBB718_104
.LBB718_103:
	v_sub_nc_u32_e32 v35, v36, v32
	v_readfirstlane_b32 s20, v74
	v_readfirstlane_b32 s21, v75
	global_store_b64 v35, v[42:43], s[20:21] scale_offset
.LBB718_104:
	s_wait_xcnt 0x0
	s_or_b32 exec_lo, exec_lo, s16
	s_mov_b32 s16, 0
.LBB718_105:
	s_delay_alu instid0(SALU_CYCLE_1)
	s_and_b32 vcc_lo, exec_lo, s16
	s_cbranch_vccz .LBB718_115
; %bb.106:
	s_mov_b32 s15, exec_lo
	v_cmpx_gt_i16_e32 2, v31
	s_cbranch_execz .LBB718_111
; %bb.107:
	s_mov_b32 s17, 0
	s_mov_b32 s16, exec_lo
	v_cmpx_ne_u16_e32 1, v31
	s_xor_b32 s16, exec_lo, s16
	s_cbranch_execnz .LBB718_153
; %bb.108:
	s_and_not1_saveexec_b32 s0, s16
	s_cbranch_execnz .LBB718_169
.LBB718_109:
	s_or_b32 exec_lo, exec_lo, s0
	s_delay_alu instid0(SALU_CYCLE_1)
	s_and_b32 exec_lo, exec_lo, s17
.LBB718_110:
	v_sub_nc_u32_e32 v2, v36, v32
	s_delay_alu instid0(VALU_DEP_1)
	v_lshlrev_b32_e32 v2, 3, v2
	ds_store_b64 v2, v[42:43]
.LBB718_111:
	s_or_b32 exec_lo, exec_lo, s15
	s_delay_alu instid0(SALU_CYCLE_1)
	s_mov_b32 s0, exec_lo
	s_wait_storecnt_dscnt 0x0
	s_barrier_signal -1
	s_barrier_wait -1
	v_cmpx_lt_u32_e64 v0, v30
	s_cbranch_execz .LBB718_114
; %bb.112:
	v_dual_mov_b32 v3, v0 :: v_dual_lshlrev_b32 v2, 3, v0
	s_mov_b32 s1, 0
.LBB718_113:                            ; =>This Inner Loop Header: Depth=1
	ds_load_b64 v[4:5], v2
	v_readfirstlane_b32 s2, v74
	v_readfirstlane_b32 s3, v75
	v_add_nc_u32_e32 v2, 0x800, v2
	s_wait_dscnt 0x0
	global_store_b64 v3, v[4:5], s[2:3] scale_offset
	s_wait_xcnt 0x0
	v_add_nc_u32_e32 v3, 0x100, v3
	s_delay_alu instid0(VALU_DEP_1) | instskip(SKIP_1) | instid1(SALU_CYCLE_1)
	v_cmp_ge_u32_e32 vcc_lo, v3, v30
	s_or_b32 s1, vcc_lo, s1
	s_and_not1_b32 exec_lo, exec_lo, s1
	s_cbranch_execnz .LBB718_113
.LBB718_114:
	s_or_b32 exec_lo, exec_lo, s0
.LBB718_115:
	s_cmp_lg_u32 s35, 0xf00
	v_cmp_eq_u32_e32 vcc_lo, 0, v0
	s_cselect_b32 s0, -1, 0
	v_cndmask_b32_e64 v6, 0, 1, s36
	s_and_b32 s0, s33, s0
	v_mad_i32_i24 v4, v0, -15, s35
	v_cndmask_b32_e64 v3, 0, 1, s0
	s_mul_hi_u32 s0, s35, 0x88888889
	s_and_b32 s1, vcc_lo, s36
	s_lshr_b32 s0, s0, 3
	v_sub_nc_u32_e32 v2, v30, v6
	v_cndmask_b32_e64 v5, v95, 0, s1
	v_cmp_eq_u32_e32 vcc_lo, s0, v0
	v_cmp_ne_u32_e64 s0, 0, v4
	s_mov_b32 s16, -1
	v_add_nc_u32_e32 v8, v2, v3
	s_wait_storecnt 0x0
	s_and_b32 vcc_lo, s33, vcc_lo
	v_cndmask_b32_e64 v2, 1, v5, s0
	v_cmp_ne_u32_e64 s0, 1, v4
	s_barrier_signal -1
	s_barrier_wait -1
	s_delay_alu instid0(VALU_DEP_1) | instskip(SKIP_1) | instid1(VALU_DEP_2)
	v_cndmask_b32_e64 v3, 1, v88, s0
	v_cmp_ne_u32_e64 s0, 2, v4
	v_cndmask_b32_e32 v21, v88, v3, vcc_lo
	s_delay_alu instid0(VALU_DEP_2) | instskip(SKIP_1) | instid1(VALU_DEP_3)
	v_cndmask_b32_e64 v7, 1, v87, s0
	v_cmp_ne_u32_e64 s0, 3, v4
	v_cmp_ne_u32_e64 s13, 0, v21
	s_delay_alu instid0(VALU_DEP_2) | instskip(SKIP_1) | instid1(VALU_DEP_2)
	v_cndmask_b32_e64 v9, 1, v85, s0
	v_cmp_ne_u32_e64 s0, 4, v4
	v_dual_cndmask_b32 v7, v87, v7, vcc_lo :: v_dual_cndmask_b32 v9, v85, v9, vcc_lo
	s_delay_alu instid0(VALU_DEP_2) | instskip(SKIP_1) | instid1(VALU_DEP_3)
	v_cndmask_b32_e64 v10, 1, v84, s0
	v_cmp_ne_u32_e64 s0, 5, v4
	v_cmp_ne_u32_e64 s12, 0, v7
	s_delay_alu instid0(VALU_DEP_4) | instskip(NEXT) | instid1(VALU_DEP_3)
	v_cmp_ne_u32_e64 s11, 0, v9
	v_cndmask_b32_e64 v11, 1, v80, s0
	v_cmp_ne_u32_e64 s0, 6, v4
	s_delay_alu instid0(VALU_DEP_1) | instskip(SKIP_1) | instid1(VALU_DEP_2)
	v_cndmask_b32_e64 v12, 1, v83, s0
	v_cmp_ne_u32_e64 s0, 7, v4
	v_dual_cndmask_b32 v10, v84, v10, vcc_lo :: v_dual_cndmask_b32 v12, v83, v12, vcc_lo
	s_delay_alu instid0(VALU_DEP_2) | instskip(SKIP_2) | instid1(VALU_DEP_4)
	v_cndmask_b32_e64 v13, 1, v79, s0
	v_cmp_ne_u32_e64 s0, 8, v4
	v_cndmask_b32_e32 v11, v80, v11, vcc_lo
	v_cmp_ne_u32_e64 s10, 0, v10
	v_cmp_ne_u32_e64 s8, 0, v12
	s_delay_alu instid0(VALU_DEP_4) | instskip(SKIP_1) | instid1(VALU_DEP_2)
	v_dual_cndmask_b32 v13, v79, v13, vcc_lo :: v_dual_cndmask_b32 v14, 1, v78, s0
	v_cmp_ne_u32_e64 s0, 9, v4
	v_cmp_ne_u32_e64 s7, 0, v13
	s_delay_alu instid0(VALU_DEP_2) | instskip(SKIP_1) | instid1(VALU_DEP_2)
	v_cndmask_b32_e64 v15, 1, v77, s0
	v_cmp_ne_u32_e64 s0, 10, v4
	v_dual_cndmask_b32 v14, v78, v14 :: v_dual_cndmask_b32 v15, v77, v15
	s_delay_alu instid0(VALU_DEP_2) | instskip(SKIP_1) | instid1(VALU_DEP_3)
	v_cndmask_b32_e64 v16, 1, v1, s0
	v_cmp_ne_u32_e64 s0, 11, v4
	v_cmp_ne_u32_e64 s6, 0, v14
	s_delay_alu instid0(VALU_DEP_2) | instskip(SKIP_3) | instid1(VALU_DEP_3)
	v_cndmask_b32_e64 v17, 1, v76, s0
	v_cmp_ne_u32_e64 s0, 14, v4
	v_dual_cndmask_b32 v16, v1, v16 :: v_dual_add_nc_u32 v1, v32, v6
	v_cmp_ne_u32_e64 s5, 0, v15
	v_dual_cndmask_b32 v17, v76, v17, vcc_lo :: v_dual_cndmask_b32 v18, 1, v86, s0
	v_cmp_ne_u32_e64 s0, 13, v4
	s_delay_alu instid0(VALU_DEP_4) | instskip(NEXT) | instid1(VALU_DEP_3)
	v_cmp_ne_u32_e64 s4, 0, v16
	v_cmp_ne_u32_e64 s3, 0, v17
	s_delay_alu instid0(VALU_DEP_3) | instskip(SKIP_1) | instid1(VALU_DEP_2)
	v_cndmask_b32_e64 v19, 1, v81, s0
	v_cmp_ne_u32_e64 s0, 12, v4
	v_dual_cndmask_b32 v18, v86, v18 :: v_dual_cndmask_b32 v19, v81, v19
	s_delay_alu instid0(VALU_DEP_2) | instskip(SKIP_2) | instid1(VALU_DEP_4)
	v_cndmask_b32_e64 v4, 1, v82, s0
	v_cndmask_b32_e32 v20, v5, v2, vcc_lo
	v_add_nc_u64_e32 v[2:3], s[18:19], v[70:71]
	v_cmp_ne_u32_e64 s1, 0, v19
	s_delay_alu instid0(VALU_DEP_4) | instskip(NEXT) | instid1(VALU_DEP_4)
	v_cndmask_b32_e32 v22, v82, v4, vcc_lo
	v_cmp_eq_u32_e64 s0, 0, v20
	v_cmp_eq_u32_e32 vcc_lo, 0, v15
	v_cmp_ne_u32_e64 s14, 0, v20
	v_add_nc_u64_e32 v[2:3], v[2:3], v[72:73]
	v_cmp_ne_u32_e64 s2, 0, v22
	v_cndmask_b32_e64 v4, 1, 2, s0
	v_cmp_eq_u32_e64 s0, 0, v21
	s_delay_alu instid0(VALU_DEP_1) | instskip(SKIP_1) | instid1(VALU_DEP_1)
	v_cndmask_b32_e64 v5, 1, 2, s0
	v_cmp_eq_u32_e64 s0, 0, v7
	v_cndmask_b32_e64 v23, 1, 2, s0
	v_cmp_eq_u32_e64 s0, 0, v9
	s_delay_alu instid0(VALU_DEP_2) | instskip(NEXT) | instid1(VALU_DEP_2)
	v_bitop3_b16 v23, v5, v23, v4 bitop3:0x80
	v_cndmask_b32_e64 v24, 1, 2, s0
	v_cmp_eq_u32_e64 s0, 0, v10
	v_dual_mov_b32 v5, 0 :: v_dual_lshlrev_b32 v4, 3, v6
	v_cmp_ne_u32_e64 s9, 0, v11
	s_delay_alu instid0(VALU_DEP_3) | instskip(SKIP_1) | instid1(VALU_DEP_4)
	v_cndmask_b32_e64 v25, 1, 2, s0
	v_cmp_eq_u32_e64 s0, 0, v11
	v_add_nc_u64_e32 v[4:5], v[2:3], v[4:5]
	s_delay_alu instid0(VALU_DEP_3) | instskip(NEXT) | instid1(VALU_DEP_3)
	v_bitop3_b16 v23, v23, v25, v24 bitop3:0x80
	v_cndmask_b32_e64 v24, 1, 2, s0
	v_cmp_eq_u32_e64 s0, 0, v12
	s_delay_alu instid0(VALU_DEP_4) | instskip(NEXT) | instid1(VALU_DEP_2)
	v_add_nc_u64_e32 v[4:5], -8, v[4:5]
	v_cndmask_b32_e64 v25, 1, 2, s0
	v_cmp_eq_u32_e64 s0, 0, v13
	s_delay_alu instid0(VALU_DEP_2) | instskip(NEXT) | instid1(VALU_DEP_2)
	v_bitop3_b16 v23, v23, v25, v24 bitop3:0x80
	v_cndmask_b32_e64 v24, 1, 2, s0
	v_cmp_eq_u32_e64 s0, 0, v14
	s_delay_alu instid0(VALU_DEP_1) | instskip(SKIP_1) | instid1(VALU_DEP_2)
	v_cndmask_b32_e64 v25, 1, 2, s0
	v_cmp_ne_u32_e64 s0, 0, v18
	v_bitop3_b16 v6, v23, v25, v24 bitop3:0x80
	v_cndmask_b32_e64 v23, 1, 2, vcc_lo
	v_cmp_eq_u32_e32 vcc_lo, 0, v16
	v_cndmask_b32_e64 v24, 1, 2, vcc_lo
	v_cmp_eq_u32_e32 vcc_lo, 0, v17
	s_delay_alu instid0(VALU_DEP_2) | instskip(SKIP_4) | instid1(VALU_DEP_2)
	v_bitop3_b16 v6, v6, v24, v23 bitop3:0x80
	v_cndmask_b32_e64 v7, 1, 2, vcc_lo
	v_cmp_eq_u32_e32 vcc_lo, 0, v22
	v_cndmask_b32_e64 v9, 1, 2, vcc_lo
	v_cmp_eq_u32_e32 vcc_lo, 0, v19
	v_bitop3_b16 v6, v6, v9, v7 bitop3:0x80
	v_cndmask_b32_e64 v7, 1, 2, vcc_lo
	v_cmp_eq_u32_e32 vcc_lo, 0, v18
	v_cndmask_b32_e64 v9, 1, 2, vcc_lo
	v_cmp_gt_u32_e32 vcc_lo, 0x100, v8
	s_delay_alu instid0(VALU_DEP_2) | instskip(NEXT) | instid1(VALU_DEP_1)
	v_bitop3_b16 v6, v6, v9, v7 bitop3:0x80
	v_cmp_gt_i16_e64 s15, 2, v6
	s_cbranch_vccnz .LBB718_119
; %bb.116:
	s_and_b32 vcc_lo, exec_lo, s16
	s_cbranch_vccnz .LBB718_125
.LBB718_117:
	v_cmp_eq_u32_e32 vcc_lo, 0xff, v0
	s_and_b32 s0, vcc_lo, s33
	s_delay_alu instid0(SALU_CYCLE_1)
	s_and_saveexec_b32 s1, s0
	s_cbranch_execnz .LBB718_134
.LBB718_118:
	s_sendmsg sendmsg(MSG_DEALLOC_VGPRS)
	s_endpgm
.LBB718_119:
	s_and_saveexec_b32 s16, s15
	s_cbranch_execz .LBB718_124
; %bb.120:
	s_mov_b32 s17, 0
	s_mov_b32 s15, exec_lo
	v_cmpx_ne_u16_e32 1, v6
	s_xor_b32 s15, exec_lo, s15
	s_cbranch_execnz .LBB718_170
; %bb.121:
	s_and_not1_saveexec_b32 s15, s15
	s_cbranch_execnz .LBB718_186
.LBB718_122:
	s_or_b32 exec_lo, exec_lo, s15
	s_delay_alu instid0(SALU_CYCLE_1)
	s_and_b32 exec_lo, exec_lo, s17
	s_cbranch_execz .LBB718_124
.LBB718_123:
	v_dual_mov_b32 v11, 0 :: v_dual_mov_b32 v10, v37
	v_sub_nc_u32_e32 v7, v36, v1
	v_readfirstlane_b32 s18, v4
	v_readfirstlane_b32 s19, v5
	global_store_b64 v7, v[10:11], s[18:19] scale_offset
.LBB718_124:
	s_wait_xcnt 0x0
	s_or_b32 exec_lo, exec_lo, s16
	s_branch .LBB718_117
.LBB718_125:
	s_mov_b32 s15, exec_lo
	v_cmpx_gt_i16_e32 2, v6
	s_cbranch_execz .LBB718_130
; %bb.126:
	s_mov_b32 s17, 0
	s_mov_b32 s16, exec_lo
	v_cmpx_ne_u16_e32 1, v6
	s_xor_b32 s16, exec_lo, s16
	s_cbranch_execnz .LBB718_187
; %bb.127:
	s_and_not1_saveexec_b32 s0, s16
	s_cbranch_execnz .LBB718_203
.LBB718_128:
	s_or_b32 exec_lo, exec_lo, s0
	s_delay_alu instid0(SALU_CYCLE_1)
	s_and_b32 exec_lo, exec_lo, s17
.LBB718_129:
	v_sub_nc_u32_e32 v1, v36, v1
	s_delay_alu instid0(VALU_DEP_1)
	v_lshlrev_b32_e32 v1, 2, v1
	ds_store_b32 v1, v37
.LBB718_130:
	s_or_b32 exec_lo, exec_lo, s15
	s_delay_alu instid0(SALU_CYCLE_1)
	s_mov_b32 s0, exec_lo
	s_wait_storecnt_dscnt 0x0
	s_barrier_signal -1
	s_barrier_wait -1
	v_cmpx_lt_u32_e64 v0, v8
	s_cbranch_execz .LBB718_133
; %bb.131:
	v_dual_lshlrev_b32 v1, 2, v0 :: v_dual_mov_b32 v7, 0
	v_mov_b32_e32 v9, v0
	s_mov_b32 s1, 0
.LBB718_132:                            ; =>This Inner Loop Header: Depth=1
	ds_load_b32 v6, v1
	v_readfirstlane_b32 s2, v4
	v_readfirstlane_b32 s3, v5
	v_add_nc_u32_e32 v1, 0x400, v1
	s_wait_dscnt 0x0
	global_store_b64 v9, v[6:7], s[2:3] scale_offset
	s_wait_xcnt 0x0
	v_add_nc_u32_e32 v9, 0x100, v9
	s_delay_alu instid0(VALU_DEP_1) | instskip(SKIP_1) | instid1(SALU_CYCLE_1)
	v_cmp_ge_u32_e32 vcc_lo, v9, v8
	s_or_b32 s1, vcc_lo, s1
	s_and_not1_b32 exec_lo, exec_lo, s1
	s_cbranch_execnz .LBB718_132
.LBB718_133:
	s_or_b32 exec_lo, exec_lo, s0
	v_cmp_eq_u32_e32 vcc_lo, 0xff, v0
	s_and_b32 s0, vcc_lo, s33
	s_delay_alu instid0(SALU_CYCLE_1)
	s_and_saveexec_b32 s1, s0
	s_cbranch_execz .LBB718_118
.LBB718_134:
	v_mov_b32_e32 v31, 0
	s_cmp_lg_u32 s35, 0xf00
	s_delay_alu instid0(VALU_DEP_1) | instskip(NEXT) | instid1(VALU_DEP_1)
	v_add_nc_u64_e32 v[0:1], v[30:31], v[32:33]
	v_add_nc_u64_e32 v[0:1], v[0:1], v[68:69]
	global_store_b64 v31, v[0:1], s[24:25]
	s_cbranch_scc1 .LBB718_118
; %bb.135:
	s_wait_xcnt 0x0
	v_lshlrev_b64_e32 v[0:1], 3, v[30:31]
	v_mov_b32_e32 v35, v31
	s_delay_alu instid0(VALU_DEP_2)
	v_add_nc_u64_e32 v[0:1], v[2:3], v[0:1]
	global_store_b64 v[0:1], v[34:35], off offset:-8
	s_sendmsg sendmsg(MSG_DEALLOC_VGPRS)
	s_endpgm
.LBB718_136:
	s_and_saveexec_b32 s17, s14
	s_cbranch_execnz .LBB718_204
; %bb.137:
	s_or_b32 exec_lo, exec_lo, s17
	s_and_saveexec_b32 s17, s13
	s_cbranch_execnz .LBB718_205
.LBB718_138:
	s_or_b32 exec_lo, exec_lo, s17
	s_and_saveexec_b32 s17, s12
	s_cbranch_execnz .LBB718_206
.LBB718_139:
	s_or_b32 exec_lo, exec_lo, s17
	s_and_saveexec_b32 s17, s11
	s_cbranch_execnz .LBB718_207
.LBB718_140:
	s_or_b32 exec_lo, exec_lo, s17
	s_and_saveexec_b32 s17, s10
	s_cbranch_execnz .LBB718_208
.LBB718_141:
	s_or_b32 exec_lo, exec_lo, s17
	s_and_saveexec_b32 s17, s9
	s_cbranch_execnz .LBB718_209
.LBB718_142:
	s_or_b32 exec_lo, exec_lo, s17
	s_and_saveexec_b32 s17, s8
	s_cbranch_execnz .LBB718_210
.LBB718_143:
	s_or_b32 exec_lo, exec_lo, s17
	s_and_saveexec_b32 s17, s7
	s_cbranch_execnz .LBB718_211
.LBB718_144:
	s_or_b32 exec_lo, exec_lo, s17
	s_and_saveexec_b32 s17, s6
	s_cbranch_execnz .LBB718_212
.LBB718_145:
	s_or_b32 exec_lo, exec_lo, s17
	s_and_saveexec_b32 s17, s5
	s_cbranch_execnz .LBB718_213
.LBB718_146:
	s_or_b32 exec_lo, exec_lo, s17
	s_and_saveexec_b32 s17, s4
	s_cbranch_execnz .LBB718_214
.LBB718_147:
	s_or_b32 exec_lo, exec_lo, s17
	s_and_saveexec_b32 s17, s3
	s_cbranch_execnz .LBB718_215
.LBB718_148:
	s_or_b32 exec_lo, exec_lo, s17
	s_and_saveexec_b32 s17, s2
	s_cbranch_execnz .LBB718_216
.LBB718_149:
	s_or_b32 exec_lo, exec_lo, s17
	s_and_saveexec_b32 s17, s1
	s_cbranch_execz .LBB718_151
.LBB718_150:
	v_sub_nc_u32_e32 v35, v44, v32
	v_readfirstlane_b32 s20, v74
	v_readfirstlane_b32 s21, v75
	global_store_b64 v35, v[4:5], s[20:21] scale_offset
.LBB718_151:
	s_wait_xcnt 0x0
	s_or_b32 exec_lo, exec_lo, s17
	s_delay_alu instid0(SALU_CYCLE_1)
	s_and_b32 s17, s0, exec_lo
	s_and_not1_saveexec_b32 s15, s15
	s_cbranch_execz .LBB718_102
.LBB718_152:
	v_dual_sub_nc_u32 v35, v62, v32 :: v_dual_sub_nc_u32 v90, v64, v32
	v_readfirstlane_b32 s20, v74
	v_readfirstlane_b32 s21, v75
	v_dual_sub_nc_u32 v89, v66, v32 :: v_dual_sub_nc_u32 v91, v60, v32
	s_clause 0x2
	global_store_b64 v35, v[26:27], s[20:21] scale_offset
	global_store_b64 v89, v[28:29], s[20:21] scale_offset
	;; [unrolled: 1-line block ×3, first 2 shown]
	s_wait_xcnt 0x2
	v_sub_nc_u32_e32 v35, v56, v32
	s_wait_xcnt 0x1
	v_sub_nc_u32_e32 v89, v52, v32
	;; [unrolled: 2-line block ×3, first 2 shown]
	global_store_b64 v91, v[24:25], s[20:21] scale_offset
	s_wait_xcnt 0x0
	v_sub_nc_u32_e32 v91, v54, v32
	global_store_b64 v35, v[18:19], s[20:21] scale_offset
	s_wait_xcnt 0x0
	v_sub_nc_u32_e32 v35, v58, v32
	s_clause 0x2
	global_store_b64 v89, v[20:21], s[20:21] scale_offset
	global_store_b64 v90, v[14:15], s[20:21] scale_offset
	;; [unrolled: 1-line block ×3, first 2 shown]
	s_wait_xcnt 0x2
	v_sub_nc_u32_e32 v89, v38, v32
	s_wait_xcnt 0x0
	v_sub_nc_u32_e32 v91, v50, v32
	v_sub_nc_u32_e32 v90, v46, v32
	global_store_b64 v35, v[10:11], s[20:21] scale_offset
	s_wait_xcnt 0x0
	v_sub_nc_u32_e32 v35, v40, v32
	global_store_b64 v89, v[12:13], s[20:21] scale_offset
	s_wait_xcnt 0x0
	v_sub_nc_u32_e32 v89, v44, v32
	s_or_b32 s17, s17, exec_lo
	s_clause 0x3
	global_store_b64 v35, v[6:7], s[20:21] scale_offset
	global_store_b64 v90, v[8:9], s[20:21] scale_offset
	;; [unrolled: 1-line block ×4, first 2 shown]
	s_wait_xcnt 0x0
	s_or_b32 exec_lo, exec_lo, s15
	s_delay_alu instid0(SALU_CYCLE_1)
	s_and_b32 exec_lo, exec_lo, s17
	s_cbranch_execnz .LBB718_103
	s_branch .LBB718_104
.LBB718_153:
	s_and_saveexec_b32 s17, s14
	s_cbranch_execnz .LBB718_217
; %bb.154:
	s_or_b32 exec_lo, exec_lo, s17
	s_and_saveexec_b32 s14, s13
	s_cbranch_execnz .LBB718_218
.LBB718_155:
	s_or_b32 exec_lo, exec_lo, s14
	s_and_saveexec_b32 s13, s12
	s_cbranch_execnz .LBB718_219
.LBB718_156:
	s_or_b32 exec_lo, exec_lo, s13
	s_and_saveexec_b32 s12, s11
	s_cbranch_execnz .LBB718_220
.LBB718_157:
	s_or_b32 exec_lo, exec_lo, s12
	s_and_saveexec_b32 s11, s10
	s_cbranch_execnz .LBB718_221
.LBB718_158:
	s_or_b32 exec_lo, exec_lo, s11
	s_and_saveexec_b32 s10, s9
	s_cbranch_execnz .LBB718_222
.LBB718_159:
	s_or_b32 exec_lo, exec_lo, s10
	s_and_saveexec_b32 s9, s8
	s_cbranch_execnz .LBB718_223
.LBB718_160:
	s_or_b32 exec_lo, exec_lo, s9
	s_and_saveexec_b32 s8, s7
	s_cbranch_execnz .LBB718_224
.LBB718_161:
	s_or_b32 exec_lo, exec_lo, s8
	s_and_saveexec_b32 s7, s6
	s_cbranch_execnz .LBB718_225
.LBB718_162:
	s_or_b32 exec_lo, exec_lo, s7
	s_and_saveexec_b32 s6, s5
	s_cbranch_execnz .LBB718_226
.LBB718_163:
	s_or_b32 exec_lo, exec_lo, s6
	s_and_saveexec_b32 s5, s4
	s_cbranch_execnz .LBB718_227
.LBB718_164:
	s_or_b32 exec_lo, exec_lo, s5
	s_and_saveexec_b32 s4, s3
	s_cbranch_execnz .LBB718_228
.LBB718_165:
	s_or_b32 exec_lo, exec_lo, s4
	s_and_saveexec_b32 s3, s2
	s_cbranch_execnz .LBB718_229
.LBB718_166:
	s_or_b32 exec_lo, exec_lo, s3
	s_and_saveexec_b32 s2, s1
.LBB718_167:
	v_sub_nc_u32_e32 v2, v44, v32
	s_delay_alu instid0(VALU_DEP_1)
	v_lshlrev_b32_e32 v2, 3, v2
	ds_store_b64 v2, v[4:5]
.LBB718_168:
	s_or_b32 exec_lo, exec_lo, s2
	s_delay_alu instid0(SALU_CYCLE_1)
	s_and_b32 s17, s0, exec_lo
                                        ; implicit-def: $vgpr2_vgpr3
                                        ; implicit-def: $vgpr6_vgpr7
                                        ; implicit-def: $vgpr10_vgpr11
                                        ; implicit-def: $vgpr14_vgpr15
                                        ; implicit-def: $vgpr18_vgpr19
                                        ; implicit-def: $vgpr22_vgpr23
                                        ; implicit-def: $vgpr26_vgpr27
	s_and_not1_saveexec_b32 s0, s16
	s_cbranch_execz .LBB718_109
.LBB718_169:
	v_dual_sub_nc_u32 v31, v62, v32 :: v_dual_sub_nc_u32 v89, v64, v32
	v_dual_sub_nc_u32 v35, v66, v32 :: v_dual_sub_nc_u32 v90, v60, v32
	s_or_b32 s17, s17, exec_lo
	s_delay_alu instid0(VALU_DEP_2) | instskip(NEXT) | instid1(VALU_DEP_2)
	v_dual_lshlrev_b32 v31, 3, v31 :: v_dual_lshlrev_b32 v89, 3, v89
	v_dual_lshlrev_b32 v35, 3, v35 :: v_dual_lshlrev_b32 v90, 3, v90
	ds_store_b64 v31, v[26:27]
	ds_store_b64 v35, v[28:29]
	;; [unrolled: 1-line block ×3, first 2 shown]
	v_sub_nc_u32_e32 v22, v56, v32
	ds_store_b64 v90, v[24:25]
	v_dual_sub_nc_u32 v25, v54, v32 :: v_dual_sub_nc_u32 v23, v52, v32
	v_dual_sub_nc_u32 v24, v48, v32 :: v_dual_sub_nc_u32 v26, v58, v32
	s_delay_alu instid0(VALU_DEP_2) | instskip(NEXT) | instid1(VALU_DEP_2)
	v_dual_lshlrev_b32 v22, 3, v22 :: v_dual_lshlrev_b32 v25, 3, v25
	v_dual_lshlrev_b32 v23, 3, v23 :: v_dual_lshlrev_b32 v24, 3, v24
	ds_store_b64 v22, v[18:19]
	v_lshlrev_b32_e32 v18, 3, v26
	ds_store_b64 v23, v[20:21]
	ds_store_b64 v24, v[14:15]
	;; [unrolled: 1-line block ×3, first 2 shown]
	v_sub_nc_u32_e32 v14, v38, v32
	v_dual_sub_nc_u32 v15, v50, v32 :: v_dual_sub_nc_u32 v16, v44, v32
	ds_store_b64 v18, v[10:11]
	v_dual_sub_nc_u32 v10, v40, v32 :: v_dual_sub_nc_u32 v11, v46, v32
	v_dual_lshlrev_b32 v14, 3, v14 :: v_dual_lshlrev_b32 v15, 3, v15
	s_delay_alu instid0(VALU_DEP_2)
	v_dual_lshlrev_b32 v10, 3, v10 :: v_dual_lshlrev_b32 v11, 3, v11
	ds_store_b64 v14, v[12:13]
	v_lshlrev_b32_e32 v12, 3, v16
	ds_store_b64 v10, v[6:7]
	ds_store_b64 v11, v[8:9]
	;; [unrolled: 1-line block ×4, first 2 shown]
	s_or_b32 exec_lo, exec_lo, s0
	s_delay_alu instid0(SALU_CYCLE_1)
	s_and_b32 exec_lo, exec_lo, s17
	s_cbranch_execnz .LBB718_110
	s_branch .LBB718_111
.LBB718_170:
	s_and_saveexec_b32 s17, s14
	s_cbranch_execnz .LBB718_230
; %bb.171:
	s_or_b32 exec_lo, exec_lo, s17
	s_and_saveexec_b32 s17, s13
	s_cbranch_execnz .LBB718_231
.LBB718_172:
	s_or_b32 exec_lo, exec_lo, s17
	s_and_saveexec_b32 s17, s12
	s_cbranch_execnz .LBB718_232
.LBB718_173:
	s_or_b32 exec_lo, exec_lo, s17
	s_and_saveexec_b32 s17, s11
	s_cbranch_execnz .LBB718_233
.LBB718_174:
	s_or_b32 exec_lo, exec_lo, s17
	s_and_saveexec_b32 s17, s10
	s_cbranch_execnz .LBB718_234
.LBB718_175:
	s_or_b32 exec_lo, exec_lo, s17
	s_and_saveexec_b32 s17, s9
	s_cbranch_execnz .LBB718_235
.LBB718_176:
	s_or_b32 exec_lo, exec_lo, s17
	s_and_saveexec_b32 s17, s8
	s_cbranch_execnz .LBB718_236
.LBB718_177:
	s_or_b32 exec_lo, exec_lo, s17
	s_and_saveexec_b32 s17, s7
	s_cbranch_execnz .LBB718_237
.LBB718_178:
	s_or_b32 exec_lo, exec_lo, s17
	s_and_saveexec_b32 s17, s6
	s_cbranch_execnz .LBB718_238
.LBB718_179:
	s_or_b32 exec_lo, exec_lo, s17
	s_and_saveexec_b32 s17, s5
	s_cbranch_execnz .LBB718_239
.LBB718_180:
	s_or_b32 exec_lo, exec_lo, s17
	s_and_saveexec_b32 s17, s4
	s_cbranch_execnz .LBB718_240
.LBB718_181:
	s_or_b32 exec_lo, exec_lo, s17
	s_and_saveexec_b32 s17, s3
	s_cbranch_execnz .LBB718_241
.LBB718_182:
	s_or_b32 exec_lo, exec_lo, s17
	s_and_saveexec_b32 s17, s2
	s_cbranch_execnz .LBB718_242
.LBB718_183:
	s_or_b32 exec_lo, exec_lo, s17
	s_and_saveexec_b32 s17, s1
	s_cbranch_execz .LBB718_185
.LBB718_184:
	v_dual_sub_nc_u32 v7, v44, v1 :: v_dual_mov_b32 v11, 0
	v_mov_b32_e32 v10, v45
	v_readfirstlane_b32 s18, v4
	v_readfirstlane_b32 s19, v5
	global_store_b64 v7, v[10:11], s[18:19] scale_offset
.LBB718_185:
	s_wait_xcnt 0x0
	s_or_b32 exec_lo, exec_lo, s17
	s_delay_alu instid0(SALU_CYCLE_1)
	s_and_b32 s17, s0, exec_lo
	s_and_not1_saveexec_b32 s15, s15
	s_cbranch_execz .LBB718_122
.LBB718_186:
	v_dual_mov_b32 v11, 0 :: v_dual_mov_b32 v10, v63
	v_sub_nc_u32_e32 v7, v62, v1
	v_readfirstlane_b32 s18, v4
	v_readfirstlane_b32 s19, v5
	v_sub_nc_u32_e32 v9, v64, v1
	s_or_b32 s17, s17, exec_lo
	global_store_b64 v7, v[10:11], s[18:19] scale_offset
	s_wait_xcnt 0x0
	v_dual_mov_b32 v10, v67 :: v_dual_sub_nc_u32 v7, v66, v1
	global_store_b64 v7, v[10:11], s[18:19] scale_offset
	s_wait_xcnt 0x0
	v_dual_mov_b32 v10, v65 :: v_dual_sub_nc_u32 v7, v60, v1
	;; [unrolled: 3-line block ×12, first 2 shown]
	global_store_b64 v9, v[10:11], s[18:19] scale_offset
	s_wait_xcnt 0x0
	v_mov_b32_e32 v10, v45
	global_store_b64 v7, v[10:11], s[18:19] scale_offset
	s_wait_xcnt 0x0
	s_or_b32 exec_lo, exec_lo, s15
	s_delay_alu instid0(SALU_CYCLE_1)
	s_and_b32 exec_lo, exec_lo, s17
	s_cbranch_execnz .LBB718_123
	s_branch .LBB718_124
.LBB718_187:
	s_and_saveexec_b32 s17, s14
	s_cbranch_execnz .LBB718_243
; %bb.188:
	s_or_b32 exec_lo, exec_lo, s17
	s_and_saveexec_b32 s14, s13
	s_cbranch_execnz .LBB718_244
.LBB718_189:
	s_or_b32 exec_lo, exec_lo, s14
	s_and_saveexec_b32 s13, s12
	s_cbranch_execnz .LBB718_245
.LBB718_190:
	s_or_b32 exec_lo, exec_lo, s13
	s_and_saveexec_b32 s12, s11
	s_cbranch_execnz .LBB718_246
.LBB718_191:
	s_or_b32 exec_lo, exec_lo, s12
	s_and_saveexec_b32 s11, s10
	s_cbranch_execnz .LBB718_247
.LBB718_192:
	s_or_b32 exec_lo, exec_lo, s11
	s_and_saveexec_b32 s10, s9
	s_cbranch_execnz .LBB718_248
.LBB718_193:
	s_or_b32 exec_lo, exec_lo, s10
	s_and_saveexec_b32 s9, s8
	s_cbranch_execnz .LBB718_249
.LBB718_194:
	s_or_b32 exec_lo, exec_lo, s9
	s_and_saveexec_b32 s8, s7
	s_cbranch_execnz .LBB718_250
.LBB718_195:
	s_or_b32 exec_lo, exec_lo, s8
	s_and_saveexec_b32 s7, s6
	s_cbranch_execnz .LBB718_251
.LBB718_196:
	s_or_b32 exec_lo, exec_lo, s7
	s_and_saveexec_b32 s6, s5
	s_cbranch_execnz .LBB718_252
.LBB718_197:
	s_or_b32 exec_lo, exec_lo, s6
	s_and_saveexec_b32 s5, s4
	s_cbranch_execnz .LBB718_253
.LBB718_198:
	s_or_b32 exec_lo, exec_lo, s5
	s_and_saveexec_b32 s4, s3
	s_cbranch_execnz .LBB718_254
.LBB718_199:
	s_or_b32 exec_lo, exec_lo, s4
	s_and_saveexec_b32 s3, s2
	s_cbranch_execnz .LBB718_255
.LBB718_200:
	s_or_b32 exec_lo, exec_lo, s3
	s_and_saveexec_b32 s2, s1
.LBB718_201:
	v_sub_nc_u32_e32 v6, v44, v1
	s_delay_alu instid0(VALU_DEP_1)
	v_lshlrev_b32_e32 v6, 2, v6
	ds_store_b32 v6, v45
.LBB718_202:
	s_or_b32 exec_lo, exec_lo, s2
	s_delay_alu instid0(SALU_CYCLE_1)
	s_and_b32 s17, s0, exec_lo
                                        ; implicit-def: $vgpr44_vgpr45
                                        ; implicit-def: $vgpr50_vgpr51
                                        ; implicit-def: $vgpr46_vgpr47
                                        ; implicit-def: $vgpr62_vgpr63
                                        ; implicit-def: $vgpr66_vgpr67
                                        ; implicit-def: $vgpr64_vgpr65
                                        ; implicit-def: $vgpr60_vgpr61
                                        ; implicit-def: $vgpr56_vgpr57
                                        ; implicit-def: $vgpr52_vgpr53
                                        ; implicit-def: $vgpr48_vgpr49
                                        ; implicit-def: $vgpr54_vgpr55
                                        ; implicit-def: $vgpr58_vgpr59
                                        ; implicit-def: $vgpr38_vgpr39
                                        ; implicit-def: $vgpr40_vgpr41
	s_and_not1_saveexec_b32 s0, s16
	s_cbranch_execz .LBB718_128
.LBB718_203:
	v_dual_sub_nc_u32 v6, v62, v1 :: v_dual_sub_nc_u32 v9, v64, v1
	v_dual_sub_nc_u32 v7, v66, v1 :: v_dual_sub_nc_u32 v10, v60, v1
	s_or_b32 s17, s17, exec_lo
	s_delay_alu instid0(VALU_DEP_2) | instskip(NEXT) | instid1(VALU_DEP_2)
	v_dual_lshlrev_b32 v6, 2, v6 :: v_dual_lshlrev_b32 v9, 2, v9
	v_dual_lshlrev_b32 v7, 2, v7 :: v_dual_lshlrev_b32 v10, 2, v10
	ds_store_b32 v6, v63
	ds_store_b32 v7, v67
	;; [unrolled: 1-line block ×3, first 2 shown]
	v_sub_nc_u32_e32 v6, v56, v1
	ds_store_b32 v10, v61
	v_dual_sub_nc_u32 v10, v54, v1 :: v_dual_sub_nc_u32 v7, v52, v1
	v_dual_sub_nc_u32 v9, v48, v1 :: v_dual_sub_nc_u32 v11, v58, v1
	v_lshlrev_b32_e32 v6, 2, v6
	s_delay_alu instid0(VALU_DEP_3) | instskip(NEXT) | instid1(VALU_DEP_3)
	v_dual_lshlrev_b32 v10, 2, v10 :: v_dual_lshlrev_b32 v7, 2, v7
	v_lshlrev_b32_e32 v9, 2, v9
	ds_store_b32 v6, v57
	v_lshlrev_b32_e32 v6, 2, v11
	ds_store_b32 v7, v53
	ds_store_b32 v9, v49
	;; [unrolled: 1-line block ×3, first 2 shown]
	v_sub_nc_u32_e32 v7, v38, v1
	v_dual_sub_nc_u32 v10, v50, v1 :: v_dual_sub_nc_u32 v11, v44, v1
	ds_store_b32 v6, v59
	v_dual_sub_nc_u32 v6, v40, v1 :: v_dual_sub_nc_u32 v9, v46, v1
	v_dual_lshlrev_b32 v7, 2, v7 :: v_dual_lshlrev_b32 v10, 2, v10
	s_delay_alu instid0(VALU_DEP_2)
	v_dual_lshlrev_b32 v6, 2, v6 :: v_dual_lshlrev_b32 v9, 2, v9
	ds_store_b32 v7, v39
	v_lshlrev_b32_e32 v7, 2, v11
	ds_store_b32 v6, v41
	ds_store_b32 v9, v47
	;; [unrolled: 1-line block ×4, first 2 shown]
	s_or_b32 exec_lo, exec_lo, s0
	s_delay_alu instid0(SALU_CYCLE_1)
	s_and_b32 exec_lo, exec_lo, s17
	s_cbranch_execnz .LBB718_129
	s_branch .LBB718_130
.LBB718_204:
	v_sub_nc_u32_e32 v35, v62, v32
	v_readfirstlane_b32 s20, v74
	v_readfirstlane_b32 s21, v75
	global_store_b64 v35, v[26:27], s[20:21] scale_offset
	s_wait_xcnt 0x0
	s_or_b32 exec_lo, exec_lo, s17
	s_and_saveexec_b32 s17, s13
	s_cbranch_execz .LBB718_138
.LBB718_205:
	v_sub_nc_u32_e32 v35, v66, v32
	v_readfirstlane_b32 s20, v74
	v_readfirstlane_b32 s21, v75
	global_store_b64 v35, v[28:29], s[20:21] scale_offset
	s_wait_xcnt 0x0
	s_or_b32 exec_lo, exec_lo, s17
	s_and_saveexec_b32 s17, s12
	s_cbranch_execz .LBB718_139
.LBB718_206:
	v_sub_nc_u32_e32 v35, v64, v32
	v_readfirstlane_b32 s20, v74
	v_readfirstlane_b32 s21, v75
	global_store_b64 v35, v[22:23], s[20:21] scale_offset
	s_wait_xcnt 0x0
	s_or_b32 exec_lo, exec_lo, s17
	s_and_saveexec_b32 s17, s11
	s_cbranch_execz .LBB718_140
.LBB718_207:
	v_sub_nc_u32_e32 v35, v60, v32
	v_readfirstlane_b32 s20, v74
	v_readfirstlane_b32 s21, v75
	global_store_b64 v35, v[24:25], s[20:21] scale_offset
	s_wait_xcnt 0x0
	s_or_b32 exec_lo, exec_lo, s17
	s_and_saveexec_b32 s17, s10
	s_cbranch_execz .LBB718_141
.LBB718_208:
	v_sub_nc_u32_e32 v35, v56, v32
	v_readfirstlane_b32 s20, v74
	v_readfirstlane_b32 s21, v75
	global_store_b64 v35, v[18:19], s[20:21] scale_offset
	s_wait_xcnt 0x0
	s_or_b32 exec_lo, exec_lo, s17
	s_and_saveexec_b32 s17, s9
	s_cbranch_execz .LBB718_142
.LBB718_209:
	v_sub_nc_u32_e32 v35, v52, v32
	v_readfirstlane_b32 s20, v74
	v_readfirstlane_b32 s21, v75
	global_store_b64 v35, v[20:21], s[20:21] scale_offset
	s_wait_xcnt 0x0
	s_or_b32 exec_lo, exec_lo, s17
	s_and_saveexec_b32 s17, s8
	s_cbranch_execz .LBB718_143
.LBB718_210:
	v_sub_nc_u32_e32 v35, v48, v32
	v_readfirstlane_b32 s20, v74
	v_readfirstlane_b32 s21, v75
	global_store_b64 v35, v[14:15], s[20:21] scale_offset
	s_wait_xcnt 0x0
	s_or_b32 exec_lo, exec_lo, s17
	s_and_saveexec_b32 s17, s7
	s_cbranch_execz .LBB718_144
.LBB718_211:
	v_sub_nc_u32_e32 v35, v54, v32
	v_readfirstlane_b32 s20, v74
	v_readfirstlane_b32 s21, v75
	global_store_b64 v35, v[16:17], s[20:21] scale_offset
	s_wait_xcnt 0x0
	s_or_b32 exec_lo, exec_lo, s17
	s_and_saveexec_b32 s17, s6
	s_cbranch_execz .LBB718_145
.LBB718_212:
	v_sub_nc_u32_e32 v35, v58, v32
	v_readfirstlane_b32 s20, v74
	v_readfirstlane_b32 s21, v75
	global_store_b64 v35, v[10:11], s[20:21] scale_offset
	s_wait_xcnt 0x0
	s_or_b32 exec_lo, exec_lo, s17
	s_and_saveexec_b32 s17, s5
	s_cbranch_execz .LBB718_146
.LBB718_213:
	v_sub_nc_u32_e32 v35, v38, v32
	v_readfirstlane_b32 s20, v74
	v_readfirstlane_b32 s21, v75
	global_store_b64 v35, v[12:13], s[20:21] scale_offset
	s_wait_xcnt 0x0
	s_or_b32 exec_lo, exec_lo, s17
	s_and_saveexec_b32 s17, s4
	s_cbranch_execz .LBB718_147
.LBB718_214:
	v_sub_nc_u32_e32 v35, v40, v32
	v_readfirstlane_b32 s20, v74
	v_readfirstlane_b32 s21, v75
	global_store_b64 v35, v[6:7], s[20:21] scale_offset
	s_wait_xcnt 0x0
	s_or_b32 exec_lo, exec_lo, s17
	s_and_saveexec_b32 s17, s3
	s_cbranch_execz .LBB718_148
.LBB718_215:
	v_sub_nc_u32_e32 v35, v46, v32
	v_readfirstlane_b32 s20, v74
	v_readfirstlane_b32 s21, v75
	global_store_b64 v35, v[8:9], s[20:21] scale_offset
	s_wait_xcnt 0x0
	s_or_b32 exec_lo, exec_lo, s17
	s_and_saveexec_b32 s17, s2
	s_cbranch_execz .LBB718_149
.LBB718_216:
	v_sub_nc_u32_e32 v35, v50, v32
	v_readfirstlane_b32 s20, v74
	v_readfirstlane_b32 s21, v75
	global_store_b64 v35, v[2:3], s[20:21] scale_offset
	s_wait_xcnt 0x0
	s_or_b32 exec_lo, exec_lo, s17
	s_and_saveexec_b32 s17, s1
	s_cbranch_execnz .LBB718_150
	s_branch .LBB718_151
.LBB718_217:
	v_sub_nc_u32_e32 v31, v62, v32
	s_delay_alu instid0(VALU_DEP_1)
	v_lshlrev_b32_e32 v31, 3, v31
	ds_store_b64 v31, v[26:27]
	s_or_b32 exec_lo, exec_lo, s17
	s_and_saveexec_b32 s14, s13
	s_cbranch_execz .LBB718_155
.LBB718_218:
	v_sub_nc_u32_e32 v26, v66, v32
	s_delay_alu instid0(VALU_DEP_1)
	v_lshlrev_b32_e32 v26, 3, v26
	ds_store_b64 v26, v[28:29]
	s_or_b32 exec_lo, exec_lo, s14
	s_and_saveexec_b32 s13, s12
	s_cbranch_execz .LBB718_156
.LBB718_219:
	v_sub_nc_u32_e32 v26, v64, v32
	s_delay_alu instid0(VALU_DEP_1)
	v_lshlrev_b32_e32 v26, 3, v26
	ds_store_b64 v26, v[22:23]
	s_or_b32 exec_lo, exec_lo, s13
	s_and_saveexec_b32 s12, s11
	s_cbranch_execz .LBB718_157
.LBB718_220:
	v_sub_nc_u32_e32 v22, v60, v32
	s_delay_alu instid0(VALU_DEP_1)
	v_lshlrev_b32_e32 v22, 3, v22
	ds_store_b64 v22, v[24:25]
	s_or_b32 exec_lo, exec_lo, s12
	s_and_saveexec_b32 s11, s10
	s_cbranch_execz .LBB718_158
.LBB718_221:
	v_sub_nc_u32_e32 v22, v56, v32
	s_delay_alu instid0(VALU_DEP_1)
	v_lshlrev_b32_e32 v22, 3, v22
	ds_store_b64 v22, v[18:19]
	s_or_b32 exec_lo, exec_lo, s11
	s_and_saveexec_b32 s10, s9
	s_cbranch_execz .LBB718_159
.LBB718_222:
	v_sub_nc_u32_e32 v18, v52, v32
	s_delay_alu instid0(VALU_DEP_1)
	v_lshlrev_b32_e32 v18, 3, v18
	ds_store_b64 v18, v[20:21]
	s_or_b32 exec_lo, exec_lo, s10
	s_and_saveexec_b32 s9, s8
	s_cbranch_execz .LBB718_160
.LBB718_223:
	v_sub_nc_u32_e32 v18, v48, v32
	s_delay_alu instid0(VALU_DEP_1)
	v_lshlrev_b32_e32 v18, 3, v18
	ds_store_b64 v18, v[14:15]
	s_or_b32 exec_lo, exec_lo, s9
	s_and_saveexec_b32 s8, s7
	s_cbranch_execz .LBB718_161
.LBB718_224:
	v_sub_nc_u32_e32 v14, v54, v32
	s_delay_alu instid0(VALU_DEP_1)
	v_lshlrev_b32_e32 v14, 3, v14
	ds_store_b64 v14, v[16:17]
	s_or_b32 exec_lo, exec_lo, s8
	s_and_saveexec_b32 s7, s6
	s_cbranch_execz .LBB718_162
.LBB718_225:
	v_sub_nc_u32_e32 v14, v58, v32
	s_delay_alu instid0(VALU_DEP_1)
	v_lshlrev_b32_e32 v14, 3, v14
	ds_store_b64 v14, v[10:11]
	s_or_b32 exec_lo, exec_lo, s7
	s_and_saveexec_b32 s6, s5
	s_cbranch_execz .LBB718_163
.LBB718_226:
	v_sub_nc_u32_e32 v10, v38, v32
	s_delay_alu instid0(VALU_DEP_1)
	v_lshlrev_b32_e32 v10, 3, v10
	ds_store_b64 v10, v[12:13]
	s_or_b32 exec_lo, exec_lo, s6
	s_and_saveexec_b32 s5, s4
	s_cbranch_execz .LBB718_164
.LBB718_227:
	v_sub_nc_u32_e32 v10, v40, v32
	s_delay_alu instid0(VALU_DEP_1)
	v_lshlrev_b32_e32 v10, 3, v10
	ds_store_b64 v10, v[6:7]
	s_or_b32 exec_lo, exec_lo, s5
	s_and_saveexec_b32 s4, s3
	s_cbranch_execz .LBB718_165
.LBB718_228:
	v_sub_nc_u32_e32 v6, v46, v32
	s_delay_alu instid0(VALU_DEP_1)
	v_lshlrev_b32_e32 v6, 3, v6
	ds_store_b64 v6, v[8:9]
	s_or_b32 exec_lo, exec_lo, s4
	s_and_saveexec_b32 s3, s2
	s_cbranch_execz .LBB718_166
.LBB718_229:
	v_sub_nc_u32_e32 v6, v50, v32
	s_delay_alu instid0(VALU_DEP_1)
	v_lshlrev_b32_e32 v6, 3, v6
	ds_store_b64 v6, v[2:3]
	s_or_b32 exec_lo, exec_lo, s3
	s_and_saveexec_b32 s2, s1
	s_cbranch_execnz .LBB718_167
	s_branch .LBB718_168
.LBB718_230:
	v_dual_sub_nc_u32 v7, v62, v1 :: v_dual_mov_b32 v11, 0
	v_mov_b32_e32 v10, v63
	v_readfirstlane_b32 s18, v4
	v_readfirstlane_b32 s19, v5
	global_store_b64 v7, v[10:11], s[18:19] scale_offset
	s_wait_xcnt 0x0
	s_or_b32 exec_lo, exec_lo, s17
	s_and_saveexec_b32 s17, s13
	s_cbranch_execz .LBB718_172
.LBB718_231:
	v_dual_sub_nc_u32 v7, v66, v1 :: v_dual_mov_b32 v11, 0
	v_mov_b32_e32 v10, v67
	v_readfirstlane_b32 s18, v4
	v_readfirstlane_b32 s19, v5
	global_store_b64 v7, v[10:11], s[18:19] scale_offset
	s_wait_xcnt 0x0
	s_or_b32 exec_lo, exec_lo, s17
	s_and_saveexec_b32 s17, s12
	s_cbranch_execz .LBB718_173
.LBB718_232:
	v_dual_sub_nc_u32 v7, v64, v1 :: v_dual_mov_b32 v11, 0
	v_mov_b32_e32 v10, v65
	v_readfirstlane_b32 s18, v4
	v_readfirstlane_b32 s19, v5
	global_store_b64 v7, v[10:11], s[18:19] scale_offset
	s_wait_xcnt 0x0
	s_or_b32 exec_lo, exec_lo, s17
	s_and_saveexec_b32 s17, s11
	s_cbranch_execz .LBB718_174
.LBB718_233:
	v_dual_sub_nc_u32 v7, v60, v1 :: v_dual_mov_b32 v11, 0
	v_mov_b32_e32 v10, v61
	v_readfirstlane_b32 s18, v4
	v_readfirstlane_b32 s19, v5
	global_store_b64 v7, v[10:11], s[18:19] scale_offset
	s_wait_xcnt 0x0
	s_or_b32 exec_lo, exec_lo, s17
	s_and_saveexec_b32 s17, s10
	s_cbranch_execz .LBB718_175
.LBB718_234:
	v_dual_sub_nc_u32 v7, v56, v1 :: v_dual_mov_b32 v11, 0
	v_mov_b32_e32 v10, v57
	v_readfirstlane_b32 s18, v4
	v_readfirstlane_b32 s19, v5
	global_store_b64 v7, v[10:11], s[18:19] scale_offset
	s_wait_xcnt 0x0
	s_or_b32 exec_lo, exec_lo, s17
	s_and_saveexec_b32 s17, s9
	s_cbranch_execz .LBB718_176
.LBB718_235:
	v_dual_sub_nc_u32 v7, v52, v1 :: v_dual_mov_b32 v11, 0
	v_mov_b32_e32 v10, v53
	v_readfirstlane_b32 s18, v4
	v_readfirstlane_b32 s19, v5
	global_store_b64 v7, v[10:11], s[18:19] scale_offset
	s_wait_xcnt 0x0
	s_or_b32 exec_lo, exec_lo, s17
	s_and_saveexec_b32 s17, s8
	s_cbranch_execz .LBB718_177
.LBB718_236:
	v_dual_sub_nc_u32 v7, v48, v1 :: v_dual_mov_b32 v11, 0
	v_mov_b32_e32 v10, v49
	v_readfirstlane_b32 s18, v4
	v_readfirstlane_b32 s19, v5
	global_store_b64 v7, v[10:11], s[18:19] scale_offset
	s_wait_xcnt 0x0
	s_or_b32 exec_lo, exec_lo, s17
	s_and_saveexec_b32 s17, s7
	s_cbranch_execz .LBB718_178
.LBB718_237:
	v_dual_sub_nc_u32 v7, v54, v1 :: v_dual_mov_b32 v11, 0
	v_mov_b32_e32 v10, v55
	v_readfirstlane_b32 s18, v4
	v_readfirstlane_b32 s19, v5
	global_store_b64 v7, v[10:11], s[18:19] scale_offset
	s_wait_xcnt 0x0
	s_or_b32 exec_lo, exec_lo, s17
	s_and_saveexec_b32 s17, s6
	s_cbranch_execz .LBB718_179
.LBB718_238:
	v_dual_sub_nc_u32 v7, v58, v1 :: v_dual_mov_b32 v11, 0
	v_mov_b32_e32 v10, v59
	v_readfirstlane_b32 s18, v4
	v_readfirstlane_b32 s19, v5
	global_store_b64 v7, v[10:11], s[18:19] scale_offset
	s_wait_xcnt 0x0
	s_or_b32 exec_lo, exec_lo, s17
	s_and_saveexec_b32 s17, s5
	s_cbranch_execz .LBB718_180
.LBB718_239:
	v_dual_sub_nc_u32 v7, v38, v1 :: v_dual_mov_b32 v11, 0
	v_mov_b32_e32 v10, v39
	v_readfirstlane_b32 s18, v4
	v_readfirstlane_b32 s19, v5
	global_store_b64 v7, v[10:11], s[18:19] scale_offset
	s_wait_xcnt 0x0
	s_or_b32 exec_lo, exec_lo, s17
	s_and_saveexec_b32 s17, s4
	s_cbranch_execz .LBB718_181
.LBB718_240:
	v_dual_sub_nc_u32 v7, v40, v1 :: v_dual_mov_b32 v11, 0
	v_mov_b32_e32 v10, v41
	v_readfirstlane_b32 s18, v4
	v_readfirstlane_b32 s19, v5
	global_store_b64 v7, v[10:11], s[18:19] scale_offset
	s_wait_xcnt 0x0
	s_or_b32 exec_lo, exec_lo, s17
	s_and_saveexec_b32 s17, s3
	s_cbranch_execz .LBB718_182
.LBB718_241:
	v_dual_sub_nc_u32 v7, v46, v1 :: v_dual_mov_b32 v11, 0
	v_mov_b32_e32 v10, v47
	v_readfirstlane_b32 s18, v4
	v_readfirstlane_b32 s19, v5
	global_store_b64 v7, v[10:11], s[18:19] scale_offset
	s_wait_xcnt 0x0
	s_or_b32 exec_lo, exec_lo, s17
	s_and_saveexec_b32 s17, s2
	s_cbranch_execz .LBB718_183
.LBB718_242:
	v_dual_sub_nc_u32 v7, v50, v1 :: v_dual_mov_b32 v11, 0
	v_mov_b32_e32 v10, v51
	v_readfirstlane_b32 s18, v4
	v_readfirstlane_b32 s19, v5
	global_store_b64 v7, v[10:11], s[18:19] scale_offset
	s_wait_xcnt 0x0
	s_or_b32 exec_lo, exec_lo, s17
	s_and_saveexec_b32 s17, s1
	s_cbranch_execnz .LBB718_184
	s_branch .LBB718_185
.LBB718_243:
	v_sub_nc_u32_e32 v6, v62, v1
	s_delay_alu instid0(VALU_DEP_1)
	v_lshlrev_b32_e32 v6, 2, v6
	ds_store_b32 v6, v63
	s_or_b32 exec_lo, exec_lo, s17
	s_and_saveexec_b32 s14, s13
	s_cbranch_execz .LBB718_189
.LBB718_244:
	v_sub_nc_u32_e32 v6, v66, v1
	s_delay_alu instid0(VALU_DEP_1)
	v_lshlrev_b32_e32 v6, 2, v6
	ds_store_b32 v6, v67
	s_or_b32 exec_lo, exec_lo, s14
	s_and_saveexec_b32 s13, s12
	s_cbranch_execz .LBB718_190
.LBB718_245:
	v_sub_nc_u32_e32 v6, v64, v1
	s_delay_alu instid0(VALU_DEP_1)
	v_lshlrev_b32_e32 v6, 2, v6
	ds_store_b32 v6, v65
	s_or_b32 exec_lo, exec_lo, s13
	s_and_saveexec_b32 s12, s11
	s_cbranch_execz .LBB718_191
.LBB718_246:
	v_sub_nc_u32_e32 v6, v60, v1
	s_delay_alu instid0(VALU_DEP_1)
	v_lshlrev_b32_e32 v6, 2, v6
	ds_store_b32 v6, v61
	s_or_b32 exec_lo, exec_lo, s12
	s_and_saveexec_b32 s11, s10
	s_cbranch_execz .LBB718_192
.LBB718_247:
	v_sub_nc_u32_e32 v6, v56, v1
	s_delay_alu instid0(VALU_DEP_1)
	v_lshlrev_b32_e32 v6, 2, v6
	ds_store_b32 v6, v57
	s_or_b32 exec_lo, exec_lo, s11
	s_and_saveexec_b32 s10, s9
	s_cbranch_execz .LBB718_193
.LBB718_248:
	v_sub_nc_u32_e32 v6, v52, v1
	s_delay_alu instid0(VALU_DEP_1)
	v_lshlrev_b32_e32 v6, 2, v6
	ds_store_b32 v6, v53
	s_or_b32 exec_lo, exec_lo, s10
	s_and_saveexec_b32 s9, s8
	s_cbranch_execz .LBB718_194
.LBB718_249:
	v_sub_nc_u32_e32 v6, v48, v1
	s_delay_alu instid0(VALU_DEP_1)
	v_lshlrev_b32_e32 v6, 2, v6
	ds_store_b32 v6, v49
	s_or_b32 exec_lo, exec_lo, s9
	s_and_saveexec_b32 s8, s7
	s_cbranch_execz .LBB718_195
.LBB718_250:
	v_sub_nc_u32_e32 v6, v54, v1
	s_delay_alu instid0(VALU_DEP_1)
	v_lshlrev_b32_e32 v6, 2, v6
	ds_store_b32 v6, v55
	s_or_b32 exec_lo, exec_lo, s8
	s_and_saveexec_b32 s7, s6
	s_cbranch_execz .LBB718_196
.LBB718_251:
	v_sub_nc_u32_e32 v6, v58, v1
	s_delay_alu instid0(VALU_DEP_1)
	v_lshlrev_b32_e32 v6, 2, v6
	ds_store_b32 v6, v59
	s_or_b32 exec_lo, exec_lo, s7
	s_and_saveexec_b32 s6, s5
	s_cbranch_execz .LBB718_197
.LBB718_252:
	v_sub_nc_u32_e32 v6, v38, v1
	s_delay_alu instid0(VALU_DEP_1)
	v_lshlrev_b32_e32 v6, 2, v6
	ds_store_b32 v6, v39
	s_or_b32 exec_lo, exec_lo, s6
	s_and_saveexec_b32 s5, s4
	s_cbranch_execz .LBB718_198
.LBB718_253:
	v_sub_nc_u32_e32 v6, v40, v1
	s_delay_alu instid0(VALU_DEP_1)
	v_lshlrev_b32_e32 v6, 2, v6
	ds_store_b32 v6, v41
	s_or_b32 exec_lo, exec_lo, s5
	s_and_saveexec_b32 s4, s3
	s_cbranch_execz .LBB718_199
.LBB718_254:
	v_sub_nc_u32_e32 v6, v46, v1
	s_delay_alu instid0(VALU_DEP_1)
	v_lshlrev_b32_e32 v6, 2, v6
	ds_store_b32 v6, v47
	s_or_b32 exec_lo, exec_lo, s4
	s_and_saveexec_b32 s3, s2
	s_cbranch_execz .LBB718_200
.LBB718_255:
	v_sub_nc_u32_e32 v6, v50, v1
	s_delay_alu instid0(VALU_DEP_1)
	v_lshlrev_b32_e32 v6, 2, v6
	ds_store_b32 v6, v51
	s_or_b32 exec_lo, exec_lo, s3
	s_and_saveexec_b32 s2, s1
	s_cbranch_execnz .LBB718_201
	s_branch .LBB718_202
	.section	.rodata,"a",@progbits
	.p2align	6, 0x0
	.amdhsa_kernel _ZN7rocprim17ROCPRIM_400000_NS6detail17trampoline_kernelINS0_14default_configENS1_33run_length_encode_config_selectorImjNS0_4plusIjEEEEZZNS1_33reduce_by_key_impl_wrapped_configILNS1_25lookback_scan_determinismE0ES3_S7_PKmNS0_17constant_iteratorIjlEEPmPlSF_S6_NS0_8equal_toImEEEE10hipError_tPvRmT2_T3_mT4_T5_T6_T7_T8_P12ihipStream_tbENKUlT_T0_E_clISt17integral_constantIbLb0EESZ_EEDaSU_SV_EUlSU_E_NS1_11comp_targetILNS1_3genE0ELNS1_11target_archE4294967295ELNS1_3gpuE0ELNS1_3repE0EEENS1_30default_config_static_selectorELNS0_4arch9wavefront6targetE0EEEvT1_
		.amdhsa_group_segment_fixed_size 30720
		.amdhsa_private_segment_fixed_size 0
		.amdhsa_kernarg_size 128
		.amdhsa_user_sgpr_count 2
		.amdhsa_user_sgpr_dispatch_ptr 0
		.amdhsa_user_sgpr_queue_ptr 0
		.amdhsa_user_sgpr_kernarg_segment_ptr 1
		.amdhsa_user_sgpr_dispatch_id 0
		.amdhsa_user_sgpr_kernarg_preload_length 0
		.amdhsa_user_sgpr_kernarg_preload_offset 0
		.amdhsa_user_sgpr_private_segment_size 0
		.amdhsa_wavefront_size32 1
		.amdhsa_uses_dynamic_stack 0
		.amdhsa_enable_private_segment 0
		.amdhsa_system_sgpr_workgroup_id_x 1
		.amdhsa_system_sgpr_workgroup_id_y 0
		.amdhsa_system_sgpr_workgroup_id_z 0
		.amdhsa_system_sgpr_workgroup_info 0
		.amdhsa_system_vgpr_workitem_id 0
		.amdhsa_next_free_vgpr 101
		.amdhsa_next_free_sgpr 40
		.amdhsa_named_barrier_count 0
		.amdhsa_reserve_vcc 1
		.amdhsa_float_round_mode_32 0
		.amdhsa_float_round_mode_16_64 0
		.amdhsa_float_denorm_mode_32 3
		.amdhsa_float_denorm_mode_16_64 3
		.amdhsa_fp16_overflow 0
		.amdhsa_memory_ordered 1
		.amdhsa_forward_progress 1
		.amdhsa_inst_pref_size 116
		.amdhsa_round_robin_scheduling 0
		.amdhsa_exception_fp_ieee_invalid_op 0
		.amdhsa_exception_fp_denorm_src 0
		.amdhsa_exception_fp_ieee_div_zero 0
		.amdhsa_exception_fp_ieee_overflow 0
		.amdhsa_exception_fp_ieee_underflow 0
		.amdhsa_exception_fp_ieee_inexact 0
		.amdhsa_exception_int_div_zero 0
	.end_amdhsa_kernel
	.section	.text._ZN7rocprim17ROCPRIM_400000_NS6detail17trampoline_kernelINS0_14default_configENS1_33run_length_encode_config_selectorImjNS0_4plusIjEEEEZZNS1_33reduce_by_key_impl_wrapped_configILNS1_25lookback_scan_determinismE0ES3_S7_PKmNS0_17constant_iteratorIjlEEPmPlSF_S6_NS0_8equal_toImEEEE10hipError_tPvRmT2_T3_mT4_T5_T6_T7_T8_P12ihipStream_tbENKUlT_T0_E_clISt17integral_constantIbLb0EESZ_EEDaSU_SV_EUlSU_E_NS1_11comp_targetILNS1_3genE0ELNS1_11target_archE4294967295ELNS1_3gpuE0ELNS1_3repE0EEENS1_30default_config_static_selectorELNS0_4arch9wavefront6targetE0EEEvT1_,"axG",@progbits,_ZN7rocprim17ROCPRIM_400000_NS6detail17trampoline_kernelINS0_14default_configENS1_33run_length_encode_config_selectorImjNS0_4plusIjEEEEZZNS1_33reduce_by_key_impl_wrapped_configILNS1_25lookback_scan_determinismE0ES3_S7_PKmNS0_17constant_iteratorIjlEEPmPlSF_S6_NS0_8equal_toImEEEE10hipError_tPvRmT2_T3_mT4_T5_T6_T7_T8_P12ihipStream_tbENKUlT_T0_E_clISt17integral_constantIbLb0EESZ_EEDaSU_SV_EUlSU_E_NS1_11comp_targetILNS1_3genE0ELNS1_11target_archE4294967295ELNS1_3gpuE0ELNS1_3repE0EEENS1_30default_config_static_selectorELNS0_4arch9wavefront6targetE0EEEvT1_,comdat
.Lfunc_end718:
	.size	_ZN7rocprim17ROCPRIM_400000_NS6detail17trampoline_kernelINS0_14default_configENS1_33run_length_encode_config_selectorImjNS0_4plusIjEEEEZZNS1_33reduce_by_key_impl_wrapped_configILNS1_25lookback_scan_determinismE0ES3_S7_PKmNS0_17constant_iteratorIjlEEPmPlSF_S6_NS0_8equal_toImEEEE10hipError_tPvRmT2_T3_mT4_T5_T6_T7_T8_P12ihipStream_tbENKUlT_T0_E_clISt17integral_constantIbLb0EESZ_EEDaSU_SV_EUlSU_E_NS1_11comp_targetILNS1_3genE0ELNS1_11target_archE4294967295ELNS1_3gpuE0ELNS1_3repE0EEENS1_30default_config_static_selectorELNS0_4arch9wavefront6targetE0EEEvT1_, .Lfunc_end718-_ZN7rocprim17ROCPRIM_400000_NS6detail17trampoline_kernelINS0_14default_configENS1_33run_length_encode_config_selectorImjNS0_4plusIjEEEEZZNS1_33reduce_by_key_impl_wrapped_configILNS1_25lookback_scan_determinismE0ES3_S7_PKmNS0_17constant_iteratorIjlEEPmPlSF_S6_NS0_8equal_toImEEEE10hipError_tPvRmT2_T3_mT4_T5_T6_T7_T8_P12ihipStream_tbENKUlT_T0_E_clISt17integral_constantIbLb0EESZ_EEDaSU_SV_EUlSU_E_NS1_11comp_targetILNS1_3genE0ELNS1_11target_archE4294967295ELNS1_3gpuE0ELNS1_3repE0EEENS1_30default_config_static_selectorELNS0_4arch9wavefront6targetE0EEEvT1_
                                        ; -- End function
	.set _ZN7rocprim17ROCPRIM_400000_NS6detail17trampoline_kernelINS0_14default_configENS1_33run_length_encode_config_selectorImjNS0_4plusIjEEEEZZNS1_33reduce_by_key_impl_wrapped_configILNS1_25lookback_scan_determinismE0ES3_S7_PKmNS0_17constant_iteratorIjlEEPmPlSF_S6_NS0_8equal_toImEEEE10hipError_tPvRmT2_T3_mT4_T5_T6_T7_T8_P12ihipStream_tbENKUlT_T0_E_clISt17integral_constantIbLb0EESZ_EEDaSU_SV_EUlSU_E_NS1_11comp_targetILNS1_3genE0ELNS1_11target_archE4294967295ELNS1_3gpuE0ELNS1_3repE0EEENS1_30default_config_static_selectorELNS0_4arch9wavefront6targetE0EEEvT1_.num_vgpr, 101
	.set _ZN7rocprim17ROCPRIM_400000_NS6detail17trampoline_kernelINS0_14default_configENS1_33run_length_encode_config_selectorImjNS0_4plusIjEEEEZZNS1_33reduce_by_key_impl_wrapped_configILNS1_25lookback_scan_determinismE0ES3_S7_PKmNS0_17constant_iteratorIjlEEPmPlSF_S6_NS0_8equal_toImEEEE10hipError_tPvRmT2_T3_mT4_T5_T6_T7_T8_P12ihipStream_tbENKUlT_T0_E_clISt17integral_constantIbLb0EESZ_EEDaSU_SV_EUlSU_E_NS1_11comp_targetILNS1_3genE0ELNS1_11target_archE4294967295ELNS1_3gpuE0ELNS1_3repE0EEENS1_30default_config_static_selectorELNS0_4arch9wavefront6targetE0EEEvT1_.num_agpr, 0
	.set _ZN7rocprim17ROCPRIM_400000_NS6detail17trampoline_kernelINS0_14default_configENS1_33run_length_encode_config_selectorImjNS0_4plusIjEEEEZZNS1_33reduce_by_key_impl_wrapped_configILNS1_25lookback_scan_determinismE0ES3_S7_PKmNS0_17constant_iteratorIjlEEPmPlSF_S6_NS0_8equal_toImEEEE10hipError_tPvRmT2_T3_mT4_T5_T6_T7_T8_P12ihipStream_tbENKUlT_T0_E_clISt17integral_constantIbLb0EESZ_EEDaSU_SV_EUlSU_E_NS1_11comp_targetILNS1_3genE0ELNS1_11target_archE4294967295ELNS1_3gpuE0ELNS1_3repE0EEENS1_30default_config_static_selectorELNS0_4arch9wavefront6targetE0EEEvT1_.numbered_sgpr, 40
	.set _ZN7rocprim17ROCPRIM_400000_NS6detail17trampoline_kernelINS0_14default_configENS1_33run_length_encode_config_selectorImjNS0_4plusIjEEEEZZNS1_33reduce_by_key_impl_wrapped_configILNS1_25lookback_scan_determinismE0ES3_S7_PKmNS0_17constant_iteratorIjlEEPmPlSF_S6_NS0_8equal_toImEEEE10hipError_tPvRmT2_T3_mT4_T5_T6_T7_T8_P12ihipStream_tbENKUlT_T0_E_clISt17integral_constantIbLb0EESZ_EEDaSU_SV_EUlSU_E_NS1_11comp_targetILNS1_3genE0ELNS1_11target_archE4294967295ELNS1_3gpuE0ELNS1_3repE0EEENS1_30default_config_static_selectorELNS0_4arch9wavefront6targetE0EEEvT1_.num_named_barrier, 0
	.set _ZN7rocprim17ROCPRIM_400000_NS6detail17trampoline_kernelINS0_14default_configENS1_33run_length_encode_config_selectorImjNS0_4plusIjEEEEZZNS1_33reduce_by_key_impl_wrapped_configILNS1_25lookback_scan_determinismE0ES3_S7_PKmNS0_17constant_iteratorIjlEEPmPlSF_S6_NS0_8equal_toImEEEE10hipError_tPvRmT2_T3_mT4_T5_T6_T7_T8_P12ihipStream_tbENKUlT_T0_E_clISt17integral_constantIbLb0EESZ_EEDaSU_SV_EUlSU_E_NS1_11comp_targetILNS1_3genE0ELNS1_11target_archE4294967295ELNS1_3gpuE0ELNS1_3repE0EEENS1_30default_config_static_selectorELNS0_4arch9wavefront6targetE0EEEvT1_.private_seg_size, 0
	.set _ZN7rocprim17ROCPRIM_400000_NS6detail17trampoline_kernelINS0_14default_configENS1_33run_length_encode_config_selectorImjNS0_4plusIjEEEEZZNS1_33reduce_by_key_impl_wrapped_configILNS1_25lookback_scan_determinismE0ES3_S7_PKmNS0_17constant_iteratorIjlEEPmPlSF_S6_NS0_8equal_toImEEEE10hipError_tPvRmT2_T3_mT4_T5_T6_T7_T8_P12ihipStream_tbENKUlT_T0_E_clISt17integral_constantIbLb0EESZ_EEDaSU_SV_EUlSU_E_NS1_11comp_targetILNS1_3genE0ELNS1_11target_archE4294967295ELNS1_3gpuE0ELNS1_3repE0EEENS1_30default_config_static_selectorELNS0_4arch9wavefront6targetE0EEEvT1_.uses_vcc, 1
	.set _ZN7rocprim17ROCPRIM_400000_NS6detail17trampoline_kernelINS0_14default_configENS1_33run_length_encode_config_selectorImjNS0_4plusIjEEEEZZNS1_33reduce_by_key_impl_wrapped_configILNS1_25lookback_scan_determinismE0ES3_S7_PKmNS0_17constant_iteratorIjlEEPmPlSF_S6_NS0_8equal_toImEEEE10hipError_tPvRmT2_T3_mT4_T5_T6_T7_T8_P12ihipStream_tbENKUlT_T0_E_clISt17integral_constantIbLb0EESZ_EEDaSU_SV_EUlSU_E_NS1_11comp_targetILNS1_3genE0ELNS1_11target_archE4294967295ELNS1_3gpuE0ELNS1_3repE0EEENS1_30default_config_static_selectorELNS0_4arch9wavefront6targetE0EEEvT1_.uses_flat_scratch, 0
	.set _ZN7rocprim17ROCPRIM_400000_NS6detail17trampoline_kernelINS0_14default_configENS1_33run_length_encode_config_selectorImjNS0_4plusIjEEEEZZNS1_33reduce_by_key_impl_wrapped_configILNS1_25lookback_scan_determinismE0ES3_S7_PKmNS0_17constant_iteratorIjlEEPmPlSF_S6_NS0_8equal_toImEEEE10hipError_tPvRmT2_T3_mT4_T5_T6_T7_T8_P12ihipStream_tbENKUlT_T0_E_clISt17integral_constantIbLb0EESZ_EEDaSU_SV_EUlSU_E_NS1_11comp_targetILNS1_3genE0ELNS1_11target_archE4294967295ELNS1_3gpuE0ELNS1_3repE0EEENS1_30default_config_static_selectorELNS0_4arch9wavefront6targetE0EEEvT1_.has_dyn_sized_stack, 0
	.set _ZN7rocprim17ROCPRIM_400000_NS6detail17trampoline_kernelINS0_14default_configENS1_33run_length_encode_config_selectorImjNS0_4plusIjEEEEZZNS1_33reduce_by_key_impl_wrapped_configILNS1_25lookback_scan_determinismE0ES3_S7_PKmNS0_17constant_iteratorIjlEEPmPlSF_S6_NS0_8equal_toImEEEE10hipError_tPvRmT2_T3_mT4_T5_T6_T7_T8_P12ihipStream_tbENKUlT_T0_E_clISt17integral_constantIbLb0EESZ_EEDaSU_SV_EUlSU_E_NS1_11comp_targetILNS1_3genE0ELNS1_11target_archE4294967295ELNS1_3gpuE0ELNS1_3repE0EEENS1_30default_config_static_selectorELNS0_4arch9wavefront6targetE0EEEvT1_.has_recursion, 0
	.set _ZN7rocprim17ROCPRIM_400000_NS6detail17trampoline_kernelINS0_14default_configENS1_33run_length_encode_config_selectorImjNS0_4plusIjEEEEZZNS1_33reduce_by_key_impl_wrapped_configILNS1_25lookback_scan_determinismE0ES3_S7_PKmNS0_17constant_iteratorIjlEEPmPlSF_S6_NS0_8equal_toImEEEE10hipError_tPvRmT2_T3_mT4_T5_T6_T7_T8_P12ihipStream_tbENKUlT_T0_E_clISt17integral_constantIbLb0EESZ_EEDaSU_SV_EUlSU_E_NS1_11comp_targetILNS1_3genE0ELNS1_11target_archE4294967295ELNS1_3gpuE0ELNS1_3repE0EEENS1_30default_config_static_selectorELNS0_4arch9wavefront6targetE0EEEvT1_.has_indirect_call, 0
	.section	.AMDGPU.csdata,"",@progbits
; Kernel info:
; codeLenInByte = 14820
; TotalNumSgprs: 42
; NumVgprs: 101
; ScratchSize: 0
; MemoryBound: 0
; FloatMode: 240
; IeeeMode: 1
; LDSByteSize: 30720 bytes/workgroup (compile time only)
; SGPRBlocks: 0
; VGPRBlocks: 6
; NumSGPRsForWavesPerEU: 42
; NumVGPRsForWavesPerEU: 101
; NamedBarCnt: 0
; Occupancy: 9
; WaveLimiterHint : 1
; COMPUTE_PGM_RSRC2:SCRATCH_EN: 0
; COMPUTE_PGM_RSRC2:USER_SGPR: 2
; COMPUTE_PGM_RSRC2:TRAP_HANDLER: 0
; COMPUTE_PGM_RSRC2:TGID_X_EN: 1
; COMPUTE_PGM_RSRC2:TGID_Y_EN: 0
; COMPUTE_PGM_RSRC2:TGID_Z_EN: 0
; COMPUTE_PGM_RSRC2:TIDIG_COMP_CNT: 0
	.section	.text._ZN7rocprim17ROCPRIM_400000_NS6detail17trampoline_kernelINS0_14default_configENS1_33run_length_encode_config_selectorImjNS0_4plusIjEEEEZZNS1_33reduce_by_key_impl_wrapped_configILNS1_25lookback_scan_determinismE0ES3_S7_PKmNS0_17constant_iteratorIjlEEPmPlSF_S6_NS0_8equal_toImEEEE10hipError_tPvRmT2_T3_mT4_T5_T6_T7_T8_P12ihipStream_tbENKUlT_T0_E_clISt17integral_constantIbLb0EESZ_EEDaSU_SV_EUlSU_E_NS1_11comp_targetILNS1_3genE5ELNS1_11target_archE942ELNS1_3gpuE9ELNS1_3repE0EEENS1_30default_config_static_selectorELNS0_4arch9wavefront6targetE0EEEvT1_,"axG",@progbits,_ZN7rocprim17ROCPRIM_400000_NS6detail17trampoline_kernelINS0_14default_configENS1_33run_length_encode_config_selectorImjNS0_4plusIjEEEEZZNS1_33reduce_by_key_impl_wrapped_configILNS1_25lookback_scan_determinismE0ES3_S7_PKmNS0_17constant_iteratorIjlEEPmPlSF_S6_NS0_8equal_toImEEEE10hipError_tPvRmT2_T3_mT4_T5_T6_T7_T8_P12ihipStream_tbENKUlT_T0_E_clISt17integral_constantIbLb0EESZ_EEDaSU_SV_EUlSU_E_NS1_11comp_targetILNS1_3genE5ELNS1_11target_archE942ELNS1_3gpuE9ELNS1_3repE0EEENS1_30default_config_static_selectorELNS0_4arch9wavefront6targetE0EEEvT1_,comdat
	.protected	_ZN7rocprim17ROCPRIM_400000_NS6detail17trampoline_kernelINS0_14default_configENS1_33run_length_encode_config_selectorImjNS0_4plusIjEEEEZZNS1_33reduce_by_key_impl_wrapped_configILNS1_25lookback_scan_determinismE0ES3_S7_PKmNS0_17constant_iteratorIjlEEPmPlSF_S6_NS0_8equal_toImEEEE10hipError_tPvRmT2_T3_mT4_T5_T6_T7_T8_P12ihipStream_tbENKUlT_T0_E_clISt17integral_constantIbLb0EESZ_EEDaSU_SV_EUlSU_E_NS1_11comp_targetILNS1_3genE5ELNS1_11target_archE942ELNS1_3gpuE9ELNS1_3repE0EEENS1_30default_config_static_selectorELNS0_4arch9wavefront6targetE0EEEvT1_ ; -- Begin function _ZN7rocprim17ROCPRIM_400000_NS6detail17trampoline_kernelINS0_14default_configENS1_33run_length_encode_config_selectorImjNS0_4plusIjEEEEZZNS1_33reduce_by_key_impl_wrapped_configILNS1_25lookback_scan_determinismE0ES3_S7_PKmNS0_17constant_iteratorIjlEEPmPlSF_S6_NS0_8equal_toImEEEE10hipError_tPvRmT2_T3_mT4_T5_T6_T7_T8_P12ihipStream_tbENKUlT_T0_E_clISt17integral_constantIbLb0EESZ_EEDaSU_SV_EUlSU_E_NS1_11comp_targetILNS1_3genE5ELNS1_11target_archE942ELNS1_3gpuE9ELNS1_3repE0EEENS1_30default_config_static_selectorELNS0_4arch9wavefront6targetE0EEEvT1_
	.globl	_ZN7rocprim17ROCPRIM_400000_NS6detail17trampoline_kernelINS0_14default_configENS1_33run_length_encode_config_selectorImjNS0_4plusIjEEEEZZNS1_33reduce_by_key_impl_wrapped_configILNS1_25lookback_scan_determinismE0ES3_S7_PKmNS0_17constant_iteratorIjlEEPmPlSF_S6_NS0_8equal_toImEEEE10hipError_tPvRmT2_T3_mT4_T5_T6_T7_T8_P12ihipStream_tbENKUlT_T0_E_clISt17integral_constantIbLb0EESZ_EEDaSU_SV_EUlSU_E_NS1_11comp_targetILNS1_3genE5ELNS1_11target_archE942ELNS1_3gpuE9ELNS1_3repE0EEENS1_30default_config_static_selectorELNS0_4arch9wavefront6targetE0EEEvT1_
	.p2align	8
	.type	_ZN7rocprim17ROCPRIM_400000_NS6detail17trampoline_kernelINS0_14default_configENS1_33run_length_encode_config_selectorImjNS0_4plusIjEEEEZZNS1_33reduce_by_key_impl_wrapped_configILNS1_25lookback_scan_determinismE0ES3_S7_PKmNS0_17constant_iteratorIjlEEPmPlSF_S6_NS0_8equal_toImEEEE10hipError_tPvRmT2_T3_mT4_T5_T6_T7_T8_P12ihipStream_tbENKUlT_T0_E_clISt17integral_constantIbLb0EESZ_EEDaSU_SV_EUlSU_E_NS1_11comp_targetILNS1_3genE5ELNS1_11target_archE942ELNS1_3gpuE9ELNS1_3repE0EEENS1_30default_config_static_selectorELNS0_4arch9wavefront6targetE0EEEvT1_,@function
_ZN7rocprim17ROCPRIM_400000_NS6detail17trampoline_kernelINS0_14default_configENS1_33run_length_encode_config_selectorImjNS0_4plusIjEEEEZZNS1_33reduce_by_key_impl_wrapped_configILNS1_25lookback_scan_determinismE0ES3_S7_PKmNS0_17constant_iteratorIjlEEPmPlSF_S6_NS0_8equal_toImEEEE10hipError_tPvRmT2_T3_mT4_T5_T6_T7_T8_P12ihipStream_tbENKUlT_T0_E_clISt17integral_constantIbLb0EESZ_EEDaSU_SV_EUlSU_E_NS1_11comp_targetILNS1_3genE5ELNS1_11target_archE942ELNS1_3gpuE9ELNS1_3repE0EEENS1_30default_config_static_selectorELNS0_4arch9wavefront6targetE0EEEvT1_: ; @_ZN7rocprim17ROCPRIM_400000_NS6detail17trampoline_kernelINS0_14default_configENS1_33run_length_encode_config_selectorImjNS0_4plusIjEEEEZZNS1_33reduce_by_key_impl_wrapped_configILNS1_25lookback_scan_determinismE0ES3_S7_PKmNS0_17constant_iteratorIjlEEPmPlSF_S6_NS0_8equal_toImEEEE10hipError_tPvRmT2_T3_mT4_T5_T6_T7_T8_P12ihipStream_tbENKUlT_T0_E_clISt17integral_constantIbLb0EESZ_EEDaSU_SV_EUlSU_E_NS1_11comp_targetILNS1_3genE5ELNS1_11target_archE942ELNS1_3gpuE9ELNS1_3repE0EEENS1_30default_config_static_selectorELNS0_4arch9wavefront6targetE0EEEvT1_
; %bb.0:
	.section	.rodata,"a",@progbits
	.p2align	6, 0x0
	.amdhsa_kernel _ZN7rocprim17ROCPRIM_400000_NS6detail17trampoline_kernelINS0_14default_configENS1_33run_length_encode_config_selectorImjNS0_4plusIjEEEEZZNS1_33reduce_by_key_impl_wrapped_configILNS1_25lookback_scan_determinismE0ES3_S7_PKmNS0_17constant_iteratorIjlEEPmPlSF_S6_NS0_8equal_toImEEEE10hipError_tPvRmT2_T3_mT4_T5_T6_T7_T8_P12ihipStream_tbENKUlT_T0_E_clISt17integral_constantIbLb0EESZ_EEDaSU_SV_EUlSU_E_NS1_11comp_targetILNS1_3genE5ELNS1_11target_archE942ELNS1_3gpuE9ELNS1_3repE0EEENS1_30default_config_static_selectorELNS0_4arch9wavefront6targetE0EEEvT1_
		.amdhsa_group_segment_fixed_size 0
		.amdhsa_private_segment_fixed_size 0
		.amdhsa_kernarg_size 128
		.amdhsa_user_sgpr_count 2
		.amdhsa_user_sgpr_dispatch_ptr 0
		.amdhsa_user_sgpr_queue_ptr 0
		.amdhsa_user_sgpr_kernarg_segment_ptr 1
		.amdhsa_user_sgpr_dispatch_id 0
		.amdhsa_user_sgpr_kernarg_preload_length 0
		.amdhsa_user_sgpr_kernarg_preload_offset 0
		.amdhsa_user_sgpr_private_segment_size 0
		.amdhsa_wavefront_size32 1
		.amdhsa_uses_dynamic_stack 0
		.amdhsa_enable_private_segment 0
		.amdhsa_system_sgpr_workgroup_id_x 1
		.amdhsa_system_sgpr_workgroup_id_y 0
		.amdhsa_system_sgpr_workgroup_id_z 0
		.amdhsa_system_sgpr_workgroup_info 0
		.amdhsa_system_vgpr_workitem_id 0
		.amdhsa_next_free_vgpr 1
		.amdhsa_next_free_sgpr 1
		.amdhsa_named_barrier_count 0
		.amdhsa_reserve_vcc 0
		.amdhsa_float_round_mode_32 0
		.amdhsa_float_round_mode_16_64 0
		.amdhsa_float_denorm_mode_32 3
		.amdhsa_float_denorm_mode_16_64 3
		.amdhsa_fp16_overflow 0
		.amdhsa_memory_ordered 1
		.amdhsa_forward_progress 1
		.amdhsa_inst_pref_size 0
		.amdhsa_round_robin_scheduling 0
		.amdhsa_exception_fp_ieee_invalid_op 0
		.amdhsa_exception_fp_denorm_src 0
		.amdhsa_exception_fp_ieee_div_zero 0
		.amdhsa_exception_fp_ieee_overflow 0
		.amdhsa_exception_fp_ieee_underflow 0
		.amdhsa_exception_fp_ieee_inexact 0
		.amdhsa_exception_int_div_zero 0
	.end_amdhsa_kernel
	.section	.text._ZN7rocprim17ROCPRIM_400000_NS6detail17trampoline_kernelINS0_14default_configENS1_33run_length_encode_config_selectorImjNS0_4plusIjEEEEZZNS1_33reduce_by_key_impl_wrapped_configILNS1_25lookback_scan_determinismE0ES3_S7_PKmNS0_17constant_iteratorIjlEEPmPlSF_S6_NS0_8equal_toImEEEE10hipError_tPvRmT2_T3_mT4_T5_T6_T7_T8_P12ihipStream_tbENKUlT_T0_E_clISt17integral_constantIbLb0EESZ_EEDaSU_SV_EUlSU_E_NS1_11comp_targetILNS1_3genE5ELNS1_11target_archE942ELNS1_3gpuE9ELNS1_3repE0EEENS1_30default_config_static_selectorELNS0_4arch9wavefront6targetE0EEEvT1_,"axG",@progbits,_ZN7rocprim17ROCPRIM_400000_NS6detail17trampoline_kernelINS0_14default_configENS1_33run_length_encode_config_selectorImjNS0_4plusIjEEEEZZNS1_33reduce_by_key_impl_wrapped_configILNS1_25lookback_scan_determinismE0ES3_S7_PKmNS0_17constant_iteratorIjlEEPmPlSF_S6_NS0_8equal_toImEEEE10hipError_tPvRmT2_T3_mT4_T5_T6_T7_T8_P12ihipStream_tbENKUlT_T0_E_clISt17integral_constantIbLb0EESZ_EEDaSU_SV_EUlSU_E_NS1_11comp_targetILNS1_3genE5ELNS1_11target_archE942ELNS1_3gpuE9ELNS1_3repE0EEENS1_30default_config_static_selectorELNS0_4arch9wavefront6targetE0EEEvT1_,comdat
.Lfunc_end719:
	.size	_ZN7rocprim17ROCPRIM_400000_NS6detail17trampoline_kernelINS0_14default_configENS1_33run_length_encode_config_selectorImjNS0_4plusIjEEEEZZNS1_33reduce_by_key_impl_wrapped_configILNS1_25lookback_scan_determinismE0ES3_S7_PKmNS0_17constant_iteratorIjlEEPmPlSF_S6_NS0_8equal_toImEEEE10hipError_tPvRmT2_T3_mT4_T5_T6_T7_T8_P12ihipStream_tbENKUlT_T0_E_clISt17integral_constantIbLb0EESZ_EEDaSU_SV_EUlSU_E_NS1_11comp_targetILNS1_3genE5ELNS1_11target_archE942ELNS1_3gpuE9ELNS1_3repE0EEENS1_30default_config_static_selectorELNS0_4arch9wavefront6targetE0EEEvT1_, .Lfunc_end719-_ZN7rocprim17ROCPRIM_400000_NS6detail17trampoline_kernelINS0_14default_configENS1_33run_length_encode_config_selectorImjNS0_4plusIjEEEEZZNS1_33reduce_by_key_impl_wrapped_configILNS1_25lookback_scan_determinismE0ES3_S7_PKmNS0_17constant_iteratorIjlEEPmPlSF_S6_NS0_8equal_toImEEEE10hipError_tPvRmT2_T3_mT4_T5_T6_T7_T8_P12ihipStream_tbENKUlT_T0_E_clISt17integral_constantIbLb0EESZ_EEDaSU_SV_EUlSU_E_NS1_11comp_targetILNS1_3genE5ELNS1_11target_archE942ELNS1_3gpuE9ELNS1_3repE0EEENS1_30default_config_static_selectorELNS0_4arch9wavefront6targetE0EEEvT1_
                                        ; -- End function
	.set _ZN7rocprim17ROCPRIM_400000_NS6detail17trampoline_kernelINS0_14default_configENS1_33run_length_encode_config_selectorImjNS0_4plusIjEEEEZZNS1_33reduce_by_key_impl_wrapped_configILNS1_25lookback_scan_determinismE0ES3_S7_PKmNS0_17constant_iteratorIjlEEPmPlSF_S6_NS0_8equal_toImEEEE10hipError_tPvRmT2_T3_mT4_T5_T6_T7_T8_P12ihipStream_tbENKUlT_T0_E_clISt17integral_constantIbLb0EESZ_EEDaSU_SV_EUlSU_E_NS1_11comp_targetILNS1_3genE5ELNS1_11target_archE942ELNS1_3gpuE9ELNS1_3repE0EEENS1_30default_config_static_selectorELNS0_4arch9wavefront6targetE0EEEvT1_.num_vgpr, 0
	.set _ZN7rocprim17ROCPRIM_400000_NS6detail17trampoline_kernelINS0_14default_configENS1_33run_length_encode_config_selectorImjNS0_4plusIjEEEEZZNS1_33reduce_by_key_impl_wrapped_configILNS1_25lookback_scan_determinismE0ES3_S7_PKmNS0_17constant_iteratorIjlEEPmPlSF_S6_NS0_8equal_toImEEEE10hipError_tPvRmT2_T3_mT4_T5_T6_T7_T8_P12ihipStream_tbENKUlT_T0_E_clISt17integral_constantIbLb0EESZ_EEDaSU_SV_EUlSU_E_NS1_11comp_targetILNS1_3genE5ELNS1_11target_archE942ELNS1_3gpuE9ELNS1_3repE0EEENS1_30default_config_static_selectorELNS0_4arch9wavefront6targetE0EEEvT1_.num_agpr, 0
	.set _ZN7rocprim17ROCPRIM_400000_NS6detail17trampoline_kernelINS0_14default_configENS1_33run_length_encode_config_selectorImjNS0_4plusIjEEEEZZNS1_33reduce_by_key_impl_wrapped_configILNS1_25lookback_scan_determinismE0ES3_S7_PKmNS0_17constant_iteratorIjlEEPmPlSF_S6_NS0_8equal_toImEEEE10hipError_tPvRmT2_T3_mT4_T5_T6_T7_T8_P12ihipStream_tbENKUlT_T0_E_clISt17integral_constantIbLb0EESZ_EEDaSU_SV_EUlSU_E_NS1_11comp_targetILNS1_3genE5ELNS1_11target_archE942ELNS1_3gpuE9ELNS1_3repE0EEENS1_30default_config_static_selectorELNS0_4arch9wavefront6targetE0EEEvT1_.numbered_sgpr, 0
	.set _ZN7rocprim17ROCPRIM_400000_NS6detail17trampoline_kernelINS0_14default_configENS1_33run_length_encode_config_selectorImjNS0_4plusIjEEEEZZNS1_33reduce_by_key_impl_wrapped_configILNS1_25lookback_scan_determinismE0ES3_S7_PKmNS0_17constant_iteratorIjlEEPmPlSF_S6_NS0_8equal_toImEEEE10hipError_tPvRmT2_T3_mT4_T5_T6_T7_T8_P12ihipStream_tbENKUlT_T0_E_clISt17integral_constantIbLb0EESZ_EEDaSU_SV_EUlSU_E_NS1_11comp_targetILNS1_3genE5ELNS1_11target_archE942ELNS1_3gpuE9ELNS1_3repE0EEENS1_30default_config_static_selectorELNS0_4arch9wavefront6targetE0EEEvT1_.num_named_barrier, 0
	.set _ZN7rocprim17ROCPRIM_400000_NS6detail17trampoline_kernelINS0_14default_configENS1_33run_length_encode_config_selectorImjNS0_4plusIjEEEEZZNS1_33reduce_by_key_impl_wrapped_configILNS1_25lookback_scan_determinismE0ES3_S7_PKmNS0_17constant_iteratorIjlEEPmPlSF_S6_NS0_8equal_toImEEEE10hipError_tPvRmT2_T3_mT4_T5_T6_T7_T8_P12ihipStream_tbENKUlT_T0_E_clISt17integral_constantIbLb0EESZ_EEDaSU_SV_EUlSU_E_NS1_11comp_targetILNS1_3genE5ELNS1_11target_archE942ELNS1_3gpuE9ELNS1_3repE0EEENS1_30default_config_static_selectorELNS0_4arch9wavefront6targetE0EEEvT1_.private_seg_size, 0
	.set _ZN7rocprim17ROCPRIM_400000_NS6detail17trampoline_kernelINS0_14default_configENS1_33run_length_encode_config_selectorImjNS0_4plusIjEEEEZZNS1_33reduce_by_key_impl_wrapped_configILNS1_25lookback_scan_determinismE0ES3_S7_PKmNS0_17constant_iteratorIjlEEPmPlSF_S6_NS0_8equal_toImEEEE10hipError_tPvRmT2_T3_mT4_T5_T6_T7_T8_P12ihipStream_tbENKUlT_T0_E_clISt17integral_constantIbLb0EESZ_EEDaSU_SV_EUlSU_E_NS1_11comp_targetILNS1_3genE5ELNS1_11target_archE942ELNS1_3gpuE9ELNS1_3repE0EEENS1_30default_config_static_selectorELNS0_4arch9wavefront6targetE0EEEvT1_.uses_vcc, 0
	.set _ZN7rocprim17ROCPRIM_400000_NS6detail17trampoline_kernelINS0_14default_configENS1_33run_length_encode_config_selectorImjNS0_4plusIjEEEEZZNS1_33reduce_by_key_impl_wrapped_configILNS1_25lookback_scan_determinismE0ES3_S7_PKmNS0_17constant_iteratorIjlEEPmPlSF_S6_NS0_8equal_toImEEEE10hipError_tPvRmT2_T3_mT4_T5_T6_T7_T8_P12ihipStream_tbENKUlT_T0_E_clISt17integral_constantIbLb0EESZ_EEDaSU_SV_EUlSU_E_NS1_11comp_targetILNS1_3genE5ELNS1_11target_archE942ELNS1_3gpuE9ELNS1_3repE0EEENS1_30default_config_static_selectorELNS0_4arch9wavefront6targetE0EEEvT1_.uses_flat_scratch, 0
	.set _ZN7rocprim17ROCPRIM_400000_NS6detail17trampoline_kernelINS0_14default_configENS1_33run_length_encode_config_selectorImjNS0_4plusIjEEEEZZNS1_33reduce_by_key_impl_wrapped_configILNS1_25lookback_scan_determinismE0ES3_S7_PKmNS0_17constant_iteratorIjlEEPmPlSF_S6_NS0_8equal_toImEEEE10hipError_tPvRmT2_T3_mT4_T5_T6_T7_T8_P12ihipStream_tbENKUlT_T0_E_clISt17integral_constantIbLb0EESZ_EEDaSU_SV_EUlSU_E_NS1_11comp_targetILNS1_3genE5ELNS1_11target_archE942ELNS1_3gpuE9ELNS1_3repE0EEENS1_30default_config_static_selectorELNS0_4arch9wavefront6targetE0EEEvT1_.has_dyn_sized_stack, 0
	.set _ZN7rocprim17ROCPRIM_400000_NS6detail17trampoline_kernelINS0_14default_configENS1_33run_length_encode_config_selectorImjNS0_4plusIjEEEEZZNS1_33reduce_by_key_impl_wrapped_configILNS1_25lookback_scan_determinismE0ES3_S7_PKmNS0_17constant_iteratorIjlEEPmPlSF_S6_NS0_8equal_toImEEEE10hipError_tPvRmT2_T3_mT4_T5_T6_T7_T8_P12ihipStream_tbENKUlT_T0_E_clISt17integral_constantIbLb0EESZ_EEDaSU_SV_EUlSU_E_NS1_11comp_targetILNS1_3genE5ELNS1_11target_archE942ELNS1_3gpuE9ELNS1_3repE0EEENS1_30default_config_static_selectorELNS0_4arch9wavefront6targetE0EEEvT1_.has_recursion, 0
	.set _ZN7rocprim17ROCPRIM_400000_NS6detail17trampoline_kernelINS0_14default_configENS1_33run_length_encode_config_selectorImjNS0_4plusIjEEEEZZNS1_33reduce_by_key_impl_wrapped_configILNS1_25lookback_scan_determinismE0ES3_S7_PKmNS0_17constant_iteratorIjlEEPmPlSF_S6_NS0_8equal_toImEEEE10hipError_tPvRmT2_T3_mT4_T5_T6_T7_T8_P12ihipStream_tbENKUlT_T0_E_clISt17integral_constantIbLb0EESZ_EEDaSU_SV_EUlSU_E_NS1_11comp_targetILNS1_3genE5ELNS1_11target_archE942ELNS1_3gpuE9ELNS1_3repE0EEENS1_30default_config_static_selectorELNS0_4arch9wavefront6targetE0EEEvT1_.has_indirect_call, 0
	.section	.AMDGPU.csdata,"",@progbits
; Kernel info:
; codeLenInByte = 0
; TotalNumSgprs: 0
; NumVgprs: 0
; ScratchSize: 0
; MemoryBound: 0
; FloatMode: 240
; IeeeMode: 1
; LDSByteSize: 0 bytes/workgroup (compile time only)
; SGPRBlocks: 0
; VGPRBlocks: 0
; NumSGPRsForWavesPerEU: 1
; NumVGPRsForWavesPerEU: 1
; NamedBarCnt: 0
; Occupancy: 16
; WaveLimiterHint : 0
; COMPUTE_PGM_RSRC2:SCRATCH_EN: 0
; COMPUTE_PGM_RSRC2:USER_SGPR: 2
; COMPUTE_PGM_RSRC2:TRAP_HANDLER: 0
; COMPUTE_PGM_RSRC2:TGID_X_EN: 1
; COMPUTE_PGM_RSRC2:TGID_Y_EN: 0
; COMPUTE_PGM_RSRC2:TGID_Z_EN: 0
; COMPUTE_PGM_RSRC2:TIDIG_COMP_CNT: 0
	.section	.text._ZN7rocprim17ROCPRIM_400000_NS6detail17trampoline_kernelINS0_14default_configENS1_33run_length_encode_config_selectorImjNS0_4plusIjEEEEZZNS1_33reduce_by_key_impl_wrapped_configILNS1_25lookback_scan_determinismE0ES3_S7_PKmNS0_17constant_iteratorIjlEEPmPlSF_S6_NS0_8equal_toImEEEE10hipError_tPvRmT2_T3_mT4_T5_T6_T7_T8_P12ihipStream_tbENKUlT_T0_E_clISt17integral_constantIbLb0EESZ_EEDaSU_SV_EUlSU_E_NS1_11comp_targetILNS1_3genE4ELNS1_11target_archE910ELNS1_3gpuE8ELNS1_3repE0EEENS1_30default_config_static_selectorELNS0_4arch9wavefront6targetE0EEEvT1_,"axG",@progbits,_ZN7rocprim17ROCPRIM_400000_NS6detail17trampoline_kernelINS0_14default_configENS1_33run_length_encode_config_selectorImjNS0_4plusIjEEEEZZNS1_33reduce_by_key_impl_wrapped_configILNS1_25lookback_scan_determinismE0ES3_S7_PKmNS0_17constant_iteratorIjlEEPmPlSF_S6_NS0_8equal_toImEEEE10hipError_tPvRmT2_T3_mT4_T5_T6_T7_T8_P12ihipStream_tbENKUlT_T0_E_clISt17integral_constantIbLb0EESZ_EEDaSU_SV_EUlSU_E_NS1_11comp_targetILNS1_3genE4ELNS1_11target_archE910ELNS1_3gpuE8ELNS1_3repE0EEENS1_30default_config_static_selectorELNS0_4arch9wavefront6targetE0EEEvT1_,comdat
	.protected	_ZN7rocprim17ROCPRIM_400000_NS6detail17trampoline_kernelINS0_14default_configENS1_33run_length_encode_config_selectorImjNS0_4plusIjEEEEZZNS1_33reduce_by_key_impl_wrapped_configILNS1_25lookback_scan_determinismE0ES3_S7_PKmNS0_17constant_iteratorIjlEEPmPlSF_S6_NS0_8equal_toImEEEE10hipError_tPvRmT2_T3_mT4_T5_T6_T7_T8_P12ihipStream_tbENKUlT_T0_E_clISt17integral_constantIbLb0EESZ_EEDaSU_SV_EUlSU_E_NS1_11comp_targetILNS1_3genE4ELNS1_11target_archE910ELNS1_3gpuE8ELNS1_3repE0EEENS1_30default_config_static_selectorELNS0_4arch9wavefront6targetE0EEEvT1_ ; -- Begin function _ZN7rocprim17ROCPRIM_400000_NS6detail17trampoline_kernelINS0_14default_configENS1_33run_length_encode_config_selectorImjNS0_4plusIjEEEEZZNS1_33reduce_by_key_impl_wrapped_configILNS1_25lookback_scan_determinismE0ES3_S7_PKmNS0_17constant_iteratorIjlEEPmPlSF_S6_NS0_8equal_toImEEEE10hipError_tPvRmT2_T3_mT4_T5_T6_T7_T8_P12ihipStream_tbENKUlT_T0_E_clISt17integral_constantIbLb0EESZ_EEDaSU_SV_EUlSU_E_NS1_11comp_targetILNS1_3genE4ELNS1_11target_archE910ELNS1_3gpuE8ELNS1_3repE0EEENS1_30default_config_static_selectorELNS0_4arch9wavefront6targetE0EEEvT1_
	.globl	_ZN7rocprim17ROCPRIM_400000_NS6detail17trampoline_kernelINS0_14default_configENS1_33run_length_encode_config_selectorImjNS0_4plusIjEEEEZZNS1_33reduce_by_key_impl_wrapped_configILNS1_25lookback_scan_determinismE0ES3_S7_PKmNS0_17constant_iteratorIjlEEPmPlSF_S6_NS0_8equal_toImEEEE10hipError_tPvRmT2_T3_mT4_T5_T6_T7_T8_P12ihipStream_tbENKUlT_T0_E_clISt17integral_constantIbLb0EESZ_EEDaSU_SV_EUlSU_E_NS1_11comp_targetILNS1_3genE4ELNS1_11target_archE910ELNS1_3gpuE8ELNS1_3repE0EEENS1_30default_config_static_selectorELNS0_4arch9wavefront6targetE0EEEvT1_
	.p2align	8
	.type	_ZN7rocprim17ROCPRIM_400000_NS6detail17trampoline_kernelINS0_14default_configENS1_33run_length_encode_config_selectorImjNS0_4plusIjEEEEZZNS1_33reduce_by_key_impl_wrapped_configILNS1_25lookback_scan_determinismE0ES3_S7_PKmNS0_17constant_iteratorIjlEEPmPlSF_S6_NS0_8equal_toImEEEE10hipError_tPvRmT2_T3_mT4_T5_T6_T7_T8_P12ihipStream_tbENKUlT_T0_E_clISt17integral_constantIbLb0EESZ_EEDaSU_SV_EUlSU_E_NS1_11comp_targetILNS1_3genE4ELNS1_11target_archE910ELNS1_3gpuE8ELNS1_3repE0EEENS1_30default_config_static_selectorELNS0_4arch9wavefront6targetE0EEEvT1_,@function
_ZN7rocprim17ROCPRIM_400000_NS6detail17trampoline_kernelINS0_14default_configENS1_33run_length_encode_config_selectorImjNS0_4plusIjEEEEZZNS1_33reduce_by_key_impl_wrapped_configILNS1_25lookback_scan_determinismE0ES3_S7_PKmNS0_17constant_iteratorIjlEEPmPlSF_S6_NS0_8equal_toImEEEE10hipError_tPvRmT2_T3_mT4_T5_T6_T7_T8_P12ihipStream_tbENKUlT_T0_E_clISt17integral_constantIbLb0EESZ_EEDaSU_SV_EUlSU_E_NS1_11comp_targetILNS1_3genE4ELNS1_11target_archE910ELNS1_3gpuE8ELNS1_3repE0EEENS1_30default_config_static_selectorELNS0_4arch9wavefront6targetE0EEEvT1_: ; @_ZN7rocprim17ROCPRIM_400000_NS6detail17trampoline_kernelINS0_14default_configENS1_33run_length_encode_config_selectorImjNS0_4plusIjEEEEZZNS1_33reduce_by_key_impl_wrapped_configILNS1_25lookback_scan_determinismE0ES3_S7_PKmNS0_17constant_iteratorIjlEEPmPlSF_S6_NS0_8equal_toImEEEE10hipError_tPvRmT2_T3_mT4_T5_T6_T7_T8_P12ihipStream_tbENKUlT_T0_E_clISt17integral_constantIbLb0EESZ_EEDaSU_SV_EUlSU_E_NS1_11comp_targetILNS1_3genE4ELNS1_11target_archE910ELNS1_3gpuE8ELNS1_3repE0EEENS1_30default_config_static_selectorELNS0_4arch9wavefront6targetE0EEEvT1_
; %bb.0:
	.section	.rodata,"a",@progbits
	.p2align	6, 0x0
	.amdhsa_kernel _ZN7rocprim17ROCPRIM_400000_NS6detail17trampoline_kernelINS0_14default_configENS1_33run_length_encode_config_selectorImjNS0_4plusIjEEEEZZNS1_33reduce_by_key_impl_wrapped_configILNS1_25lookback_scan_determinismE0ES3_S7_PKmNS0_17constant_iteratorIjlEEPmPlSF_S6_NS0_8equal_toImEEEE10hipError_tPvRmT2_T3_mT4_T5_T6_T7_T8_P12ihipStream_tbENKUlT_T0_E_clISt17integral_constantIbLb0EESZ_EEDaSU_SV_EUlSU_E_NS1_11comp_targetILNS1_3genE4ELNS1_11target_archE910ELNS1_3gpuE8ELNS1_3repE0EEENS1_30default_config_static_selectorELNS0_4arch9wavefront6targetE0EEEvT1_
		.amdhsa_group_segment_fixed_size 0
		.amdhsa_private_segment_fixed_size 0
		.amdhsa_kernarg_size 128
		.amdhsa_user_sgpr_count 2
		.amdhsa_user_sgpr_dispatch_ptr 0
		.amdhsa_user_sgpr_queue_ptr 0
		.amdhsa_user_sgpr_kernarg_segment_ptr 1
		.amdhsa_user_sgpr_dispatch_id 0
		.amdhsa_user_sgpr_kernarg_preload_length 0
		.amdhsa_user_sgpr_kernarg_preload_offset 0
		.amdhsa_user_sgpr_private_segment_size 0
		.amdhsa_wavefront_size32 1
		.amdhsa_uses_dynamic_stack 0
		.amdhsa_enable_private_segment 0
		.amdhsa_system_sgpr_workgroup_id_x 1
		.amdhsa_system_sgpr_workgroup_id_y 0
		.amdhsa_system_sgpr_workgroup_id_z 0
		.amdhsa_system_sgpr_workgroup_info 0
		.amdhsa_system_vgpr_workitem_id 0
		.amdhsa_next_free_vgpr 1
		.amdhsa_next_free_sgpr 1
		.amdhsa_named_barrier_count 0
		.amdhsa_reserve_vcc 0
		.amdhsa_float_round_mode_32 0
		.amdhsa_float_round_mode_16_64 0
		.amdhsa_float_denorm_mode_32 3
		.amdhsa_float_denorm_mode_16_64 3
		.amdhsa_fp16_overflow 0
		.amdhsa_memory_ordered 1
		.amdhsa_forward_progress 1
		.amdhsa_inst_pref_size 0
		.amdhsa_round_robin_scheduling 0
		.amdhsa_exception_fp_ieee_invalid_op 0
		.amdhsa_exception_fp_denorm_src 0
		.amdhsa_exception_fp_ieee_div_zero 0
		.amdhsa_exception_fp_ieee_overflow 0
		.amdhsa_exception_fp_ieee_underflow 0
		.amdhsa_exception_fp_ieee_inexact 0
		.amdhsa_exception_int_div_zero 0
	.end_amdhsa_kernel
	.section	.text._ZN7rocprim17ROCPRIM_400000_NS6detail17trampoline_kernelINS0_14default_configENS1_33run_length_encode_config_selectorImjNS0_4plusIjEEEEZZNS1_33reduce_by_key_impl_wrapped_configILNS1_25lookback_scan_determinismE0ES3_S7_PKmNS0_17constant_iteratorIjlEEPmPlSF_S6_NS0_8equal_toImEEEE10hipError_tPvRmT2_T3_mT4_T5_T6_T7_T8_P12ihipStream_tbENKUlT_T0_E_clISt17integral_constantIbLb0EESZ_EEDaSU_SV_EUlSU_E_NS1_11comp_targetILNS1_3genE4ELNS1_11target_archE910ELNS1_3gpuE8ELNS1_3repE0EEENS1_30default_config_static_selectorELNS0_4arch9wavefront6targetE0EEEvT1_,"axG",@progbits,_ZN7rocprim17ROCPRIM_400000_NS6detail17trampoline_kernelINS0_14default_configENS1_33run_length_encode_config_selectorImjNS0_4plusIjEEEEZZNS1_33reduce_by_key_impl_wrapped_configILNS1_25lookback_scan_determinismE0ES3_S7_PKmNS0_17constant_iteratorIjlEEPmPlSF_S6_NS0_8equal_toImEEEE10hipError_tPvRmT2_T3_mT4_T5_T6_T7_T8_P12ihipStream_tbENKUlT_T0_E_clISt17integral_constantIbLb0EESZ_EEDaSU_SV_EUlSU_E_NS1_11comp_targetILNS1_3genE4ELNS1_11target_archE910ELNS1_3gpuE8ELNS1_3repE0EEENS1_30default_config_static_selectorELNS0_4arch9wavefront6targetE0EEEvT1_,comdat
.Lfunc_end720:
	.size	_ZN7rocprim17ROCPRIM_400000_NS6detail17trampoline_kernelINS0_14default_configENS1_33run_length_encode_config_selectorImjNS0_4plusIjEEEEZZNS1_33reduce_by_key_impl_wrapped_configILNS1_25lookback_scan_determinismE0ES3_S7_PKmNS0_17constant_iteratorIjlEEPmPlSF_S6_NS0_8equal_toImEEEE10hipError_tPvRmT2_T3_mT4_T5_T6_T7_T8_P12ihipStream_tbENKUlT_T0_E_clISt17integral_constantIbLb0EESZ_EEDaSU_SV_EUlSU_E_NS1_11comp_targetILNS1_3genE4ELNS1_11target_archE910ELNS1_3gpuE8ELNS1_3repE0EEENS1_30default_config_static_selectorELNS0_4arch9wavefront6targetE0EEEvT1_, .Lfunc_end720-_ZN7rocprim17ROCPRIM_400000_NS6detail17trampoline_kernelINS0_14default_configENS1_33run_length_encode_config_selectorImjNS0_4plusIjEEEEZZNS1_33reduce_by_key_impl_wrapped_configILNS1_25lookback_scan_determinismE0ES3_S7_PKmNS0_17constant_iteratorIjlEEPmPlSF_S6_NS0_8equal_toImEEEE10hipError_tPvRmT2_T3_mT4_T5_T6_T7_T8_P12ihipStream_tbENKUlT_T0_E_clISt17integral_constantIbLb0EESZ_EEDaSU_SV_EUlSU_E_NS1_11comp_targetILNS1_3genE4ELNS1_11target_archE910ELNS1_3gpuE8ELNS1_3repE0EEENS1_30default_config_static_selectorELNS0_4arch9wavefront6targetE0EEEvT1_
                                        ; -- End function
	.set _ZN7rocprim17ROCPRIM_400000_NS6detail17trampoline_kernelINS0_14default_configENS1_33run_length_encode_config_selectorImjNS0_4plusIjEEEEZZNS1_33reduce_by_key_impl_wrapped_configILNS1_25lookback_scan_determinismE0ES3_S7_PKmNS0_17constant_iteratorIjlEEPmPlSF_S6_NS0_8equal_toImEEEE10hipError_tPvRmT2_T3_mT4_T5_T6_T7_T8_P12ihipStream_tbENKUlT_T0_E_clISt17integral_constantIbLb0EESZ_EEDaSU_SV_EUlSU_E_NS1_11comp_targetILNS1_3genE4ELNS1_11target_archE910ELNS1_3gpuE8ELNS1_3repE0EEENS1_30default_config_static_selectorELNS0_4arch9wavefront6targetE0EEEvT1_.num_vgpr, 0
	.set _ZN7rocprim17ROCPRIM_400000_NS6detail17trampoline_kernelINS0_14default_configENS1_33run_length_encode_config_selectorImjNS0_4plusIjEEEEZZNS1_33reduce_by_key_impl_wrapped_configILNS1_25lookback_scan_determinismE0ES3_S7_PKmNS0_17constant_iteratorIjlEEPmPlSF_S6_NS0_8equal_toImEEEE10hipError_tPvRmT2_T3_mT4_T5_T6_T7_T8_P12ihipStream_tbENKUlT_T0_E_clISt17integral_constantIbLb0EESZ_EEDaSU_SV_EUlSU_E_NS1_11comp_targetILNS1_3genE4ELNS1_11target_archE910ELNS1_3gpuE8ELNS1_3repE0EEENS1_30default_config_static_selectorELNS0_4arch9wavefront6targetE0EEEvT1_.num_agpr, 0
	.set _ZN7rocprim17ROCPRIM_400000_NS6detail17trampoline_kernelINS0_14default_configENS1_33run_length_encode_config_selectorImjNS0_4plusIjEEEEZZNS1_33reduce_by_key_impl_wrapped_configILNS1_25lookback_scan_determinismE0ES3_S7_PKmNS0_17constant_iteratorIjlEEPmPlSF_S6_NS0_8equal_toImEEEE10hipError_tPvRmT2_T3_mT4_T5_T6_T7_T8_P12ihipStream_tbENKUlT_T0_E_clISt17integral_constantIbLb0EESZ_EEDaSU_SV_EUlSU_E_NS1_11comp_targetILNS1_3genE4ELNS1_11target_archE910ELNS1_3gpuE8ELNS1_3repE0EEENS1_30default_config_static_selectorELNS0_4arch9wavefront6targetE0EEEvT1_.numbered_sgpr, 0
	.set _ZN7rocprim17ROCPRIM_400000_NS6detail17trampoline_kernelINS0_14default_configENS1_33run_length_encode_config_selectorImjNS0_4plusIjEEEEZZNS1_33reduce_by_key_impl_wrapped_configILNS1_25lookback_scan_determinismE0ES3_S7_PKmNS0_17constant_iteratorIjlEEPmPlSF_S6_NS0_8equal_toImEEEE10hipError_tPvRmT2_T3_mT4_T5_T6_T7_T8_P12ihipStream_tbENKUlT_T0_E_clISt17integral_constantIbLb0EESZ_EEDaSU_SV_EUlSU_E_NS1_11comp_targetILNS1_3genE4ELNS1_11target_archE910ELNS1_3gpuE8ELNS1_3repE0EEENS1_30default_config_static_selectorELNS0_4arch9wavefront6targetE0EEEvT1_.num_named_barrier, 0
	.set _ZN7rocprim17ROCPRIM_400000_NS6detail17trampoline_kernelINS0_14default_configENS1_33run_length_encode_config_selectorImjNS0_4plusIjEEEEZZNS1_33reduce_by_key_impl_wrapped_configILNS1_25lookback_scan_determinismE0ES3_S7_PKmNS0_17constant_iteratorIjlEEPmPlSF_S6_NS0_8equal_toImEEEE10hipError_tPvRmT2_T3_mT4_T5_T6_T7_T8_P12ihipStream_tbENKUlT_T0_E_clISt17integral_constantIbLb0EESZ_EEDaSU_SV_EUlSU_E_NS1_11comp_targetILNS1_3genE4ELNS1_11target_archE910ELNS1_3gpuE8ELNS1_3repE0EEENS1_30default_config_static_selectorELNS0_4arch9wavefront6targetE0EEEvT1_.private_seg_size, 0
	.set _ZN7rocprim17ROCPRIM_400000_NS6detail17trampoline_kernelINS0_14default_configENS1_33run_length_encode_config_selectorImjNS0_4plusIjEEEEZZNS1_33reduce_by_key_impl_wrapped_configILNS1_25lookback_scan_determinismE0ES3_S7_PKmNS0_17constant_iteratorIjlEEPmPlSF_S6_NS0_8equal_toImEEEE10hipError_tPvRmT2_T3_mT4_T5_T6_T7_T8_P12ihipStream_tbENKUlT_T0_E_clISt17integral_constantIbLb0EESZ_EEDaSU_SV_EUlSU_E_NS1_11comp_targetILNS1_3genE4ELNS1_11target_archE910ELNS1_3gpuE8ELNS1_3repE0EEENS1_30default_config_static_selectorELNS0_4arch9wavefront6targetE0EEEvT1_.uses_vcc, 0
	.set _ZN7rocprim17ROCPRIM_400000_NS6detail17trampoline_kernelINS0_14default_configENS1_33run_length_encode_config_selectorImjNS0_4plusIjEEEEZZNS1_33reduce_by_key_impl_wrapped_configILNS1_25lookback_scan_determinismE0ES3_S7_PKmNS0_17constant_iteratorIjlEEPmPlSF_S6_NS0_8equal_toImEEEE10hipError_tPvRmT2_T3_mT4_T5_T6_T7_T8_P12ihipStream_tbENKUlT_T0_E_clISt17integral_constantIbLb0EESZ_EEDaSU_SV_EUlSU_E_NS1_11comp_targetILNS1_3genE4ELNS1_11target_archE910ELNS1_3gpuE8ELNS1_3repE0EEENS1_30default_config_static_selectorELNS0_4arch9wavefront6targetE0EEEvT1_.uses_flat_scratch, 0
	.set _ZN7rocprim17ROCPRIM_400000_NS6detail17trampoline_kernelINS0_14default_configENS1_33run_length_encode_config_selectorImjNS0_4plusIjEEEEZZNS1_33reduce_by_key_impl_wrapped_configILNS1_25lookback_scan_determinismE0ES3_S7_PKmNS0_17constant_iteratorIjlEEPmPlSF_S6_NS0_8equal_toImEEEE10hipError_tPvRmT2_T3_mT4_T5_T6_T7_T8_P12ihipStream_tbENKUlT_T0_E_clISt17integral_constantIbLb0EESZ_EEDaSU_SV_EUlSU_E_NS1_11comp_targetILNS1_3genE4ELNS1_11target_archE910ELNS1_3gpuE8ELNS1_3repE0EEENS1_30default_config_static_selectorELNS0_4arch9wavefront6targetE0EEEvT1_.has_dyn_sized_stack, 0
	.set _ZN7rocprim17ROCPRIM_400000_NS6detail17trampoline_kernelINS0_14default_configENS1_33run_length_encode_config_selectorImjNS0_4plusIjEEEEZZNS1_33reduce_by_key_impl_wrapped_configILNS1_25lookback_scan_determinismE0ES3_S7_PKmNS0_17constant_iteratorIjlEEPmPlSF_S6_NS0_8equal_toImEEEE10hipError_tPvRmT2_T3_mT4_T5_T6_T7_T8_P12ihipStream_tbENKUlT_T0_E_clISt17integral_constantIbLb0EESZ_EEDaSU_SV_EUlSU_E_NS1_11comp_targetILNS1_3genE4ELNS1_11target_archE910ELNS1_3gpuE8ELNS1_3repE0EEENS1_30default_config_static_selectorELNS0_4arch9wavefront6targetE0EEEvT1_.has_recursion, 0
	.set _ZN7rocprim17ROCPRIM_400000_NS6detail17trampoline_kernelINS0_14default_configENS1_33run_length_encode_config_selectorImjNS0_4plusIjEEEEZZNS1_33reduce_by_key_impl_wrapped_configILNS1_25lookback_scan_determinismE0ES3_S7_PKmNS0_17constant_iteratorIjlEEPmPlSF_S6_NS0_8equal_toImEEEE10hipError_tPvRmT2_T3_mT4_T5_T6_T7_T8_P12ihipStream_tbENKUlT_T0_E_clISt17integral_constantIbLb0EESZ_EEDaSU_SV_EUlSU_E_NS1_11comp_targetILNS1_3genE4ELNS1_11target_archE910ELNS1_3gpuE8ELNS1_3repE0EEENS1_30default_config_static_selectorELNS0_4arch9wavefront6targetE0EEEvT1_.has_indirect_call, 0
	.section	.AMDGPU.csdata,"",@progbits
; Kernel info:
; codeLenInByte = 0
; TotalNumSgprs: 0
; NumVgprs: 0
; ScratchSize: 0
; MemoryBound: 0
; FloatMode: 240
; IeeeMode: 1
; LDSByteSize: 0 bytes/workgroup (compile time only)
; SGPRBlocks: 0
; VGPRBlocks: 0
; NumSGPRsForWavesPerEU: 1
; NumVGPRsForWavesPerEU: 1
; NamedBarCnt: 0
; Occupancy: 16
; WaveLimiterHint : 0
; COMPUTE_PGM_RSRC2:SCRATCH_EN: 0
; COMPUTE_PGM_RSRC2:USER_SGPR: 2
; COMPUTE_PGM_RSRC2:TRAP_HANDLER: 0
; COMPUTE_PGM_RSRC2:TGID_X_EN: 1
; COMPUTE_PGM_RSRC2:TGID_Y_EN: 0
; COMPUTE_PGM_RSRC2:TGID_Z_EN: 0
; COMPUTE_PGM_RSRC2:TIDIG_COMP_CNT: 0
	.section	.text._ZN7rocprim17ROCPRIM_400000_NS6detail17trampoline_kernelINS0_14default_configENS1_33run_length_encode_config_selectorImjNS0_4plusIjEEEEZZNS1_33reduce_by_key_impl_wrapped_configILNS1_25lookback_scan_determinismE0ES3_S7_PKmNS0_17constant_iteratorIjlEEPmPlSF_S6_NS0_8equal_toImEEEE10hipError_tPvRmT2_T3_mT4_T5_T6_T7_T8_P12ihipStream_tbENKUlT_T0_E_clISt17integral_constantIbLb0EESZ_EEDaSU_SV_EUlSU_E_NS1_11comp_targetILNS1_3genE3ELNS1_11target_archE908ELNS1_3gpuE7ELNS1_3repE0EEENS1_30default_config_static_selectorELNS0_4arch9wavefront6targetE0EEEvT1_,"axG",@progbits,_ZN7rocprim17ROCPRIM_400000_NS6detail17trampoline_kernelINS0_14default_configENS1_33run_length_encode_config_selectorImjNS0_4plusIjEEEEZZNS1_33reduce_by_key_impl_wrapped_configILNS1_25lookback_scan_determinismE0ES3_S7_PKmNS0_17constant_iteratorIjlEEPmPlSF_S6_NS0_8equal_toImEEEE10hipError_tPvRmT2_T3_mT4_T5_T6_T7_T8_P12ihipStream_tbENKUlT_T0_E_clISt17integral_constantIbLb0EESZ_EEDaSU_SV_EUlSU_E_NS1_11comp_targetILNS1_3genE3ELNS1_11target_archE908ELNS1_3gpuE7ELNS1_3repE0EEENS1_30default_config_static_selectorELNS0_4arch9wavefront6targetE0EEEvT1_,comdat
	.protected	_ZN7rocprim17ROCPRIM_400000_NS6detail17trampoline_kernelINS0_14default_configENS1_33run_length_encode_config_selectorImjNS0_4plusIjEEEEZZNS1_33reduce_by_key_impl_wrapped_configILNS1_25lookback_scan_determinismE0ES3_S7_PKmNS0_17constant_iteratorIjlEEPmPlSF_S6_NS0_8equal_toImEEEE10hipError_tPvRmT2_T3_mT4_T5_T6_T7_T8_P12ihipStream_tbENKUlT_T0_E_clISt17integral_constantIbLb0EESZ_EEDaSU_SV_EUlSU_E_NS1_11comp_targetILNS1_3genE3ELNS1_11target_archE908ELNS1_3gpuE7ELNS1_3repE0EEENS1_30default_config_static_selectorELNS0_4arch9wavefront6targetE0EEEvT1_ ; -- Begin function _ZN7rocprim17ROCPRIM_400000_NS6detail17trampoline_kernelINS0_14default_configENS1_33run_length_encode_config_selectorImjNS0_4plusIjEEEEZZNS1_33reduce_by_key_impl_wrapped_configILNS1_25lookback_scan_determinismE0ES3_S7_PKmNS0_17constant_iteratorIjlEEPmPlSF_S6_NS0_8equal_toImEEEE10hipError_tPvRmT2_T3_mT4_T5_T6_T7_T8_P12ihipStream_tbENKUlT_T0_E_clISt17integral_constantIbLb0EESZ_EEDaSU_SV_EUlSU_E_NS1_11comp_targetILNS1_3genE3ELNS1_11target_archE908ELNS1_3gpuE7ELNS1_3repE0EEENS1_30default_config_static_selectorELNS0_4arch9wavefront6targetE0EEEvT1_
	.globl	_ZN7rocprim17ROCPRIM_400000_NS6detail17trampoline_kernelINS0_14default_configENS1_33run_length_encode_config_selectorImjNS0_4plusIjEEEEZZNS1_33reduce_by_key_impl_wrapped_configILNS1_25lookback_scan_determinismE0ES3_S7_PKmNS0_17constant_iteratorIjlEEPmPlSF_S6_NS0_8equal_toImEEEE10hipError_tPvRmT2_T3_mT4_T5_T6_T7_T8_P12ihipStream_tbENKUlT_T0_E_clISt17integral_constantIbLb0EESZ_EEDaSU_SV_EUlSU_E_NS1_11comp_targetILNS1_3genE3ELNS1_11target_archE908ELNS1_3gpuE7ELNS1_3repE0EEENS1_30default_config_static_selectorELNS0_4arch9wavefront6targetE0EEEvT1_
	.p2align	8
	.type	_ZN7rocprim17ROCPRIM_400000_NS6detail17trampoline_kernelINS0_14default_configENS1_33run_length_encode_config_selectorImjNS0_4plusIjEEEEZZNS1_33reduce_by_key_impl_wrapped_configILNS1_25lookback_scan_determinismE0ES3_S7_PKmNS0_17constant_iteratorIjlEEPmPlSF_S6_NS0_8equal_toImEEEE10hipError_tPvRmT2_T3_mT4_T5_T6_T7_T8_P12ihipStream_tbENKUlT_T0_E_clISt17integral_constantIbLb0EESZ_EEDaSU_SV_EUlSU_E_NS1_11comp_targetILNS1_3genE3ELNS1_11target_archE908ELNS1_3gpuE7ELNS1_3repE0EEENS1_30default_config_static_selectorELNS0_4arch9wavefront6targetE0EEEvT1_,@function
_ZN7rocprim17ROCPRIM_400000_NS6detail17trampoline_kernelINS0_14default_configENS1_33run_length_encode_config_selectorImjNS0_4plusIjEEEEZZNS1_33reduce_by_key_impl_wrapped_configILNS1_25lookback_scan_determinismE0ES3_S7_PKmNS0_17constant_iteratorIjlEEPmPlSF_S6_NS0_8equal_toImEEEE10hipError_tPvRmT2_T3_mT4_T5_T6_T7_T8_P12ihipStream_tbENKUlT_T0_E_clISt17integral_constantIbLb0EESZ_EEDaSU_SV_EUlSU_E_NS1_11comp_targetILNS1_3genE3ELNS1_11target_archE908ELNS1_3gpuE7ELNS1_3repE0EEENS1_30default_config_static_selectorELNS0_4arch9wavefront6targetE0EEEvT1_: ; @_ZN7rocprim17ROCPRIM_400000_NS6detail17trampoline_kernelINS0_14default_configENS1_33run_length_encode_config_selectorImjNS0_4plusIjEEEEZZNS1_33reduce_by_key_impl_wrapped_configILNS1_25lookback_scan_determinismE0ES3_S7_PKmNS0_17constant_iteratorIjlEEPmPlSF_S6_NS0_8equal_toImEEEE10hipError_tPvRmT2_T3_mT4_T5_T6_T7_T8_P12ihipStream_tbENKUlT_T0_E_clISt17integral_constantIbLb0EESZ_EEDaSU_SV_EUlSU_E_NS1_11comp_targetILNS1_3genE3ELNS1_11target_archE908ELNS1_3gpuE7ELNS1_3repE0EEENS1_30default_config_static_selectorELNS0_4arch9wavefront6targetE0EEEvT1_
; %bb.0:
	.section	.rodata,"a",@progbits
	.p2align	6, 0x0
	.amdhsa_kernel _ZN7rocprim17ROCPRIM_400000_NS6detail17trampoline_kernelINS0_14default_configENS1_33run_length_encode_config_selectorImjNS0_4plusIjEEEEZZNS1_33reduce_by_key_impl_wrapped_configILNS1_25lookback_scan_determinismE0ES3_S7_PKmNS0_17constant_iteratorIjlEEPmPlSF_S6_NS0_8equal_toImEEEE10hipError_tPvRmT2_T3_mT4_T5_T6_T7_T8_P12ihipStream_tbENKUlT_T0_E_clISt17integral_constantIbLb0EESZ_EEDaSU_SV_EUlSU_E_NS1_11comp_targetILNS1_3genE3ELNS1_11target_archE908ELNS1_3gpuE7ELNS1_3repE0EEENS1_30default_config_static_selectorELNS0_4arch9wavefront6targetE0EEEvT1_
		.amdhsa_group_segment_fixed_size 0
		.amdhsa_private_segment_fixed_size 0
		.amdhsa_kernarg_size 128
		.amdhsa_user_sgpr_count 2
		.amdhsa_user_sgpr_dispatch_ptr 0
		.amdhsa_user_sgpr_queue_ptr 0
		.amdhsa_user_sgpr_kernarg_segment_ptr 1
		.amdhsa_user_sgpr_dispatch_id 0
		.amdhsa_user_sgpr_kernarg_preload_length 0
		.amdhsa_user_sgpr_kernarg_preload_offset 0
		.amdhsa_user_sgpr_private_segment_size 0
		.amdhsa_wavefront_size32 1
		.amdhsa_uses_dynamic_stack 0
		.amdhsa_enable_private_segment 0
		.amdhsa_system_sgpr_workgroup_id_x 1
		.amdhsa_system_sgpr_workgroup_id_y 0
		.amdhsa_system_sgpr_workgroup_id_z 0
		.amdhsa_system_sgpr_workgroup_info 0
		.amdhsa_system_vgpr_workitem_id 0
		.amdhsa_next_free_vgpr 1
		.amdhsa_next_free_sgpr 1
		.amdhsa_named_barrier_count 0
		.amdhsa_reserve_vcc 0
		.amdhsa_float_round_mode_32 0
		.amdhsa_float_round_mode_16_64 0
		.amdhsa_float_denorm_mode_32 3
		.amdhsa_float_denorm_mode_16_64 3
		.amdhsa_fp16_overflow 0
		.amdhsa_memory_ordered 1
		.amdhsa_forward_progress 1
		.amdhsa_inst_pref_size 0
		.amdhsa_round_robin_scheduling 0
		.amdhsa_exception_fp_ieee_invalid_op 0
		.amdhsa_exception_fp_denorm_src 0
		.amdhsa_exception_fp_ieee_div_zero 0
		.amdhsa_exception_fp_ieee_overflow 0
		.amdhsa_exception_fp_ieee_underflow 0
		.amdhsa_exception_fp_ieee_inexact 0
		.amdhsa_exception_int_div_zero 0
	.end_amdhsa_kernel
	.section	.text._ZN7rocprim17ROCPRIM_400000_NS6detail17trampoline_kernelINS0_14default_configENS1_33run_length_encode_config_selectorImjNS0_4plusIjEEEEZZNS1_33reduce_by_key_impl_wrapped_configILNS1_25lookback_scan_determinismE0ES3_S7_PKmNS0_17constant_iteratorIjlEEPmPlSF_S6_NS0_8equal_toImEEEE10hipError_tPvRmT2_T3_mT4_T5_T6_T7_T8_P12ihipStream_tbENKUlT_T0_E_clISt17integral_constantIbLb0EESZ_EEDaSU_SV_EUlSU_E_NS1_11comp_targetILNS1_3genE3ELNS1_11target_archE908ELNS1_3gpuE7ELNS1_3repE0EEENS1_30default_config_static_selectorELNS0_4arch9wavefront6targetE0EEEvT1_,"axG",@progbits,_ZN7rocprim17ROCPRIM_400000_NS6detail17trampoline_kernelINS0_14default_configENS1_33run_length_encode_config_selectorImjNS0_4plusIjEEEEZZNS1_33reduce_by_key_impl_wrapped_configILNS1_25lookback_scan_determinismE0ES3_S7_PKmNS0_17constant_iteratorIjlEEPmPlSF_S6_NS0_8equal_toImEEEE10hipError_tPvRmT2_T3_mT4_T5_T6_T7_T8_P12ihipStream_tbENKUlT_T0_E_clISt17integral_constantIbLb0EESZ_EEDaSU_SV_EUlSU_E_NS1_11comp_targetILNS1_3genE3ELNS1_11target_archE908ELNS1_3gpuE7ELNS1_3repE0EEENS1_30default_config_static_selectorELNS0_4arch9wavefront6targetE0EEEvT1_,comdat
.Lfunc_end721:
	.size	_ZN7rocprim17ROCPRIM_400000_NS6detail17trampoline_kernelINS0_14default_configENS1_33run_length_encode_config_selectorImjNS0_4plusIjEEEEZZNS1_33reduce_by_key_impl_wrapped_configILNS1_25lookback_scan_determinismE0ES3_S7_PKmNS0_17constant_iteratorIjlEEPmPlSF_S6_NS0_8equal_toImEEEE10hipError_tPvRmT2_T3_mT4_T5_T6_T7_T8_P12ihipStream_tbENKUlT_T0_E_clISt17integral_constantIbLb0EESZ_EEDaSU_SV_EUlSU_E_NS1_11comp_targetILNS1_3genE3ELNS1_11target_archE908ELNS1_3gpuE7ELNS1_3repE0EEENS1_30default_config_static_selectorELNS0_4arch9wavefront6targetE0EEEvT1_, .Lfunc_end721-_ZN7rocprim17ROCPRIM_400000_NS6detail17trampoline_kernelINS0_14default_configENS1_33run_length_encode_config_selectorImjNS0_4plusIjEEEEZZNS1_33reduce_by_key_impl_wrapped_configILNS1_25lookback_scan_determinismE0ES3_S7_PKmNS0_17constant_iteratorIjlEEPmPlSF_S6_NS0_8equal_toImEEEE10hipError_tPvRmT2_T3_mT4_T5_T6_T7_T8_P12ihipStream_tbENKUlT_T0_E_clISt17integral_constantIbLb0EESZ_EEDaSU_SV_EUlSU_E_NS1_11comp_targetILNS1_3genE3ELNS1_11target_archE908ELNS1_3gpuE7ELNS1_3repE0EEENS1_30default_config_static_selectorELNS0_4arch9wavefront6targetE0EEEvT1_
                                        ; -- End function
	.set _ZN7rocprim17ROCPRIM_400000_NS6detail17trampoline_kernelINS0_14default_configENS1_33run_length_encode_config_selectorImjNS0_4plusIjEEEEZZNS1_33reduce_by_key_impl_wrapped_configILNS1_25lookback_scan_determinismE0ES3_S7_PKmNS0_17constant_iteratorIjlEEPmPlSF_S6_NS0_8equal_toImEEEE10hipError_tPvRmT2_T3_mT4_T5_T6_T7_T8_P12ihipStream_tbENKUlT_T0_E_clISt17integral_constantIbLb0EESZ_EEDaSU_SV_EUlSU_E_NS1_11comp_targetILNS1_3genE3ELNS1_11target_archE908ELNS1_3gpuE7ELNS1_3repE0EEENS1_30default_config_static_selectorELNS0_4arch9wavefront6targetE0EEEvT1_.num_vgpr, 0
	.set _ZN7rocprim17ROCPRIM_400000_NS6detail17trampoline_kernelINS0_14default_configENS1_33run_length_encode_config_selectorImjNS0_4plusIjEEEEZZNS1_33reduce_by_key_impl_wrapped_configILNS1_25lookback_scan_determinismE0ES3_S7_PKmNS0_17constant_iteratorIjlEEPmPlSF_S6_NS0_8equal_toImEEEE10hipError_tPvRmT2_T3_mT4_T5_T6_T7_T8_P12ihipStream_tbENKUlT_T0_E_clISt17integral_constantIbLb0EESZ_EEDaSU_SV_EUlSU_E_NS1_11comp_targetILNS1_3genE3ELNS1_11target_archE908ELNS1_3gpuE7ELNS1_3repE0EEENS1_30default_config_static_selectorELNS0_4arch9wavefront6targetE0EEEvT1_.num_agpr, 0
	.set _ZN7rocprim17ROCPRIM_400000_NS6detail17trampoline_kernelINS0_14default_configENS1_33run_length_encode_config_selectorImjNS0_4plusIjEEEEZZNS1_33reduce_by_key_impl_wrapped_configILNS1_25lookback_scan_determinismE0ES3_S7_PKmNS0_17constant_iteratorIjlEEPmPlSF_S6_NS0_8equal_toImEEEE10hipError_tPvRmT2_T3_mT4_T5_T6_T7_T8_P12ihipStream_tbENKUlT_T0_E_clISt17integral_constantIbLb0EESZ_EEDaSU_SV_EUlSU_E_NS1_11comp_targetILNS1_3genE3ELNS1_11target_archE908ELNS1_3gpuE7ELNS1_3repE0EEENS1_30default_config_static_selectorELNS0_4arch9wavefront6targetE0EEEvT1_.numbered_sgpr, 0
	.set _ZN7rocprim17ROCPRIM_400000_NS6detail17trampoline_kernelINS0_14default_configENS1_33run_length_encode_config_selectorImjNS0_4plusIjEEEEZZNS1_33reduce_by_key_impl_wrapped_configILNS1_25lookback_scan_determinismE0ES3_S7_PKmNS0_17constant_iteratorIjlEEPmPlSF_S6_NS0_8equal_toImEEEE10hipError_tPvRmT2_T3_mT4_T5_T6_T7_T8_P12ihipStream_tbENKUlT_T0_E_clISt17integral_constantIbLb0EESZ_EEDaSU_SV_EUlSU_E_NS1_11comp_targetILNS1_3genE3ELNS1_11target_archE908ELNS1_3gpuE7ELNS1_3repE0EEENS1_30default_config_static_selectorELNS0_4arch9wavefront6targetE0EEEvT1_.num_named_barrier, 0
	.set _ZN7rocprim17ROCPRIM_400000_NS6detail17trampoline_kernelINS0_14default_configENS1_33run_length_encode_config_selectorImjNS0_4plusIjEEEEZZNS1_33reduce_by_key_impl_wrapped_configILNS1_25lookback_scan_determinismE0ES3_S7_PKmNS0_17constant_iteratorIjlEEPmPlSF_S6_NS0_8equal_toImEEEE10hipError_tPvRmT2_T3_mT4_T5_T6_T7_T8_P12ihipStream_tbENKUlT_T0_E_clISt17integral_constantIbLb0EESZ_EEDaSU_SV_EUlSU_E_NS1_11comp_targetILNS1_3genE3ELNS1_11target_archE908ELNS1_3gpuE7ELNS1_3repE0EEENS1_30default_config_static_selectorELNS0_4arch9wavefront6targetE0EEEvT1_.private_seg_size, 0
	.set _ZN7rocprim17ROCPRIM_400000_NS6detail17trampoline_kernelINS0_14default_configENS1_33run_length_encode_config_selectorImjNS0_4plusIjEEEEZZNS1_33reduce_by_key_impl_wrapped_configILNS1_25lookback_scan_determinismE0ES3_S7_PKmNS0_17constant_iteratorIjlEEPmPlSF_S6_NS0_8equal_toImEEEE10hipError_tPvRmT2_T3_mT4_T5_T6_T7_T8_P12ihipStream_tbENKUlT_T0_E_clISt17integral_constantIbLb0EESZ_EEDaSU_SV_EUlSU_E_NS1_11comp_targetILNS1_3genE3ELNS1_11target_archE908ELNS1_3gpuE7ELNS1_3repE0EEENS1_30default_config_static_selectorELNS0_4arch9wavefront6targetE0EEEvT1_.uses_vcc, 0
	.set _ZN7rocprim17ROCPRIM_400000_NS6detail17trampoline_kernelINS0_14default_configENS1_33run_length_encode_config_selectorImjNS0_4plusIjEEEEZZNS1_33reduce_by_key_impl_wrapped_configILNS1_25lookback_scan_determinismE0ES3_S7_PKmNS0_17constant_iteratorIjlEEPmPlSF_S6_NS0_8equal_toImEEEE10hipError_tPvRmT2_T3_mT4_T5_T6_T7_T8_P12ihipStream_tbENKUlT_T0_E_clISt17integral_constantIbLb0EESZ_EEDaSU_SV_EUlSU_E_NS1_11comp_targetILNS1_3genE3ELNS1_11target_archE908ELNS1_3gpuE7ELNS1_3repE0EEENS1_30default_config_static_selectorELNS0_4arch9wavefront6targetE0EEEvT1_.uses_flat_scratch, 0
	.set _ZN7rocprim17ROCPRIM_400000_NS6detail17trampoline_kernelINS0_14default_configENS1_33run_length_encode_config_selectorImjNS0_4plusIjEEEEZZNS1_33reduce_by_key_impl_wrapped_configILNS1_25lookback_scan_determinismE0ES3_S7_PKmNS0_17constant_iteratorIjlEEPmPlSF_S6_NS0_8equal_toImEEEE10hipError_tPvRmT2_T3_mT4_T5_T6_T7_T8_P12ihipStream_tbENKUlT_T0_E_clISt17integral_constantIbLb0EESZ_EEDaSU_SV_EUlSU_E_NS1_11comp_targetILNS1_3genE3ELNS1_11target_archE908ELNS1_3gpuE7ELNS1_3repE0EEENS1_30default_config_static_selectorELNS0_4arch9wavefront6targetE0EEEvT1_.has_dyn_sized_stack, 0
	.set _ZN7rocprim17ROCPRIM_400000_NS6detail17trampoline_kernelINS0_14default_configENS1_33run_length_encode_config_selectorImjNS0_4plusIjEEEEZZNS1_33reduce_by_key_impl_wrapped_configILNS1_25lookback_scan_determinismE0ES3_S7_PKmNS0_17constant_iteratorIjlEEPmPlSF_S6_NS0_8equal_toImEEEE10hipError_tPvRmT2_T3_mT4_T5_T6_T7_T8_P12ihipStream_tbENKUlT_T0_E_clISt17integral_constantIbLb0EESZ_EEDaSU_SV_EUlSU_E_NS1_11comp_targetILNS1_3genE3ELNS1_11target_archE908ELNS1_3gpuE7ELNS1_3repE0EEENS1_30default_config_static_selectorELNS0_4arch9wavefront6targetE0EEEvT1_.has_recursion, 0
	.set _ZN7rocprim17ROCPRIM_400000_NS6detail17trampoline_kernelINS0_14default_configENS1_33run_length_encode_config_selectorImjNS0_4plusIjEEEEZZNS1_33reduce_by_key_impl_wrapped_configILNS1_25lookback_scan_determinismE0ES3_S7_PKmNS0_17constant_iteratorIjlEEPmPlSF_S6_NS0_8equal_toImEEEE10hipError_tPvRmT2_T3_mT4_T5_T6_T7_T8_P12ihipStream_tbENKUlT_T0_E_clISt17integral_constantIbLb0EESZ_EEDaSU_SV_EUlSU_E_NS1_11comp_targetILNS1_3genE3ELNS1_11target_archE908ELNS1_3gpuE7ELNS1_3repE0EEENS1_30default_config_static_selectorELNS0_4arch9wavefront6targetE0EEEvT1_.has_indirect_call, 0
	.section	.AMDGPU.csdata,"",@progbits
; Kernel info:
; codeLenInByte = 0
; TotalNumSgprs: 0
; NumVgprs: 0
; ScratchSize: 0
; MemoryBound: 0
; FloatMode: 240
; IeeeMode: 1
; LDSByteSize: 0 bytes/workgroup (compile time only)
; SGPRBlocks: 0
; VGPRBlocks: 0
; NumSGPRsForWavesPerEU: 1
; NumVGPRsForWavesPerEU: 1
; NamedBarCnt: 0
; Occupancy: 16
; WaveLimiterHint : 0
; COMPUTE_PGM_RSRC2:SCRATCH_EN: 0
; COMPUTE_PGM_RSRC2:USER_SGPR: 2
; COMPUTE_PGM_RSRC2:TRAP_HANDLER: 0
; COMPUTE_PGM_RSRC2:TGID_X_EN: 1
; COMPUTE_PGM_RSRC2:TGID_Y_EN: 0
; COMPUTE_PGM_RSRC2:TGID_Z_EN: 0
; COMPUTE_PGM_RSRC2:TIDIG_COMP_CNT: 0
	.section	.text._ZN7rocprim17ROCPRIM_400000_NS6detail17trampoline_kernelINS0_14default_configENS1_33run_length_encode_config_selectorImjNS0_4plusIjEEEEZZNS1_33reduce_by_key_impl_wrapped_configILNS1_25lookback_scan_determinismE0ES3_S7_PKmNS0_17constant_iteratorIjlEEPmPlSF_S6_NS0_8equal_toImEEEE10hipError_tPvRmT2_T3_mT4_T5_T6_T7_T8_P12ihipStream_tbENKUlT_T0_E_clISt17integral_constantIbLb0EESZ_EEDaSU_SV_EUlSU_E_NS1_11comp_targetILNS1_3genE2ELNS1_11target_archE906ELNS1_3gpuE6ELNS1_3repE0EEENS1_30default_config_static_selectorELNS0_4arch9wavefront6targetE0EEEvT1_,"axG",@progbits,_ZN7rocprim17ROCPRIM_400000_NS6detail17trampoline_kernelINS0_14default_configENS1_33run_length_encode_config_selectorImjNS0_4plusIjEEEEZZNS1_33reduce_by_key_impl_wrapped_configILNS1_25lookback_scan_determinismE0ES3_S7_PKmNS0_17constant_iteratorIjlEEPmPlSF_S6_NS0_8equal_toImEEEE10hipError_tPvRmT2_T3_mT4_T5_T6_T7_T8_P12ihipStream_tbENKUlT_T0_E_clISt17integral_constantIbLb0EESZ_EEDaSU_SV_EUlSU_E_NS1_11comp_targetILNS1_3genE2ELNS1_11target_archE906ELNS1_3gpuE6ELNS1_3repE0EEENS1_30default_config_static_selectorELNS0_4arch9wavefront6targetE0EEEvT1_,comdat
	.protected	_ZN7rocprim17ROCPRIM_400000_NS6detail17trampoline_kernelINS0_14default_configENS1_33run_length_encode_config_selectorImjNS0_4plusIjEEEEZZNS1_33reduce_by_key_impl_wrapped_configILNS1_25lookback_scan_determinismE0ES3_S7_PKmNS0_17constant_iteratorIjlEEPmPlSF_S6_NS0_8equal_toImEEEE10hipError_tPvRmT2_T3_mT4_T5_T6_T7_T8_P12ihipStream_tbENKUlT_T0_E_clISt17integral_constantIbLb0EESZ_EEDaSU_SV_EUlSU_E_NS1_11comp_targetILNS1_3genE2ELNS1_11target_archE906ELNS1_3gpuE6ELNS1_3repE0EEENS1_30default_config_static_selectorELNS0_4arch9wavefront6targetE0EEEvT1_ ; -- Begin function _ZN7rocprim17ROCPRIM_400000_NS6detail17trampoline_kernelINS0_14default_configENS1_33run_length_encode_config_selectorImjNS0_4plusIjEEEEZZNS1_33reduce_by_key_impl_wrapped_configILNS1_25lookback_scan_determinismE0ES3_S7_PKmNS0_17constant_iteratorIjlEEPmPlSF_S6_NS0_8equal_toImEEEE10hipError_tPvRmT2_T3_mT4_T5_T6_T7_T8_P12ihipStream_tbENKUlT_T0_E_clISt17integral_constantIbLb0EESZ_EEDaSU_SV_EUlSU_E_NS1_11comp_targetILNS1_3genE2ELNS1_11target_archE906ELNS1_3gpuE6ELNS1_3repE0EEENS1_30default_config_static_selectorELNS0_4arch9wavefront6targetE0EEEvT1_
	.globl	_ZN7rocprim17ROCPRIM_400000_NS6detail17trampoline_kernelINS0_14default_configENS1_33run_length_encode_config_selectorImjNS0_4plusIjEEEEZZNS1_33reduce_by_key_impl_wrapped_configILNS1_25lookback_scan_determinismE0ES3_S7_PKmNS0_17constant_iteratorIjlEEPmPlSF_S6_NS0_8equal_toImEEEE10hipError_tPvRmT2_T3_mT4_T5_T6_T7_T8_P12ihipStream_tbENKUlT_T0_E_clISt17integral_constantIbLb0EESZ_EEDaSU_SV_EUlSU_E_NS1_11comp_targetILNS1_3genE2ELNS1_11target_archE906ELNS1_3gpuE6ELNS1_3repE0EEENS1_30default_config_static_selectorELNS0_4arch9wavefront6targetE0EEEvT1_
	.p2align	8
	.type	_ZN7rocprim17ROCPRIM_400000_NS6detail17trampoline_kernelINS0_14default_configENS1_33run_length_encode_config_selectorImjNS0_4plusIjEEEEZZNS1_33reduce_by_key_impl_wrapped_configILNS1_25lookback_scan_determinismE0ES3_S7_PKmNS0_17constant_iteratorIjlEEPmPlSF_S6_NS0_8equal_toImEEEE10hipError_tPvRmT2_T3_mT4_T5_T6_T7_T8_P12ihipStream_tbENKUlT_T0_E_clISt17integral_constantIbLb0EESZ_EEDaSU_SV_EUlSU_E_NS1_11comp_targetILNS1_3genE2ELNS1_11target_archE906ELNS1_3gpuE6ELNS1_3repE0EEENS1_30default_config_static_selectorELNS0_4arch9wavefront6targetE0EEEvT1_,@function
_ZN7rocprim17ROCPRIM_400000_NS6detail17trampoline_kernelINS0_14default_configENS1_33run_length_encode_config_selectorImjNS0_4plusIjEEEEZZNS1_33reduce_by_key_impl_wrapped_configILNS1_25lookback_scan_determinismE0ES3_S7_PKmNS0_17constant_iteratorIjlEEPmPlSF_S6_NS0_8equal_toImEEEE10hipError_tPvRmT2_T3_mT4_T5_T6_T7_T8_P12ihipStream_tbENKUlT_T0_E_clISt17integral_constantIbLb0EESZ_EEDaSU_SV_EUlSU_E_NS1_11comp_targetILNS1_3genE2ELNS1_11target_archE906ELNS1_3gpuE6ELNS1_3repE0EEENS1_30default_config_static_selectorELNS0_4arch9wavefront6targetE0EEEvT1_: ; @_ZN7rocprim17ROCPRIM_400000_NS6detail17trampoline_kernelINS0_14default_configENS1_33run_length_encode_config_selectorImjNS0_4plusIjEEEEZZNS1_33reduce_by_key_impl_wrapped_configILNS1_25lookback_scan_determinismE0ES3_S7_PKmNS0_17constant_iteratorIjlEEPmPlSF_S6_NS0_8equal_toImEEEE10hipError_tPvRmT2_T3_mT4_T5_T6_T7_T8_P12ihipStream_tbENKUlT_T0_E_clISt17integral_constantIbLb0EESZ_EEDaSU_SV_EUlSU_E_NS1_11comp_targetILNS1_3genE2ELNS1_11target_archE906ELNS1_3gpuE6ELNS1_3repE0EEENS1_30default_config_static_selectorELNS0_4arch9wavefront6targetE0EEEvT1_
; %bb.0:
	.section	.rodata,"a",@progbits
	.p2align	6, 0x0
	.amdhsa_kernel _ZN7rocprim17ROCPRIM_400000_NS6detail17trampoline_kernelINS0_14default_configENS1_33run_length_encode_config_selectorImjNS0_4plusIjEEEEZZNS1_33reduce_by_key_impl_wrapped_configILNS1_25lookback_scan_determinismE0ES3_S7_PKmNS0_17constant_iteratorIjlEEPmPlSF_S6_NS0_8equal_toImEEEE10hipError_tPvRmT2_T3_mT4_T5_T6_T7_T8_P12ihipStream_tbENKUlT_T0_E_clISt17integral_constantIbLb0EESZ_EEDaSU_SV_EUlSU_E_NS1_11comp_targetILNS1_3genE2ELNS1_11target_archE906ELNS1_3gpuE6ELNS1_3repE0EEENS1_30default_config_static_selectorELNS0_4arch9wavefront6targetE0EEEvT1_
		.amdhsa_group_segment_fixed_size 0
		.amdhsa_private_segment_fixed_size 0
		.amdhsa_kernarg_size 128
		.amdhsa_user_sgpr_count 2
		.amdhsa_user_sgpr_dispatch_ptr 0
		.amdhsa_user_sgpr_queue_ptr 0
		.amdhsa_user_sgpr_kernarg_segment_ptr 1
		.amdhsa_user_sgpr_dispatch_id 0
		.amdhsa_user_sgpr_kernarg_preload_length 0
		.amdhsa_user_sgpr_kernarg_preload_offset 0
		.amdhsa_user_sgpr_private_segment_size 0
		.amdhsa_wavefront_size32 1
		.amdhsa_uses_dynamic_stack 0
		.amdhsa_enable_private_segment 0
		.amdhsa_system_sgpr_workgroup_id_x 1
		.amdhsa_system_sgpr_workgroup_id_y 0
		.amdhsa_system_sgpr_workgroup_id_z 0
		.amdhsa_system_sgpr_workgroup_info 0
		.amdhsa_system_vgpr_workitem_id 0
		.amdhsa_next_free_vgpr 1
		.amdhsa_next_free_sgpr 1
		.amdhsa_named_barrier_count 0
		.amdhsa_reserve_vcc 0
		.amdhsa_float_round_mode_32 0
		.amdhsa_float_round_mode_16_64 0
		.amdhsa_float_denorm_mode_32 3
		.amdhsa_float_denorm_mode_16_64 3
		.amdhsa_fp16_overflow 0
		.amdhsa_memory_ordered 1
		.amdhsa_forward_progress 1
		.amdhsa_inst_pref_size 0
		.amdhsa_round_robin_scheduling 0
		.amdhsa_exception_fp_ieee_invalid_op 0
		.amdhsa_exception_fp_denorm_src 0
		.amdhsa_exception_fp_ieee_div_zero 0
		.amdhsa_exception_fp_ieee_overflow 0
		.amdhsa_exception_fp_ieee_underflow 0
		.amdhsa_exception_fp_ieee_inexact 0
		.amdhsa_exception_int_div_zero 0
	.end_amdhsa_kernel
	.section	.text._ZN7rocprim17ROCPRIM_400000_NS6detail17trampoline_kernelINS0_14default_configENS1_33run_length_encode_config_selectorImjNS0_4plusIjEEEEZZNS1_33reduce_by_key_impl_wrapped_configILNS1_25lookback_scan_determinismE0ES3_S7_PKmNS0_17constant_iteratorIjlEEPmPlSF_S6_NS0_8equal_toImEEEE10hipError_tPvRmT2_T3_mT4_T5_T6_T7_T8_P12ihipStream_tbENKUlT_T0_E_clISt17integral_constantIbLb0EESZ_EEDaSU_SV_EUlSU_E_NS1_11comp_targetILNS1_3genE2ELNS1_11target_archE906ELNS1_3gpuE6ELNS1_3repE0EEENS1_30default_config_static_selectorELNS0_4arch9wavefront6targetE0EEEvT1_,"axG",@progbits,_ZN7rocprim17ROCPRIM_400000_NS6detail17trampoline_kernelINS0_14default_configENS1_33run_length_encode_config_selectorImjNS0_4plusIjEEEEZZNS1_33reduce_by_key_impl_wrapped_configILNS1_25lookback_scan_determinismE0ES3_S7_PKmNS0_17constant_iteratorIjlEEPmPlSF_S6_NS0_8equal_toImEEEE10hipError_tPvRmT2_T3_mT4_T5_T6_T7_T8_P12ihipStream_tbENKUlT_T0_E_clISt17integral_constantIbLb0EESZ_EEDaSU_SV_EUlSU_E_NS1_11comp_targetILNS1_3genE2ELNS1_11target_archE906ELNS1_3gpuE6ELNS1_3repE0EEENS1_30default_config_static_selectorELNS0_4arch9wavefront6targetE0EEEvT1_,comdat
.Lfunc_end722:
	.size	_ZN7rocprim17ROCPRIM_400000_NS6detail17trampoline_kernelINS0_14default_configENS1_33run_length_encode_config_selectorImjNS0_4plusIjEEEEZZNS1_33reduce_by_key_impl_wrapped_configILNS1_25lookback_scan_determinismE0ES3_S7_PKmNS0_17constant_iteratorIjlEEPmPlSF_S6_NS0_8equal_toImEEEE10hipError_tPvRmT2_T3_mT4_T5_T6_T7_T8_P12ihipStream_tbENKUlT_T0_E_clISt17integral_constantIbLb0EESZ_EEDaSU_SV_EUlSU_E_NS1_11comp_targetILNS1_3genE2ELNS1_11target_archE906ELNS1_3gpuE6ELNS1_3repE0EEENS1_30default_config_static_selectorELNS0_4arch9wavefront6targetE0EEEvT1_, .Lfunc_end722-_ZN7rocprim17ROCPRIM_400000_NS6detail17trampoline_kernelINS0_14default_configENS1_33run_length_encode_config_selectorImjNS0_4plusIjEEEEZZNS1_33reduce_by_key_impl_wrapped_configILNS1_25lookback_scan_determinismE0ES3_S7_PKmNS0_17constant_iteratorIjlEEPmPlSF_S6_NS0_8equal_toImEEEE10hipError_tPvRmT2_T3_mT4_T5_T6_T7_T8_P12ihipStream_tbENKUlT_T0_E_clISt17integral_constantIbLb0EESZ_EEDaSU_SV_EUlSU_E_NS1_11comp_targetILNS1_3genE2ELNS1_11target_archE906ELNS1_3gpuE6ELNS1_3repE0EEENS1_30default_config_static_selectorELNS0_4arch9wavefront6targetE0EEEvT1_
                                        ; -- End function
	.set _ZN7rocprim17ROCPRIM_400000_NS6detail17trampoline_kernelINS0_14default_configENS1_33run_length_encode_config_selectorImjNS0_4plusIjEEEEZZNS1_33reduce_by_key_impl_wrapped_configILNS1_25lookback_scan_determinismE0ES3_S7_PKmNS0_17constant_iteratorIjlEEPmPlSF_S6_NS0_8equal_toImEEEE10hipError_tPvRmT2_T3_mT4_T5_T6_T7_T8_P12ihipStream_tbENKUlT_T0_E_clISt17integral_constantIbLb0EESZ_EEDaSU_SV_EUlSU_E_NS1_11comp_targetILNS1_3genE2ELNS1_11target_archE906ELNS1_3gpuE6ELNS1_3repE0EEENS1_30default_config_static_selectorELNS0_4arch9wavefront6targetE0EEEvT1_.num_vgpr, 0
	.set _ZN7rocprim17ROCPRIM_400000_NS6detail17trampoline_kernelINS0_14default_configENS1_33run_length_encode_config_selectorImjNS0_4plusIjEEEEZZNS1_33reduce_by_key_impl_wrapped_configILNS1_25lookback_scan_determinismE0ES3_S7_PKmNS0_17constant_iteratorIjlEEPmPlSF_S6_NS0_8equal_toImEEEE10hipError_tPvRmT2_T3_mT4_T5_T6_T7_T8_P12ihipStream_tbENKUlT_T0_E_clISt17integral_constantIbLb0EESZ_EEDaSU_SV_EUlSU_E_NS1_11comp_targetILNS1_3genE2ELNS1_11target_archE906ELNS1_3gpuE6ELNS1_3repE0EEENS1_30default_config_static_selectorELNS0_4arch9wavefront6targetE0EEEvT1_.num_agpr, 0
	.set _ZN7rocprim17ROCPRIM_400000_NS6detail17trampoline_kernelINS0_14default_configENS1_33run_length_encode_config_selectorImjNS0_4plusIjEEEEZZNS1_33reduce_by_key_impl_wrapped_configILNS1_25lookback_scan_determinismE0ES3_S7_PKmNS0_17constant_iteratorIjlEEPmPlSF_S6_NS0_8equal_toImEEEE10hipError_tPvRmT2_T3_mT4_T5_T6_T7_T8_P12ihipStream_tbENKUlT_T0_E_clISt17integral_constantIbLb0EESZ_EEDaSU_SV_EUlSU_E_NS1_11comp_targetILNS1_3genE2ELNS1_11target_archE906ELNS1_3gpuE6ELNS1_3repE0EEENS1_30default_config_static_selectorELNS0_4arch9wavefront6targetE0EEEvT1_.numbered_sgpr, 0
	.set _ZN7rocprim17ROCPRIM_400000_NS6detail17trampoline_kernelINS0_14default_configENS1_33run_length_encode_config_selectorImjNS0_4plusIjEEEEZZNS1_33reduce_by_key_impl_wrapped_configILNS1_25lookback_scan_determinismE0ES3_S7_PKmNS0_17constant_iteratorIjlEEPmPlSF_S6_NS0_8equal_toImEEEE10hipError_tPvRmT2_T3_mT4_T5_T6_T7_T8_P12ihipStream_tbENKUlT_T0_E_clISt17integral_constantIbLb0EESZ_EEDaSU_SV_EUlSU_E_NS1_11comp_targetILNS1_3genE2ELNS1_11target_archE906ELNS1_3gpuE6ELNS1_3repE0EEENS1_30default_config_static_selectorELNS0_4arch9wavefront6targetE0EEEvT1_.num_named_barrier, 0
	.set _ZN7rocprim17ROCPRIM_400000_NS6detail17trampoline_kernelINS0_14default_configENS1_33run_length_encode_config_selectorImjNS0_4plusIjEEEEZZNS1_33reduce_by_key_impl_wrapped_configILNS1_25lookback_scan_determinismE0ES3_S7_PKmNS0_17constant_iteratorIjlEEPmPlSF_S6_NS0_8equal_toImEEEE10hipError_tPvRmT2_T3_mT4_T5_T6_T7_T8_P12ihipStream_tbENKUlT_T0_E_clISt17integral_constantIbLb0EESZ_EEDaSU_SV_EUlSU_E_NS1_11comp_targetILNS1_3genE2ELNS1_11target_archE906ELNS1_3gpuE6ELNS1_3repE0EEENS1_30default_config_static_selectorELNS0_4arch9wavefront6targetE0EEEvT1_.private_seg_size, 0
	.set _ZN7rocprim17ROCPRIM_400000_NS6detail17trampoline_kernelINS0_14default_configENS1_33run_length_encode_config_selectorImjNS0_4plusIjEEEEZZNS1_33reduce_by_key_impl_wrapped_configILNS1_25lookback_scan_determinismE0ES3_S7_PKmNS0_17constant_iteratorIjlEEPmPlSF_S6_NS0_8equal_toImEEEE10hipError_tPvRmT2_T3_mT4_T5_T6_T7_T8_P12ihipStream_tbENKUlT_T0_E_clISt17integral_constantIbLb0EESZ_EEDaSU_SV_EUlSU_E_NS1_11comp_targetILNS1_3genE2ELNS1_11target_archE906ELNS1_3gpuE6ELNS1_3repE0EEENS1_30default_config_static_selectorELNS0_4arch9wavefront6targetE0EEEvT1_.uses_vcc, 0
	.set _ZN7rocprim17ROCPRIM_400000_NS6detail17trampoline_kernelINS0_14default_configENS1_33run_length_encode_config_selectorImjNS0_4plusIjEEEEZZNS1_33reduce_by_key_impl_wrapped_configILNS1_25lookback_scan_determinismE0ES3_S7_PKmNS0_17constant_iteratorIjlEEPmPlSF_S6_NS0_8equal_toImEEEE10hipError_tPvRmT2_T3_mT4_T5_T6_T7_T8_P12ihipStream_tbENKUlT_T0_E_clISt17integral_constantIbLb0EESZ_EEDaSU_SV_EUlSU_E_NS1_11comp_targetILNS1_3genE2ELNS1_11target_archE906ELNS1_3gpuE6ELNS1_3repE0EEENS1_30default_config_static_selectorELNS0_4arch9wavefront6targetE0EEEvT1_.uses_flat_scratch, 0
	.set _ZN7rocprim17ROCPRIM_400000_NS6detail17trampoline_kernelINS0_14default_configENS1_33run_length_encode_config_selectorImjNS0_4plusIjEEEEZZNS1_33reduce_by_key_impl_wrapped_configILNS1_25lookback_scan_determinismE0ES3_S7_PKmNS0_17constant_iteratorIjlEEPmPlSF_S6_NS0_8equal_toImEEEE10hipError_tPvRmT2_T3_mT4_T5_T6_T7_T8_P12ihipStream_tbENKUlT_T0_E_clISt17integral_constantIbLb0EESZ_EEDaSU_SV_EUlSU_E_NS1_11comp_targetILNS1_3genE2ELNS1_11target_archE906ELNS1_3gpuE6ELNS1_3repE0EEENS1_30default_config_static_selectorELNS0_4arch9wavefront6targetE0EEEvT1_.has_dyn_sized_stack, 0
	.set _ZN7rocprim17ROCPRIM_400000_NS6detail17trampoline_kernelINS0_14default_configENS1_33run_length_encode_config_selectorImjNS0_4plusIjEEEEZZNS1_33reduce_by_key_impl_wrapped_configILNS1_25lookback_scan_determinismE0ES3_S7_PKmNS0_17constant_iteratorIjlEEPmPlSF_S6_NS0_8equal_toImEEEE10hipError_tPvRmT2_T3_mT4_T5_T6_T7_T8_P12ihipStream_tbENKUlT_T0_E_clISt17integral_constantIbLb0EESZ_EEDaSU_SV_EUlSU_E_NS1_11comp_targetILNS1_3genE2ELNS1_11target_archE906ELNS1_3gpuE6ELNS1_3repE0EEENS1_30default_config_static_selectorELNS0_4arch9wavefront6targetE0EEEvT1_.has_recursion, 0
	.set _ZN7rocprim17ROCPRIM_400000_NS6detail17trampoline_kernelINS0_14default_configENS1_33run_length_encode_config_selectorImjNS0_4plusIjEEEEZZNS1_33reduce_by_key_impl_wrapped_configILNS1_25lookback_scan_determinismE0ES3_S7_PKmNS0_17constant_iteratorIjlEEPmPlSF_S6_NS0_8equal_toImEEEE10hipError_tPvRmT2_T3_mT4_T5_T6_T7_T8_P12ihipStream_tbENKUlT_T0_E_clISt17integral_constantIbLb0EESZ_EEDaSU_SV_EUlSU_E_NS1_11comp_targetILNS1_3genE2ELNS1_11target_archE906ELNS1_3gpuE6ELNS1_3repE0EEENS1_30default_config_static_selectorELNS0_4arch9wavefront6targetE0EEEvT1_.has_indirect_call, 0
	.section	.AMDGPU.csdata,"",@progbits
; Kernel info:
; codeLenInByte = 0
; TotalNumSgprs: 0
; NumVgprs: 0
; ScratchSize: 0
; MemoryBound: 0
; FloatMode: 240
; IeeeMode: 1
; LDSByteSize: 0 bytes/workgroup (compile time only)
; SGPRBlocks: 0
; VGPRBlocks: 0
; NumSGPRsForWavesPerEU: 1
; NumVGPRsForWavesPerEU: 1
; NamedBarCnt: 0
; Occupancy: 16
; WaveLimiterHint : 0
; COMPUTE_PGM_RSRC2:SCRATCH_EN: 0
; COMPUTE_PGM_RSRC2:USER_SGPR: 2
; COMPUTE_PGM_RSRC2:TRAP_HANDLER: 0
; COMPUTE_PGM_RSRC2:TGID_X_EN: 1
; COMPUTE_PGM_RSRC2:TGID_Y_EN: 0
; COMPUTE_PGM_RSRC2:TGID_Z_EN: 0
; COMPUTE_PGM_RSRC2:TIDIG_COMP_CNT: 0
	.section	.text._ZN7rocprim17ROCPRIM_400000_NS6detail17trampoline_kernelINS0_14default_configENS1_33run_length_encode_config_selectorImjNS0_4plusIjEEEEZZNS1_33reduce_by_key_impl_wrapped_configILNS1_25lookback_scan_determinismE0ES3_S7_PKmNS0_17constant_iteratorIjlEEPmPlSF_S6_NS0_8equal_toImEEEE10hipError_tPvRmT2_T3_mT4_T5_T6_T7_T8_P12ihipStream_tbENKUlT_T0_E_clISt17integral_constantIbLb0EESZ_EEDaSU_SV_EUlSU_E_NS1_11comp_targetILNS1_3genE10ELNS1_11target_archE1201ELNS1_3gpuE5ELNS1_3repE0EEENS1_30default_config_static_selectorELNS0_4arch9wavefront6targetE0EEEvT1_,"axG",@progbits,_ZN7rocprim17ROCPRIM_400000_NS6detail17trampoline_kernelINS0_14default_configENS1_33run_length_encode_config_selectorImjNS0_4plusIjEEEEZZNS1_33reduce_by_key_impl_wrapped_configILNS1_25lookback_scan_determinismE0ES3_S7_PKmNS0_17constant_iteratorIjlEEPmPlSF_S6_NS0_8equal_toImEEEE10hipError_tPvRmT2_T3_mT4_T5_T6_T7_T8_P12ihipStream_tbENKUlT_T0_E_clISt17integral_constantIbLb0EESZ_EEDaSU_SV_EUlSU_E_NS1_11comp_targetILNS1_3genE10ELNS1_11target_archE1201ELNS1_3gpuE5ELNS1_3repE0EEENS1_30default_config_static_selectorELNS0_4arch9wavefront6targetE0EEEvT1_,comdat
	.protected	_ZN7rocprim17ROCPRIM_400000_NS6detail17trampoline_kernelINS0_14default_configENS1_33run_length_encode_config_selectorImjNS0_4plusIjEEEEZZNS1_33reduce_by_key_impl_wrapped_configILNS1_25lookback_scan_determinismE0ES3_S7_PKmNS0_17constant_iteratorIjlEEPmPlSF_S6_NS0_8equal_toImEEEE10hipError_tPvRmT2_T3_mT4_T5_T6_T7_T8_P12ihipStream_tbENKUlT_T0_E_clISt17integral_constantIbLb0EESZ_EEDaSU_SV_EUlSU_E_NS1_11comp_targetILNS1_3genE10ELNS1_11target_archE1201ELNS1_3gpuE5ELNS1_3repE0EEENS1_30default_config_static_selectorELNS0_4arch9wavefront6targetE0EEEvT1_ ; -- Begin function _ZN7rocprim17ROCPRIM_400000_NS6detail17trampoline_kernelINS0_14default_configENS1_33run_length_encode_config_selectorImjNS0_4plusIjEEEEZZNS1_33reduce_by_key_impl_wrapped_configILNS1_25lookback_scan_determinismE0ES3_S7_PKmNS0_17constant_iteratorIjlEEPmPlSF_S6_NS0_8equal_toImEEEE10hipError_tPvRmT2_T3_mT4_T5_T6_T7_T8_P12ihipStream_tbENKUlT_T0_E_clISt17integral_constantIbLb0EESZ_EEDaSU_SV_EUlSU_E_NS1_11comp_targetILNS1_3genE10ELNS1_11target_archE1201ELNS1_3gpuE5ELNS1_3repE0EEENS1_30default_config_static_selectorELNS0_4arch9wavefront6targetE0EEEvT1_
	.globl	_ZN7rocprim17ROCPRIM_400000_NS6detail17trampoline_kernelINS0_14default_configENS1_33run_length_encode_config_selectorImjNS0_4plusIjEEEEZZNS1_33reduce_by_key_impl_wrapped_configILNS1_25lookback_scan_determinismE0ES3_S7_PKmNS0_17constant_iteratorIjlEEPmPlSF_S6_NS0_8equal_toImEEEE10hipError_tPvRmT2_T3_mT4_T5_T6_T7_T8_P12ihipStream_tbENKUlT_T0_E_clISt17integral_constantIbLb0EESZ_EEDaSU_SV_EUlSU_E_NS1_11comp_targetILNS1_3genE10ELNS1_11target_archE1201ELNS1_3gpuE5ELNS1_3repE0EEENS1_30default_config_static_selectorELNS0_4arch9wavefront6targetE0EEEvT1_
	.p2align	8
	.type	_ZN7rocprim17ROCPRIM_400000_NS6detail17trampoline_kernelINS0_14default_configENS1_33run_length_encode_config_selectorImjNS0_4plusIjEEEEZZNS1_33reduce_by_key_impl_wrapped_configILNS1_25lookback_scan_determinismE0ES3_S7_PKmNS0_17constant_iteratorIjlEEPmPlSF_S6_NS0_8equal_toImEEEE10hipError_tPvRmT2_T3_mT4_T5_T6_T7_T8_P12ihipStream_tbENKUlT_T0_E_clISt17integral_constantIbLb0EESZ_EEDaSU_SV_EUlSU_E_NS1_11comp_targetILNS1_3genE10ELNS1_11target_archE1201ELNS1_3gpuE5ELNS1_3repE0EEENS1_30default_config_static_selectorELNS0_4arch9wavefront6targetE0EEEvT1_,@function
_ZN7rocprim17ROCPRIM_400000_NS6detail17trampoline_kernelINS0_14default_configENS1_33run_length_encode_config_selectorImjNS0_4plusIjEEEEZZNS1_33reduce_by_key_impl_wrapped_configILNS1_25lookback_scan_determinismE0ES3_S7_PKmNS0_17constant_iteratorIjlEEPmPlSF_S6_NS0_8equal_toImEEEE10hipError_tPvRmT2_T3_mT4_T5_T6_T7_T8_P12ihipStream_tbENKUlT_T0_E_clISt17integral_constantIbLb0EESZ_EEDaSU_SV_EUlSU_E_NS1_11comp_targetILNS1_3genE10ELNS1_11target_archE1201ELNS1_3gpuE5ELNS1_3repE0EEENS1_30default_config_static_selectorELNS0_4arch9wavefront6targetE0EEEvT1_: ; @_ZN7rocprim17ROCPRIM_400000_NS6detail17trampoline_kernelINS0_14default_configENS1_33run_length_encode_config_selectorImjNS0_4plusIjEEEEZZNS1_33reduce_by_key_impl_wrapped_configILNS1_25lookback_scan_determinismE0ES3_S7_PKmNS0_17constant_iteratorIjlEEPmPlSF_S6_NS0_8equal_toImEEEE10hipError_tPvRmT2_T3_mT4_T5_T6_T7_T8_P12ihipStream_tbENKUlT_T0_E_clISt17integral_constantIbLb0EESZ_EEDaSU_SV_EUlSU_E_NS1_11comp_targetILNS1_3genE10ELNS1_11target_archE1201ELNS1_3gpuE5ELNS1_3repE0EEENS1_30default_config_static_selectorELNS0_4arch9wavefront6targetE0EEEvT1_
; %bb.0:
	.section	.rodata,"a",@progbits
	.p2align	6, 0x0
	.amdhsa_kernel _ZN7rocprim17ROCPRIM_400000_NS6detail17trampoline_kernelINS0_14default_configENS1_33run_length_encode_config_selectorImjNS0_4plusIjEEEEZZNS1_33reduce_by_key_impl_wrapped_configILNS1_25lookback_scan_determinismE0ES3_S7_PKmNS0_17constant_iteratorIjlEEPmPlSF_S6_NS0_8equal_toImEEEE10hipError_tPvRmT2_T3_mT4_T5_T6_T7_T8_P12ihipStream_tbENKUlT_T0_E_clISt17integral_constantIbLb0EESZ_EEDaSU_SV_EUlSU_E_NS1_11comp_targetILNS1_3genE10ELNS1_11target_archE1201ELNS1_3gpuE5ELNS1_3repE0EEENS1_30default_config_static_selectorELNS0_4arch9wavefront6targetE0EEEvT1_
		.amdhsa_group_segment_fixed_size 0
		.amdhsa_private_segment_fixed_size 0
		.amdhsa_kernarg_size 128
		.amdhsa_user_sgpr_count 2
		.amdhsa_user_sgpr_dispatch_ptr 0
		.amdhsa_user_sgpr_queue_ptr 0
		.amdhsa_user_sgpr_kernarg_segment_ptr 1
		.amdhsa_user_sgpr_dispatch_id 0
		.amdhsa_user_sgpr_kernarg_preload_length 0
		.amdhsa_user_sgpr_kernarg_preload_offset 0
		.amdhsa_user_sgpr_private_segment_size 0
		.amdhsa_wavefront_size32 1
		.amdhsa_uses_dynamic_stack 0
		.amdhsa_enable_private_segment 0
		.amdhsa_system_sgpr_workgroup_id_x 1
		.amdhsa_system_sgpr_workgroup_id_y 0
		.amdhsa_system_sgpr_workgroup_id_z 0
		.amdhsa_system_sgpr_workgroup_info 0
		.amdhsa_system_vgpr_workitem_id 0
		.amdhsa_next_free_vgpr 1
		.amdhsa_next_free_sgpr 1
		.amdhsa_named_barrier_count 0
		.amdhsa_reserve_vcc 0
		.amdhsa_float_round_mode_32 0
		.amdhsa_float_round_mode_16_64 0
		.amdhsa_float_denorm_mode_32 3
		.amdhsa_float_denorm_mode_16_64 3
		.amdhsa_fp16_overflow 0
		.amdhsa_memory_ordered 1
		.amdhsa_forward_progress 1
		.amdhsa_inst_pref_size 0
		.amdhsa_round_robin_scheduling 0
		.amdhsa_exception_fp_ieee_invalid_op 0
		.amdhsa_exception_fp_denorm_src 0
		.amdhsa_exception_fp_ieee_div_zero 0
		.amdhsa_exception_fp_ieee_overflow 0
		.amdhsa_exception_fp_ieee_underflow 0
		.amdhsa_exception_fp_ieee_inexact 0
		.amdhsa_exception_int_div_zero 0
	.end_amdhsa_kernel
	.section	.text._ZN7rocprim17ROCPRIM_400000_NS6detail17trampoline_kernelINS0_14default_configENS1_33run_length_encode_config_selectorImjNS0_4plusIjEEEEZZNS1_33reduce_by_key_impl_wrapped_configILNS1_25lookback_scan_determinismE0ES3_S7_PKmNS0_17constant_iteratorIjlEEPmPlSF_S6_NS0_8equal_toImEEEE10hipError_tPvRmT2_T3_mT4_T5_T6_T7_T8_P12ihipStream_tbENKUlT_T0_E_clISt17integral_constantIbLb0EESZ_EEDaSU_SV_EUlSU_E_NS1_11comp_targetILNS1_3genE10ELNS1_11target_archE1201ELNS1_3gpuE5ELNS1_3repE0EEENS1_30default_config_static_selectorELNS0_4arch9wavefront6targetE0EEEvT1_,"axG",@progbits,_ZN7rocprim17ROCPRIM_400000_NS6detail17trampoline_kernelINS0_14default_configENS1_33run_length_encode_config_selectorImjNS0_4plusIjEEEEZZNS1_33reduce_by_key_impl_wrapped_configILNS1_25lookback_scan_determinismE0ES3_S7_PKmNS0_17constant_iteratorIjlEEPmPlSF_S6_NS0_8equal_toImEEEE10hipError_tPvRmT2_T3_mT4_T5_T6_T7_T8_P12ihipStream_tbENKUlT_T0_E_clISt17integral_constantIbLb0EESZ_EEDaSU_SV_EUlSU_E_NS1_11comp_targetILNS1_3genE10ELNS1_11target_archE1201ELNS1_3gpuE5ELNS1_3repE0EEENS1_30default_config_static_selectorELNS0_4arch9wavefront6targetE0EEEvT1_,comdat
.Lfunc_end723:
	.size	_ZN7rocprim17ROCPRIM_400000_NS6detail17trampoline_kernelINS0_14default_configENS1_33run_length_encode_config_selectorImjNS0_4plusIjEEEEZZNS1_33reduce_by_key_impl_wrapped_configILNS1_25lookback_scan_determinismE0ES3_S7_PKmNS0_17constant_iteratorIjlEEPmPlSF_S6_NS0_8equal_toImEEEE10hipError_tPvRmT2_T3_mT4_T5_T6_T7_T8_P12ihipStream_tbENKUlT_T0_E_clISt17integral_constantIbLb0EESZ_EEDaSU_SV_EUlSU_E_NS1_11comp_targetILNS1_3genE10ELNS1_11target_archE1201ELNS1_3gpuE5ELNS1_3repE0EEENS1_30default_config_static_selectorELNS0_4arch9wavefront6targetE0EEEvT1_, .Lfunc_end723-_ZN7rocprim17ROCPRIM_400000_NS6detail17trampoline_kernelINS0_14default_configENS1_33run_length_encode_config_selectorImjNS0_4plusIjEEEEZZNS1_33reduce_by_key_impl_wrapped_configILNS1_25lookback_scan_determinismE0ES3_S7_PKmNS0_17constant_iteratorIjlEEPmPlSF_S6_NS0_8equal_toImEEEE10hipError_tPvRmT2_T3_mT4_T5_T6_T7_T8_P12ihipStream_tbENKUlT_T0_E_clISt17integral_constantIbLb0EESZ_EEDaSU_SV_EUlSU_E_NS1_11comp_targetILNS1_3genE10ELNS1_11target_archE1201ELNS1_3gpuE5ELNS1_3repE0EEENS1_30default_config_static_selectorELNS0_4arch9wavefront6targetE0EEEvT1_
                                        ; -- End function
	.set _ZN7rocprim17ROCPRIM_400000_NS6detail17trampoline_kernelINS0_14default_configENS1_33run_length_encode_config_selectorImjNS0_4plusIjEEEEZZNS1_33reduce_by_key_impl_wrapped_configILNS1_25lookback_scan_determinismE0ES3_S7_PKmNS0_17constant_iteratorIjlEEPmPlSF_S6_NS0_8equal_toImEEEE10hipError_tPvRmT2_T3_mT4_T5_T6_T7_T8_P12ihipStream_tbENKUlT_T0_E_clISt17integral_constantIbLb0EESZ_EEDaSU_SV_EUlSU_E_NS1_11comp_targetILNS1_3genE10ELNS1_11target_archE1201ELNS1_3gpuE5ELNS1_3repE0EEENS1_30default_config_static_selectorELNS0_4arch9wavefront6targetE0EEEvT1_.num_vgpr, 0
	.set _ZN7rocprim17ROCPRIM_400000_NS6detail17trampoline_kernelINS0_14default_configENS1_33run_length_encode_config_selectorImjNS0_4plusIjEEEEZZNS1_33reduce_by_key_impl_wrapped_configILNS1_25lookback_scan_determinismE0ES3_S7_PKmNS0_17constant_iteratorIjlEEPmPlSF_S6_NS0_8equal_toImEEEE10hipError_tPvRmT2_T3_mT4_T5_T6_T7_T8_P12ihipStream_tbENKUlT_T0_E_clISt17integral_constantIbLb0EESZ_EEDaSU_SV_EUlSU_E_NS1_11comp_targetILNS1_3genE10ELNS1_11target_archE1201ELNS1_3gpuE5ELNS1_3repE0EEENS1_30default_config_static_selectorELNS0_4arch9wavefront6targetE0EEEvT1_.num_agpr, 0
	.set _ZN7rocprim17ROCPRIM_400000_NS6detail17trampoline_kernelINS0_14default_configENS1_33run_length_encode_config_selectorImjNS0_4plusIjEEEEZZNS1_33reduce_by_key_impl_wrapped_configILNS1_25lookback_scan_determinismE0ES3_S7_PKmNS0_17constant_iteratorIjlEEPmPlSF_S6_NS0_8equal_toImEEEE10hipError_tPvRmT2_T3_mT4_T5_T6_T7_T8_P12ihipStream_tbENKUlT_T0_E_clISt17integral_constantIbLb0EESZ_EEDaSU_SV_EUlSU_E_NS1_11comp_targetILNS1_3genE10ELNS1_11target_archE1201ELNS1_3gpuE5ELNS1_3repE0EEENS1_30default_config_static_selectorELNS0_4arch9wavefront6targetE0EEEvT1_.numbered_sgpr, 0
	.set _ZN7rocprim17ROCPRIM_400000_NS6detail17trampoline_kernelINS0_14default_configENS1_33run_length_encode_config_selectorImjNS0_4plusIjEEEEZZNS1_33reduce_by_key_impl_wrapped_configILNS1_25lookback_scan_determinismE0ES3_S7_PKmNS0_17constant_iteratorIjlEEPmPlSF_S6_NS0_8equal_toImEEEE10hipError_tPvRmT2_T3_mT4_T5_T6_T7_T8_P12ihipStream_tbENKUlT_T0_E_clISt17integral_constantIbLb0EESZ_EEDaSU_SV_EUlSU_E_NS1_11comp_targetILNS1_3genE10ELNS1_11target_archE1201ELNS1_3gpuE5ELNS1_3repE0EEENS1_30default_config_static_selectorELNS0_4arch9wavefront6targetE0EEEvT1_.num_named_barrier, 0
	.set _ZN7rocprim17ROCPRIM_400000_NS6detail17trampoline_kernelINS0_14default_configENS1_33run_length_encode_config_selectorImjNS0_4plusIjEEEEZZNS1_33reduce_by_key_impl_wrapped_configILNS1_25lookback_scan_determinismE0ES3_S7_PKmNS0_17constant_iteratorIjlEEPmPlSF_S6_NS0_8equal_toImEEEE10hipError_tPvRmT2_T3_mT4_T5_T6_T7_T8_P12ihipStream_tbENKUlT_T0_E_clISt17integral_constantIbLb0EESZ_EEDaSU_SV_EUlSU_E_NS1_11comp_targetILNS1_3genE10ELNS1_11target_archE1201ELNS1_3gpuE5ELNS1_3repE0EEENS1_30default_config_static_selectorELNS0_4arch9wavefront6targetE0EEEvT1_.private_seg_size, 0
	.set _ZN7rocprim17ROCPRIM_400000_NS6detail17trampoline_kernelINS0_14default_configENS1_33run_length_encode_config_selectorImjNS0_4plusIjEEEEZZNS1_33reduce_by_key_impl_wrapped_configILNS1_25lookback_scan_determinismE0ES3_S7_PKmNS0_17constant_iteratorIjlEEPmPlSF_S6_NS0_8equal_toImEEEE10hipError_tPvRmT2_T3_mT4_T5_T6_T7_T8_P12ihipStream_tbENKUlT_T0_E_clISt17integral_constantIbLb0EESZ_EEDaSU_SV_EUlSU_E_NS1_11comp_targetILNS1_3genE10ELNS1_11target_archE1201ELNS1_3gpuE5ELNS1_3repE0EEENS1_30default_config_static_selectorELNS0_4arch9wavefront6targetE0EEEvT1_.uses_vcc, 0
	.set _ZN7rocprim17ROCPRIM_400000_NS6detail17trampoline_kernelINS0_14default_configENS1_33run_length_encode_config_selectorImjNS0_4plusIjEEEEZZNS1_33reduce_by_key_impl_wrapped_configILNS1_25lookback_scan_determinismE0ES3_S7_PKmNS0_17constant_iteratorIjlEEPmPlSF_S6_NS0_8equal_toImEEEE10hipError_tPvRmT2_T3_mT4_T5_T6_T7_T8_P12ihipStream_tbENKUlT_T0_E_clISt17integral_constantIbLb0EESZ_EEDaSU_SV_EUlSU_E_NS1_11comp_targetILNS1_3genE10ELNS1_11target_archE1201ELNS1_3gpuE5ELNS1_3repE0EEENS1_30default_config_static_selectorELNS0_4arch9wavefront6targetE0EEEvT1_.uses_flat_scratch, 0
	.set _ZN7rocprim17ROCPRIM_400000_NS6detail17trampoline_kernelINS0_14default_configENS1_33run_length_encode_config_selectorImjNS0_4plusIjEEEEZZNS1_33reduce_by_key_impl_wrapped_configILNS1_25lookback_scan_determinismE0ES3_S7_PKmNS0_17constant_iteratorIjlEEPmPlSF_S6_NS0_8equal_toImEEEE10hipError_tPvRmT2_T3_mT4_T5_T6_T7_T8_P12ihipStream_tbENKUlT_T0_E_clISt17integral_constantIbLb0EESZ_EEDaSU_SV_EUlSU_E_NS1_11comp_targetILNS1_3genE10ELNS1_11target_archE1201ELNS1_3gpuE5ELNS1_3repE0EEENS1_30default_config_static_selectorELNS0_4arch9wavefront6targetE0EEEvT1_.has_dyn_sized_stack, 0
	.set _ZN7rocprim17ROCPRIM_400000_NS6detail17trampoline_kernelINS0_14default_configENS1_33run_length_encode_config_selectorImjNS0_4plusIjEEEEZZNS1_33reduce_by_key_impl_wrapped_configILNS1_25lookback_scan_determinismE0ES3_S7_PKmNS0_17constant_iteratorIjlEEPmPlSF_S6_NS0_8equal_toImEEEE10hipError_tPvRmT2_T3_mT4_T5_T6_T7_T8_P12ihipStream_tbENKUlT_T0_E_clISt17integral_constantIbLb0EESZ_EEDaSU_SV_EUlSU_E_NS1_11comp_targetILNS1_3genE10ELNS1_11target_archE1201ELNS1_3gpuE5ELNS1_3repE0EEENS1_30default_config_static_selectorELNS0_4arch9wavefront6targetE0EEEvT1_.has_recursion, 0
	.set _ZN7rocprim17ROCPRIM_400000_NS6detail17trampoline_kernelINS0_14default_configENS1_33run_length_encode_config_selectorImjNS0_4plusIjEEEEZZNS1_33reduce_by_key_impl_wrapped_configILNS1_25lookback_scan_determinismE0ES3_S7_PKmNS0_17constant_iteratorIjlEEPmPlSF_S6_NS0_8equal_toImEEEE10hipError_tPvRmT2_T3_mT4_T5_T6_T7_T8_P12ihipStream_tbENKUlT_T0_E_clISt17integral_constantIbLb0EESZ_EEDaSU_SV_EUlSU_E_NS1_11comp_targetILNS1_3genE10ELNS1_11target_archE1201ELNS1_3gpuE5ELNS1_3repE0EEENS1_30default_config_static_selectorELNS0_4arch9wavefront6targetE0EEEvT1_.has_indirect_call, 0
	.section	.AMDGPU.csdata,"",@progbits
; Kernel info:
; codeLenInByte = 0
; TotalNumSgprs: 0
; NumVgprs: 0
; ScratchSize: 0
; MemoryBound: 0
; FloatMode: 240
; IeeeMode: 1
; LDSByteSize: 0 bytes/workgroup (compile time only)
; SGPRBlocks: 0
; VGPRBlocks: 0
; NumSGPRsForWavesPerEU: 1
; NumVGPRsForWavesPerEU: 1
; NamedBarCnt: 0
; Occupancy: 16
; WaveLimiterHint : 0
; COMPUTE_PGM_RSRC2:SCRATCH_EN: 0
; COMPUTE_PGM_RSRC2:USER_SGPR: 2
; COMPUTE_PGM_RSRC2:TRAP_HANDLER: 0
; COMPUTE_PGM_RSRC2:TGID_X_EN: 1
; COMPUTE_PGM_RSRC2:TGID_Y_EN: 0
; COMPUTE_PGM_RSRC2:TGID_Z_EN: 0
; COMPUTE_PGM_RSRC2:TIDIG_COMP_CNT: 0
	.section	.text._ZN7rocprim17ROCPRIM_400000_NS6detail17trampoline_kernelINS0_14default_configENS1_33run_length_encode_config_selectorImjNS0_4plusIjEEEEZZNS1_33reduce_by_key_impl_wrapped_configILNS1_25lookback_scan_determinismE0ES3_S7_PKmNS0_17constant_iteratorIjlEEPmPlSF_S6_NS0_8equal_toImEEEE10hipError_tPvRmT2_T3_mT4_T5_T6_T7_T8_P12ihipStream_tbENKUlT_T0_E_clISt17integral_constantIbLb0EESZ_EEDaSU_SV_EUlSU_E_NS1_11comp_targetILNS1_3genE10ELNS1_11target_archE1200ELNS1_3gpuE4ELNS1_3repE0EEENS1_30default_config_static_selectorELNS0_4arch9wavefront6targetE0EEEvT1_,"axG",@progbits,_ZN7rocprim17ROCPRIM_400000_NS6detail17trampoline_kernelINS0_14default_configENS1_33run_length_encode_config_selectorImjNS0_4plusIjEEEEZZNS1_33reduce_by_key_impl_wrapped_configILNS1_25lookback_scan_determinismE0ES3_S7_PKmNS0_17constant_iteratorIjlEEPmPlSF_S6_NS0_8equal_toImEEEE10hipError_tPvRmT2_T3_mT4_T5_T6_T7_T8_P12ihipStream_tbENKUlT_T0_E_clISt17integral_constantIbLb0EESZ_EEDaSU_SV_EUlSU_E_NS1_11comp_targetILNS1_3genE10ELNS1_11target_archE1200ELNS1_3gpuE4ELNS1_3repE0EEENS1_30default_config_static_selectorELNS0_4arch9wavefront6targetE0EEEvT1_,comdat
	.protected	_ZN7rocprim17ROCPRIM_400000_NS6detail17trampoline_kernelINS0_14default_configENS1_33run_length_encode_config_selectorImjNS0_4plusIjEEEEZZNS1_33reduce_by_key_impl_wrapped_configILNS1_25lookback_scan_determinismE0ES3_S7_PKmNS0_17constant_iteratorIjlEEPmPlSF_S6_NS0_8equal_toImEEEE10hipError_tPvRmT2_T3_mT4_T5_T6_T7_T8_P12ihipStream_tbENKUlT_T0_E_clISt17integral_constantIbLb0EESZ_EEDaSU_SV_EUlSU_E_NS1_11comp_targetILNS1_3genE10ELNS1_11target_archE1200ELNS1_3gpuE4ELNS1_3repE0EEENS1_30default_config_static_selectorELNS0_4arch9wavefront6targetE0EEEvT1_ ; -- Begin function _ZN7rocprim17ROCPRIM_400000_NS6detail17trampoline_kernelINS0_14default_configENS1_33run_length_encode_config_selectorImjNS0_4plusIjEEEEZZNS1_33reduce_by_key_impl_wrapped_configILNS1_25lookback_scan_determinismE0ES3_S7_PKmNS0_17constant_iteratorIjlEEPmPlSF_S6_NS0_8equal_toImEEEE10hipError_tPvRmT2_T3_mT4_T5_T6_T7_T8_P12ihipStream_tbENKUlT_T0_E_clISt17integral_constantIbLb0EESZ_EEDaSU_SV_EUlSU_E_NS1_11comp_targetILNS1_3genE10ELNS1_11target_archE1200ELNS1_3gpuE4ELNS1_3repE0EEENS1_30default_config_static_selectorELNS0_4arch9wavefront6targetE0EEEvT1_
	.globl	_ZN7rocprim17ROCPRIM_400000_NS6detail17trampoline_kernelINS0_14default_configENS1_33run_length_encode_config_selectorImjNS0_4plusIjEEEEZZNS1_33reduce_by_key_impl_wrapped_configILNS1_25lookback_scan_determinismE0ES3_S7_PKmNS0_17constant_iteratorIjlEEPmPlSF_S6_NS0_8equal_toImEEEE10hipError_tPvRmT2_T3_mT4_T5_T6_T7_T8_P12ihipStream_tbENKUlT_T0_E_clISt17integral_constantIbLb0EESZ_EEDaSU_SV_EUlSU_E_NS1_11comp_targetILNS1_3genE10ELNS1_11target_archE1200ELNS1_3gpuE4ELNS1_3repE0EEENS1_30default_config_static_selectorELNS0_4arch9wavefront6targetE0EEEvT1_
	.p2align	8
	.type	_ZN7rocprim17ROCPRIM_400000_NS6detail17trampoline_kernelINS0_14default_configENS1_33run_length_encode_config_selectorImjNS0_4plusIjEEEEZZNS1_33reduce_by_key_impl_wrapped_configILNS1_25lookback_scan_determinismE0ES3_S7_PKmNS0_17constant_iteratorIjlEEPmPlSF_S6_NS0_8equal_toImEEEE10hipError_tPvRmT2_T3_mT4_T5_T6_T7_T8_P12ihipStream_tbENKUlT_T0_E_clISt17integral_constantIbLb0EESZ_EEDaSU_SV_EUlSU_E_NS1_11comp_targetILNS1_3genE10ELNS1_11target_archE1200ELNS1_3gpuE4ELNS1_3repE0EEENS1_30default_config_static_selectorELNS0_4arch9wavefront6targetE0EEEvT1_,@function
_ZN7rocprim17ROCPRIM_400000_NS6detail17trampoline_kernelINS0_14default_configENS1_33run_length_encode_config_selectorImjNS0_4plusIjEEEEZZNS1_33reduce_by_key_impl_wrapped_configILNS1_25lookback_scan_determinismE0ES3_S7_PKmNS0_17constant_iteratorIjlEEPmPlSF_S6_NS0_8equal_toImEEEE10hipError_tPvRmT2_T3_mT4_T5_T6_T7_T8_P12ihipStream_tbENKUlT_T0_E_clISt17integral_constantIbLb0EESZ_EEDaSU_SV_EUlSU_E_NS1_11comp_targetILNS1_3genE10ELNS1_11target_archE1200ELNS1_3gpuE4ELNS1_3repE0EEENS1_30default_config_static_selectorELNS0_4arch9wavefront6targetE0EEEvT1_: ; @_ZN7rocprim17ROCPRIM_400000_NS6detail17trampoline_kernelINS0_14default_configENS1_33run_length_encode_config_selectorImjNS0_4plusIjEEEEZZNS1_33reduce_by_key_impl_wrapped_configILNS1_25lookback_scan_determinismE0ES3_S7_PKmNS0_17constant_iteratorIjlEEPmPlSF_S6_NS0_8equal_toImEEEE10hipError_tPvRmT2_T3_mT4_T5_T6_T7_T8_P12ihipStream_tbENKUlT_T0_E_clISt17integral_constantIbLb0EESZ_EEDaSU_SV_EUlSU_E_NS1_11comp_targetILNS1_3genE10ELNS1_11target_archE1200ELNS1_3gpuE4ELNS1_3repE0EEENS1_30default_config_static_selectorELNS0_4arch9wavefront6targetE0EEEvT1_
; %bb.0:
	.section	.rodata,"a",@progbits
	.p2align	6, 0x0
	.amdhsa_kernel _ZN7rocprim17ROCPRIM_400000_NS6detail17trampoline_kernelINS0_14default_configENS1_33run_length_encode_config_selectorImjNS0_4plusIjEEEEZZNS1_33reduce_by_key_impl_wrapped_configILNS1_25lookback_scan_determinismE0ES3_S7_PKmNS0_17constant_iteratorIjlEEPmPlSF_S6_NS0_8equal_toImEEEE10hipError_tPvRmT2_T3_mT4_T5_T6_T7_T8_P12ihipStream_tbENKUlT_T0_E_clISt17integral_constantIbLb0EESZ_EEDaSU_SV_EUlSU_E_NS1_11comp_targetILNS1_3genE10ELNS1_11target_archE1200ELNS1_3gpuE4ELNS1_3repE0EEENS1_30default_config_static_selectorELNS0_4arch9wavefront6targetE0EEEvT1_
		.amdhsa_group_segment_fixed_size 0
		.amdhsa_private_segment_fixed_size 0
		.amdhsa_kernarg_size 128
		.amdhsa_user_sgpr_count 2
		.amdhsa_user_sgpr_dispatch_ptr 0
		.amdhsa_user_sgpr_queue_ptr 0
		.amdhsa_user_sgpr_kernarg_segment_ptr 1
		.amdhsa_user_sgpr_dispatch_id 0
		.amdhsa_user_sgpr_kernarg_preload_length 0
		.amdhsa_user_sgpr_kernarg_preload_offset 0
		.amdhsa_user_sgpr_private_segment_size 0
		.amdhsa_wavefront_size32 1
		.amdhsa_uses_dynamic_stack 0
		.amdhsa_enable_private_segment 0
		.amdhsa_system_sgpr_workgroup_id_x 1
		.amdhsa_system_sgpr_workgroup_id_y 0
		.amdhsa_system_sgpr_workgroup_id_z 0
		.amdhsa_system_sgpr_workgroup_info 0
		.amdhsa_system_vgpr_workitem_id 0
		.amdhsa_next_free_vgpr 1
		.amdhsa_next_free_sgpr 1
		.amdhsa_named_barrier_count 0
		.amdhsa_reserve_vcc 0
		.amdhsa_float_round_mode_32 0
		.amdhsa_float_round_mode_16_64 0
		.amdhsa_float_denorm_mode_32 3
		.amdhsa_float_denorm_mode_16_64 3
		.amdhsa_fp16_overflow 0
		.amdhsa_memory_ordered 1
		.amdhsa_forward_progress 1
		.amdhsa_inst_pref_size 0
		.amdhsa_round_robin_scheduling 0
		.amdhsa_exception_fp_ieee_invalid_op 0
		.amdhsa_exception_fp_denorm_src 0
		.amdhsa_exception_fp_ieee_div_zero 0
		.amdhsa_exception_fp_ieee_overflow 0
		.amdhsa_exception_fp_ieee_underflow 0
		.amdhsa_exception_fp_ieee_inexact 0
		.amdhsa_exception_int_div_zero 0
	.end_amdhsa_kernel
	.section	.text._ZN7rocprim17ROCPRIM_400000_NS6detail17trampoline_kernelINS0_14default_configENS1_33run_length_encode_config_selectorImjNS0_4plusIjEEEEZZNS1_33reduce_by_key_impl_wrapped_configILNS1_25lookback_scan_determinismE0ES3_S7_PKmNS0_17constant_iteratorIjlEEPmPlSF_S6_NS0_8equal_toImEEEE10hipError_tPvRmT2_T3_mT4_T5_T6_T7_T8_P12ihipStream_tbENKUlT_T0_E_clISt17integral_constantIbLb0EESZ_EEDaSU_SV_EUlSU_E_NS1_11comp_targetILNS1_3genE10ELNS1_11target_archE1200ELNS1_3gpuE4ELNS1_3repE0EEENS1_30default_config_static_selectorELNS0_4arch9wavefront6targetE0EEEvT1_,"axG",@progbits,_ZN7rocprim17ROCPRIM_400000_NS6detail17trampoline_kernelINS0_14default_configENS1_33run_length_encode_config_selectorImjNS0_4plusIjEEEEZZNS1_33reduce_by_key_impl_wrapped_configILNS1_25lookback_scan_determinismE0ES3_S7_PKmNS0_17constant_iteratorIjlEEPmPlSF_S6_NS0_8equal_toImEEEE10hipError_tPvRmT2_T3_mT4_T5_T6_T7_T8_P12ihipStream_tbENKUlT_T0_E_clISt17integral_constantIbLb0EESZ_EEDaSU_SV_EUlSU_E_NS1_11comp_targetILNS1_3genE10ELNS1_11target_archE1200ELNS1_3gpuE4ELNS1_3repE0EEENS1_30default_config_static_selectorELNS0_4arch9wavefront6targetE0EEEvT1_,comdat
.Lfunc_end724:
	.size	_ZN7rocprim17ROCPRIM_400000_NS6detail17trampoline_kernelINS0_14default_configENS1_33run_length_encode_config_selectorImjNS0_4plusIjEEEEZZNS1_33reduce_by_key_impl_wrapped_configILNS1_25lookback_scan_determinismE0ES3_S7_PKmNS0_17constant_iteratorIjlEEPmPlSF_S6_NS0_8equal_toImEEEE10hipError_tPvRmT2_T3_mT4_T5_T6_T7_T8_P12ihipStream_tbENKUlT_T0_E_clISt17integral_constantIbLb0EESZ_EEDaSU_SV_EUlSU_E_NS1_11comp_targetILNS1_3genE10ELNS1_11target_archE1200ELNS1_3gpuE4ELNS1_3repE0EEENS1_30default_config_static_selectorELNS0_4arch9wavefront6targetE0EEEvT1_, .Lfunc_end724-_ZN7rocprim17ROCPRIM_400000_NS6detail17trampoline_kernelINS0_14default_configENS1_33run_length_encode_config_selectorImjNS0_4plusIjEEEEZZNS1_33reduce_by_key_impl_wrapped_configILNS1_25lookback_scan_determinismE0ES3_S7_PKmNS0_17constant_iteratorIjlEEPmPlSF_S6_NS0_8equal_toImEEEE10hipError_tPvRmT2_T3_mT4_T5_T6_T7_T8_P12ihipStream_tbENKUlT_T0_E_clISt17integral_constantIbLb0EESZ_EEDaSU_SV_EUlSU_E_NS1_11comp_targetILNS1_3genE10ELNS1_11target_archE1200ELNS1_3gpuE4ELNS1_3repE0EEENS1_30default_config_static_selectorELNS0_4arch9wavefront6targetE0EEEvT1_
                                        ; -- End function
	.set _ZN7rocprim17ROCPRIM_400000_NS6detail17trampoline_kernelINS0_14default_configENS1_33run_length_encode_config_selectorImjNS0_4plusIjEEEEZZNS1_33reduce_by_key_impl_wrapped_configILNS1_25lookback_scan_determinismE0ES3_S7_PKmNS0_17constant_iteratorIjlEEPmPlSF_S6_NS0_8equal_toImEEEE10hipError_tPvRmT2_T3_mT4_T5_T6_T7_T8_P12ihipStream_tbENKUlT_T0_E_clISt17integral_constantIbLb0EESZ_EEDaSU_SV_EUlSU_E_NS1_11comp_targetILNS1_3genE10ELNS1_11target_archE1200ELNS1_3gpuE4ELNS1_3repE0EEENS1_30default_config_static_selectorELNS0_4arch9wavefront6targetE0EEEvT1_.num_vgpr, 0
	.set _ZN7rocprim17ROCPRIM_400000_NS6detail17trampoline_kernelINS0_14default_configENS1_33run_length_encode_config_selectorImjNS0_4plusIjEEEEZZNS1_33reduce_by_key_impl_wrapped_configILNS1_25lookback_scan_determinismE0ES3_S7_PKmNS0_17constant_iteratorIjlEEPmPlSF_S6_NS0_8equal_toImEEEE10hipError_tPvRmT2_T3_mT4_T5_T6_T7_T8_P12ihipStream_tbENKUlT_T0_E_clISt17integral_constantIbLb0EESZ_EEDaSU_SV_EUlSU_E_NS1_11comp_targetILNS1_3genE10ELNS1_11target_archE1200ELNS1_3gpuE4ELNS1_3repE0EEENS1_30default_config_static_selectorELNS0_4arch9wavefront6targetE0EEEvT1_.num_agpr, 0
	.set _ZN7rocprim17ROCPRIM_400000_NS6detail17trampoline_kernelINS0_14default_configENS1_33run_length_encode_config_selectorImjNS0_4plusIjEEEEZZNS1_33reduce_by_key_impl_wrapped_configILNS1_25lookback_scan_determinismE0ES3_S7_PKmNS0_17constant_iteratorIjlEEPmPlSF_S6_NS0_8equal_toImEEEE10hipError_tPvRmT2_T3_mT4_T5_T6_T7_T8_P12ihipStream_tbENKUlT_T0_E_clISt17integral_constantIbLb0EESZ_EEDaSU_SV_EUlSU_E_NS1_11comp_targetILNS1_3genE10ELNS1_11target_archE1200ELNS1_3gpuE4ELNS1_3repE0EEENS1_30default_config_static_selectorELNS0_4arch9wavefront6targetE0EEEvT1_.numbered_sgpr, 0
	.set _ZN7rocprim17ROCPRIM_400000_NS6detail17trampoline_kernelINS0_14default_configENS1_33run_length_encode_config_selectorImjNS0_4plusIjEEEEZZNS1_33reduce_by_key_impl_wrapped_configILNS1_25lookback_scan_determinismE0ES3_S7_PKmNS0_17constant_iteratorIjlEEPmPlSF_S6_NS0_8equal_toImEEEE10hipError_tPvRmT2_T3_mT4_T5_T6_T7_T8_P12ihipStream_tbENKUlT_T0_E_clISt17integral_constantIbLb0EESZ_EEDaSU_SV_EUlSU_E_NS1_11comp_targetILNS1_3genE10ELNS1_11target_archE1200ELNS1_3gpuE4ELNS1_3repE0EEENS1_30default_config_static_selectorELNS0_4arch9wavefront6targetE0EEEvT1_.num_named_barrier, 0
	.set _ZN7rocprim17ROCPRIM_400000_NS6detail17trampoline_kernelINS0_14default_configENS1_33run_length_encode_config_selectorImjNS0_4plusIjEEEEZZNS1_33reduce_by_key_impl_wrapped_configILNS1_25lookback_scan_determinismE0ES3_S7_PKmNS0_17constant_iteratorIjlEEPmPlSF_S6_NS0_8equal_toImEEEE10hipError_tPvRmT2_T3_mT4_T5_T6_T7_T8_P12ihipStream_tbENKUlT_T0_E_clISt17integral_constantIbLb0EESZ_EEDaSU_SV_EUlSU_E_NS1_11comp_targetILNS1_3genE10ELNS1_11target_archE1200ELNS1_3gpuE4ELNS1_3repE0EEENS1_30default_config_static_selectorELNS0_4arch9wavefront6targetE0EEEvT1_.private_seg_size, 0
	.set _ZN7rocprim17ROCPRIM_400000_NS6detail17trampoline_kernelINS0_14default_configENS1_33run_length_encode_config_selectorImjNS0_4plusIjEEEEZZNS1_33reduce_by_key_impl_wrapped_configILNS1_25lookback_scan_determinismE0ES3_S7_PKmNS0_17constant_iteratorIjlEEPmPlSF_S6_NS0_8equal_toImEEEE10hipError_tPvRmT2_T3_mT4_T5_T6_T7_T8_P12ihipStream_tbENKUlT_T0_E_clISt17integral_constantIbLb0EESZ_EEDaSU_SV_EUlSU_E_NS1_11comp_targetILNS1_3genE10ELNS1_11target_archE1200ELNS1_3gpuE4ELNS1_3repE0EEENS1_30default_config_static_selectorELNS0_4arch9wavefront6targetE0EEEvT1_.uses_vcc, 0
	.set _ZN7rocprim17ROCPRIM_400000_NS6detail17trampoline_kernelINS0_14default_configENS1_33run_length_encode_config_selectorImjNS0_4plusIjEEEEZZNS1_33reduce_by_key_impl_wrapped_configILNS1_25lookback_scan_determinismE0ES3_S7_PKmNS0_17constant_iteratorIjlEEPmPlSF_S6_NS0_8equal_toImEEEE10hipError_tPvRmT2_T3_mT4_T5_T6_T7_T8_P12ihipStream_tbENKUlT_T0_E_clISt17integral_constantIbLb0EESZ_EEDaSU_SV_EUlSU_E_NS1_11comp_targetILNS1_3genE10ELNS1_11target_archE1200ELNS1_3gpuE4ELNS1_3repE0EEENS1_30default_config_static_selectorELNS0_4arch9wavefront6targetE0EEEvT1_.uses_flat_scratch, 0
	.set _ZN7rocprim17ROCPRIM_400000_NS6detail17trampoline_kernelINS0_14default_configENS1_33run_length_encode_config_selectorImjNS0_4plusIjEEEEZZNS1_33reduce_by_key_impl_wrapped_configILNS1_25lookback_scan_determinismE0ES3_S7_PKmNS0_17constant_iteratorIjlEEPmPlSF_S6_NS0_8equal_toImEEEE10hipError_tPvRmT2_T3_mT4_T5_T6_T7_T8_P12ihipStream_tbENKUlT_T0_E_clISt17integral_constantIbLb0EESZ_EEDaSU_SV_EUlSU_E_NS1_11comp_targetILNS1_3genE10ELNS1_11target_archE1200ELNS1_3gpuE4ELNS1_3repE0EEENS1_30default_config_static_selectorELNS0_4arch9wavefront6targetE0EEEvT1_.has_dyn_sized_stack, 0
	.set _ZN7rocprim17ROCPRIM_400000_NS6detail17trampoline_kernelINS0_14default_configENS1_33run_length_encode_config_selectorImjNS0_4plusIjEEEEZZNS1_33reduce_by_key_impl_wrapped_configILNS1_25lookback_scan_determinismE0ES3_S7_PKmNS0_17constant_iteratorIjlEEPmPlSF_S6_NS0_8equal_toImEEEE10hipError_tPvRmT2_T3_mT4_T5_T6_T7_T8_P12ihipStream_tbENKUlT_T0_E_clISt17integral_constantIbLb0EESZ_EEDaSU_SV_EUlSU_E_NS1_11comp_targetILNS1_3genE10ELNS1_11target_archE1200ELNS1_3gpuE4ELNS1_3repE0EEENS1_30default_config_static_selectorELNS0_4arch9wavefront6targetE0EEEvT1_.has_recursion, 0
	.set _ZN7rocprim17ROCPRIM_400000_NS6detail17trampoline_kernelINS0_14default_configENS1_33run_length_encode_config_selectorImjNS0_4plusIjEEEEZZNS1_33reduce_by_key_impl_wrapped_configILNS1_25lookback_scan_determinismE0ES3_S7_PKmNS0_17constant_iteratorIjlEEPmPlSF_S6_NS0_8equal_toImEEEE10hipError_tPvRmT2_T3_mT4_T5_T6_T7_T8_P12ihipStream_tbENKUlT_T0_E_clISt17integral_constantIbLb0EESZ_EEDaSU_SV_EUlSU_E_NS1_11comp_targetILNS1_3genE10ELNS1_11target_archE1200ELNS1_3gpuE4ELNS1_3repE0EEENS1_30default_config_static_selectorELNS0_4arch9wavefront6targetE0EEEvT1_.has_indirect_call, 0
	.section	.AMDGPU.csdata,"",@progbits
; Kernel info:
; codeLenInByte = 0
; TotalNumSgprs: 0
; NumVgprs: 0
; ScratchSize: 0
; MemoryBound: 0
; FloatMode: 240
; IeeeMode: 1
; LDSByteSize: 0 bytes/workgroup (compile time only)
; SGPRBlocks: 0
; VGPRBlocks: 0
; NumSGPRsForWavesPerEU: 1
; NumVGPRsForWavesPerEU: 1
; NamedBarCnt: 0
; Occupancy: 16
; WaveLimiterHint : 0
; COMPUTE_PGM_RSRC2:SCRATCH_EN: 0
; COMPUTE_PGM_RSRC2:USER_SGPR: 2
; COMPUTE_PGM_RSRC2:TRAP_HANDLER: 0
; COMPUTE_PGM_RSRC2:TGID_X_EN: 1
; COMPUTE_PGM_RSRC2:TGID_Y_EN: 0
; COMPUTE_PGM_RSRC2:TGID_Z_EN: 0
; COMPUTE_PGM_RSRC2:TIDIG_COMP_CNT: 0
	.section	.text._ZN7rocprim17ROCPRIM_400000_NS6detail17trampoline_kernelINS0_14default_configENS1_33run_length_encode_config_selectorImjNS0_4plusIjEEEEZZNS1_33reduce_by_key_impl_wrapped_configILNS1_25lookback_scan_determinismE0ES3_S7_PKmNS0_17constant_iteratorIjlEEPmPlSF_S6_NS0_8equal_toImEEEE10hipError_tPvRmT2_T3_mT4_T5_T6_T7_T8_P12ihipStream_tbENKUlT_T0_E_clISt17integral_constantIbLb0EESZ_EEDaSU_SV_EUlSU_E_NS1_11comp_targetILNS1_3genE9ELNS1_11target_archE1100ELNS1_3gpuE3ELNS1_3repE0EEENS1_30default_config_static_selectorELNS0_4arch9wavefront6targetE0EEEvT1_,"axG",@progbits,_ZN7rocprim17ROCPRIM_400000_NS6detail17trampoline_kernelINS0_14default_configENS1_33run_length_encode_config_selectorImjNS0_4plusIjEEEEZZNS1_33reduce_by_key_impl_wrapped_configILNS1_25lookback_scan_determinismE0ES3_S7_PKmNS0_17constant_iteratorIjlEEPmPlSF_S6_NS0_8equal_toImEEEE10hipError_tPvRmT2_T3_mT4_T5_T6_T7_T8_P12ihipStream_tbENKUlT_T0_E_clISt17integral_constantIbLb0EESZ_EEDaSU_SV_EUlSU_E_NS1_11comp_targetILNS1_3genE9ELNS1_11target_archE1100ELNS1_3gpuE3ELNS1_3repE0EEENS1_30default_config_static_selectorELNS0_4arch9wavefront6targetE0EEEvT1_,comdat
	.protected	_ZN7rocprim17ROCPRIM_400000_NS6detail17trampoline_kernelINS0_14default_configENS1_33run_length_encode_config_selectorImjNS0_4plusIjEEEEZZNS1_33reduce_by_key_impl_wrapped_configILNS1_25lookback_scan_determinismE0ES3_S7_PKmNS0_17constant_iteratorIjlEEPmPlSF_S6_NS0_8equal_toImEEEE10hipError_tPvRmT2_T3_mT4_T5_T6_T7_T8_P12ihipStream_tbENKUlT_T0_E_clISt17integral_constantIbLb0EESZ_EEDaSU_SV_EUlSU_E_NS1_11comp_targetILNS1_3genE9ELNS1_11target_archE1100ELNS1_3gpuE3ELNS1_3repE0EEENS1_30default_config_static_selectorELNS0_4arch9wavefront6targetE0EEEvT1_ ; -- Begin function _ZN7rocprim17ROCPRIM_400000_NS6detail17trampoline_kernelINS0_14default_configENS1_33run_length_encode_config_selectorImjNS0_4plusIjEEEEZZNS1_33reduce_by_key_impl_wrapped_configILNS1_25lookback_scan_determinismE0ES3_S7_PKmNS0_17constant_iteratorIjlEEPmPlSF_S6_NS0_8equal_toImEEEE10hipError_tPvRmT2_T3_mT4_T5_T6_T7_T8_P12ihipStream_tbENKUlT_T0_E_clISt17integral_constantIbLb0EESZ_EEDaSU_SV_EUlSU_E_NS1_11comp_targetILNS1_3genE9ELNS1_11target_archE1100ELNS1_3gpuE3ELNS1_3repE0EEENS1_30default_config_static_selectorELNS0_4arch9wavefront6targetE0EEEvT1_
	.globl	_ZN7rocprim17ROCPRIM_400000_NS6detail17trampoline_kernelINS0_14default_configENS1_33run_length_encode_config_selectorImjNS0_4plusIjEEEEZZNS1_33reduce_by_key_impl_wrapped_configILNS1_25lookback_scan_determinismE0ES3_S7_PKmNS0_17constant_iteratorIjlEEPmPlSF_S6_NS0_8equal_toImEEEE10hipError_tPvRmT2_T3_mT4_T5_T6_T7_T8_P12ihipStream_tbENKUlT_T0_E_clISt17integral_constantIbLb0EESZ_EEDaSU_SV_EUlSU_E_NS1_11comp_targetILNS1_3genE9ELNS1_11target_archE1100ELNS1_3gpuE3ELNS1_3repE0EEENS1_30default_config_static_selectorELNS0_4arch9wavefront6targetE0EEEvT1_
	.p2align	8
	.type	_ZN7rocprim17ROCPRIM_400000_NS6detail17trampoline_kernelINS0_14default_configENS1_33run_length_encode_config_selectorImjNS0_4plusIjEEEEZZNS1_33reduce_by_key_impl_wrapped_configILNS1_25lookback_scan_determinismE0ES3_S7_PKmNS0_17constant_iteratorIjlEEPmPlSF_S6_NS0_8equal_toImEEEE10hipError_tPvRmT2_T3_mT4_T5_T6_T7_T8_P12ihipStream_tbENKUlT_T0_E_clISt17integral_constantIbLb0EESZ_EEDaSU_SV_EUlSU_E_NS1_11comp_targetILNS1_3genE9ELNS1_11target_archE1100ELNS1_3gpuE3ELNS1_3repE0EEENS1_30default_config_static_selectorELNS0_4arch9wavefront6targetE0EEEvT1_,@function
_ZN7rocprim17ROCPRIM_400000_NS6detail17trampoline_kernelINS0_14default_configENS1_33run_length_encode_config_selectorImjNS0_4plusIjEEEEZZNS1_33reduce_by_key_impl_wrapped_configILNS1_25lookback_scan_determinismE0ES3_S7_PKmNS0_17constant_iteratorIjlEEPmPlSF_S6_NS0_8equal_toImEEEE10hipError_tPvRmT2_T3_mT4_T5_T6_T7_T8_P12ihipStream_tbENKUlT_T0_E_clISt17integral_constantIbLb0EESZ_EEDaSU_SV_EUlSU_E_NS1_11comp_targetILNS1_3genE9ELNS1_11target_archE1100ELNS1_3gpuE3ELNS1_3repE0EEENS1_30default_config_static_selectorELNS0_4arch9wavefront6targetE0EEEvT1_: ; @_ZN7rocprim17ROCPRIM_400000_NS6detail17trampoline_kernelINS0_14default_configENS1_33run_length_encode_config_selectorImjNS0_4plusIjEEEEZZNS1_33reduce_by_key_impl_wrapped_configILNS1_25lookback_scan_determinismE0ES3_S7_PKmNS0_17constant_iteratorIjlEEPmPlSF_S6_NS0_8equal_toImEEEE10hipError_tPvRmT2_T3_mT4_T5_T6_T7_T8_P12ihipStream_tbENKUlT_T0_E_clISt17integral_constantIbLb0EESZ_EEDaSU_SV_EUlSU_E_NS1_11comp_targetILNS1_3genE9ELNS1_11target_archE1100ELNS1_3gpuE3ELNS1_3repE0EEENS1_30default_config_static_selectorELNS0_4arch9wavefront6targetE0EEEvT1_
; %bb.0:
	.section	.rodata,"a",@progbits
	.p2align	6, 0x0
	.amdhsa_kernel _ZN7rocprim17ROCPRIM_400000_NS6detail17trampoline_kernelINS0_14default_configENS1_33run_length_encode_config_selectorImjNS0_4plusIjEEEEZZNS1_33reduce_by_key_impl_wrapped_configILNS1_25lookback_scan_determinismE0ES3_S7_PKmNS0_17constant_iteratorIjlEEPmPlSF_S6_NS0_8equal_toImEEEE10hipError_tPvRmT2_T3_mT4_T5_T6_T7_T8_P12ihipStream_tbENKUlT_T0_E_clISt17integral_constantIbLb0EESZ_EEDaSU_SV_EUlSU_E_NS1_11comp_targetILNS1_3genE9ELNS1_11target_archE1100ELNS1_3gpuE3ELNS1_3repE0EEENS1_30default_config_static_selectorELNS0_4arch9wavefront6targetE0EEEvT1_
		.amdhsa_group_segment_fixed_size 0
		.amdhsa_private_segment_fixed_size 0
		.amdhsa_kernarg_size 128
		.amdhsa_user_sgpr_count 2
		.amdhsa_user_sgpr_dispatch_ptr 0
		.amdhsa_user_sgpr_queue_ptr 0
		.amdhsa_user_sgpr_kernarg_segment_ptr 1
		.amdhsa_user_sgpr_dispatch_id 0
		.amdhsa_user_sgpr_kernarg_preload_length 0
		.amdhsa_user_sgpr_kernarg_preload_offset 0
		.amdhsa_user_sgpr_private_segment_size 0
		.amdhsa_wavefront_size32 1
		.amdhsa_uses_dynamic_stack 0
		.amdhsa_enable_private_segment 0
		.amdhsa_system_sgpr_workgroup_id_x 1
		.amdhsa_system_sgpr_workgroup_id_y 0
		.amdhsa_system_sgpr_workgroup_id_z 0
		.amdhsa_system_sgpr_workgroup_info 0
		.amdhsa_system_vgpr_workitem_id 0
		.amdhsa_next_free_vgpr 1
		.amdhsa_next_free_sgpr 1
		.amdhsa_named_barrier_count 0
		.amdhsa_reserve_vcc 0
		.amdhsa_float_round_mode_32 0
		.amdhsa_float_round_mode_16_64 0
		.amdhsa_float_denorm_mode_32 3
		.amdhsa_float_denorm_mode_16_64 3
		.amdhsa_fp16_overflow 0
		.amdhsa_memory_ordered 1
		.amdhsa_forward_progress 1
		.amdhsa_inst_pref_size 0
		.amdhsa_round_robin_scheduling 0
		.amdhsa_exception_fp_ieee_invalid_op 0
		.amdhsa_exception_fp_denorm_src 0
		.amdhsa_exception_fp_ieee_div_zero 0
		.amdhsa_exception_fp_ieee_overflow 0
		.amdhsa_exception_fp_ieee_underflow 0
		.amdhsa_exception_fp_ieee_inexact 0
		.amdhsa_exception_int_div_zero 0
	.end_amdhsa_kernel
	.section	.text._ZN7rocprim17ROCPRIM_400000_NS6detail17trampoline_kernelINS0_14default_configENS1_33run_length_encode_config_selectorImjNS0_4plusIjEEEEZZNS1_33reduce_by_key_impl_wrapped_configILNS1_25lookback_scan_determinismE0ES3_S7_PKmNS0_17constant_iteratorIjlEEPmPlSF_S6_NS0_8equal_toImEEEE10hipError_tPvRmT2_T3_mT4_T5_T6_T7_T8_P12ihipStream_tbENKUlT_T0_E_clISt17integral_constantIbLb0EESZ_EEDaSU_SV_EUlSU_E_NS1_11comp_targetILNS1_3genE9ELNS1_11target_archE1100ELNS1_3gpuE3ELNS1_3repE0EEENS1_30default_config_static_selectorELNS0_4arch9wavefront6targetE0EEEvT1_,"axG",@progbits,_ZN7rocprim17ROCPRIM_400000_NS6detail17trampoline_kernelINS0_14default_configENS1_33run_length_encode_config_selectorImjNS0_4plusIjEEEEZZNS1_33reduce_by_key_impl_wrapped_configILNS1_25lookback_scan_determinismE0ES3_S7_PKmNS0_17constant_iteratorIjlEEPmPlSF_S6_NS0_8equal_toImEEEE10hipError_tPvRmT2_T3_mT4_T5_T6_T7_T8_P12ihipStream_tbENKUlT_T0_E_clISt17integral_constantIbLb0EESZ_EEDaSU_SV_EUlSU_E_NS1_11comp_targetILNS1_3genE9ELNS1_11target_archE1100ELNS1_3gpuE3ELNS1_3repE0EEENS1_30default_config_static_selectorELNS0_4arch9wavefront6targetE0EEEvT1_,comdat
.Lfunc_end725:
	.size	_ZN7rocprim17ROCPRIM_400000_NS6detail17trampoline_kernelINS0_14default_configENS1_33run_length_encode_config_selectorImjNS0_4plusIjEEEEZZNS1_33reduce_by_key_impl_wrapped_configILNS1_25lookback_scan_determinismE0ES3_S7_PKmNS0_17constant_iteratorIjlEEPmPlSF_S6_NS0_8equal_toImEEEE10hipError_tPvRmT2_T3_mT4_T5_T6_T7_T8_P12ihipStream_tbENKUlT_T0_E_clISt17integral_constantIbLb0EESZ_EEDaSU_SV_EUlSU_E_NS1_11comp_targetILNS1_3genE9ELNS1_11target_archE1100ELNS1_3gpuE3ELNS1_3repE0EEENS1_30default_config_static_selectorELNS0_4arch9wavefront6targetE0EEEvT1_, .Lfunc_end725-_ZN7rocprim17ROCPRIM_400000_NS6detail17trampoline_kernelINS0_14default_configENS1_33run_length_encode_config_selectorImjNS0_4plusIjEEEEZZNS1_33reduce_by_key_impl_wrapped_configILNS1_25lookback_scan_determinismE0ES3_S7_PKmNS0_17constant_iteratorIjlEEPmPlSF_S6_NS0_8equal_toImEEEE10hipError_tPvRmT2_T3_mT4_T5_T6_T7_T8_P12ihipStream_tbENKUlT_T0_E_clISt17integral_constantIbLb0EESZ_EEDaSU_SV_EUlSU_E_NS1_11comp_targetILNS1_3genE9ELNS1_11target_archE1100ELNS1_3gpuE3ELNS1_3repE0EEENS1_30default_config_static_selectorELNS0_4arch9wavefront6targetE0EEEvT1_
                                        ; -- End function
	.set _ZN7rocprim17ROCPRIM_400000_NS6detail17trampoline_kernelINS0_14default_configENS1_33run_length_encode_config_selectorImjNS0_4plusIjEEEEZZNS1_33reduce_by_key_impl_wrapped_configILNS1_25lookback_scan_determinismE0ES3_S7_PKmNS0_17constant_iteratorIjlEEPmPlSF_S6_NS0_8equal_toImEEEE10hipError_tPvRmT2_T3_mT4_T5_T6_T7_T8_P12ihipStream_tbENKUlT_T0_E_clISt17integral_constantIbLb0EESZ_EEDaSU_SV_EUlSU_E_NS1_11comp_targetILNS1_3genE9ELNS1_11target_archE1100ELNS1_3gpuE3ELNS1_3repE0EEENS1_30default_config_static_selectorELNS0_4arch9wavefront6targetE0EEEvT1_.num_vgpr, 0
	.set _ZN7rocprim17ROCPRIM_400000_NS6detail17trampoline_kernelINS0_14default_configENS1_33run_length_encode_config_selectorImjNS0_4plusIjEEEEZZNS1_33reduce_by_key_impl_wrapped_configILNS1_25lookback_scan_determinismE0ES3_S7_PKmNS0_17constant_iteratorIjlEEPmPlSF_S6_NS0_8equal_toImEEEE10hipError_tPvRmT2_T3_mT4_T5_T6_T7_T8_P12ihipStream_tbENKUlT_T0_E_clISt17integral_constantIbLb0EESZ_EEDaSU_SV_EUlSU_E_NS1_11comp_targetILNS1_3genE9ELNS1_11target_archE1100ELNS1_3gpuE3ELNS1_3repE0EEENS1_30default_config_static_selectorELNS0_4arch9wavefront6targetE0EEEvT1_.num_agpr, 0
	.set _ZN7rocprim17ROCPRIM_400000_NS6detail17trampoline_kernelINS0_14default_configENS1_33run_length_encode_config_selectorImjNS0_4plusIjEEEEZZNS1_33reduce_by_key_impl_wrapped_configILNS1_25lookback_scan_determinismE0ES3_S7_PKmNS0_17constant_iteratorIjlEEPmPlSF_S6_NS0_8equal_toImEEEE10hipError_tPvRmT2_T3_mT4_T5_T6_T7_T8_P12ihipStream_tbENKUlT_T0_E_clISt17integral_constantIbLb0EESZ_EEDaSU_SV_EUlSU_E_NS1_11comp_targetILNS1_3genE9ELNS1_11target_archE1100ELNS1_3gpuE3ELNS1_3repE0EEENS1_30default_config_static_selectorELNS0_4arch9wavefront6targetE0EEEvT1_.numbered_sgpr, 0
	.set _ZN7rocprim17ROCPRIM_400000_NS6detail17trampoline_kernelINS0_14default_configENS1_33run_length_encode_config_selectorImjNS0_4plusIjEEEEZZNS1_33reduce_by_key_impl_wrapped_configILNS1_25lookback_scan_determinismE0ES3_S7_PKmNS0_17constant_iteratorIjlEEPmPlSF_S6_NS0_8equal_toImEEEE10hipError_tPvRmT2_T3_mT4_T5_T6_T7_T8_P12ihipStream_tbENKUlT_T0_E_clISt17integral_constantIbLb0EESZ_EEDaSU_SV_EUlSU_E_NS1_11comp_targetILNS1_3genE9ELNS1_11target_archE1100ELNS1_3gpuE3ELNS1_3repE0EEENS1_30default_config_static_selectorELNS0_4arch9wavefront6targetE0EEEvT1_.num_named_barrier, 0
	.set _ZN7rocprim17ROCPRIM_400000_NS6detail17trampoline_kernelINS0_14default_configENS1_33run_length_encode_config_selectorImjNS0_4plusIjEEEEZZNS1_33reduce_by_key_impl_wrapped_configILNS1_25lookback_scan_determinismE0ES3_S7_PKmNS0_17constant_iteratorIjlEEPmPlSF_S6_NS0_8equal_toImEEEE10hipError_tPvRmT2_T3_mT4_T5_T6_T7_T8_P12ihipStream_tbENKUlT_T0_E_clISt17integral_constantIbLb0EESZ_EEDaSU_SV_EUlSU_E_NS1_11comp_targetILNS1_3genE9ELNS1_11target_archE1100ELNS1_3gpuE3ELNS1_3repE0EEENS1_30default_config_static_selectorELNS0_4arch9wavefront6targetE0EEEvT1_.private_seg_size, 0
	.set _ZN7rocprim17ROCPRIM_400000_NS6detail17trampoline_kernelINS0_14default_configENS1_33run_length_encode_config_selectorImjNS0_4plusIjEEEEZZNS1_33reduce_by_key_impl_wrapped_configILNS1_25lookback_scan_determinismE0ES3_S7_PKmNS0_17constant_iteratorIjlEEPmPlSF_S6_NS0_8equal_toImEEEE10hipError_tPvRmT2_T3_mT4_T5_T6_T7_T8_P12ihipStream_tbENKUlT_T0_E_clISt17integral_constantIbLb0EESZ_EEDaSU_SV_EUlSU_E_NS1_11comp_targetILNS1_3genE9ELNS1_11target_archE1100ELNS1_3gpuE3ELNS1_3repE0EEENS1_30default_config_static_selectorELNS0_4arch9wavefront6targetE0EEEvT1_.uses_vcc, 0
	.set _ZN7rocprim17ROCPRIM_400000_NS6detail17trampoline_kernelINS0_14default_configENS1_33run_length_encode_config_selectorImjNS0_4plusIjEEEEZZNS1_33reduce_by_key_impl_wrapped_configILNS1_25lookback_scan_determinismE0ES3_S7_PKmNS0_17constant_iteratorIjlEEPmPlSF_S6_NS0_8equal_toImEEEE10hipError_tPvRmT2_T3_mT4_T5_T6_T7_T8_P12ihipStream_tbENKUlT_T0_E_clISt17integral_constantIbLb0EESZ_EEDaSU_SV_EUlSU_E_NS1_11comp_targetILNS1_3genE9ELNS1_11target_archE1100ELNS1_3gpuE3ELNS1_3repE0EEENS1_30default_config_static_selectorELNS0_4arch9wavefront6targetE0EEEvT1_.uses_flat_scratch, 0
	.set _ZN7rocprim17ROCPRIM_400000_NS6detail17trampoline_kernelINS0_14default_configENS1_33run_length_encode_config_selectorImjNS0_4plusIjEEEEZZNS1_33reduce_by_key_impl_wrapped_configILNS1_25lookback_scan_determinismE0ES3_S7_PKmNS0_17constant_iteratorIjlEEPmPlSF_S6_NS0_8equal_toImEEEE10hipError_tPvRmT2_T3_mT4_T5_T6_T7_T8_P12ihipStream_tbENKUlT_T0_E_clISt17integral_constantIbLb0EESZ_EEDaSU_SV_EUlSU_E_NS1_11comp_targetILNS1_3genE9ELNS1_11target_archE1100ELNS1_3gpuE3ELNS1_3repE0EEENS1_30default_config_static_selectorELNS0_4arch9wavefront6targetE0EEEvT1_.has_dyn_sized_stack, 0
	.set _ZN7rocprim17ROCPRIM_400000_NS6detail17trampoline_kernelINS0_14default_configENS1_33run_length_encode_config_selectorImjNS0_4plusIjEEEEZZNS1_33reduce_by_key_impl_wrapped_configILNS1_25lookback_scan_determinismE0ES3_S7_PKmNS0_17constant_iteratorIjlEEPmPlSF_S6_NS0_8equal_toImEEEE10hipError_tPvRmT2_T3_mT4_T5_T6_T7_T8_P12ihipStream_tbENKUlT_T0_E_clISt17integral_constantIbLb0EESZ_EEDaSU_SV_EUlSU_E_NS1_11comp_targetILNS1_3genE9ELNS1_11target_archE1100ELNS1_3gpuE3ELNS1_3repE0EEENS1_30default_config_static_selectorELNS0_4arch9wavefront6targetE0EEEvT1_.has_recursion, 0
	.set _ZN7rocprim17ROCPRIM_400000_NS6detail17trampoline_kernelINS0_14default_configENS1_33run_length_encode_config_selectorImjNS0_4plusIjEEEEZZNS1_33reduce_by_key_impl_wrapped_configILNS1_25lookback_scan_determinismE0ES3_S7_PKmNS0_17constant_iteratorIjlEEPmPlSF_S6_NS0_8equal_toImEEEE10hipError_tPvRmT2_T3_mT4_T5_T6_T7_T8_P12ihipStream_tbENKUlT_T0_E_clISt17integral_constantIbLb0EESZ_EEDaSU_SV_EUlSU_E_NS1_11comp_targetILNS1_3genE9ELNS1_11target_archE1100ELNS1_3gpuE3ELNS1_3repE0EEENS1_30default_config_static_selectorELNS0_4arch9wavefront6targetE0EEEvT1_.has_indirect_call, 0
	.section	.AMDGPU.csdata,"",@progbits
; Kernel info:
; codeLenInByte = 0
; TotalNumSgprs: 0
; NumVgprs: 0
; ScratchSize: 0
; MemoryBound: 0
; FloatMode: 240
; IeeeMode: 1
; LDSByteSize: 0 bytes/workgroup (compile time only)
; SGPRBlocks: 0
; VGPRBlocks: 0
; NumSGPRsForWavesPerEU: 1
; NumVGPRsForWavesPerEU: 1
; NamedBarCnt: 0
; Occupancy: 16
; WaveLimiterHint : 0
; COMPUTE_PGM_RSRC2:SCRATCH_EN: 0
; COMPUTE_PGM_RSRC2:USER_SGPR: 2
; COMPUTE_PGM_RSRC2:TRAP_HANDLER: 0
; COMPUTE_PGM_RSRC2:TGID_X_EN: 1
; COMPUTE_PGM_RSRC2:TGID_Y_EN: 0
; COMPUTE_PGM_RSRC2:TGID_Z_EN: 0
; COMPUTE_PGM_RSRC2:TIDIG_COMP_CNT: 0
	.section	.text._ZN7rocprim17ROCPRIM_400000_NS6detail17trampoline_kernelINS0_14default_configENS1_33run_length_encode_config_selectorImjNS0_4plusIjEEEEZZNS1_33reduce_by_key_impl_wrapped_configILNS1_25lookback_scan_determinismE0ES3_S7_PKmNS0_17constant_iteratorIjlEEPmPlSF_S6_NS0_8equal_toImEEEE10hipError_tPvRmT2_T3_mT4_T5_T6_T7_T8_P12ihipStream_tbENKUlT_T0_E_clISt17integral_constantIbLb0EESZ_EEDaSU_SV_EUlSU_E_NS1_11comp_targetILNS1_3genE8ELNS1_11target_archE1030ELNS1_3gpuE2ELNS1_3repE0EEENS1_30default_config_static_selectorELNS0_4arch9wavefront6targetE0EEEvT1_,"axG",@progbits,_ZN7rocprim17ROCPRIM_400000_NS6detail17trampoline_kernelINS0_14default_configENS1_33run_length_encode_config_selectorImjNS0_4plusIjEEEEZZNS1_33reduce_by_key_impl_wrapped_configILNS1_25lookback_scan_determinismE0ES3_S7_PKmNS0_17constant_iteratorIjlEEPmPlSF_S6_NS0_8equal_toImEEEE10hipError_tPvRmT2_T3_mT4_T5_T6_T7_T8_P12ihipStream_tbENKUlT_T0_E_clISt17integral_constantIbLb0EESZ_EEDaSU_SV_EUlSU_E_NS1_11comp_targetILNS1_3genE8ELNS1_11target_archE1030ELNS1_3gpuE2ELNS1_3repE0EEENS1_30default_config_static_selectorELNS0_4arch9wavefront6targetE0EEEvT1_,comdat
	.protected	_ZN7rocprim17ROCPRIM_400000_NS6detail17trampoline_kernelINS0_14default_configENS1_33run_length_encode_config_selectorImjNS0_4plusIjEEEEZZNS1_33reduce_by_key_impl_wrapped_configILNS1_25lookback_scan_determinismE0ES3_S7_PKmNS0_17constant_iteratorIjlEEPmPlSF_S6_NS0_8equal_toImEEEE10hipError_tPvRmT2_T3_mT4_T5_T6_T7_T8_P12ihipStream_tbENKUlT_T0_E_clISt17integral_constantIbLb0EESZ_EEDaSU_SV_EUlSU_E_NS1_11comp_targetILNS1_3genE8ELNS1_11target_archE1030ELNS1_3gpuE2ELNS1_3repE0EEENS1_30default_config_static_selectorELNS0_4arch9wavefront6targetE0EEEvT1_ ; -- Begin function _ZN7rocprim17ROCPRIM_400000_NS6detail17trampoline_kernelINS0_14default_configENS1_33run_length_encode_config_selectorImjNS0_4plusIjEEEEZZNS1_33reduce_by_key_impl_wrapped_configILNS1_25lookback_scan_determinismE0ES3_S7_PKmNS0_17constant_iteratorIjlEEPmPlSF_S6_NS0_8equal_toImEEEE10hipError_tPvRmT2_T3_mT4_T5_T6_T7_T8_P12ihipStream_tbENKUlT_T0_E_clISt17integral_constantIbLb0EESZ_EEDaSU_SV_EUlSU_E_NS1_11comp_targetILNS1_3genE8ELNS1_11target_archE1030ELNS1_3gpuE2ELNS1_3repE0EEENS1_30default_config_static_selectorELNS0_4arch9wavefront6targetE0EEEvT1_
	.globl	_ZN7rocprim17ROCPRIM_400000_NS6detail17trampoline_kernelINS0_14default_configENS1_33run_length_encode_config_selectorImjNS0_4plusIjEEEEZZNS1_33reduce_by_key_impl_wrapped_configILNS1_25lookback_scan_determinismE0ES3_S7_PKmNS0_17constant_iteratorIjlEEPmPlSF_S6_NS0_8equal_toImEEEE10hipError_tPvRmT2_T3_mT4_T5_T6_T7_T8_P12ihipStream_tbENKUlT_T0_E_clISt17integral_constantIbLb0EESZ_EEDaSU_SV_EUlSU_E_NS1_11comp_targetILNS1_3genE8ELNS1_11target_archE1030ELNS1_3gpuE2ELNS1_3repE0EEENS1_30default_config_static_selectorELNS0_4arch9wavefront6targetE0EEEvT1_
	.p2align	8
	.type	_ZN7rocprim17ROCPRIM_400000_NS6detail17trampoline_kernelINS0_14default_configENS1_33run_length_encode_config_selectorImjNS0_4plusIjEEEEZZNS1_33reduce_by_key_impl_wrapped_configILNS1_25lookback_scan_determinismE0ES3_S7_PKmNS0_17constant_iteratorIjlEEPmPlSF_S6_NS0_8equal_toImEEEE10hipError_tPvRmT2_T3_mT4_T5_T6_T7_T8_P12ihipStream_tbENKUlT_T0_E_clISt17integral_constantIbLb0EESZ_EEDaSU_SV_EUlSU_E_NS1_11comp_targetILNS1_3genE8ELNS1_11target_archE1030ELNS1_3gpuE2ELNS1_3repE0EEENS1_30default_config_static_selectorELNS0_4arch9wavefront6targetE0EEEvT1_,@function
_ZN7rocprim17ROCPRIM_400000_NS6detail17trampoline_kernelINS0_14default_configENS1_33run_length_encode_config_selectorImjNS0_4plusIjEEEEZZNS1_33reduce_by_key_impl_wrapped_configILNS1_25lookback_scan_determinismE0ES3_S7_PKmNS0_17constant_iteratorIjlEEPmPlSF_S6_NS0_8equal_toImEEEE10hipError_tPvRmT2_T3_mT4_T5_T6_T7_T8_P12ihipStream_tbENKUlT_T0_E_clISt17integral_constantIbLb0EESZ_EEDaSU_SV_EUlSU_E_NS1_11comp_targetILNS1_3genE8ELNS1_11target_archE1030ELNS1_3gpuE2ELNS1_3repE0EEENS1_30default_config_static_selectorELNS0_4arch9wavefront6targetE0EEEvT1_: ; @_ZN7rocprim17ROCPRIM_400000_NS6detail17trampoline_kernelINS0_14default_configENS1_33run_length_encode_config_selectorImjNS0_4plusIjEEEEZZNS1_33reduce_by_key_impl_wrapped_configILNS1_25lookback_scan_determinismE0ES3_S7_PKmNS0_17constant_iteratorIjlEEPmPlSF_S6_NS0_8equal_toImEEEE10hipError_tPvRmT2_T3_mT4_T5_T6_T7_T8_P12ihipStream_tbENKUlT_T0_E_clISt17integral_constantIbLb0EESZ_EEDaSU_SV_EUlSU_E_NS1_11comp_targetILNS1_3genE8ELNS1_11target_archE1030ELNS1_3gpuE2ELNS1_3repE0EEENS1_30default_config_static_selectorELNS0_4arch9wavefront6targetE0EEEvT1_
; %bb.0:
	.section	.rodata,"a",@progbits
	.p2align	6, 0x0
	.amdhsa_kernel _ZN7rocprim17ROCPRIM_400000_NS6detail17trampoline_kernelINS0_14default_configENS1_33run_length_encode_config_selectorImjNS0_4plusIjEEEEZZNS1_33reduce_by_key_impl_wrapped_configILNS1_25lookback_scan_determinismE0ES3_S7_PKmNS0_17constant_iteratorIjlEEPmPlSF_S6_NS0_8equal_toImEEEE10hipError_tPvRmT2_T3_mT4_T5_T6_T7_T8_P12ihipStream_tbENKUlT_T0_E_clISt17integral_constantIbLb0EESZ_EEDaSU_SV_EUlSU_E_NS1_11comp_targetILNS1_3genE8ELNS1_11target_archE1030ELNS1_3gpuE2ELNS1_3repE0EEENS1_30default_config_static_selectorELNS0_4arch9wavefront6targetE0EEEvT1_
		.amdhsa_group_segment_fixed_size 0
		.amdhsa_private_segment_fixed_size 0
		.amdhsa_kernarg_size 128
		.amdhsa_user_sgpr_count 2
		.amdhsa_user_sgpr_dispatch_ptr 0
		.amdhsa_user_sgpr_queue_ptr 0
		.amdhsa_user_sgpr_kernarg_segment_ptr 1
		.amdhsa_user_sgpr_dispatch_id 0
		.amdhsa_user_sgpr_kernarg_preload_length 0
		.amdhsa_user_sgpr_kernarg_preload_offset 0
		.amdhsa_user_sgpr_private_segment_size 0
		.amdhsa_wavefront_size32 1
		.amdhsa_uses_dynamic_stack 0
		.amdhsa_enable_private_segment 0
		.amdhsa_system_sgpr_workgroup_id_x 1
		.amdhsa_system_sgpr_workgroup_id_y 0
		.amdhsa_system_sgpr_workgroup_id_z 0
		.amdhsa_system_sgpr_workgroup_info 0
		.amdhsa_system_vgpr_workitem_id 0
		.amdhsa_next_free_vgpr 1
		.amdhsa_next_free_sgpr 1
		.amdhsa_named_barrier_count 0
		.amdhsa_reserve_vcc 0
		.amdhsa_float_round_mode_32 0
		.amdhsa_float_round_mode_16_64 0
		.amdhsa_float_denorm_mode_32 3
		.amdhsa_float_denorm_mode_16_64 3
		.amdhsa_fp16_overflow 0
		.amdhsa_memory_ordered 1
		.amdhsa_forward_progress 1
		.amdhsa_inst_pref_size 0
		.amdhsa_round_robin_scheduling 0
		.amdhsa_exception_fp_ieee_invalid_op 0
		.amdhsa_exception_fp_denorm_src 0
		.amdhsa_exception_fp_ieee_div_zero 0
		.amdhsa_exception_fp_ieee_overflow 0
		.amdhsa_exception_fp_ieee_underflow 0
		.amdhsa_exception_fp_ieee_inexact 0
		.amdhsa_exception_int_div_zero 0
	.end_amdhsa_kernel
	.section	.text._ZN7rocprim17ROCPRIM_400000_NS6detail17trampoline_kernelINS0_14default_configENS1_33run_length_encode_config_selectorImjNS0_4plusIjEEEEZZNS1_33reduce_by_key_impl_wrapped_configILNS1_25lookback_scan_determinismE0ES3_S7_PKmNS0_17constant_iteratorIjlEEPmPlSF_S6_NS0_8equal_toImEEEE10hipError_tPvRmT2_T3_mT4_T5_T6_T7_T8_P12ihipStream_tbENKUlT_T0_E_clISt17integral_constantIbLb0EESZ_EEDaSU_SV_EUlSU_E_NS1_11comp_targetILNS1_3genE8ELNS1_11target_archE1030ELNS1_3gpuE2ELNS1_3repE0EEENS1_30default_config_static_selectorELNS0_4arch9wavefront6targetE0EEEvT1_,"axG",@progbits,_ZN7rocprim17ROCPRIM_400000_NS6detail17trampoline_kernelINS0_14default_configENS1_33run_length_encode_config_selectorImjNS0_4plusIjEEEEZZNS1_33reduce_by_key_impl_wrapped_configILNS1_25lookback_scan_determinismE0ES3_S7_PKmNS0_17constant_iteratorIjlEEPmPlSF_S6_NS0_8equal_toImEEEE10hipError_tPvRmT2_T3_mT4_T5_T6_T7_T8_P12ihipStream_tbENKUlT_T0_E_clISt17integral_constantIbLb0EESZ_EEDaSU_SV_EUlSU_E_NS1_11comp_targetILNS1_3genE8ELNS1_11target_archE1030ELNS1_3gpuE2ELNS1_3repE0EEENS1_30default_config_static_selectorELNS0_4arch9wavefront6targetE0EEEvT1_,comdat
.Lfunc_end726:
	.size	_ZN7rocprim17ROCPRIM_400000_NS6detail17trampoline_kernelINS0_14default_configENS1_33run_length_encode_config_selectorImjNS0_4plusIjEEEEZZNS1_33reduce_by_key_impl_wrapped_configILNS1_25lookback_scan_determinismE0ES3_S7_PKmNS0_17constant_iteratorIjlEEPmPlSF_S6_NS0_8equal_toImEEEE10hipError_tPvRmT2_T3_mT4_T5_T6_T7_T8_P12ihipStream_tbENKUlT_T0_E_clISt17integral_constantIbLb0EESZ_EEDaSU_SV_EUlSU_E_NS1_11comp_targetILNS1_3genE8ELNS1_11target_archE1030ELNS1_3gpuE2ELNS1_3repE0EEENS1_30default_config_static_selectorELNS0_4arch9wavefront6targetE0EEEvT1_, .Lfunc_end726-_ZN7rocprim17ROCPRIM_400000_NS6detail17trampoline_kernelINS0_14default_configENS1_33run_length_encode_config_selectorImjNS0_4plusIjEEEEZZNS1_33reduce_by_key_impl_wrapped_configILNS1_25lookback_scan_determinismE0ES3_S7_PKmNS0_17constant_iteratorIjlEEPmPlSF_S6_NS0_8equal_toImEEEE10hipError_tPvRmT2_T3_mT4_T5_T6_T7_T8_P12ihipStream_tbENKUlT_T0_E_clISt17integral_constantIbLb0EESZ_EEDaSU_SV_EUlSU_E_NS1_11comp_targetILNS1_3genE8ELNS1_11target_archE1030ELNS1_3gpuE2ELNS1_3repE0EEENS1_30default_config_static_selectorELNS0_4arch9wavefront6targetE0EEEvT1_
                                        ; -- End function
	.set _ZN7rocprim17ROCPRIM_400000_NS6detail17trampoline_kernelINS0_14default_configENS1_33run_length_encode_config_selectorImjNS0_4plusIjEEEEZZNS1_33reduce_by_key_impl_wrapped_configILNS1_25lookback_scan_determinismE0ES3_S7_PKmNS0_17constant_iteratorIjlEEPmPlSF_S6_NS0_8equal_toImEEEE10hipError_tPvRmT2_T3_mT4_T5_T6_T7_T8_P12ihipStream_tbENKUlT_T0_E_clISt17integral_constantIbLb0EESZ_EEDaSU_SV_EUlSU_E_NS1_11comp_targetILNS1_3genE8ELNS1_11target_archE1030ELNS1_3gpuE2ELNS1_3repE0EEENS1_30default_config_static_selectorELNS0_4arch9wavefront6targetE0EEEvT1_.num_vgpr, 0
	.set _ZN7rocprim17ROCPRIM_400000_NS6detail17trampoline_kernelINS0_14default_configENS1_33run_length_encode_config_selectorImjNS0_4plusIjEEEEZZNS1_33reduce_by_key_impl_wrapped_configILNS1_25lookback_scan_determinismE0ES3_S7_PKmNS0_17constant_iteratorIjlEEPmPlSF_S6_NS0_8equal_toImEEEE10hipError_tPvRmT2_T3_mT4_T5_T6_T7_T8_P12ihipStream_tbENKUlT_T0_E_clISt17integral_constantIbLb0EESZ_EEDaSU_SV_EUlSU_E_NS1_11comp_targetILNS1_3genE8ELNS1_11target_archE1030ELNS1_3gpuE2ELNS1_3repE0EEENS1_30default_config_static_selectorELNS0_4arch9wavefront6targetE0EEEvT1_.num_agpr, 0
	.set _ZN7rocprim17ROCPRIM_400000_NS6detail17trampoline_kernelINS0_14default_configENS1_33run_length_encode_config_selectorImjNS0_4plusIjEEEEZZNS1_33reduce_by_key_impl_wrapped_configILNS1_25lookback_scan_determinismE0ES3_S7_PKmNS0_17constant_iteratorIjlEEPmPlSF_S6_NS0_8equal_toImEEEE10hipError_tPvRmT2_T3_mT4_T5_T6_T7_T8_P12ihipStream_tbENKUlT_T0_E_clISt17integral_constantIbLb0EESZ_EEDaSU_SV_EUlSU_E_NS1_11comp_targetILNS1_3genE8ELNS1_11target_archE1030ELNS1_3gpuE2ELNS1_3repE0EEENS1_30default_config_static_selectorELNS0_4arch9wavefront6targetE0EEEvT1_.numbered_sgpr, 0
	.set _ZN7rocprim17ROCPRIM_400000_NS6detail17trampoline_kernelINS0_14default_configENS1_33run_length_encode_config_selectorImjNS0_4plusIjEEEEZZNS1_33reduce_by_key_impl_wrapped_configILNS1_25lookback_scan_determinismE0ES3_S7_PKmNS0_17constant_iteratorIjlEEPmPlSF_S6_NS0_8equal_toImEEEE10hipError_tPvRmT2_T3_mT4_T5_T6_T7_T8_P12ihipStream_tbENKUlT_T0_E_clISt17integral_constantIbLb0EESZ_EEDaSU_SV_EUlSU_E_NS1_11comp_targetILNS1_3genE8ELNS1_11target_archE1030ELNS1_3gpuE2ELNS1_3repE0EEENS1_30default_config_static_selectorELNS0_4arch9wavefront6targetE0EEEvT1_.num_named_barrier, 0
	.set _ZN7rocprim17ROCPRIM_400000_NS6detail17trampoline_kernelINS0_14default_configENS1_33run_length_encode_config_selectorImjNS0_4plusIjEEEEZZNS1_33reduce_by_key_impl_wrapped_configILNS1_25lookback_scan_determinismE0ES3_S7_PKmNS0_17constant_iteratorIjlEEPmPlSF_S6_NS0_8equal_toImEEEE10hipError_tPvRmT2_T3_mT4_T5_T6_T7_T8_P12ihipStream_tbENKUlT_T0_E_clISt17integral_constantIbLb0EESZ_EEDaSU_SV_EUlSU_E_NS1_11comp_targetILNS1_3genE8ELNS1_11target_archE1030ELNS1_3gpuE2ELNS1_3repE0EEENS1_30default_config_static_selectorELNS0_4arch9wavefront6targetE0EEEvT1_.private_seg_size, 0
	.set _ZN7rocprim17ROCPRIM_400000_NS6detail17trampoline_kernelINS0_14default_configENS1_33run_length_encode_config_selectorImjNS0_4plusIjEEEEZZNS1_33reduce_by_key_impl_wrapped_configILNS1_25lookback_scan_determinismE0ES3_S7_PKmNS0_17constant_iteratorIjlEEPmPlSF_S6_NS0_8equal_toImEEEE10hipError_tPvRmT2_T3_mT4_T5_T6_T7_T8_P12ihipStream_tbENKUlT_T0_E_clISt17integral_constantIbLb0EESZ_EEDaSU_SV_EUlSU_E_NS1_11comp_targetILNS1_3genE8ELNS1_11target_archE1030ELNS1_3gpuE2ELNS1_3repE0EEENS1_30default_config_static_selectorELNS0_4arch9wavefront6targetE0EEEvT1_.uses_vcc, 0
	.set _ZN7rocprim17ROCPRIM_400000_NS6detail17trampoline_kernelINS0_14default_configENS1_33run_length_encode_config_selectorImjNS0_4plusIjEEEEZZNS1_33reduce_by_key_impl_wrapped_configILNS1_25lookback_scan_determinismE0ES3_S7_PKmNS0_17constant_iteratorIjlEEPmPlSF_S6_NS0_8equal_toImEEEE10hipError_tPvRmT2_T3_mT4_T5_T6_T7_T8_P12ihipStream_tbENKUlT_T0_E_clISt17integral_constantIbLb0EESZ_EEDaSU_SV_EUlSU_E_NS1_11comp_targetILNS1_3genE8ELNS1_11target_archE1030ELNS1_3gpuE2ELNS1_3repE0EEENS1_30default_config_static_selectorELNS0_4arch9wavefront6targetE0EEEvT1_.uses_flat_scratch, 0
	.set _ZN7rocprim17ROCPRIM_400000_NS6detail17trampoline_kernelINS0_14default_configENS1_33run_length_encode_config_selectorImjNS0_4plusIjEEEEZZNS1_33reduce_by_key_impl_wrapped_configILNS1_25lookback_scan_determinismE0ES3_S7_PKmNS0_17constant_iteratorIjlEEPmPlSF_S6_NS0_8equal_toImEEEE10hipError_tPvRmT2_T3_mT4_T5_T6_T7_T8_P12ihipStream_tbENKUlT_T0_E_clISt17integral_constantIbLb0EESZ_EEDaSU_SV_EUlSU_E_NS1_11comp_targetILNS1_3genE8ELNS1_11target_archE1030ELNS1_3gpuE2ELNS1_3repE0EEENS1_30default_config_static_selectorELNS0_4arch9wavefront6targetE0EEEvT1_.has_dyn_sized_stack, 0
	.set _ZN7rocprim17ROCPRIM_400000_NS6detail17trampoline_kernelINS0_14default_configENS1_33run_length_encode_config_selectorImjNS0_4plusIjEEEEZZNS1_33reduce_by_key_impl_wrapped_configILNS1_25lookback_scan_determinismE0ES3_S7_PKmNS0_17constant_iteratorIjlEEPmPlSF_S6_NS0_8equal_toImEEEE10hipError_tPvRmT2_T3_mT4_T5_T6_T7_T8_P12ihipStream_tbENKUlT_T0_E_clISt17integral_constantIbLb0EESZ_EEDaSU_SV_EUlSU_E_NS1_11comp_targetILNS1_3genE8ELNS1_11target_archE1030ELNS1_3gpuE2ELNS1_3repE0EEENS1_30default_config_static_selectorELNS0_4arch9wavefront6targetE0EEEvT1_.has_recursion, 0
	.set _ZN7rocprim17ROCPRIM_400000_NS6detail17trampoline_kernelINS0_14default_configENS1_33run_length_encode_config_selectorImjNS0_4plusIjEEEEZZNS1_33reduce_by_key_impl_wrapped_configILNS1_25lookback_scan_determinismE0ES3_S7_PKmNS0_17constant_iteratorIjlEEPmPlSF_S6_NS0_8equal_toImEEEE10hipError_tPvRmT2_T3_mT4_T5_T6_T7_T8_P12ihipStream_tbENKUlT_T0_E_clISt17integral_constantIbLb0EESZ_EEDaSU_SV_EUlSU_E_NS1_11comp_targetILNS1_3genE8ELNS1_11target_archE1030ELNS1_3gpuE2ELNS1_3repE0EEENS1_30default_config_static_selectorELNS0_4arch9wavefront6targetE0EEEvT1_.has_indirect_call, 0
	.section	.AMDGPU.csdata,"",@progbits
; Kernel info:
; codeLenInByte = 0
; TotalNumSgprs: 0
; NumVgprs: 0
; ScratchSize: 0
; MemoryBound: 0
; FloatMode: 240
; IeeeMode: 1
; LDSByteSize: 0 bytes/workgroup (compile time only)
; SGPRBlocks: 0
; VGPRBlocks: 0
; NumSGPRsForWavesPerEU: 1
; NumVGPRsForWavesPerEU: 1
; NamedBarCnt: 0
; Occupancy: 16
; WaveLimiterHint : 0
; COMPUTE_PGM_RSRC2:SCRATCH_EN: 0
; COMPUTE_PGM_RSRC2:USER_SGPR: 2
; COMPUTE_PGM_RSRC2:TRAP_HANDLER: 0
; COMPUTE_PGM_RSRC2:TGID_X_EN: 1
; COMPUTE_PGM_RSRC2:TGID_Y_EN: 0
; COMPUTE_PGM_RSRC2:TGID_Z_EN: 0
; COMPUTE_PGM_RSRC2:TIDIG_COMP_CNT: 0
	.section	.text._ZN7rocprim17ROCPRIM_400000_NS6detail17trampoline_kernelINS0_14default_configENS1_33run_length_encode_config_selectorImjNS0_4plusIjEEEEZZNS1_33reduce_by_key_impl_wrapped_configILNS1_25lookback_scan_determinismE0ES3_S7_PKmNS0_17constant_iteratorIjlEEPmPlSF_S6_NS0_8equal_toImEEEE10hipError_tPvRmT2_T3_mT4_T5_T6_T7_T8_P12ihipStream_tbENKUlT_T0_E_clISt17integral_constantIbLb1EESZ_EEDaSU_SV_EUlSU_E_NS1_11comp_targetILNS1_3genE0ELNS1_11target_archE4294967295ELNS1_3gpuE0ELNS1_3repE0EEENS1_30default_config_static_selectorELNS0_4arch9wavefront6targetE0EEEvT1_,"axG",@progbits,_ZN7rocprim17ROCPRIM_400000_NS6detail17trampoline_kernelINS0_14default_configENS1_33run_length_encode_config_selectorImjNS0_4plusIjEEEEZZNS1_33reduce_by_key_impl_wrapped_configILNS1_25lookback_scan_determinismE0ES3_S7_PKmNS0_17constant_iteratorIjlEEPmPlSF_S6_NS0_8equal_toImEEEE10hipError_tPvRmT2_T3_mT4_T5_T6_T7_T8_P12ihipStream_tbENKUlT_T0_E_clISt17integral_constantIbLb1EESZ_EEDaSU_SV_EUlSU_E_NS1_11comp_targetILNS1_3genE0ELNS1_11target_archE4294967295ELNS1_3gpuE0ELNS1_3repE0EEENS1_30default_config_static_selectorELNS0_4arch9wavefront6targetE0EEEvT1_,comdat
	.protected	_ZN7rocprim17ROCPRIM_400000_NS6detail17trampoline_kernelINS0_14default_configENS1_33run_length_encode_config_selectorImjNS0_4plusIjEEEEZZNS1_33reduce_by_key_impl_wrapped_configILNS1_25lookback_scan_determinismE0ES3_S7_PKmNS0_17constant_iteratorIjlEEPmPlSF_S6_NS0_8equal_toImEEEE10hipError_tPvRmT2_T3_mT4_T5_T6_T7_T8_P12ihipStream_tbENKUlT_T0_E_clISt17integral_constantIbLb1EESZ_EEDaSU_SV_EUlSU_E_NS1_11comp_targetILNS1_3genE0ELNS1_11target_archE4294967295ELNS1_3gpuE0ELNS1_3repE0EEENS1_30default_config_static_selectorELNS0_4arch9wavefront6targetE0EEEvT1_ ; -- Begin function _ZN7rocprim17ROCPRIM_400000_NS6detail17trampoline_kernelINS0_14default_configENS1_33run_length_encode_config_selectorImjNS0_4plusIjEEEEZZNS1_33reduce_by_key_impl_wrapped_configILNS1_25lookback_scan_determinismE0ES3_S7_PKmNS0_17constant_iteratorIjlEEPmPlSF_S6_NS0_8equal_toImEEEE10hipError_tPvRmT2_T3_mT4_T5_T6_T7_T8_P12ihipStream_tbENKUlT_T0_E_clISt17integral_constantIbLb1EESZ_EEDaSU_SV_EUlSU_E_NS1_11comp_targetILNS1_3genE0ELNS1_11target_archE4294967295ELNS1_3gpuE0ELNS1_3repE0EEENS1_30default_config_static_selectorELNS0_4arch9wavefront6targetE0EEEvT1_
	.globl	_ZN7rocprim17ROCPRIM_400000_NS6detail17trampoline_kernelINS0_14default_configENS1_33run_length_encode_config_selectorImjNS0_4plusIjEEEEZZNS1_33reduce_by_key_impl_wrapped_configILNS1_25lookback_scan_determinismE0ES3_S7_PKmNS0_17constant_iteratorIjlEEPmPlSF_S6_NS0_8equal_toImEEEE10hipError_tPvRmT2_T3_mT4_T5_T6_T7_T8_P12ihipStream_tbENKUlT_T0_E_clISt17integral_constantIbLb1EESZ_EEDaSU_SV_EUlSU_E_NS1_11comp_targetILNS1_3genE0ELNS1_11target_archE4294967295ELNS1_3gpuE0ELNS1_3repE0EEENS1_30default_config_static_selectorELNS0_4arch9wavefront6targetE0EEEvT1_
	.p2align	8
	.type	_ZN7rocprim17ROCPRIM_400000_NS6detail17trampoline_kernelINS0_14default_configENS1_33run_length_encode_config_selectorImjNS0_4plusIjEEEEZZNS1_33reduce_by_key_impl_wrapped_configILNS1_25lookback_scan_determinismE0ES3_S7_PKmNS0_17constant_iteratorIjlEEPmPlSF_S6_NS0_8equal_toImEEEE10hipError_tPvRmT2_T3_mT4_T5_T6_T7_T8_P12ihipStream_tbENKUlT_T0_E_clISt17integral_constantIbLb1EESZ_EEDaSU_SV_EUlSU_E_NS1_11comp_targetILNS1_3genE0ELNS1_11target_archE4294967295ELNS1_3gpuE0ELNS1_3repE0EEENS1_30default_config_static_selectorELNS0_4arch9wavefront6targetE0EEEvT1_,@function
_ZN7rocprim17ROCPRIM_400000_NS6detail17trampoline_kernelINS0_14default_configENS1_33run_length_encode_config_selectorImjNS0_4plusIjEEEEZZNS1_33reduce_by_key_impl_wrapped_configILNS1_25lookback_scan_determinismE0ES3_S7_PKmNS0_17constant_iteratorIjlEEPmPlSF_S6_NS0_8equal_toImEEEE10hipError_tPvRmT2_T3_mT4_T5_T6_T7_T8_P12ihipStream_tbENKUlT_T0_E_clISt17integral_constantIbLb1EESZ_EEDaSU_SV_EUlSU_E_NS1_11comp_targetILNS1_3genE0ELNS1_11target_archE4294967295ELNS1_3gpuE0ELNS1_3repE0EEENS1_30default_config_static_selectorELNS0_4arch9wavefront6targetE0EEEvT1_: ; @_ZN7rocprim17ROCPRIM_400000_NS6detail17trampoline_kernelINS0_14default_configENS1_33run_length_encode_config_selectorImjNS0_4plusIjEEEEZZNS1_33reduce_by_key_impl_wrapped_configILNS1_25lookback_scan_determinismE0ES3_S7_PKmNS0_17constant_iteratorIjlEEPmPlSF_S6_NS0_8equal_toImEEEE10hipError_tPvRmT2_T3_mT4_T5_T6_T7_T8_P12ihipStream_tbENKUlT_T0_E_clISt17integral_constantIbLb1EESZ_EEDaSU_SV_EUlSU_E_NS1_11comp_targetILNS1_3genE0ELNS1_11target_archE4294967295ELNS1_3gpuE0ELNS1_3repE0EEENS1_30default_config_static_selectorELNS0_4arch9wavefront6targetE0EEEvT1_
; %bb.0:
	s_endpgm
	.section	.rodata,"a",@progbits
	.p2align	6, 0x0
	.amdhsa_kernel _ZN7rocprim17ROCPRIM_400000_NS6detail17trampoline_kernelINS0_14default_configENS1_33run_length_encode_config_selectorImjNS0_4plusIjEEEEZZNS1_33reduce_by_key_impl_wrapped_configILNS1_25lookback_scan_determinismE0ES3_S7_PKmNS0_17constant_iteratorIjlEEPmPlSF_S6_NS0_8equal_toImEEEE10hipError_tPvRmT2_T3_mT4_T5_T6_T7_T8_P12ihipStream_tbENKUlT_T0_E_clISt17integral_constantIbLb1EESZ_EEDaSU_SV_EUlSU_E_NS1_11comp_targetILNS1_3genE0ELNS1_11target_archE4294967295ELNS1_3gpuE0ELNS1_3repE0EEENS1_30default_config_static_selectorELNS0_4arch9wavefront6targetE0EEEvT1_
		.amdhsa_group_segment_fixed_size 0
		.amdhsa_private_segment_fixed_size 0
		.amdhsa_kernarg_size 128
		.amdhsa_user_sgpr_count 2
		.amdhsa_user_sgpr_dispatch_ptr 0
		.amdhsa_user_sgpr_queue_ptr 0
		.amdhsa_user_sgpr_kernarg_segment_ptr 1
		.amdhsa_user_sgpr_dispatch_id 0
		.amdhsa_user_sgpr_kernarg_preload_length 0
		.amdhsa_user_sgpr_kernarg_preload_offset 0
		.amdhsa_user_sgpr_private_segment_size 0
		.amdhsa_wavefront_size32 1
		.amdhsa_uses_dynamic_stack 0
		.amdhsa_enable_private_segment 0
		.amdhsa_system_sgpr_workgroup_id_x 1
		.amdhsa_system_sgpr_workgroup_id_y 0
		.amdhsa_system_sgpr_workgroup_id_z 0
		.amdhsa_system_sgpr_workgroup_info 0
		.amdhsa_system_vgpr_workitem_id 0
		.amdhsa_next_free_vgpr 1
		.amdhsa_next_free_sgpr 1
		.amdhsa_named_barrier_count 0
		.amdhsa_reserve_vcc 0
		.amdhsa_float_round_mode_32 0
		.amdhsa_float_round_mode_16_64 0
		.amdhsa_float_denorm_mode_32 3
		.amdhsa_float_denorm_mode_16_64 3
		.amdhsa_fp16_overflow 0
		.amdhsa_memory_ordered 1
		.amdhsa_forward_progress 1
		.amdhsa_inst_pref_size 1
		.amdhsa_round_robin_scheduling 0
		.amdhsa_exception_fp_ieee_invalid_op 0
		.amdhsa_exception_fp_denorm_src 0
		.amdhsa_exception_fp_ieee_div_zero 0
		.amdhsa_exception_fp_ieee_overflow 0
		.amdhsa_exception_fp_ieee_underflow 0
		.amdhsa_exception_fp_ieee_inexact 0
		.amdhsa_exception_int_div_zero 0
	.end_amdhsa_kernel
	.section	.text._ZN7rocprim17ROCPRIM_400000_NS6detail17trampoline_kernelINS0_14default_configENS1_33run_length_encode_config_selectorImjNS0_4plusIjEEEEZZNS1_33reduce_by_key_impl_wrapped_configILNS1_25lookback_scan_determinismE0ES3_S7_PKmNS0_17constant_iteratorIjlEEPmPlSF_S6_NS0_8equal_toImEEEE10hipError_tPvRmT2_T3_mT4_T5_T6_T7_T8_P12ihipStream_tbENKUlT_T0_E_clISt17integral_constantIbLb1EESZ_EEDaSU_SV_EUlSU_E_NS1_11comp_targetILNS1_3genE0ELNS1_11target_archE4294967295ELNS1_3gpuE0ELNS1_3repE0EEENS1_30default_config_static_selectorELNS0_4arch9wavefront6targetE0EEEvT1_,"axG",@progbits,_ZN7rocprim17ROCPRIM_400000_NS6detail17trampoline_kernelINS0_14default_configENS1_33run_length_encode_config_selectorImjNS0_4plusIjEEEEZZNS1_33reduce_by_key_impl_wrapped_configILNS1_25lookback_scan_determinismE0ES3_S7_PKmNS0_17constant_iteratorIjlEEPmPlSF_S6_NS0_8equal_toImEEEE10hipError_tPvRmT2_T3_mT4_T5_T6_T7_T8_P12ihipStream_tbENKUlT_T0_E_clISt17integral_constantIbLb1EESZ_EEDaSU_SV_EUlSU_E_NS1_11comp_targetILNS1_3genE0ELNS1_11target_archE4294967295ELNS1_3gpuE0ELNS1_3repE0EEENS1_30default_config_static_selectorELNS0_4arch9wavefront6targetE0EEEvT1_,comdat
.Lfunc_end727:
	.size	_ZN7rocprim17ROCPRIM_400000_NS6detail17trampoline_kernelINS0_14default_configENS1_33run_length_encode_config_selectorImjNS0_4plusIjEEEEZZNS1_33reduce_by_key_impl_wrapped_configILNS1_25lookback_scan_determinismE0ES3_S7_PKmNS0_17constant_iteratorIjlEEPmPlSF_S6_NS0_8equal_toImEEEE10hipError_tPvRmT2_T3_mT4_T5_T6_T7_T8_P12ihipStream_tbENKUlT_T0_E_clISt17integral_constantIbLb1EESZ_EEDaSU_SV_EUlSU_E_NS1_11comp_targetILNS1_3genE0ELNS1_11target_archE4294967295ELNS1_3gpuE0ELNS1_3repE0EEENS1_30default_config_static_selectorELNS0_4arch9wavefront6targetE0EEEvT1_, .Lfunc_end727-_ZN7rocprim17ROCPRIM_400000_NS6detail17trampoline_kernelINS0_14default_configENS1_33run_length_encode_config_selectorImjNS0_4plusIjEEEEZZNS1_33reduce_by_key_impl_wrapped_configILNS1_25lookback_scan_determinismE0ES3_S7_PKmNS0_17constant_iteratorIjlEEPmPlSF_S6_NS0_8equal_toImEEEE10hipError_tPvRmT2_T3_mT4_T5_T6_T7_T8_P12ihipStream_tbENKUlT_T0_E_clISt17integral_constantIbLb1EESZ_EEDaSU_SV_EUlSU_E_NS1_11comp_targetILNS1_3genE0ELNS1_11target_archE4294967295ELNS1_3gpuE0ELNS1_3repE0EEENS1_30default_config_static_selectorELNS0_4arch9wavefront6targetE0EEEvT1_
                                        ; -- End function
	.set _ZN7rocprim17ROCPRIM_400000_NS6detail17trampoline_kernelINS0_14default_configENS1_33run_length_encode_config_selectorImjNS0_4plusIjEEEEZZNS1_33reduce_by_key_impl_wrapped_configILNS1_25lookback_scan_determinismE0ES3_S7_PKmNS0_17constant_iteratorIjlEEPmPlSF_S6_NS0_8equal_toImEEEE10hipError_tPvRmT2_T3_mT4_T5_T6_T7_T8_P12ihipStream_tbENKUlT_T0_E_clISt17integral_constantIbLb1EESZ_EEDaSU_SV_EUlSU_E_NS1_11comp_targetILNS1_3genE0ELNS1_11target_archE4294967295ELNS1_3gpuE0ELNS1_3repE0EEENS1_30default_config_static_selectorELNS0_4arch9wavefront6targetE0EEEvT1_.num_vgpr, 0
	.set _ZN7rocprim17ROCPRIM_400000_NS6detail17trampoline_kernelINS0_14default_configENS1_33run_length_encode_config_selectorImjNS0_4plusIjEEEEZZNS1_33reduce_by_key_impl_wrapped_configILNS1_25lookback_scan_determinismE0ES3_S7_PKmNS0_17constant_iteratorIjlEEPmPlSF_S6_NS0_8equal_toImEEEE10hipError_tPvRmT2_T3_mT4_T5_T6_T7_T8_P12ihipStream_tbENKUlT_T0_E_clISt17integral_constantIbLb1EESZ_EEDaSU_SV_EUlSU_E_NS1_11comp_targetILNS1_3genE0ELNS1_11target_archE4294967295ELNS1_3gpuE0ELNS1_3repE0EEENS1_30default_config_static_selectorELNS0_4arch9wavefront6targetE0EEEvT1_.num_agpr, 0
	.set _ZN7rocprim17ROCPRIM_400000_NS6detail17trampoline_kernelINS0_14default_configENS1_33run_length_encode_config_selectorImjNS0_4plusIjEEEEZZNS1_33reduce_by_key_impl_wrapped_configILNS1_25lookback_scan_determinismE0ES3_S7_PKmNS0_17constant_iteratorIjlEEPmPlSF_S6_NS0_8equal_toImEEEE10hipError_tPvRmT2_T3_mT4_T5_T6_T7_T8_P12ihipStream_tbENKUlT_T0_E_clISt17integral_constantIbLb1EESZ_EEDaSU_SV_EUlSU_E_NS1_11comp_targetILNS1_3genE0ELNS1_11target_archE4294967295ELNS1_3gpuE0ELNS1_3repE0EEENS1_30default_config_static_selectorELNS0_4arch9wavefront6targetE0EEEvT1_.numbered_sgpr, 0
	.set _ZN7rocprim17ROCPRIM_400000_NS6detail17trampoline_kernelINS0_14default_configENS1_33run_length_encode_config_selectorImjNS0_4plusIjEEEEZZNS1_33reduce_by_key_impl_wrapped_configILNS1_25lookback_scan_determinismE0ES3_S7_PKmNS0_17constant_iteratorIjlEEPmPlSF_S6_NS0_8equal_toImEEEE10hipError_tPvRmT2_T3_mT4_T5_T6_T7_T8_P12ihipStream_tbENKUlT_T0_E_clISt17integral_constantIbLb1EESZ_EEDaSU_SV_EUlSU_E_NS1_11comp_targetILNS1_3genE0ELNS1_11target_archE4294967295ELNS1_3gpuE0ELNS1_3repE0EEENS1_30default_config_static_selectorELNS0_4arch9wavefront6targetE0EEEvT1_.num_named_barrier, 0
	.set _ZN7rocprim17ROCPRIM_400000_NS6detail17trampoline_kernelINS0_14default_configENS1_33run_length_encode_config_selectorImjNS0_4plusIjEEEEZZNS1_33reduce_by_key_impl_wrapped_configILNS1_25lookback_scan_determinismE0ES3_S7_PKmNS0_17constant_iteratorIjlEEPmPlSF_S6_NS0_8equal_toImEEEE10hipError_tPvRmT2_T3_mT4_T5_T6_T7_T8_P12ihipStream_tbENKUlT_T0_E_clISt17integral_constantIbLb1EESZ_EEDaSU_SV_EUlSU_E_NS1_11comp_targetILNS1_3genE0ELNS1_11target_archE4294967295ELNS1_3gpuE0ELNS1_3repE0EEENS1_30default_config_static_selectorELNS0_4arch9wavefront6targetE0EEEvT1_.private_seg_size, 0
	.set _ZN7rocprim17ROCPRIM_400000_NS6detail17trampoline_kernelINS0_14default_configENS1_33run_length_encode_config_selectorImjNS0_4plusIjEEEEZZNS1_33reduce_by_key_impl_wrapped_configILNS1_25lookback_scan_determinismE0ES3_S7_PKmNS0_17constant_iteratorIjlEEPmPlSF_S6_NS0_8equal_toImEEEE10hipError_tPvRmT2_T3_mT4_T5_T6_T7_T8_P12ihipStream_tbENKUlT_T0_E_clISt17integral_constantIbLb1EESZ_EEDaSU_SV_EUlSU_E_NS1_11comp_targetILNS1_3genE0ELNS1_11target_archE4294967295ELNS1_3gpuE0ELNS1_3repE0EEENS1_30default_config_static_selectorELNS0_4arch9wavefront6targetE0EEEvT1_.uses_vcc, 0
	.set _ZN7rocprim17ROCPRIM_400000_NS6detail17trampoline_kernelINS0_14default_configENS1_33run_length_encode_config_selectorImjNS0_4plusIjEEEEZZNS1_33reduce_by_key_impl_wrapped_configILNS1_25lookback_scan_determinismE0ES3_S7_PKmNS0_17constant_iteratorIjlEEPmPlSF_S6_NS0_8equal_toImEEEE10hipError_tPvRmT2_T3_mT4_T5_T6_T7_T8_P12ihipStream_tbENKUlT_T0_E_clISt17integral_constantIbLb1EESZ_EEDaSU_SV_EUlSU_E_NS1_11comp_targetILNS1_3genE0ELNS1_11target_archE4294967295ELNS1_3gpuE0ELNS1_3repE0EEENS1_30default_config_static_selectorELNS0_4arch9wavefront6targetE0EEEvT1_.uses_flat_scratch, 0
	.set _ZN7rocprim17ROCPRIM_400000_NS6detail17trampoline_kernelINS0_14default_configENS1_33run_length_encode_config_selectorImjNS0_4plusIjEEEEZZNS1_33reduce_by_key_impl_wrapped_configILNS1_25lookback_scan_determinismE0ES3_S7_PKmNS0_17constant_iteratorIjlEEPmPlSF_S6_NS0_8equal_toImEEEE10hipError_tPvRmT2_T3_mT4_T5_T6_T7_T8_P12ihipStream_tbENKUlT_T0_E_clISt17integral_constantIbLb1EESZ_EEDaSU_SV_EUlSU_E_NS1_11comp_targetILNS1_3genE0ELNS1_11target_archE4294967295ELNS1_3gpuE0ELNS1_3repE0EEENS1_30default_config_static_selectorELNS0_4arch9wavefront6targetE0EEEvT1_.has_dyn_sized_stack, 0
	.set _ZN7rocprim17ROCPRIM_400000_NS6detail17trampoline_kernelINS0_14default_configENS1_33run_length_encode_config_selectorImjNS0_4plusIjEEEEZZNS1_33reduce_by_key_impl_wrapped_configILNS1_25lookback_scan_determinismE0ES3_S7_PKmNS0_17constant_iteratorIjlEEPmPlSF_S6_NS0_8equal_toImEEEE10hipError_tPvRmT2_T3_mT4_T5_T6_T7_T8_P12ihipStream_tbENKUlT_T0_E_clISt17integral_constantIbLb1EESZ_EEDaSU_SV_EUlSU_E_NS1_11comp_targetILNS1_3genE0ELNS1_11target_archE4294967295ELNS1_3gpuE0ELNS1_3repE0EEENS1_30default_config_static_selectorELNS0_4arch9wavefront6targetE0EEEvT1_.has_recursion, 0
	.set _ZN7rocprim17ROCPRIM_400000_NS6detail17trampoline_kernelINS0_14default_configENS1_33run_length_encode_config_selectorImjNS0_4plusIjEEEEZZNS1_33reduce_by_key_impl_wrapped_configILNS1_25lookback_scan_determinismE0ES3_S7_PKmNS0_17constant_iteratorIjlEEPmPlSF_S6_NS0_8equal_toImEEEE10hipError_tPvRmT2_T3_mT4_T5_T6_T7_T8_P12ihipStream_tbENKUlT_T0_E_clISt17integral_constantIbLb1EESZ_EEDaSU_SV_EUlSU_E_NS1_11comp_targetILNS1_3genE0ELNS1_11target_archE4294967295ELNS1_3gpuE0ELNS1_3repE0EEENS1_30default_config_static_selectorELNS0_4arch9wavefront6targetE0EEEvT1_.has_indirect_call, 0
	.section	.AMDGPU.csdata,"",@progbits
; Kernel info:
; codeLenInByte = 4
; TotalNumSgprs: 0
; NumVgprs: 0
; ScratchSize: 0
; MemoryBound: 0
; FloatMode: 240
; IeeeMode: 1
; LDSByteSize: 0 bytes/workgroup (compile time only)
; SGPRBlocks: 0
; VGPRBlocks: 0
; NumSGPRsForWavesPerEU: 1
; NumVGPRsForWavesPerEU: 1
; NamedBarCnt: 0
; Occupancy: 16
; WaveLimiterHint : 0
; COMPUTE_PGM_RSRC2:SCRATCH_EN: 0
; COMPUTE_PGM_RSRC2:USER_SGPR: 2
; COMPUTE_PGM_RSRC2:TRAP_HANDLER: 0
; COMPUTE_PGM_RSRC2:TGID_X_EN: 1
; COMPUTE_PGM_RSRC2:TGID_Y_EN: 0
; COMPUTE_PGM_RSRC2:TGID_Z_EN: 0
; COMPUTE_PGM_RSRC2:TIDIG_COMP_CNT: 0
	.section	.text._ZN7rocprim17ROCPRIM_400000_NS6detail17trampoline_kernelINS0_14default_configENS1_33run_length_encode_config_selectorImjNS0_4plusIjEEEEZZNS1_33reduce_by_key_impl_wrapped_configILNS1_25lookback_scan_determinismE0ES3_S7_PKmNS0_17constant_iteratorIjlEEPmPlSF_S6_NS0_8equal_toImEEEE10hipError_tPvRmT2_T3_mT4_T5_T6_T7_T8_P12ihipStream_tbENKUlT_T0_E_clISt17integral_constantIbLb1EESZ_EEDaSU_SV_EUlSU_E_NS1_11comp_targetILNS1_3genE5ELNS1_11target_archE942ELNS1_3gpuE9ELNS1_3repE0EEENS1_30default_config_static_selectorELNS0_4arch9wavefront6targetE0EEEvT1_,"axG",@progbits,_ZN7rocprim17ROCPRIM_400000_NS6detail17trampoline_kernelINS0_14default_configENS1_33run_length_encode_config_selectorImjNS0_4plusIjEEEEZZNS1_33reduce_by_key_impl_wrapped_configILNS1_25lookback_scan_determinismE0ES3_S7_PKmNS0_17constant_iteratorIjlEEPmPlSF_S6_NS0_8equal_toImEEEE10hipError_tPvRmT2_T3_mT4_T5_T6_T7_T8_P12ihipStream_tbENKUlT_T0_E_clISt17integral_constantIbLb1EESZ_EEDaSU_SV_EUlSU_E_NS1_11comp_targetILNS1_3genE5ELNS1_11target_archE942ELNS1_3gpuE9ELNS1_3repE0EEENS1_30default_config_static_selectorELNS0_4arch9wavefront6targetE0EEEvT1_,comdat
	.protected	_ZN7rocprim17ROCPRIM_400000_NS6detail17trampoline_kernelINS0_14default_configENS1_33run_length_encode_config_selectorImjNS0_4plusIjEEEEZZNS1_33reduce_by_key_impl_wrapped_configILNS1_25lookback_scan_determinismE0ES3_S7_PKmNS0_17constant_iteratorIjlEEPmPlSF_S6_NS0_8equal_toImEEEE10hipError_tPvRmT2_T3_mT4_T5_T6_T7_T8_P12ihipStream_tbENKUlT_T0_E_clISt17integral_constantIbLb1EESZ_EEDaSU_SV_EUlSU_E_NS1_11comp_targetILNS1_3genE5ELNS1_11target_archE942ELNS1_3gpuE9ELNS1_3repE0EEENS1_30default_config_static_selectorELNS0_4arch9wavefront6targetE0EEEvT1_ ; -- Begin function _ZN7rocprim17ROCPRIM_400000_NS6detail17trampoline_kernelINS0_14default_configENS1_33run_length_encode_config_selectorImjNS0_4plusIjEEEEZZNS1_33reduce_by_key_impl_wrapped_configILNS1_25lookback_scan_determinismE0ES3_S7_PKmNS0_17constant_iteratorIjlEEPmPlSF_S6_NS0_8equal_toImEEEE10hipError_tPvRmT2_T3_mT4_T5_T6_T7_T8_P12ihipStream_tbENKUlT_T0_E_clISt17integral_constantIbLb1EESZ_EEDaSU_SV_EUlSU_E_NS1_11comp_targetILNS1_3genE5ELNS1_11target_archE942ELNS1_3gpuE9ELNS1_3repE0EEENS1_30default_config_static_selectorELNS0_4arch9wavefront6targetE0EEEvT1_
	.globl	_ZN7rocprim17ROCPRIM_400000_NS6detail17trampoline_kernelINS0_14default_configENS1_33run_length_encode_config_selectorImjNS0_4plusIjEEEEZZNS1_33reduce_by_key_impl_wrapped_configILNS1_25lookback_scan_determinismE0ES3_S7_PKmNS0_17constant_iteratorIjlEEPmPlSF_S6_NS0_8equal_toImEEEE10hipError_tPvRmT2_T3_mT4_T5_T6_T7_T8_P12ihipStream_tbENKUlT_T0_E_clISt17integral_constantIbLb1EESZ_EEDaSU_SV_EUlSU_E_NS1_11comp_targetILNS1_3genE5ELNS1_11target_archE942ELNS1_3gpuE9ELNS1_3repE0EEENS1_30default_config_static_selectorELNS0_4arch9wavefront6targetE0EEEvT1_
	.p2align	8
	.type	_ZN7rocprim17ROCPRIM_400000_NS6detail17trampoline_kernelINS0_14default_configENS1_33run_length_encode_config_selectorImjNS0_4plusIjEEEEZZNS1_33reduce_by_key_impl_wrapped_configILNS1_25lookback_scan_determinismE0ES3_S7_PKmNS0_17constant_iteratorIjlEEPmPlSF_S6_NS0_8equal_toImEEEE10hipError_tPvRmT2_T3_mT4_T5_T6_T7_T8_P12ihipStream_tbENKUlT_T0_E_clISt17integral_constantIbLb1EESZ_EEDaSU_SV_EUlSU_E_NS1_11comp_targetILNS1_3genE5ELNS1_11target_archE942ELNS1_3gpuE9ELNS1_3repE0EEENS1_30default_config_static_selectorELNS0_4arch9wavefront6targetE0EEEvT1_,@function
_ZN7rocprim17ROCPRIM_400000_NS6detail17trampoline_kernelINS0_14default_configENS1_33run_length_encode_config_selectorImjNS0_4plusIjEEEEZZNS1_33reduce_by_key_impl_wrapped_configILNS1_25lookback_scan_determinismE0ES3_S7_PKmNS0_17constant_iteratorIjlEEPmPlSF_S6_NS0_8equal_toImEEEE10hipError_tPvRmT2_T3_mT4_T5_T6_T7_T8_P12ihipStream_tbENKUlT_T0_E_clISt17integral_constantIbLb1EESZ_EEDaSU_SV_EUlSU_E_NS1_11comp_targetILNS1_3genE5ELNS1_11target_archE942ELNS1_3gpuE9ELNS1_3repE0EEENS1_30default_config_static_selectorELNS0_4arch9wavefront6targetE0EEEvT1_: ; @_ZN7rocprim17ROCPRIM_400000_NS6detail17trampoline_kernelINS0_14default_configENS1_33run_length_encode_config_selectorImjNS0_4plusIjEEEEZZNS1_33reduce_by_key_impl_wrapped_configILNS1_25lookback_scan_determinismE0ES3_S7_PKmNS0_17constant_iteratorIjlEEPmPlSF_S6_NS0_8equal_toImEEEE10hipError_tPvRmT2_T3_mT4_T5_T6_T7_T8_P12ihipStream_tbENKUlT_T0_E_clISt17integral_constantIbLb1EESZ_EEDaSU_SV_EUlSU_E_NS1_11comp_targetILNS1_3genE5ELNS1_11target_archE942ELNS1_3gpuE9ELNS1_3repE0EEENS1_30default_config_static_selectorELNS0_4arch9wavefront6targetE0EEEvT1_
; %bb.0:
	.section	.rodata,"a",@progbits
	.p2align	6, 0x0
	.amdhsa_kernel _ZN7rocprim17ROCPRIM_400000_NS6detail17trampoline_kernelINS0_14default_configENS1_33run_length_encode_config_selectorImjNS0_4plusIjEEEEZZNS1_33reduce_by_key_impl_wrapped_configILNS1_25lookback_scan_determinismE0ES3_S7_PKmNS0_17constant_iteratorIjlEEPmPlSF_S6_NS0_8equal_toImEEEE10hipError_tPvRmT2_T3_mT4_T5_T6_T7_T8_P12ihipStream_tbENKUlT_T0_E_clISt17integral_constantIbLb1EESZ_EEDaSU_SV_EUlSU_E_NS1_11comp_targetILNS1_3genE5ELNS1_11target_archE942ELNS1_3gpuE9ELNS1_3repE0EEENS1_30default_config_static_selectorELNS0_4arch9wavefront6targetE0EEEvT1_
		.amdhsa_group_segment_fixed_size 0
		.amdhsa_private_segment_fixed_size 0
		.amdhsa_kernarg_size 128
		.amdhsa_user_sgpr_count 2
		.amdhsa_user_sgpr_dispatch_ptr 0
		.amdhsa_user_sgpr_queue_ptr 0
		.amdhsa_user_sgpr_kernarg_segment_ptr 1
		.amdhsa_user_sgpr_dispatch_id 0
		.amdhsa_user_sgpr_kernarg_preload_length 0
		.amdhsa_user_sgpr_kernarg_preload_offset 0
		.amdhsa_user_sgpr_private_segment_size 0
		.amdhsa_wavefront_size32 1
		.amdhsa_uses_dynamic_stack 0
		.amdhsa_enable_private_segment 0
		.amdhsa_system_sgpr_workgroup_id_x 1
		.amdhsa_system_sgpr_workgroup_id_y 0
		.amdhsa_system_sgpr_workgroup_id_z 0
		.amdhsa_system_sgpr_workgroup_info 0
		.amdhsa_system_vgpr_workitem_id 0
		.amdhsa_next_free_vgpr 1
		.amdhsa_next_free_sgpr 1
		.amdhsa_named_barrier_count 0
		.amdhsa_reserve_vcc 0
		.amdhsa_float_round_mode_32 0
		.amdhsa_float_round_mode_16_64 0
		.amdhsa_float_denorm_mode_32 3
		.amdhsa_float_denorm_mode_16_64 3
		.amdhsa_fp16_overflow 0
		.amdhsa_memory_ordered 1
		.amdhsa_forward_progress 1
		.amdhsa_inst_pref_size 0
		.amdhsa_round_robin_scheduling 0
		.amdhsa_exception_fp_ieee_invalid_op 0
		.amdhsa_exception_fp_denorm_src 0
		.amdhsa_exception_fp_ieee_div_zero 0
		.amdhsa_exception_fp_ieee_overflow 0
		.amdhsa_exception_fp_ieee_underflow 0
		.amdhsa_exception_fp_ieee_inexact 0
		.amdhsa_exception_int_div_zero 0
	.end_amdhsa_kernel
	.section	.text._ZN7rocprim17ROCPRIM_400000_NS6detail17trampoline_kernelINS0_14default_configENS1_33run_length_encode_config_selectorImjNS0_4plusIjEEEEZZNS1_33reduce_by_key_impl_wrapped_configILNS1_25lookback_scan_determinismE0ES3_S7_PKmNS0_17constant_iteratorIjlEEPmPlSF_S6_NS0_8equal_toImEEEE10hipError_tPvRmT2_T3_mT4_T5_T6_T7_T8_P12ihipStream_tbENKUlT_T0_E_clISt17integral_constantIbLb1EESZ_EEDaSU_SV_EUlSU_E_NS1_11comp_targetILNS1_3genE5ELNS1_11target_archE942ELNS1_3gpuE9ELNS1_3repE0EEENS1_30default_config_static_selectorELNS0_4arch9wavefront6targetE0EEEvT1_,"axG",@progbits,_ZN7rocprim17ROCPRIM_400000_NS6detail17trampoline_kernelINS0_14default_configENS1_33run_length_encode_config_selectorImjNS0_4plusIjEEEEZZNS1_33reduce_by_key_impl_wrapped_configILNS1_25lookback_scan_determinismE0ES3_S7_PKmNS0_17constant_iteratorIjlEEPmPlSF_S6_NS0_8equal_toImEEEE10hipError_tPvRmT2_T3_mT4_T5_T6_T7_T8_P12ihipStream_tbENKUlT_T0_E_clISt17integral_constantIbLb1EESZ_EEDaSU_SV_EUlSU_E_NS1_11comp_targetILNS1_3genE5ELNS1_11target_archE942ELNS1_3gpuE9ELNS1_3repE0EEENS1_30default_config_static_selectorELNS0_4arch9wavefront6targetE0EEEvT1_,comdat
.Lfunc_end728:
	.size	_ZN7rocprim17ROCPRIM_400000_NS6detail17trampoline_kernelINS0_14default_configENS1_33run_length_encode_config_selectorImjNS0_4plusIjEEEEZZNS1_33reduce_by_key_impl_wrapped_configILNS1_25lookback_scan_determinismE0ES3_S7_PKmNS0_17constant_iteratorIjlEEPmPlSF_S6_NS0_8equal_toImEEEE10hipError_tPvRmT2_T3_mT4_T5_T6_T7_T8_P12ihipStream_tbENKUlT_T0_E_clISt17integral_constantIbLb1EESZ_EEDaSU_SV_EUlSU_E_NS1_11comp_targetILNS1_3genE5ELNS1_11target_archE942ELNS1_3gpuE9ELNS1_3repE0EEENS1_30default_config_static_selectorELNS0_4arch9wavefront6targetE0EEEvT1_, .Lfunc_end728-_ZN7rocprim17ROCPRIM_400000_NS6detail17trampoline_kernelINS0_14default_configENS1_33run_length_encode_config_selectorImjNS0_4plusIjEEEEZZNS1_33reduce_by_key_impl_wrapped_configILNS1_25lookback_scan_determinismE0ES3_S7_PKmNS0_17constant_iteratorIjlEEPmPlSF_S6_NS0_8equal_toImEEEE10hipError_tPvRmT2_T3_mT4_T5_T6_T7_T8_P12ihipStream_tbENKUlT_T0_E_clISt17integral_constantIbLb1EESZ_EEDaSU_SV_EUlSU_E_NS1_11comp_targetILNS1_3genE5ELNS1_11target_archE942ELNS1_3gpuE9ELNS1_3repE0EEENS1_30default_config_static_selectorELNS0_4arch9wavefront6targetE0EEEvT1_
                                        ; -- End function
	.set _ZN7rocprim17ROCPRIM_400000_NS6detail17trampoline_kernelINS0_14default_configENS1_33run_length_encode_config_selectorImjNS0_4plusIjEEEEZZNS1_33reduce_by_key_impl_wrapped_configILNS1_25lookback_scan_determinismE0ES3_S7_PKmNS0_17constant_iteratorIjlEEPmPlSF_S6_NS0_8equal_toImEEEE10hipError_tPvRmT2_T3_mT4_T5_T6_T7_T8_P12ihipStream_tbENKUlT_T0_E_clISt17integral_constantIbLb1EESZ_EEDaSU_SV_EUlSU_E_NS1_11comp_targetILNS1_3genE5ELNS1_11target_archE942ELNS1_3gpuE9ELNS1_3repE0EEENS1_30default_config_static_selectorELNS0_4arch9wavefront6targetE0EEEvT1_.num_vgpr, 0
	.set _ZN7rocprim17ROCPRIM_400000_NS6detail17trampoline_kernelINS0_14default_configENS1_33run_length_encode_config_selectorImjNS0_4plusIjEEEEZZNS1_33reduce_by_key_impl_wrapped_configILNS1_25lookback_scan_determinismE0ES3_S7_PKmNS0_17constant_iteratorIjlEEPmPlSF_S6_NS0_8equal_toImEEEE10hipError_tPvRmT2_T3_mT4_T5_T6_T7_T8_P12ihipStream_tbENKUlT_T0_E_clISt17integral_constantIbLb1EESZ_EEDaSU_SV_EUlSU_E_NS1_11comp_targetILNS1_3genE5ELNS1_11target_archE942ELNS1_3gpuE9ELNS1_3repE0EEENS1_30default_config_static_selectorELNS0_4arch9wavefront6targetE0EEEvT1_.num_agpr, 0
	.set _ZN7rocprim17ROCPRIM_400000_NS6detail17trampoline_kernelINS0_14default_configENS1_33run_length_encode_config_selectorImjNS0_4plusIjEEEEZZNS1_33reduce_by_key_impl_wrapped_configILNS1_25lookback_scan_determinismE0ES3_S7_PKmNS0_17constant_iteratorIjlEEPmPlSF_S6_NS0_8equal_toImEEEE10hipError_tPvRmT2_T3_mT4_T5_T6_T7_T8_P12ihipStream_tbENKUlT_T0_E_clISt17integral_constantIbLb1EESZ_EEDaSU_SV_EUlSU_E_NS1_11comp_targetILNS1_3genE5ELNS1_11target_archE942ELNS1_3gpuE9ELNS1_3repE0EEENS1_30default_config_static_selectorELNS0_4arch9wavefront6targetE0EEEvT1_.numbered_sgpr, 0
	.set _ZN7rocprim17ROCPRIM_400000_NS6detail17trampoline_kernelINS0_14default_configENS1_33run_length_encode_config_selectorImjNS0_4plusIjEEEEZZNS1_33reduce_by_key_impl_wrapped_configILNS1_25lookback_scan_determinismE0ES3_S7_PKmNS0_17constant_iteratorIjlEEPmPlSF_S6_NS0_8equal_toImEEEE10hipError_tPvRmT2_T3_mT4_T5_T6_T7_T8_P12ihipStream_tbENKUlT_T0_E_clISt17integral_constantIbLb1EESZ_EEDaSU_SV_EUlSU_E_NS1_11comp_targetILNS1_3genE5ELNS1_11target_archE942ELNS1_3gpuE9ELNS1_3repE0EEENS1_30default_config_static_selectorELNS0_4arch9wavefront6targetE0EEEvT1_.num_named_barrier, 0
	.set _ZN7rocprim17ROCPRIM_400000_NS6detail17trampoline_kernelINS0_14default_configENS1_33run_length_encode_config_selectorImjNS0_4plusIjEEEEZZNS1_33reduce_by_key_impl_wrapped_configILNS1_25lookback_scan_determinismE0ES3_S7_PKmNS0_17constant_iteratorIjlEEPmPlSF_S6_NS0_8equal_toImEEEE10hipError_tPvRmT2_T3_mT4_T5_T6_T7_T8_P12ihipStream_tbENKUlT_T0_E_clISt17integral_constantIbLb1EESZ_EEDaSU_SV_EUlSU_E_NS1_11comp_targetILNS1_3genE5ELNS1_11target_archE942ELNS1_3gpuE9ELNS1_3repE0EEENS1_30default_config_static_selectorELNS0_4arch9wavefront6targetE0EEEvT1_.private_seg_size, 0
	.set _ZN7rocprim17ROCPRIM_400000_NS6detail17trampoline_kernelINS0_14default_configENS1_33run_length_encode_config_selectorImjNS0_4plusIjEEEEZZNS1_33reduce_by_key_impl_wrapped_configILNS1_25lookback_scan_determinismE0ES3_S7_PKmNS0_17constant_iteratorIjlEEPmPlSF_S6_NS0_8equal_toImEEEE10hipError_tPvRmT2_T3_mT4_T5_T6_T7_T8_P12ihipStream_tbENKUlT_T0_E_clISt17integral_constantIbLb1EESZ_EEDaSU_SV_EUlSU_E_NS1_11comp_targetILNS1_3genE5ELNS1_11target_archE942ELNS1_3gpuE9ELNS1_3repE0EEENS1_30default_config_static_selectorELNS0_4arch9wavefront6targetE0EEEvT1_.uses_vcc, 0
	.set _ZN7rocprim17ROCPRIM_400000_NS6detail17trampoline_kernelINS0_14default_configENS1_33run_length_encode_config_selectorImjNS0_4plusIjEEEEZZNS1_33reduce_by_key_impl_wrapped_configILNS1_25lookback_scan_determinismE0ES3_S7_PKmNS0_17constant_iteratorIjlEEPmPlSF_S6_NS0_8equal_toImEEEE10hipError_tPvRmT2_T3_mT4_T5_T6_T7_T8_P12ihipStream_tbENKUlT_T0_E_clISt17integral_constantIbLb1EESZ_EEDaSU_SV_EUlSU_E_NS1_11comp_targetILNS1_3genE5ELNS1_11target_archE942ELNS1_3gpuE9ELNS1_3repE0EEENS1_30default_config_static_selectorELNS0_4arch9wavefront6targetE0EEEvT1_.uses_flat_scratch, 0
	.set _ZN7rocprim17ROCPRIM_400000_NS6detail17trampoline_kernelINS0_14default_configENS1_33run_length_encode_config_selectorImjNS0_4plusIjEEEEZZNS1_33reduce_by_key_impl_wrapped_configILNS1_25lookback_scan_determinismE0ES3_S7_PKmNS0_17constant_iteratorIjlEEPmPlSF_S6_NS0_8equal_toImEEEE10hipError_tPvRmT2_T3_mT4_T5_T6_T7_T8_P12ihipStream_tbENKUlT_T0_E_clISt17integral_constantIbLb1EESZ_EEDaSU_SV_EUlSU_E_NS1_11comp_targetILNS1_3genE5ELNS1_11target_archE942ELNS1_3gpuE9ELNS1_3repE0EEENS1_30default_config_static_selectorELNS0_4arch9wavefront6targetE0EEEvT1_.has_dyn_sized_stack, 0
	.set _ZN7rocprim17ROCPRIM_400000_NS6detail17trampoline_kernelINS0_14default_configENS1_33run_length_encode_config_selectorImjNS0_4plusIjEEEEZZNS1_33reduce_by_key_impl_wrapped_configILNS1_25lookback_scan_determinismE0ES3_S7_PKmNS0_17constant_iteratorIjlEEPmPlSF_S6_NS0_8equal_toImEEEE10hipError_tPvRmT2_T3_mT4_T5_T6_T7_T8_P12ihipStream_tbENKUlT_T0_E_clISt17integral_constantIbLb1EESZ_EEDaSU_SV_EUlSU_E_NS1_11comp_targetILNS1_3genE5ELNS1_11target_archE942ELNS1_3gpuE9ELNS1_3repE0EEENS1_30default_config_static_selectorELNS0_4arch9wavefront6targetE0EEEvT1_.has_recursion, 0
	.set _ZN7rocprim17ROCPRIM_400000_NS6detail17trampoline_kernelINS0_14default_configENS1_33run_length_encode_config_selectorImjNS0_4plusIjEEEEZZNS1_33reduce_by_key_impl_wrapped_configILNS1_25lookback_scan_determinismE0ES3_S7_PKmNS0_17constant_iteratorIjlEEPmPlSF_S6_NS0_8equal_toImEEEE10hipError_tPvRmT2_T3_mT4_T5_T6_T7_T8_P12ihipStream_tbENKUlT_T0_E_clISt17integral_constantIbLb1EESZ_EEDaSU_SV_EUlSU_E_NS1_11comp_targetILNS1_3genE5ELNS1_11target_archE942ELNS1_3gpuE9ELNS1_3repE0EEENS1_30default_config_static_selectorELNS0_4arch9wavefront6targetE0EEEvT1_.has_indirect_call, 0
	.section	.AMDGPU.csdata,"",@progbits
; Kernel info:
; codeLenInByte = 0
; TotalNumSgprs: 0
; NumVgprs: 0
; ScratchSize: 0
; MemoryBound: 0
; FloatMode: 240
; IeeeMode: 1
; LDSByteSize: 0 bytes/workgroup (compile time only)
; SGPRBlocks: 0
; VGPRBlocks: 0
; NumSGPRsForWavesPerEU: 1
; NumVGPRsForWavesPerEU: 1
; NamedBarCnt: 0
; Occupancy: 16
; WaveLimiterHint : 0
; COMPUTE_PGM_RSRC2:SCRATCH_EN: 0
; COMPUTE_PGM_RSRC2:USER_SGPR: 2
; COMPUTE_PGM_RSRC2:TRAP_HANDLER: 0
; COMPUTE_PGM_RSRC2:TGID_X_EN: 1
; COMPUTE_PGM_RSRC2:TGID_Y_EN: 0
; COMPUTE_PGM_RSRC2:TGID_Z_EN: 0
; COMPUTE_PGM_RSRC2:TIDIG_COMP_CNT: 0
	.section	.text._ZN7rocprim17ROCPRIM_400000_NS6detail17trampoline_kernelINS0_14default_configENS1_33run_length_encode_config_selectorImjNS0_4plusIjEEEEZZNS1_33reduce_by_key_impl_wrapped_configILNS1_25lookback_scan_determinismE0ES3_S7_PKmNS0_17constant_iteratorIjlEEPmPlSF_S6_NS0_8equal_toImEEEE10hipError_tPvRmT2_T3_mT4_T5_T6_T7_T8_P12ihipStream_tbENKUlT_T0_E_clISt17integral_constantIbLb1EESZ_EEDaSU_SV_EUlSU_E_NS1_11comp_targetILNS1_3genE4ELNS1_11target_archE910ELNS1_3gpuE8ELNS1_3repE0EEENS1_30default_config_static_selectorELNS0_4arch9wavefront6targetE0EEEvT1_,"axG",@progbits,_ZN7rocprim17ROCPRIM_400000_NS6detail17trampoline_kernelINS0_14default_configENS1_33run_length_encode_config_selectorImjNS0_4plusIjEEEEZZNS1_33reduce_by_key_impl_wrapped_configILNS1_25lookback_scan_determinismE0ES3_S7_PKmNS0_17constant_iteratorIjlEEPmPlSF_S6_NS0_8equal_toImEEEE10hipError_tPvRmT2_T3_mT4_T5_T6_T7_T8_P12ihipStream_tbENKUlT_T0_E_clISt17integral_constantIbLb1EESZ_EEDaSU_SV_EUlSU_E_NS1_11comp_targetILNS1_3genE4ELNS1_11target_archE910ELNS1_3gpuE8ELNS1_3repE0EEENS1_30default_config_static_selectorELNS0_4arch9wavefront6targetE0EEEvT1_,comdat
	.protected	_ZN7rocprim17ROCPRIM_400000_NS6detail17trampoline_kernelINS0_14default_configENS1_33run_length_encode_config_selectorImjNS0_4plusIjEEEEZZNS1_33reduce_by_key_impl_wrapped_configILNS1_25lookback_scan_determinismE0ES3_S7_PKmNS0_17constant_iteratorIjlEEPmPlSF_S6_NS0_8equal_toImEEEE10hipError_tPvRmT2_T3_mT4_T5_T6_T7_T8_P12ihipStream_tbENKUlT_T0_E_clISt17integral_constantIbLb1EESZ_EEDaSU_SV_EUlSU_E_NS1_11comp_targetILNS1_3genE4ELNS1_11target_archE910ELNS1_3gpuE8ELNS1_3repE0EEENS1_30default_config_static_selectorELNS0_4arch9wavefront6targetE0EEEvT1_ ; -- Begin function _ZN7rocprim17ROCPRIM_400000_NS6detail17trampoline_kernelINS0_14default_configENS1_33run_length_encode_config_selectorImjNS0_4plusIjEEEEZZNS1_33reduce_by_key_impl_wrapped_configILNS1_25lookback_scan_determinismE0ES3_S7_PKmNS0_17constant_iteratorIjlEEPmPlSF_S6_NS0_8equal_toImEEEE10hipError_tPvRmT2_T3_mT4_T5_T6_T7_T8_P12ihipStream_tbENKUlT_T0_E_clISt17integral_constantIbLb1EESZ_EEDaSU_SV_EUlSU_E_NS1_11comp_targetILNS1_3genE4ELNS1_11target_archE910ELNS1_3gpuE8ELNS1_3repE0EEENS1_30default_config_static_selectorELNS0_4arch9wavefront6targetE0EEEvT1_
	.globl	_ZN7rocprim17ROCPRIM_400000_NS6detail17trampoline_kernelINS0_14default_configENS1_33run_length_encode_config_selectorImjNS0_4plusIjEEEEZZNS1_33reduce_by_key_impl_wrapped_configILNS1_25lookback_scan_determinismE0ES3_S7_PKmNS0_17constant_iteratorIjlEEPmPlSF_S6_NS0_8equal_toImEEEE10hipError_tPvRmT2_T3_mT4_T5_T6_T7_T8_P12ihipStream_tbENKUlT_T0_E_clISt17integral_constantIbLb1EESZ_EEDaSU_SV_EUlSU_E_NS1_11comp_targetILNS1_3genE4ELNS1_11target_archE910ELNS1_3gpuE8ELNS1_3repE0EEENS1_30default_config_static_selectorELNS0_4arch9wavefront6targetE0EEEvT1_
	.p2align	8
	.type	_ZN7rocprim17ROCPRIM_400000_NS6detail17trampoline_kernelINS0_14default_configENS1_33run_length_encode_config_selectorImjNS0_4plusIjEEEEZZNS1_33reduce_by_key_impl_wrapped_configILNS1_25lookback_scan_determinismE0ES3_S7_PKmNS0_17constant_iteratorIjlEEPmPlSF_S6_NS0_8equal_toImEEEE10hipError_tPvRmT2_T3_mT4_T5_T6_T7_T8_P12ihipStream_tbENKUlT_T0_E_clISt17integral_constantIbLb1EESZ_EEDaSU_SV_EUlSU_E_NS1_11comp_targetILNS1_3genE4ELNS1_11target_archE910ELNS1_3gpuE8ELNS1_3repE0EEENS1_30default_config_static_selectorELNS0_4arch9wavefront6targetE0EEEvT1_,@function
_ZN7rocprim17ROCPRIM_400000_NS6detail17trampoline_kernelINS0_14default_configENS1_33run_length_encode_config_selectorImjNS0_4plusIjEEEEZZNS1_33reduce_by_key_impl_wrapped_configILNS1_25lookback_scan_determinismE0ES3_S7_PKmNS0_17constant_iteratorIjlEEPmPlSF_S6_NS0_8equal_toImEEEE10hipError_tPvRmT2_T3_mT4_T5_T6_T7_T8_P12ihipStream_tbENKUlT_T0_E_clISt17integral_constantIbLb1EESZ_EEDaSU_SV_EUlSU_E_NS1_11comp_targetILNS1_3genE4ELNS1_11target_archE910ELNS1_3gpuE8ELNS1_3repE0EEENS1_30default_config_static_selectorELNS0_4arch9wavefront6targetE0EEEvT1_: ; @_ZN7rocprim17ROCPRIM_400000_NS6detail17trampoline_kernelINS0_14default_configENS1_33run_length_encode_config_selectorImjNS0_4plusIjEEEEZZNS1_33reduce_by_key_impl_wrapped_configILNS1_25lookback_scan_determinismE0ES3_S7_PKmNS0_17constant_iteratorIjlEEPmPlSF_S6_NS0_8equal_toImEEEE10hipError_tPvRmT2_T3_mT4_T5_T6_T7_T8_P12ihipStream_tbENKUlT_T0_E_clISt17integral_constantIbLb1EESZ_EEDaSU_SV_EUlSU_E_NS1_11comp_targetILNS1_3genE4ELNS1_11target_archE910ELNS1_3gpuE8ELNS1_3repE0EEENS1_30default_config_static_selectorELNS0_4arch9wavefront6targetE0EEEvT1_
; %bb.0:
	.section	.rodata,"a",@progbits
	.p2align	6, 0x0
	.amdhsa_kernel _ZN7rocprim17ROCPRIM_400000_NS6detail17trampoline_kernelINS0_14default_configENS1_33run_length_encode_config_selectorImjNS0_4plusIjEEEEZZNS1_33reduce_by_key_impl_wrapped_configILNS1_25lookback_scan_determinismE0ES3_S7_PKmNS0_17constant_iteratorIjlEEPmPlSF_S6_NS0_8equal_toImEEEE10hipError_tPvRmT2_T3_mT4_T5_T6_T7_T8_P12ihipStream_tbENKUlT_T0_E_clISt17integral_constantIbLb1EESZ_EEDaSU_SV_EUlSU_E_NS1_11comp_targetILNS1_3genE4ELNS1_11target_archE910ELNS1_3gpuE8ELNS1_3repE0EEENS1_30default_config_static_selectorELNS0_4arch9wavefront6targetE0EEEvT1_
		.amdhsa_group_segment_fixed_size 0
		.amdhsa_private_segment_fixed_size 0
		.amdhsa_kernarg_size 128
		.amdhsa_user_sgpr_count 2
		.amdhsa_user_sgpr_dispatch_ptr 0
		.amdhsa_user_sgpr_queue_ptr 0
		.amdhsa_user_sgpr_kernarg_segment_ptr 1
		.amdhsa_user_sgpr_dispatch_id 0
		.amdhsa_user_sgpr_kernarg_preload_length 0
		.amdhsa_user_sgpr_kernarg_preload_offset 0
		.amdhsa_user_sgpr_private_segment_size 0
		.amdhsa_wavefront_size32 1
		.amdhsa_uses_dynamic_stack 0
		.amdhsa_enable_private_segment 0
		.amdhsa_system_sgpr_workgroup_id_x 1
		.amdhsa_system_sgpr_workgroup_id_y 0
		.amdhsa_system_sgpr_workgroup_id_z 0
		.amdhsa_system_sgpr_workgroup_info 0
		.amdhsa_system_vgpr_workitem_id 0
		.amdhsa_next_free_vgpr 1
		.amdhsa_next_free_sgpr 1
		.amdhsa_named_barrier_count 0
		.amdhsa_reserve_vcc 0
		.amdhsa_float_round_mode_32 0
		.amdhsa_float_round_mode_16_64 0
		.amdhsa_float_denorm_mode_32 3
		.amdhsa_float_denorm_mode_16_64 3
		.amdhsa_fp16_overflow 0
		.amdhsa_memory_ordered 1
		.amdhsa_forward_progress 1
		.amdhsa_inst_pref_size 0
		.amdhsa_round_robin_scheduling 0
		.amdhsa_exception_fp_ieee_invalid_op 0
		.amdhsa_exception_fp_denorm_src 0
		.amdhsa_exception_fp_ieee_div_zero 0
		.amdhsa_exception_fp_ieee_overflow 0
		.amdhsa_exception_fp_ieee_underflow 0
		.amdhsa_exception_fp_ieee_inexact 0
		.amdhsa_exception_int_div_zero 0
	.end_amdhsa_kernel
	.section	.text._ZN7rocprim17ROCPRIM_400000_NS6detail17trampoline_kernelINS0_14default_configENS1_33run_length_encode_config_selectorImjNS0_4plusIjEEEEZZNS1_33reduce_by_key_impl_wrapped_configILNS1_25lookback_scan_determinismE0ES3_S7_PKmNS0_17constant_iteratorIjlEEPmPlSF_S6_NS0_8equal_toImEEEE10hipError_tPvRmT2_T3_mT4_T5_T6_T7_T8_P12ihipStream_tbENKUlT_T0_E_clISt17integral_constantIbLb1EESZ_EEDaSU_SV_EUlSU_E_NS1_11comp_targetILNS1_3genE4ELNS1_11target_archE910ELNS1_3gpuE8ELNS1_3repE0EEENS1_30default_config_static_selectorELNS0_4arch9wavefront6targetE0EEEvT1_,"axG",@progbits,_ZN7rocprim17ROCPRIM_400000_NS6detail17trampoline_kernelINS0_14default_configENS1_33run_length_encode_config_selectorImjNS0_4plusIjEEEEZZNS1_33reduce_by_key_impl_wrapped_configILNS1_25lookback_scan_determinismE0ES3_S7_PKmNS0_17constant_iteratorIjlEEPmPlSF_S6_NS0_8equal_toImEEEE10hipError_tPvRmT2_T3_mT4_T5_T6_T7_T8_P12ihipStream_tbENKUlT_T0_E_clISt17integral_constantIbLb1EESZ_EEDaSU_SV_EUlSU_E_NS1_11comp_targetILNS1_3genE4ELNS1_11target_archE910ELNS1_3gpuE8ELNS1_3repE0EEENS1_30default_config_static_selectorELNS0_4arch9wavefront6targetE0EEEvT1_,comdat
.Lfunc_end729:
	.size	_ZN7rocprim17ROCPRIM_400000_NS6detail17trampoline_kernelINS0_14default_configENS1_33run_length_encode_config_selectorImjNS0_4plusIjEEEEZZNS1_33reduce_by_key_impl_wrapped_configILNS1_25lookback_scan_determinismE0ES3_S7_PKmNS0_17constant_iteratorIjlEEPmPlSF_S6_NS0_8equal_toImEEEE10hipError_tPvRmT2_T3_mT4_T5_T6_T7_T8_P12ihipStream_tbENKUlT_T0_E_clISt17integral_constantIbLb1EESZ_EEDaSU_SV_EUlSU_E_NS1_11comp_targetILNS1_3genE4ELNS1_11target_archE910ELNS1_3gpuE8ELNS1_3repE0EEENS1_30default_config_static_selectorELNS0_4arch9wavefront6targetE0EEEvT1_, .Lfunc_end729-_ZN7rocprim17ROCPRIM_400000_NS6detail17trampoline_kernelINS0_14default_configENS1_33run_length_encode_config_selectorImjNS0_4plusIjEEEEZZNS1_33reduce_by_key_impl_wrapped_configILNS1_25lookback_scan_determinismE0ES3_S7_PKmNS0_17constant_iteratorIjlEEPmPlSF_S6_NS0_8equal_toImEEEE10hipError_tPvRmT2_T3_mT4_T5_T6_T7_T8_P12ihipStream_tbENKUlT_T0_E_clISt17integral_constantIbLb1EESZ_EEDaSU_SV_EUlSU_E_NS1_11comp_targetILNS1_3genE4ELNS1_11target_archE910ELNS1_3gpuE8ELNS1_3repE0EEENS1_30default_config_static_selectorELNS0_4arch9wavefront6targetE0EEEvT1_
                                        ; -- End function
	.set _ZN7rocprim17ROCPRIM_400000_NS6detail17trampoline_kernelINS0_14default_configENS1_33run_length_encode_config_selectorImjNS0_4plusIjEEEEZZNS1_33reduce_by_key_impl_wrapped_configILNS1_25lookback_scan_determinismE0ES3_S7_PKmNS0_17constant_iteratorIjlEEPmPlSF_S6_NS0_8equal_toImEEEE10hipError_tPvRmT2_T3_mT4_T5_T6_T7_T8_P12ihipStream_tbENKUlT_T0_E_clISt17integral_constantIbLb1EESZ_EEDaSU_SV_EUlSU_E_NS1_11comp_targetILNS1_3genE4ELNS1_11target_archE910ELNS1_3gpuE8ELNS1_3repE0EEENS1_30default_config_static_selectorELNS0_4arch9wavefront6targetE0EEEvT1_.num_vgpr, 0
	.set _ZN7rocprim17ROCPRIM_400000_NS6detail17trampoline_kernelINS0_14default_configENS1_33run_length_encode_config_selectorImjNS0_4plusIjEEEEZZNS1_33reduce_by_key_impl_wrapped_configILNS1_25lookback_scan_determinismE0ES3_S7_PKmNS0_17constant_iteratorIjlEEPmPlSF_S6_NS0_8equal_toImEEEE10hipError_tPvRmT2_T3_mT4_T5_T6_T7_T8_P12ihipStream_tbENKUlT_T0_E_clISt17integral_constantIbLb1EESZ_EEDaSU_SV_EUlSU_E_NS1_11comp_targetILNS1_3genE4ELNS1_11target_archE910ELNS1_3gpuE8ELNS1_3repE0EEENS1_30default_config_static_selectorELNS0_4arch9wavefront6targetE0EEEvT1_.num_agpr, 0
	.set _ZN7rocprim17ROCPRIM_400000_NS6detail17trampoline_kernelINS0_14default_configENS1_33run_length_encode_config_selectorImjNS0_4plusIjEEEEZZNS1_33reduce_by_key_impl_wrapped_configILNS1_25lookback_scan_determinismE0ES3_S7_PKmNS0_17constant_iteratorIjlEEPmPlSF_S6_NS0_8equal_toImEEEE10hipError_tPvRmT2_T3_mT4_T5_T6_T7_T8_P12ihipStream_tbENKUlT_T0_E_clISt17integral_constantIbLb1EESZ_EEDaSU_SV_EUlSU_E_NS1_11comp_targetILNS1_3genE4ELNS1_11target_archE910ELNS1_3gpuE8ELNS1_3repE0EEENS1_30default_config_static_selectorELNS0_4arch9wavefront6targetE0EEEvT1_.numbered_sgpr, 0
	.set _ZN7rocprim17ROCPRIM_400000_NS6detail17trampoline_kernelINS0_14default_configENS1_33run_length_encode_config_selectorImjNS0_4plusIjEEEEZZNS1_33reduce_by_key_impl_wrapped_configILNS1_25lookback_scan_determinismE0ES3_S7_PKmNS0_17constant_iteratorIjlEEPmPlSF_S6_NS0_8equal_toImEEEE10hipError_tPvRmT2_T3_mT4_T5_T6_T7_T8_P12ihipStream_tbENKUlT_T0_E_clISt17integral_constantIbLb1EESZ_EEDaSU_SV_EUlSU_E_NS1_11comp_targetILNS1_3genE4ELNS1_11target_archE910ELNS1_3gpuE8ELNS1_3repE0EEENS1_30default_config_static_selectorELNS0_4arch9wavefront6targetE0EEEvT1_.num_named_barrier, 0
	.set _ZN7rocprim17ROCPRIM_400000_NS6detail17trampoline_kernelINS0_14default_configENS1_33run_length_encode_config_selectorImjNS0_4plusIjEEEEZZNS1_33reduce_by_key_impl_wrapped_configILNS1_25lookback_scan_determinismE0ES3_S7_PKmNS0_17constant_iteratorIjlEEPmPlSF_S6_NS0_8equal_toImEEEE10hipError_tPvRmT2_T3_mT4_T5_T6_T7_T8_P12ihipStream_tbENKUlT_T0_E_clISt17integral_constantIbLb1EESZ_EEDaSU_SV_EUlSU_E_NS1_11comp_targetILNS1_3genE4ELNS1_11target_archE910ELNS1_3gpuE8ELNS1_3repE0EEENS1_30default_config_static_selectorELNS0_4arch9wavefront6targetE0EEEvT1_.private_seg_size, 0
	.set _ZN7rocprim17ROCPRIM_400000_NS6detail17trampoline_kernelINS0_14default_configENS1_33run_length_encode_config_selectorImjNS0_4plusIjEEEEZZNS1_33reduce_by_key_impl_wrapped_configILNS1_25lookback_scan_determinismE0ES3_S7_PKmNS0_17constant_iteratorIjlEEPmPlSF_S6_NS0_8equal_toImEEEE10hipError_tPvRmT2_T3_mT4_T5_T6_T7_T8_P12ihipStream_tbENKUlT_T0_E_clISt17integral_constantIbLb1EESZ_EEDaSU_SV_EUlSU_E_NS1_11comp_targetILNS1_3genE4ELNS1_11target_archE910ELNS1_3gpuE8ELNS1_3repE0EEENS1_30default_config_static_selectorELNS0_4arch9wavefront6targetE0EEEvT1_.uses_vcc, 0
	.set _ZN7rocprim17ROCPRIM_400000_NS6detail17trampoline_kernelINS0_14default_configENS1_33run_length_encode_config_selectorImjNS0_4plusIjEEEEZZNS1_33reduce_by_key_impl_wrapped_configILNS1_25lookback_scan_determinismE0ES3_S7_PKmNS0_17constant_iteratorIjlEEPmPlSF_S6_NS0_8equal_toImEEEE10hipError_tPvRmT2_T3_mT4_T5_T6_T7_T8_P12ihipStream_tbENKUlT_T0_E_clISt17integral_constantIbLb1EESZ_EEDaSU_SV_EUlSU_E_NS1_11comp_targetILNS1_3genE4ELNS1_11target_archE910ELNS1_3gpuE8ELNS1_3repE0EEENS1_30default_config_static_selectorELNS0_4arch9wavefront6targetE0EEEvT1_.uses_flat_scratch, 0
	.set _ZN7rocprim17ROCPRIM_400000_NS6detail17trampoline_kernelINS0_14default_configENS1_33run_length_encode_config_selectorImjNS0_4plusIjEEEEZZNS1_33reduce_by_key_impl_wrapped_configILNS1_25lookback_scan_determinismE0ES3_S7_PKmNS0_17constant_iteratorIjlEEPmPlSF_S6_NS0_8equal_toImEEEE10hipError_tPvRmT2_T3_mT4_T5_T6_T7_T8_P12ihipStream_tbENKUlT_T0_E_clISt17integral_constantIbLb1EESZ_EEDaSU_SV_EUlSU_E_NS1_11comp_targetILNS1_3genE4ELNS1_11target_archE910ELNS1_3gpuE8ELNS1_3repE0EEENS1_30default_config_static_selectorELNS0_4arch9wavefront6targetE0EEEvT1_.has_dyn_sized_stack, 0
	.set _ZN7rocprim17ROCPRIM_400000_NS6detail17trampoline_kernelINS0_14default_configENS1_33run_length_encode_config_selectorImjNS0_4plusIjEEEEZZNS1_33reduce_by_key_impl_wrapped_configILNS1_25lookback_scan_determinismE0ES3_S7_PKmNS0_17constant_iteratorIjlEEPmPlSF_S6_NS0_8equal_toImEEEE10hipError_tPvRmT2_T3_mT4_T5_T6_T7_T8_P12ihipStream_tbENKUlT_T0_E_clISt17integral_constantIbLb1EESZ_EEDaSU_SV_EUlSU_E_NS1_11comp_targetILNS1_3genE4ELNS1_11target_archE910ELNS1_3gpuE8ELNS1_3repE0EEENS1_30default_config_static_selectorELNS0_4arch9wavefront6targetE0EEEvT1_.has_recursion, 0
	.set _ZN7rocprim17ROCPRIM_400000_NS6detail17trampoline_kernelINS0_14default_configENS1_33run_length_encode_config_selectorImjNS0_4plusIjEEEEZZNS1_33reduce_by_key_impl_wrapped_configILNS1_25lookback_scan_determinismE0ES3_S7_PKmNS0_17constant_iteratorIjlEEPmPlSF_S6_NS0_8equal_toImEEEE10hipError_tPvRmT2_T3_mT4_T5_T6_T7_T8_P12ihipStream_tbENKUlT_T0_E_clISt17integral_constantIbLb1EESZ_EEDaSU_SV_EUlSU_E_NS1_11comp_targetILNS1_3genE4ELNS1_11target_archE910ELNS1_3gpuE8ELNS1_3repE0EEENS1_30default_config_static_selectorELNS0_4arch9wavefront6targetE0EEEvT1_.has_indirect_call, 0
	.section	.AMDGPU.csdata,"",@progbits
; Kernel info:
; codeLenInByte = 0
; TotalNumSgprs: 0
; NumVgprs: 0
; ScratchSize: 0
; MemoryBound: 0
; FloatMode: 240
; IeeeMode: 1
; LDSByteSize: 0 bytes/workgroup (compile time only)
; SGPRBlocks: 0
; VGPRBlocks: 0
; NumSGPRsForWavesPerEU: 1
; NumVGPRsForWavesPerEU: 1
; NamedBarCnt: 0
; Occupancy: 16
; WaveLimiterHint : 0
; COMPUTE_PGM_RSRC2:SCRATCH_EN: 0
; COMPUTE_PGM_RSRC2:USER_SGPR: 2
; COMPUTE_PGM_RSRC2:TRAP_HANDLER: 0
; COMPUTE_PGM_RSRC2:TGID_X_EN: 1
; COMPUTE_PGM_RSRC2:TGID_Y_EN: 0
; COMPUTE_PGM_RSRC2:TGID_Z_EN: 0
; COMPUTE_PGM_RSRC2:TIDIG_COMP_CNT: 0
	.section	.text._ZN7rocprim17ROCPRIM_400000_NS6detail17trampoline_kernelINS0_14default_configENS1_33run_length_encode_config_selectorImjNS0_4plusIjEEEEZZNS1_33reduce_by_key_impl_wrapped_configILNS1_25lookback_scan_determinismE0ES3_S7_PKmNS0_17constant_iteratorIjlEEPmPlSF_S6_NS0_8equal_toImEEEE10hipError_tPvRmT2_T3_mT4_T5_T6_T7_T8_P12ihipStream_tbENKUlT_T0_E_clISt17integral_constantIbLb1EESZ_EEDaSU_SV_EUlSU_E_NS1_11comp_targetILNS1_3genE3ELNS1_11target_archE908ELNS1_3gpuE7ELNS1_3repE0EEENS1_30default_config_static_selectorELNS0_4arch9wavefront6targetE0EEEvT1_,"axG",@progbits,_ZN7rocprim17ROCPRIM_400000_NS6detail17trampoline_kernelINS0_14default_configENS1_33run_length_encode_config_selectorImjNS0_4plusIjEEEEZZNS1_33reduce_by_key_impl_wrapped_configILNS1_25lookback_scan_determinismE0ES3_S7_PKmNS0_17constant_iteratorIjlEEPmPlSF_S6_NS0_8equal_toImEEEE10hipError_tPvRmT2_T3_mT4_T5_T6_T7_T8_P12ihipStream_tbENKUlT_T0_E_clISt17integral_constantIbLb1EESZ_EEDaSU_SV_EUlSU_E_NS1_11comp_targetILNS1_3genE3ELNS1_11target_archE908ELNS1_3gpuE7ELNS1_3repE0EEENS1_30default_config_static_selectorELNS0_4arch9wavefront6targetE0EEEvT1_,comdat
	.protected	_ZN7rocprim17ROCPRIM_400000_NS6detail17trampoline_kernelINS0_14default_configENS1_33run_length_encode_config_selectorImjNS0_4plusIjEEEEZZNS1_33reduce_by_key_impl_wrapped_configILNS1_25lookback_scan_determinismE0ES3_S7_PKmNS0_17constant_iteratorIjlEEPmPlSF_S6_NS0_8equal_toImEEEE10hipError_tPvRmT2_T3_mT4_T5_T6_T7_T8_P12ihipStream_tbENKUlT_T0_E_clISt17integral_constantIbLb1EESZ_EEDaSU_SV_EUlSU_E_NS1_11comp_targetILNS1_3genE3ELNS1_11target_archE908ELNS1_3gpuE7ELNS1_3repE0EEENS1_30default_config_static_selectorELNS0_4arch9wavefront6targetE0EEEvT1_ ; -- Begin function _ZN7rocprim17ROCPRIM_400000_NS6detail17trampoline_kernelINS0_14default_configENS1_33run_length_encode_config_selectorImjNS0_4plusIjEEEEZZNS1_33reduce_by_key_impl_wrapped_configILNS1_25lookback_scan_determinismE0ES3_S7_PKmNS0_17constant_iteratorIjlEEPmPlSF_S6_NS0_8equal_toImEEEE10hipError_tPvRmT2_T3_mT4_T5_T6_T7_T8_P12ihipStream_tbENKUlT_T0_E_clISt17integral_constantIbLb1EESZ_EEDaSU_SV_EUlSU_E_NS1_11comp_targetILNS1_3genE3ELNS1_11target_archE908ELNS1_3gpuE7ELNS1_3repE0EEENS1_30default_config_static_selectorELNS0_4arch9wavefront6targetE0EEEvT1_
	.globl	_ZN7rocprim17ROCPRIM_400000_NS6detail17trampoline_kernelINS0_14default_configENS1_33run_length_encode_config_selectorImjNS0_4plusIjEEEEZZNS1_33reduce_by_key_impl_wrapped_configILNS1_25lookback_scan_determinismE0ES3_S7_PKmNS0_17constant_iteratorIjlEEPmPlSF_S6_NS0_8equal_toImEEEE10hipError_tPvRmT2_T3_mT4_T5_T6_T7_T8_P12ihipStream_tbENKUlT_T0_E_clISt17integral_constantIbLb1EESZ_EEDaSU_SV_EUlSU_E_NS1_11comp_targetILNS1_3genE3ELNS1_11target_archE908ELNS1_3gpuE7ELNS1_3repE0EEENS1_30default_config_static_selectorELNS0_4arch9wavefront6targetE0EEEvT1_
	.p2align	8
	.type	_ZN7rocprim17ROCPRIM_400000_NS6detail17trampoline_kernelINS0_14default_configENS1_33run_length_encode_config_selectorImjNS0_4plusIjEEEEZZNS1_33reduce_by_key_impl_wrapped_configILNS1_25lookback_scan_determinismE0ES3_S7_PKmNS0_17constant_iteratorIjlEEPmPlSF_S6_NS0_8equal_toImEEEE10hipError_tPvRmT2_T3_mT4_T5_T6_T7_T8_P12ihipStream_tbENKUlT_T0_E_clISt17integral_constantIbLb1EESZ_EEDaSU_SV_EUlSU_E_NS1_11comp_targetILNS1_3genE3ELNS1_11target_archE908ELNS1_3gpuE7ELNS1_3repE0EEENS1_30default_config_static_selectorELNS0_4arch9wavefront6targetE0EEEvT1_,@function
_ZN7rocprim17ROCPRIM_400000_NS6detail17trampoline_kernelINS0_14default_configENS1_33run_length_encode_config_selectorImjNS0_4plusIjEEEEZZNS1_33reduce_by_key_impl_wrapped_configILNS1_25lookback_scan_determinismE0ES3_S7_PKmNS0_17constant_iteratorIjlEEPmPlSF_S6_NS0_8equal_toImEEEE10hipError_tPvRmT2_T3_mT4_T5_T6_T7_T8_P12ihipStream_tbENKUlT_T0_E_clISt17integral_constantIbLb1EESZ_EEDaSU_SV_EUlSU_E_NS1_11comp_targetILNS1_3genE3ELNS1_11target_archE908ELNS1_3gpuE7ELNS1_3repE0EEENS1_30default_config_static_selectorELNS0_4arch9wavefront6targetE0EEEvT1_: ; @_ZN7rocprim17ROCPRIM_400000_NS6detail17trampoline_kernelINS0_14default_configENS1_33run_length_encode_config_selectorImjNS0_4plusIjEEEEZZNS1_33reduce_by_key_impl_wrapped_configILNS1_25lookback_scan_determinismE0ES3_S7_PKmNS0_17constant_iteratorIjlEEPmPlSF_S6_NS0_8equal_toImEEEE10hipError_tPvRmT2_T3_mT4_T5_T6_T7_T8_P12ihipStream_tbENKUlT_T0_E_clISt17integral_constantIbLb1EESZ_EEDaSU_SV_EUlSU_E_NS1_11comp_targetILNS1_3genE3ELNS1_11target_archE908ELNS1_3gpuE7ELNS1_3repE0EEENS1_30default_config_static_selectorELNS0_4arch9wavefront6targetE0EEEvT1_
; %bb.0:
	.section	.rodata,"a",@progbits
	.p2align	6, 0x0
	.amdhsa_kernel _ZN7rocprim17ROCPRIM_400000_NS6detail17trampoline_kernelINS0_14default_configENS1_33run_length_encode_config_selectorImjNS0_4plusIjEEEEZZNS1_33reduce_by_key_impl_wrapped_configILNS1_25lookback_scan_determinismE0ES3_S7_PKmNS0_17constant_iteratorIjlEEPmPlSF_S6_NS0_8equal_toImEEEE10hipError_tPvRmT2_T3_mT4_T5_T6_T7_T8_P12ihipStream_tbENKUlT_T0_E_clISt17integral_constantIbLb1EESZ_EEDaSU_SV_EUlSU_E_NS1_11comp_targetILNS1_3genE3ELNS1_11target_archE908ELNS1_3gpuE7ELNS1_3repE0EEENS1_30default_config_static_selectorELNS0_4arch9wavefront6targetE0EEEvT1_
		.amdhsa_group_segment_fixed_size 0
		.amdhsa_private_segment_fixed_size 0
		.amdhsa_kernarg_size 128
		.amdhsa_user_sgpr_count 2
		.amdhsa_user_sgpr_dispatch_ptr 0
		.amdhsa_user_sgpr_queue_ptr 0
		.amdhsa_user_sgpr_kernarg_segment_ptr 1
		.amdhsa_user_sgpr_dispatch_id 0
		.amdhsa_user_sgpr_kernarg_preload_length 0
		.amdhsa_user_sgpr_kernarg_preload_offset 0
		.amdhsa_user_sgpr_private_segment_size 0
		.amdhsa_wavefront_size32 1
		.amdhsa_uses_dynamic_stack 0
		.amdhsa_enable_private_segment 0
		.amdhsa_system_sgpr_workgroup_id_x 1
		.amdhsa_system_sgpr_workgroup_id_y 0
		.amdhsa_system_sgpr_workgroup_id_z 0
		.amdhsa_system_sgpr_workgroup_info 0
		.amdhsa_system_vgpr_workitem_id 0
		.amdhsa_next_free_vgpr 1
		.amdhsa_next_free_sgpr 1
		.amdhsa_named_barrier_count 0
		.amdhsa_reserve_vcc 0
		.amdhsa_float_round_mode_32 0
		.amdhsa_float_round_mode_16_64 0
		.amdhsa_float_denorm_mode_32 3
		.amdhsa_float_denorm_mode_16_64 3
		.amdhsa_fp16_overflow 0
		.amdhsa_memory_ordered 1
		.amdhsa_forward_progress 1
		.amdhsa_inst_pref_size 0
		.amdhsa_round_robin_scheduling 0
		.amdhsa_exception_fp_ieee_invalid_op 0
		.amdhsa_exception_fp_denorm_src 0
		.amdhsa_exception_fp_ieee_div_zero 0
		.amdhsa_exception_fp_ieee_overflow 0
		.amdhsa_exception_fp_ieee_underflow 0
		.amdhsa_exception_fp_ieee_inexact 0
		.amdhsa_exception_int_div_zero 0
	.end_amdhsa_kernel
	.section	.text._ZN7rocprim17ROCPRIM_400000_NS6detail17trampoline_kernelINS0_14default_configENS1_33run_length_encode_config_selectorImjNS0_4plusIjEEEEZZNS1_33reduce_by_key_impl_wrapped_configILNS1_25lookback_scan_determinismE0ES3_S7_PKmNS0_17constant_iteratorIjlEEPmPlSF_S6_NS0_8equal_toImEEEE10hipError_tPvRmT2_T3_mT4_T5_T6_T7_T8_P12ihipStream_tbENKUlT_T0_E_clISt17integral_constantIbLb1EESZ_EEDaSU_SV_EUlSU_E_NS1_11comp_targetILNS1_3genE3ELNS1_11target_archE908ELNS1_3gpuE7ELNS1_3repE0EEENS1_30default_config_static_selectorELNS0_4arch9wavefront6targetE0EEEvT1_,"axG",@progbits,_ZN7rocprim17ROCPRIM_400000_NS6detail17trampoline_kernelINS0_14default_configENS1_33run_length_encode_config_selectorImjNS0_4plusIjEEEEZZNS1_33reduce_by_key_impl_wrapped_configILNS1_25lookback_scan_determinismE0ES3_S7_PKmNS0_17constant_iteratorIjlEEPmPlSF_S6_NS0_8equal_toImEEEE10hipError_tPvRmT2_T3_mT4_T5_T6_T7_T8_P12ihipStream_tbENKUlT_T0_E_clISt17integral_constantIbLb1EESZ_EEDaSU_SV_EUlSU_E_NS1_11comp_targetILNS1_3genE3ELNS1_11target_archE908ELNS1_3gpuE7ELNS1_3repE0EEENS1_30default_config_static_selectorELNS0_4arch9wavefront6targetE0EEEvT1_,comdat
.Lfunc_end730:
	.size	_ZN7rocprim17ROCPRIM_400000_NS6detail17trampoline_kernelINS0_14default_configENS1_33run_length_encode_config_selectorImjNS0_4plusIjEEEEZZNS1_33reduce_by_key_impl_wrapped_configILNS1_25lookback_scan_determinismE0ES3_S7_PKmNS0_17constant_iteratorIjlEEPmPlSF_S6_NS0_8equal_toImEEEE10hipError_tPvRmT2_T3_mT4_T5_T6_T7_T8_P12ihipStream_tbENKUlT_T0_E_clISt17integral_constantIbLb1EESZ_EEDaSU_SV_EUlSU_E_NS1_11comp_targetILNS1_3genE3ELNS1_11target_archE908ELNS1_3gpuE7ELNS1_3repE0EEENS1_30default_config_static_selectorELNS0_4arch9wavefront6targetE0EEEvT1_, .Lfunc_end730-_ZN7rocprim17ROCPRIM_400000_NS6detail17trampoline_kernelINS0_14default_configENS1_33run_length_encode_config_selectorImjNS0_4plusIjEEEEZZNS1_33reduce_by_key_impl_wrapped_configILNS1_25lookback_scan_determinismE0ES3_S7_PKmNS0_17constant_iteratorIjlEEPmPlSF_S6_NS0_8equal_toImEEEE10hipError_tPvRmT2_T3_mT4_T5_T6_T7_T8_P12ihipStream_tbENKUlT_T0_E_clISt17integral_constantIbLb1EESZ_EEDaSU_SV_EUlSU_E_NS1_11comp_targetILNS1_3genE3ELNS1_11target_archE908ELNS1_3gpuE7ELNS1_3repE0EEENS1_30default_config_static_selectorELNS0_4arch9wavefront6targetE0EEEvT1_
                                        ; -- End function
	.set _ZN7rocprim17ROCPRIM_400000_NS6detail17trampoline_kernelINS0_14default_configENS1_33run_length_encode_config_selectorImjNS0_4plusIjEEEEZZNS1_33reduce_by_key_impl_wrapped_configILNS1_25lookback_scan_determinismE0ES3_S7_PKmNS0_17constant_iteratorIjlEEPmPlSF_S6_NS0_8equal_toImEEEE10hipError_tPvRmT2_T3_mT4_T5_T6_T7_T8_P12ihipStream_tbENKUlT_T0_E_clISt17integral_constantIbLb1EESZ_EEDaSU_SV_EUlSU_E_NS1_11comp_targetILNS1_3genE3ELNS1_11target_archE908ELNS1_3gpuE7ELNS1_3repE0EEENS1_30default_config_static_selectorELNS0_4arch9wavefront6targetE0EEEvT1_.num_vgpr, 0
	.set _ZN7rocprim17ROCPRIM_400000_NS6detail17trampoline_kernelINS0_14default_configENS1_33run_length_encode_config_selectorImjNS0_4plusIjEEEEZZNS1_33reduce_by_key_impl_wrapped_configILNS1_25lookback_scan_determinismE0ES3_S7_PKmNS0_17constant_iteratorIjlEEPmPlSF_S6_NS0_8equal_toImEEEE10hipError_tPvRmT2_T3_mT4_T5_T6_T7_T8_P12ihipStream_tbENKUlT_T0_E_clISt17integral_constantIbLb1EESZ_EEDaSU_SV_EUlSU_E_NS1_11comp_targetILNS1_3genE3ELNS1_11target_archE908ELNS1_3gpuE7ELNS1_3repE0EEENS1_30default_config_static_selectorELNS0_4arch9wavefront6targetE0EEEvT1_.num_agpr, 0
	.set _ZN7rocprim17ROCPRIM_400000_NS6detail17trampoline_kernelINS0_14default_configENS1_33run_length_encode_config_selectorImjNS0_4plusIjEEEEZZNS1_33reduce_by_key_impl_wrapped_configILNS1_25lookback_scan_determinismE0ES3_S7_PKmNS0_17constant_iteratorIjlEEPmPlSF_S6_NS0_8equal_toImEEEE10hipError_tPvRmT2_T3_mT4_T5_T6_T7_T8_P12ihipStream_tbENKUlT_T0_E_clISt17integral_constantIbLb1EESZ_EEDaSU_SV_EUlSU_E_NS1_11comp_targetILNS1_3genE3ELNS1_11target_archE908ELNS1_3gpuE7ELNS1_3repE0EEENS1_30default_config_static_selectorELNS0_4arch9wavefront6targetE0EEEvT1_.numbered_sgpr, 0
	.set _ZN7rocprim17ROCPRIM_400000_NS6detail17trampoline_kernelINS0_14default_configENS1_33run_length_encode_config_selectorImjNS0_4plusIjEEEEZZNS1_33reduce_by_key_impl_wrapped_configILNS1_25lookback_scan_determinismE0ES3_S7_PKmNS0_17constant_iteratorIjlEEPmPlSF_S6_NS0_8equal_toImEEEE10hipError_tPvRmT2_T3_mT4_T5_T6_T7_T8_P12ihipStream_tbENKUlT_T0_E_clISt17integral_constantIbLb1EESZ_EEDaSU_SV_EUlSU_E_NS1_11comp_targetILNS1_3genE3ELNS1_11target_archE908ELNS1_3gpuE7ELNS1_3repE0EEENS1_30default_config_static_selectorELNS0_4arch9wavefront6targetE0EEEvT1_.num_named_barrier, 0
	.set _ZN7rocprim17ROCPRIM_400000_NS6detail17trampoline_kernelINS0_14default_configENS1_33run_length_encode_config_selectorImjNS0_4plusIjEEEEZZNS1_33reduce_by_key_impl_wrapped_configILNS1_25lookback_scan_determinismE0ES3_S7_PKmNS0_17constant_iteratorIjlEEPmPlSF_S6_NS0_8equal_toImEEEE10hipError_tPvRmT2_T3_mT4_T5_T6_T7_T8_P12ihipStream_tbENKUlT_T0_E_clISt17integral_constantIbLb1EESZ_EEDaSU_SV_EUlSU_E_NS1_11comp_targetILNS1_3genE3ELNS1_11target_archE908ELNS1_3gpuE7ELNS1_3repE0EEENS1_30default_config_static_selectorELNS0_4arch9wavefront6targetE0EEEvT1_.private_seg_size, 0
	.set _ZN7rocprim17ROCPRIM_400000_NS6detail17trampoline_kernelINS0_14default_configENS1_33run_length_encode_config_selectorImjNS0_4plusIjEEEEZZNS1_33reduce_by_key_impl_wrapped_configILNS1_25lookback_scan_determinismE0ES3_S7_PKmNS0_17constant_iteratorIjlEEPmPlSF_S6_NS0_8equal_toImEEEE10hipError_tPvRmT2_T3_mT4_T5_T6_T7_T8_P12ihipStream_tbENKUlT_T0_E_clISt17integral_constantIbLb1EESZ_EEDaSU_SV_EUlSU_E_NS1_11comp_targetILNS1_3genE3ELNS1_11target_archE908ELNS1_3gpuE7ELNS1_3repE0EEENS1_30default_config_static_selectorELNS0_4arch9wavefront6targetE0EEEvT1_.uses_vcc, 0
	.set _ZN7rocprim17ROCPRIM_400000_NS6detail17trampoline_kernelINS0_14default_configENS1_33run_length_encode_config_selectorImjNS0_4plusIjEEEEZZNS1_33reduce_by_key_impl_wrapped_configILNS1_25lookback_scan_determinismE0ES3_S7_PKmNS0_17constant_iteratorIjlEEPmPlSF_S6_NS0_8equal_toImEEEE10hipError_tPvRmT2_T3_mT4_T5_T6_T7_T8_P12ihipStream_tbENKUlT_T0_E_clISt17integral_constantIbLb1EESZ_EEDaSU_SV_EUlSU_E_NS1_11comp_targetILNS1_3genE3ELNS1_11target_archE908ELNS1_3gpuE7ELNS1_3repE0EEENS1_30default_config_static_selectorELNS0_4arch9wavefront6targetE0EEEvT1_.uses_flat_scratch, 0
	.set _ZN7rocprim17ROCPRIM_400000_NS6detail17trampoline_kernelINS0_14default_configENS1_33run_length_encode_config_selectorImjNS0_4plusIjEEEEZZNS1_33reduce_by_key_impl_wrapped_configILNS1_25lookback_scan_determinismE0ES3_S7_PKmNS0_17constant_iteratorIjlEEPmPlSF_S6_NS0_8equal_toImEEEE10hipError_tPvRmT2_T3_mT4_T5_T6_T7_T8_P12ihipStream_tbENKUlT_T0_E_clISt17integral_constantIbLb1EESZ_EEDaSU_SV_EUlSU_E_NS1_11comp_targetILNS1_3genE3ELNS1_11target_archE908ELNS1_3gpuE7ELNS1_3repE0EEENS1_30default_config_static_selectorELNS0_4arch9wavefront6targetE0EEEvT1_.has_dyn_sized_stack, 0
	.set _ZN7rocprim17ROCPRIM_400000_NS6detail17trampoline_kernelINS0_14default_configENS1_33run_length_encode_config_selectorImjNS0_4plusIjEEEEZZNS1_33reduce_by_key_impl_wrapped_configILNS1_25lookback_scan_determinismE0ES3_S7_PKmNS0_17constant_iteratorIjlEEPmPlSF_S6_NS0_8equal_toImEEEE10hipError_tPvRmT2_T3_mT4_T5_T6_T7_T8_P12ihipStream_tbENKUlT_T0_E_clISt17integral_constantIbLb1EESZ_EEDaSU_SV_EUlSU_E_NS1_11comp_targetILNS1_3genE3ELNS1_11target_archE908ELNS1_3gpuE7ELNS1_3repE0EEENS1_30default_config_static_selectorELNS0_4arch9wavefront6targetE0EEEvT1_.has_recursion, 0
	.set _ZN7rocprim17ROCPRIM_400000_NS6detail17trampoline_kernelINS0_14default_configENS1_33run_length_encode_config_selectorImjNS0_4plusIjEEEEZZNS1_33reduce_by_key_impl_wrapped_configILNS1_25lookback_scan_determinismE0ES3_S7_PKmNS0_17constant_iteratorIjlEEPmPlSF_S6_NS0_8equal_toImEEEE10hipError_tPvRmT2_T3_mT4_T5_T6_T7_T8_P12ihipStream_tbENKUlT_T0_E_clISt17integral_constantIbLb1EESZ_EEDaSU_SV_EUlSU_E_NS1_11comp_targetILNS1_3genE3ELNS1_11target_archE908ELNS1_3gpuE7ELNS1_3repE0EEENS1_30default_config_static_selectorELNS0_4arch9wavefront6targetE0EEEvT1_.has_indirect_call, 0
	.section	.AMDGPU.csdata,"",@progbits
; Kernel info:
; codeLenInByte = 0
; TotalNumSgprs: 0
; NumVgprs: 0
; ScratchSize: 0
; MemoryBound: 0
; FloatMode: 240
; IeeeMode: 1
; LDSByteSize: 0 bytes/workgroup (compile time only)
; SGPRBlocks: 0
; VGPRBlocks: 0
; NumSGPRsForWavesPerEU: 1
; NumVGPRsForWavesPerEU: 1
; NamedBarCnt: 0
; Occupancy: 16
; WaveLimiterHint : 0
; COMPUTE_PGM_RSRC2:SCRATCH_EN: 0
; COMPUTE_PGM_RSRC2:USER_SGPR: 2
; COMPUTE_PGM_RSRC2:TRAP_HANDLER: 0
; COMPUTE_PGM_RSRC2:TGID_X_EN: 1
; COMPUTE_PGM_RSRC2:TGID_Y_EN: 0
; COMPUTE_PGM_RSRC2:TGID_Z_EN: 0
; COMPUTE_PGM_RSRC2:TIDIG_COMP_CNT: 0
	.section	.text._ZN7rocprim17ROCPRIM_400000_NS6detail17trampoline_kernelINS0_14default_configENS1_33run_length_encode_config_selectorImjNS0_4plusIjEEEEZZNS1_33reduce_by_key_impl_wrapped_configILNS1_25lookback_scan_determinismE0ES3_S7_PKmNS0_17constant_iteratorIjlEEPmPlSF_S6_NS0_8equal_toImEEEE10hipError_tPvRmT2_T3_mT4_T5_T6_T7_T8_P12ihipStream_tbENKUlT_T0_E_clISt17integral_constantIbLb1EESZ_EEDaSU_SV_EUlSU_E_NS1_11comp_targetILNS1_3genE2ELNS1_11target_archE906ELNS1_3gpuE6ELNS1_3repE0EEENS1_30default_config_static_selectorELNS0_4arch9wavefront6targetE0EEEvT1_,"axG",@progbits,_ZN7rocprim17ROCPRIM_400000_NS6detail17trampoline_kernelINS0_14default_configENS1_33run_length_encode_config_selectorImjNS0_4plusIjEEEEZZNS1_33reduce_by_key_impl_wrapped_configILNS1_25lookback_scan_determinismE0ES3_S7_PKmNS0_17constant_iteratorIjlEEPmPlSF_S6_NS0_8equal_toImEEEE10hipError_tPvRmT2_T3_mT4_T5_T6_T7_T8_P12ihipStream_tbENKUlT_T0_E_clISt17integral_constantIbLb1EESZ_EEDaSU_SV_EUlSU_E_NS1_11comp_targetILNS1_3genE2ELNS1_11target_archE906ELNS1_3gpuE6ELNS1_3repE0EEENS1_30default_config_static_selectorELNS0_4arch9wavefront6targetE0EEEvT1_,comdat
	.protected	_ZN7rocprim17ROCPRIM_400000_NS6detail17trampoline_kernelINS0_14default_configENS1_33run_length_encode_config_selectorImjNS0_4plusIjEEEEZZNS1_33reduce_by_key_impl_wrapped_configILNS1_25lookback_scan_determinismE0ES3_S7_PKmNS0_17constant_iteratorIjlEEPmPlSF_S6_NS0_8equal_toImEEEE10hipError_tPvRmT2_T3_mT4_T5_T6_T7_T8_P12ihipStream_tbENKUlT_T0_E_clISt17integral_constantIbLb1EESZ_EEDaSU_SV_EUlSU_E_NS1_11comp_targetILNS1_3genE2ELNS1_11target_archE906ELNS1_3gpuE6ELNS1_3repE0EEENS1_30default_config_static_selectorELNS0_4arch9wavefront6targetE0EEEvT1_ ; -- Begin function _ZN7rocprim17ROCPRIM_400000_NS6detail17trampoline_kernelINS0_14default_configENS1_33run_length_encode_config_selectorImjNS0_4plusIjEEEEZZNS1_33reduce_by_key_impl_wrapped_configILNS1_25lookback_scan_determinismE0ES3_S7_PKmNS0_17constant_iteratorIjlEEPmPlSF_S6_NS0_8equal_toImEEEE10hipError_tPvRmT2_T3_mT4_T5_T6_T7_T8_P12ihipStream_tbENKUlT_T0_E_clISt17integral_constantIbLb1EESZ_EEDaSU_SV_EUlSU_E_NS1_11comp_targetILNS1_3genE2ELNS1_11target_archE906ELNS1_3gpuE6ELNS1_3repE0EEENS1_30default_config_static_selectorELNS0_4arch9wavefront6targetE0EEEvT1_
	.globl	_ZN7rocprim17ROCPRIM_400000_NS6detail17trampoline_kernelINS0_14default_configENS1_33run_length_encode_config_selectorImjNS0_4plusIjEEEEZZNS1_33reduce_by_key_impl_wrapped_configILNS1_25lookback_scan_determinismE0ES3_S7_PKmNS0_17constant_iteratorIjlEEPmPlSF_S6_NS0_8equal_toImEEEE10hipError_tPvRmT2_T3_mT4_T5_T6_T7_T8_P12ihipStream_tbENKUlT_T0_E_clISt17integral_constantIbLb1EESZ_EEDaSU_SV_EUlSU_E_NS1_11comp_targetILNS1_3genE2ELNS1_11target_archE906ELNS1_3gpuE6ELNS1_3repE0EEENS1_30default_config_static_selectorELNS0_4arch9wavefront6targetE0EEEvT1_
	.p2align	8
	.type	_ZN7rocprim17ROCPRIM_400000_NS6detail17trampoline_kernelINS0_14default_configENS1_33run_length_encode_config_selectorImjNS0_4plusIjEEEEZZNS1_33reduce_by_key_impl_wrapped_configILNS1_25lookback_scan_determinismE0ES3_S7_PKmNS0_17constant_iteratorIjlEEPmPlSF_S6_NS0_8equal_toImEEEE10hipError_tPvRmT2_T3_mT4_T5_T6_T7_T8_P12ihipStream_tbENKUlT_T0_E_clISt17integral_constantIbLb1EESZ_EEDaSU_SV_EUlSU_E_NS1_11comp_targetILNS1_3genE2ELNS1_11target_archE906ELNS1_3gpuE6ELNS1_3repE0EEENS1_30default_config_static_selectorELNS0_4arch9wavefront6targetE0EEEvT1_,@function
_ZN7rocprim17ROCPRIM_400000_NS6detail17trampoline_kernelINS0_14default_configENS1_33run_length_encode_config_selectorImjNS0_4plusIjEEEEZZNS1_33reduce_by_key_impl_wrapped_configILNS1_25lookback_scan_determinismE0ES3_S7_PKmNS0_17constant_iteratorIjlEEPmPlSF_S6_NS0_8equal_toImEEEE10hipError_tPvRmT2_T3_mT4_T5_T6_T7_T8_P12ihipStream_tbENKUlT_T0_E_clISt17integral_constantIbLb1EESZ_EEDaSU_SV_EUlSU_E_NS1_11comp_targetILNS1_3genE2ELNS1_11target_archE906ELNS1_3gpuE6ELNS1_3repE0EEENS1_30default_config_static_selectorELNS0_4arch9wavefront6targetE0EEEvT1_: ; @_ZN7rocprim17ROCPRIM_400000_NS6detail17trampoline_kernelINS0_14default_configENS1_33run_length_encode_config_selectorImjNS0_4plusIjEEEEZZNS1_33reduce_by_key_impl_wrapped_configILNS1_25lookback_scan_determinismE0ES3_S7_PKmNS0_17constant_iteratorIjlEEPmPlSF_S6_NS0_8equal_toImEEEE10hipError_tPvRmT2_T3_mT4_T5_T6_T7_T8_P12ihipStream_tbENKUlT_T0_E_clISt17integral_constantIbLb1EESZ_EEDaSU_SV_EUlSU_E_NS1_11comp_targetILNS1_3genE2ELNS1_11target_archE906ELNS1_3gpuE6ELNS1_3repE0EEENS1_30default_config_static_selectorELNS0_4arch9wavefront6targetE0EEEvT1_
; %bb.0:
	.section	.rodata,"a",@progbits
	.p2align	6, 0x0
	.amdhsa_kernel _ZN7rocprim17ROCPRIM_400000_NS6detail17trampoline_kernelINS0_14default_configENS1_33run_length_encode_config_selectorImjNS0_4plusIjEEEEZZNS1_33reduce_by_key_impl_wrapped_configILNS1_25lookback_scan_determinismE0ES3_S7_PKmNS0_17constant_iteratorIjlEEPmPlSF_S6_NS0_8equal_toImEEEE10hipError_tPvRmT2_T3_mT4_T5_T6_T7_T8_P12ihipStream_tbENKUlT_T0_E_clISt17integral_constantIbLb1EESZ_EEDaSU_SV_EUlSU_E_NS1_11comp_targetILNS1_3genE2ELNS1_11target_archE906ELNS1_3gpuE6ELNS1_3repE0EEENS1_30default_config_static_selectorELNS0_4arch9wavefront6targetE0EEEvT1_
		.amdhsa_group_segment_fixed_size 0
		.amdhsa_private_segment_fixed_size 0
		.amdhsa_kernarg_size 128
		.amdhsa_user_sgpr_count 2
		.amdhsa_user_sgpr_dispatch_ptr 0
		.amdhsa_user_sgpr_queue_ptr 0
		.amdhsa_user_sgpr_kernarg_segment_ptr 1
		.amdhsa_user_sgpr_dispatch_id 0
		.amdhsa_user_sgpr_kernarg_preload_length 0
		.amdhsa_user_sgpr_kernarg_preload_offset 0
		.amdhsa_user_sgpr_private_segment_size 0
		.amdhsa_wavefront_size32 1
		.amdhsa_uses_dynamic_stack 0
		.amdhsa_enable_private_segment 0
		.amdhsa_system_sgpr_workgroup_id_x 1
		.amdhsa_system_sgpr_workgroup_id_y 0
		.amdhsa_system_sgpr_workgroup_id_z 0
		.amdhsa_system_sgpr_workgroup_info 0
		.amdhsa_system_vgpr_workitem_id 0
		.amdhsa_next_free_vgpr 1
		.amdhsa_next_free_sgpr 1
		.amdhsa_named_barrier_count 0
		.amdhsa_reserve_vcc 0
		.amdhsa_float_round_mode_32 0
		.amdhsa_float_round_mode_16_64 0
		.amdhsa_float_denorm_mode_32 3
		.amdhsa_float_denorm_mode_16_64 3
		.amdhsa_fp16_overflow 0
		.amdhsa_memory_ordered 1
		.amdhsa_forward_progress 1
		.amdhsa_inst_pref_size 0
		.amdhsa_round_robin_scheduling 0
		.amdhsa_exception_fp_ieee_invalid_op 0
		.amdhsa_exception_fp_denorm_src 0
		.amdhsa_exception_fp_ieee_div_zero 0
		.amdhsa_exception_fp_ieee_overflow 0
		.amdhsa_exception_fp_ieee_underflow 0
		.amdhsa_exception_fp_ieee_inexact 0
		.amdhsa_exception_int_div_zero 0
	.end_amdhsa_kernel
	.section	.text._ZN7rocprim17ROCPRIM_400000_NS6detail17trampoline_kernelINS0_14default_configENS1_33run_length_encode_config_selectorImjNS0_4plusIjEEEEZZNS1_33reduce_by_key_impl_wrapped_configILNS1_25lookback_scan_determinismE0ES3_S7_PKmNS0_17constant_iteratorIjlEEPmPlSF_S6_NS0_8equal_toImEEEE10hipError_tPvRmT2_T3_mT4_T5_T6_T7_T8_P12ihipStream_tbENKUlT_T0_E_clISt17integral_constantIbLb1EESZ_EEDaSU_SV_EUlSU_E_NS1_11comp_targetILNS1_3genE2ELNS1_11target_archE906ELNS1_3gpuE6ELNS1_3repE0EEENS1_30default_config_static_selectorELNS0_4arch9wavefront6targetE0EEEvT1_,"axG",@progbits,_ZN7rocprim17ROCPRIM_400000_NS6detail17trampoline_kernelINS0_14default_configENS1_33run_length_encode_config_selectorImjNS0_4plusIjEEEEZZNS1_33reduce_by_key_impl_wrapped_configILNS1_25lookback_scan_determinismE0ES3_S7_PKmNS0_17constant_iteratorIjlEEPmPlSF_S6_NS0_8equal_toImEEEE10hipError_tPvRmT2_T3_mT4_T5_T6_T7_T8_P12ihipStream_tbENKUlT_T0_E_clISt17integral_constantIbLb1EESZ_EEDaSU_SV_EUlSU_E_NS1_11comp_targetILNS1_3genE2ELNS1_11target_archE906ELNS1_3gpuE6ELNS1_3repE0EEENS1_30default_config_static_selectorELNS0_4arch9wavefront6targetE0EEEvT1_,comdat
.Lfunc_end731:
	.size	_ZN7rocprim17ROCPRIM_400000_NS6detail17trampoline_kernelINS0_14default_configENS1_33run_length_encode_config_selectorImjNS0_4plusIjEEEEZZNS1_33reduce_by_key_impl_wrapped_configILNS1_25lookback_scan_determinismE0ES3_S7_PKmNS0_17constant_iteratorIjlEEPmPlSF_S6_NS0_8equal_toImEEEE10hipError_tPvRmT2_T3_mT4_T5_T6_T7_T8_P12ihipStream_tbENKUlT_T0_E_clISt17integral_constantIbLb1EESZ_EEDaSU_SV_EUlSU_E_NS1_11comp_targetILNS1_3genE2ELNS1_11target_archE906ELNS1_3gpuE6ELNS1_3repE0EEENS1_30default_config_static_selectorELNS0_4arch9wavefront6targetE0EEEvT1_, .Lfunc_end731-_ZN7rocprim17ROCPRIM_400000_NS6detail17trampoline_kernelINS0_14default_configENS1_33run_length_encode_config_selectorImjNS0_4plusIjEEEEZZNS1_33reduce_by_key_impl_wrapped_configILNS1_25lookback_scan_determinismE0ES3_S7_PKmNS0_17constant_iteratorIjlEEPmPlSF_S6_NS0_8equal_toImEEEE10hipError_tPvRmT2_T3_mT4_T5_T6_T7_T8_P12ihipStream_tbENKUlT_T0_E_clISt17integral_constantIbLb1EESZ_EEDaSU_SV_EUlSU_E_NS1_11comp_targetILNS1_3genE2ELNS1_11target_archE906ELNS1_3gpuE6ELNS1_3repE0EEENS1_30default_config_static_selectorELNS0_4arch9wavefront6targetE0EEEvT1_
                                        ; -- End function
	.set _ZN7rocprim17ROCPRIM_400000_NS6detail17trampoline_kernelINS0_14default_configENS1_33run_length_encode_config_selectorImjNS0_4plusIjEEEEZZNS1_33reduce_by_key_impl_wrapped_configILNS1_25lookback_scan_determinismE0ES3_S7_PKmNS0_17constant_iteratorIjlEEPmPlSF_S6_NS0_8equal_toImEEEE10hipError_tPvRmT2_T3_mT4_T5_T6_T7_T8_P12ihipStream_tbENKUlT_T0_E_clISt17integral_constantIbLb1EESZ_EEDaSU_SV_EUlSU_E_NS1_11comp_targetILNS1_3genE2ELNS1_11target_archE906ELNS1_3gpuE6ELNS1_3repE0EEENS1_30default_config_static_selectorELNS0_4arch9wavefront6targetE0EEEvT1_.num_vgpr, 0
	.set _ZN7rocprim17ROCPRIM_400000_NS6detail17trampoline_kernelINS0_14default_configENS1_33run_length_encode_config_selectorImjNS0_4plusIjEEEEZZNS1_33reduce_by_key_impl_wrapped_configILNS1_25lookback_scan_determinismE0ES3_S7_PKmNS0_17constant_iteratorIjlEEPmPlSF_S6_NS0_8equal_toImEEEE10hipError_tPvRmT2_T3_mT4_T5_T6_T7_T8_P12ihipStream_tbENKUlT_T0_E_clISt17integral_constantIbLb1EESZ_EEDaSU_SV_EUlSU_E_NS1_11comp_targetILNS1_3genE2ELNS1_11target_archE906ELNS1_3gpuE6ELNS1_3repE0EEENS1_30default_config_static_selectorELNS0_4arch9wavefront6targetE0EEEvT1_.num_agpr, 0
	.set _ZN7rocprim17ROCPRIM_400000_NS6detail17trampoline_kernelINS0_14default_configENS1_33run_length_encode_config_selectorImjNS0_4plusIjEEEEZZNS1_33reduce_by_key_impl_wrapped_configILNS1_25lookback_scan_determinismE0ES3_S7_PKmNS0_17constant_iteratorIjlEEPmPlSF_S6_NS0_8equal_toImEEEE10hipError_tPvRmT2_T3_mT4_T5_T6_T7_T8_P12ihipStream_tbENKUlT_T0_E_clISt17integral_constantIbLb1EESZ_EEDaSU_SV_EUlSU_E_NS1_11comp_targetILNS1_3genE2ELNS1_11target_archE906ELNS1_3gpuE6ELNS1_3repE0EEENS1_30default_config_static_selectorELNS0_4arch9wavefront6targetE0EEEvT1_.numbered_sgpr, 0
	.set _ZN7rocprim17ROCPRIM_400000_NS6detail17trampoline_kernelINS0_14default_configENS1_33run_length_encode_config_selectorImjNS0_4plusIjEEEEZZNS1_33reduce_by_key_impl_wrapped_configILNS1_25lookback_scan_determinismE0ES3_S7_PKmNS0_17constant_iteratorIjlEEPmPlSF_S6_NS0_8equal_toImEEEE10hipError_tPvRmT2_T3_mT4_T5_T6_T7_T8_P12ihipStream_tbENKUlT_T0_E_clISt17integral_constantIbLb1EESZ_EEDaSU_SV_EUlSU_E_NS1_11comp_targetILNS1_3genE2ELNS1_11target_archE906ELNS1_3gpuE6ELNS1_3repE0EEENS1_30default_config_static_selectorELNS0_4arch9wavefront6targetE0EEEvT1_.num_named_barrier, 0
	.set _ZN7rocprim17ROCPRIM_400000_NS6detail17trampoline_kernelINS0_14default_configENS1_33run_length_encode_config_selectorImjNS0_4plusIjEEEEZZNS1_33reduce_by_key_impl_wrapped_configILNS1_25lookback_scan_determinismE0ES3_S7_PKmNS0_17constant_iteratorIjlEEPmPlSF_S6_NS0_8equal_toImEEEE10hipError_tPvRmT2_T3_mT4_T5_T6_T7_T8_P12ihipStream_tbENKUlT_T0_E_clISt17integral_constantIbLb1EESZ_EEDaSU_SV_EUlSU_E_NS1_11comp_targetILNS1_3genE2ELNS1_11target_archE906ELNS1_3gpuE6ELNS1_3repE0EEENS1_30default_config_static_selectorELNS0_4arch9wavefront6targetE0EEEvT1_.private_seg_size, 0
	.set _ZN7rocprim17ROCPRIM_400000_NS6detail17trampoline_kernelINS0_14default_configENS1_33run_length_encode_config_selectorImjNS0_4plusIjEEEEZZNS1_33reduce_by_key_impl_wrapped_configILNS1_25lookback_scan_determinismE0ES3_S7_PKmNS0_17constant_iteratorIjlEEPmPlSF_S6_NS0_8equal_toImEEEE10hipError_tPvRmT2_T3_mT4_T5_T6_T7_T8_P12ihipStream_tbENKUlT_T0_E_clISt17integral_constantIbLb1EESZ_EEDaSU_SV_EUlSU_E_NS1_11comp_targetILNS1_3genE2ELNS1_11target_archE906ELNS1_3gpuE6ELNS1_3repE0EEENS1_30default_config_static_selectorELNS0_4arch9wavefront6targetE0EEEvT1_.uses_vcc, 0
	.set _ZN7rocprim17ROCPRIM_400000_NS6detail17trampoline_kernelINS0_14default_configENS1_33run_length_encode_config_selectorImjNS0_4plusIjEEEEZZNS1_33reduce_by_key_impl_wrapped_configILNS1_25lookback_scan_determinismE0ES3_S7_PKmNS0_17constant_iteratorIjlEEPmPlSF_S6_NS0_8equal_toImEEEE10hipError_tPvRmT2_T3_mT4_T5_T6_T7_T8_P12ihipStream_tbENKUlT_T0_E_clISt17integral_constantIbLb1EESZ_EEDaSU_SV_EUlSU_E_NS1_11comp_targetILNS1_3genE2ELNS1_11target_archE906ELNS1_3gpuE6ELNS1_3repE0EEENS1_30default_config_static_selectorELNS0_4arch9wavefront6targetE0EEEvT1_.uses_flat_scratch, 0
	.set _ZN7rocprim17ROCPRIM_400000_NS6detail17trampoline_kernelINS0_14default_configENS1_33run_length_encode_config_selectorImjNS0_4plusIjEEEEZZNS1_33reduce_by_key_impl_wrapped_configILNS1_25lookback_scan_determinismE0ES3_S7_PKmNS0_17constant_iteratorIjlEEPmPlSF_S6_NS0_8equal_toImEEEE10hipError_tPvRmT2_T3_mT4_T5_T6_T7_T8_P12ihipStream_tbENKUlT_T0_E_clISt17integral_constantIbLb1EESZ_EEDaSU_SV_EUlSU_E_NS1_11comp_targetILNS1_3genE2ELNS1_11target_archE906ELNS1_3gpuE6ELNS1_3repE0EEENS1_30default_config_static_selectorELNS0_4arch9wavefront6targetE0EEEvT1_.has_dyn_sized_stack, 0
	.set _ZN7rocprim17ROCPRIM_400000_NS6detail17trampoline_kernelINS0_14default_configENS1_33run_length_encode_config_selectorImjNS0_4plusIjEEEEZZNS1_33reduce_by_key_impl_wrapped_configILNS1_25lookback_scan_determinismE0ES3_S7_PKmNS0_17constant_iteratorIjlEEPmPlSF_S6_NS0_8equal_toImEEEE10hipError_tPvRmT2_T3_mT4_T5_T6_T7_T8_P12ihipStream_tbENKUlT_T0_E_clISt17integral_constantIbLb1EESZ_EEDaSU_SV_EUlSU_E_NS1_11comp_targetILNS1_3genE2ELNS1_11target_archE906ELNS1_3gpuE6ELNS1_3repE0EEENS1_30default_config_static_selectorELNS0_4arch9wavefront6targetE0EEEvT1_.has_recursion, 0
	.set _ZN7rocprim17ROCPRIM_400000_NS6detail17trampoline_kernelINS0_14default_configENS1_33run_length_encode_config_selectorImjNS0_4plusIjEEEEZZNS1_33reduce_by_key_impl_wrapped_configILNS1_25lookback_scan_determinismE0ES3_S7_PKmNS0_17constant_iteratorIjlEEPmPlSF_S6_NS0_8equal_toImEEEE10hipError_tPvRmT2_T3_mT4_T5_T6_T7_T8_P12ihipStream_tbENKUlT_T0_E_clISt17integral_constantIbLb1EESZ_EEDaSU_SV_EUlSU_E_NS1_11comp_targetILNS1_3genE2ELNS1_11target_archE906ELNS1_3gpuE6ELNS1_3repE0EEENS1_30default_config_static_selectorELNS0_4arch9wavefront6targetE0EEEvT1_.has_indirect_call, 0
	.section	.AMDGPU.csdata,"",@progbits
; Kernel info:
; codeLenInByte = 0
; TotalNumSgprs: 0
; NumVgprs: 0
; ScratchSize: 0
; MemoryBound: 0
; FloatMode: 240
; IeeeMode: 1
; LDSByteSize: 0 bytes/workgroup (compile time only)
; SGPRBlocks: 0
; VGPRBlocks: 0
; NumSGPRsForWavesPerEU: 1
; NumVGPRsForWavesPerEU: 1
; NamedBarCnt: 0
; Occupancy: 16
; WaveLimiterHint : 0
; COMPUTE_PGM_RSRC2:SCRATCH_EN: 0
; COMPUTE_PGM_RSRC2:USER_SGPR: 2
; COMPUTE_PGM_RSRC2:TRAP_HANDLER: 0
; COMPUTE_PGM_RSRC2:TGID_X_EN: 1
; COMPUTE_PGM_RSRC2:TGID_Y_EN: 0
; COMPUTE_PGM_RSRC2:TGID_Z_EN: 0
; COMPUTE_PGM_RSRC2:TIDIG_COMP_CNT: 0
	.section	.text._ZN7rocprim17ROCPRIM_400000_NS6detail17trampoline_kernelINS0_14default_configENS1_33run_length_encode_config_selectorImjNS0_4plusIjEEEEZZNS1_33reduce_by_key_impl_wrapped_configILNS1_25lookback_scan_determinismE0ES3_S7_PKmNS0_17constant_iteratorIjlEEPmPlSF_S6_NS0_8equal_toImEEEE10hipError_tPvRmT2_T3_mT4_T5_T6_T7_T8_P12ihipStream_tbENKUlT_T0_E_clISt17integral_constantIbLb1EESZ_EEDaSU_SV_EUlSU_E_NS1_11comp_targetILNS1_3genE10ELNS1_11target_archE1201ELNS1_3gpuE5ELNS1_3repE0EEENS1_30default_config_static_selectorELNS0_4arch9wavefront6targetE0EEEvT1_,"axG",@progbits,_ZN7rocprim17ROCPRIM_400000_NS6detail17trampoline_kernelINS0_14default_configENS1_33run_length_encode_config_selectorImjNS0_4plusIjEEEEZZNS1_33reduce_by_key_impl_wrapped_configILNS1_25lookback_scan_determinismE0ES3_S7_PKmNS0_17constant_iteratorIjlEEPmPlSF_S6_NS0_8equal_toImEEEE10hipError_tPvRmT2_T3_mT4_T5_T6_T7_T8_P12ihipStream_tbENKUlT_T0_E_clISt17integral_constantIbLb1EESZ_EEDaSU_SV_EUlSU_E_NS1_11comp_targetILNS1_3genE10ELNS1_11target_archE1201ELNS1_3gpuE5ELNS1_3repE0EEENS1_30default_config_static_selectorELNS0_4arch9wavefront6targetE0EEEvT1_,comdat
	.protected	_ZN7rocprim17ROCPRIM_400000_NS6detail17trampoline_kernelINS0_14default_configENS1_33run_length_encode_config_selectorImjNS0_4plusIjEEEEZZNS1_33reduce_by_key_impl_wrapped_configILNS1_25lookback_scan_determinismE0ES3_S7_PKmNS0_17constant_iteratorIjlEEPmPlSF_S6_NS0_8equal_toImEEEE10hipError_tPvRmT2_T3_mT4_T5_T6_T7_T8_P12ihipStream_tbENKUlT_T0_E_clISt17integral_constantIbLb1EESZ_EEDaSU_SV_EUlSU_E_NS1_11comp_targetILNS1_3genE10ELNS1_11target_archE1201ELNS1_3gpuE5ELNS1_3repE0EEENS1_30default_config_static_selectorELNS0_4arch9wavefront6targetE0EEEvT1_ ; -- Begin function _ZN7rocprim17ROCPRIM_400000_NS6detail17trampoline_kernelINS0_14default_configENS1_33run_length_encode_config_selectorImjNS0_4plusIjEEEEZZNS1_33reduce_by_key_impl_wrapped_configILNS1_25lookback_scan_determinismE0ES3_S7_PKmNS0_17constant_iteratorIjlEEPmPlSF_S6_NS0_8equal_toImEEEE10hipError_tPvRmT2_T3_mT4_T5_T6_T7_T8_P12ihipStream_tbENKUlT_T0_E_clISt17integral_constantIbLb1EESZ_EEDaSU_SV_EUlSU_E_NS1_11comp_targetILNS1_3genE10ELNS1_11target_archE1201ELNS1_3gpuE5ELNS1_3repE0EEENS1_30default_config_static_selectorELNS0_4arch9wavefront6targetE0EEEvT1_
	.globl	_ZN7rocprim17ROCPRIM_400000_NS6detail17trampoline_kernelINS0_14default_configENS1_33run_length_encode_config_selectorImjNS0_4plusIjEEEEZZNS1_33reduce_by_key_impl_wrapped_configILNS1_25lookback_scan_determinismE0ES3_S7_PKmNS0_17constant_iteratorIjlEEPmPlSF_S6_NS0_8equal_toImEEEE10hipError_tPvRmT2_T3_mT4_T5_T6_T7_T8_P12ihipStream_tbENKUlT_T0_E_clISt17integral_constantIbLb1EESZ_EEDaSU_SV_EUlSU_E_NS1_11comp_targetILNS1_3genE10ELNS1_11target_archE1201ELNS1_3gpuE5ELNS1_3repE0EEENS1_30default_config_static_selectorELNS0_4arch9wavefront6targetE0EEEvT1_
	.p2align	8
	.type	_ZN7rocprim17ROCPRIM_400000_NS6detail17trampoline_kernelINS0_14default_configENS1_33run_length_encode_config_selectorImjNS0_4plusIjEEEEZZNS1_33reduce_by_key_impl_wrapped_configILNS1_25lookback_scan_determinismE0ES3_S7_PKmNS0_17constant_iteratorIjlEEPmPlSF_S6_NS0_8equal_toImEEEE10hipError_tPvRmT2_T3_mT4_T5_T6_T7_T8_P12ihipStream_tbENKUlT_T0_E_clISt17integral_constantIbLb1EESZ_EEDaSU_SV_EUlSU_E_NS1_11comp_targetILNS1_3genE10ELNS1_11target_archE1201ELNS1_3gpuE5ELNS1_3repE0EEENS1_30default_config_static_selectorELNS0_4arch9wavefront6targetE0EEEvT1_,@function
_ZN7rocprim17ROCPRIM_400000_NS6detail17trampoline_kernelINS0_14default_configENS1_33run_length_encode_config_selectorImjNS0_4plusIjEEEEZZNS1_33reduce_by_key_impl_wrapped_configILNS1_25lookback_scan_determinismE0ES3_S7_PKmNS0_17constant_iteratorIjlEEPmPlSF_S6_NS0_8equal_toImEEEE10hipError_tPvRmT2_T3_mT4_T5_T6_T7_T8_P12ihipStream_tbENKUlT_T0_E_clISt17integral_constantIbLb1EESZ_EEDaSU_SV_EUlSU_E_NS1_11comp_targetILNS1_3genE10ELNS1_11target_archE1201ELNS1_3gpuE5ELNS1_3repE0EEENS1_30default_config_static_selectorELNS0_4arch9wavefront6targetE0EEEvT1_: ; @_ZN7rocprim17ROCPRIM_400000_NS6detail17trampoline_kernelINS0_14default_configENS1_33run_length_encode_config_selectorImjNS0_4plusIjEEEEZZNS1_33reduce_by_key_impl_wrapped_configILNS1_25lookback_scan_determinismE0ES3_S7_PKmNS0_17constant_iteratorIjlEEPmPlSF_S6_NS0_8equal_toImEEEE10hipError_tPvRmT2_T3_mT4_T5_T6_T7_T8_P12ihipStream_tbENKUlT_T0_E_clISt17integral_constantIbLb1EESZ_EEDaSU_SV_EUlSU_E_NS1_11comp_targetILNS1_3genE10ELNS1_11target_archE1201ELNS1_3gpuE5ELNS1_3repE0EEENS1_30default_config_static_selectorELNS0_4arch9wavefront6targetE0EEEvT1_
; %bb.0:
	.section	.rodata,"a",@progbits
	.p2align	6, 0x0
	.amdhsa_kernel _ZN7rocprim17ROCPRIM_400000_NS6detail17trampoline_kernelINS0_14default_configENS1_33run_length_encode_config_selectorImjNS0_4plusIjEEEEZZNS1_33reduce_by_key_impl_wrapped_configILNS1_25lookback_scan_determinismE0ES3_S7_PKmNS0_17constant_iteratorIjlEEPmPlSF_S6_NS0_8equal_toImEEEE10hipError_tPvRmT2_T3_mT4_T5_T6_T7_T8_P12ihipStream_tbENKUlT_T0_E_clISt17integral_constantIbLb1EESZ_EEDaSU_SV_EUlSU_E_NS1_11comp_targetILNS1_3genE10ELNS1_11target_archE1201ELNS1_3gpuE5ELNS1_3repE0EEENS1_30default_config_static_selectorELNS0_4arch9wavefront6targetE0EEEvT1_
		.amdhsa_group_segment_fixed_size 0
		.amdhsa_private_segment_fixed_size 0
		.amdhsa_kernarg_size 128
		.amdhsa_user_sgpr_count 2
		.amdhsa_user_sgpr_dispatch_ptr 0
		.amdhsa_user_sgpr_queue_ptr 0
		.amdhsa_user_sgpr_kernarg_segment_ptr 1
		.amdhsa_user_sgpr_dispatch_id 0
		.amdhsa_user_sgpr_kernarg_preload_length 0
		.amdhsa_user_sgpr_kernarg_preload_offset 0
		.amdhsa_user_sgpr_private_segment_size 0
		.amdhsa_wavefront_size32 1
		.amdhsa_uses_dynamic_stack 0
		.amdhsa_enable_private_segment 0
		.amdhsa_system_sgpr_workgroup_id_x 1
		.amdhsa_system_sgpr_workgroup_id_y 0
		.amdhsa_system_sgpr_workgroup_id_z 0
		.amdhsa_system_sgpr_workgroup_info 0
		.amdhsa_system_vgpr_workitem_id 0
		.amdhsa_next_free_vgpr 1
		.amdhsa_next_free_sgpr 1
		.amdhsa_named_barrier_count 0
		.amdhsa_reserve_vcc 0
		.amdhsa_float_round_mode_32 0
		.amdhsa_float_round_mode_16_64 0
		.amdhsa_float_denorm_mode_32 3
		.amdhsa_float_denorm_mode_16_64 3
		.amdhsa_fp16_overflow 0
		.amdhsa_memory_ordered 1
		.amdhsa_forward_progress 1
		.amdhsa_inst_pref_size 0
		.amdhsa_round_robin_scheduling 0
		.amdhsa_exception_fp_ieee_invalid_op 0
		.amdhsa_exception_fp_denorm_src 0
		.amdhsa_exception_fp_ieee_div_zero 0
		.amdhsa_exception_fp_ieee_overflow 0
		.amdhsa_exception_fp_ieee_underflow 0
		.amdhsa_exception_fp_ieee_inexact 0
		.amdhsa_exception_int_div_zero 0
	.end_amdhsa_kernel
	.section	.text._ZN7rocprim17ROCPRIM_400000_NS6detail17trampoline_kernelINS0_14default_configENS1_33run_length_encode_config_selectorImjNS0_4plusIjEEEEZZNS1_33reduce_by_key_impl_wrapped_configILNS1_25lookback_scan_determinismE0ES3_S7_PKmNS0_17constant_iteratorIjlEEPmPlSF_S6_NS0_8equal_toImEEEE10hipError_tPvRmT2_T3_mT4_T5_T6_T7_T8_P12ihipStream_tbENKUlT_T0_E_clISt17integral_constantIbLb1EESZ_EEDaSU_SV_EUlSU_E_NS1_11comp_targetILNS1_3genE10ELNS1_11target_archE1201ELNS1_3gpuE5ELNS1_3repE0EEENS1_30default_config_static_selectorELNS0_4arch9wavefront6targetE0EEEvT1_,"axG",@progbits,_ZN7rocprim17ROCPRIM_400000_NS6detail17trampoline_kernelINS0_14default_configENS1_33run_length_encode_config_selectorImjNS0_4plusIjEEEEZZNS1_33reduce_by_key_impl_wrapped_configILNS1_25lookback_scan_determinismE0ES3_S7_PKmNS0_17constant_iteratorIjlEEPmPlSF_S6_NS0_8equal_toImEEEE10hipError_tPvRmT2_T3_mT4_T5_T6_T7_T8_P12ihipStream_tbENKUlT_T0_E_clISt17integral_constantIbLb1EESZ_EEDaSU_SV_EUlSU_E_NS1_11comp_targetILNS1_3genE10ELNS1_11target_archE1201ELNS1_3gpuE5ELNS1_3repE0EEENS1_30default_config_static_selectorELNS0_4arch9wavefront6targetE0EEEvT1_,comdat
.Lfunc_end732:
	.size	_ZN7rocprim17ROCPRIM_400000_NS6detail17trampoline_kernelINS0_14default_configENS1_33run_length_encode_config_selectorImjNS0_4plusIjEEEEZZNS1_33reduce_by_key_impl_wrapped_configILNS1_25lookback_scan_determinismE0ES3_S7_PKmNS0_17constant_iteratorIjlEEPmPlSF_S6_NS0_8equal_toImEEEE10hipError_tPvRmT2_T3_mT4_T5_T6_T7_T8_P12ihipStream_tbENKUlT_T0_E_clISt17integral_constantIbLb1EESZ_EEDaSU_SV_EUlSU_E_NS1_11comp_targetILNS1_3genE10ELNS1_11target_archE1201ELNS1_3gpuE5ELNS1_3repE0EEENS1_30default_config_static_selectorELNS0_4arch9wavefront6targetE0EEEvT1_, .Lfunc_end732-_ZN7rocprim17ROCPRIM_400000_NS6detail17trampoline_kernelINS0_14default_configENS1_33run_length_encode_config_selectorImjNS0_4plusIjEEEEZZNS1_33reduce_by_key_impl_wrapped_configILNS1_25lookback_scan_determinismE0ES3_S7_PKmNS0_17constant_iteratorIjlEEPmPlSF_S6_NS0_8equal_toImEEEE10hipError_tPvRmT2_T3_mT4_T5_T6_T7_T8_P12ihipStream_tbENKUlT_T0_E_clISt17integral_constantIbLb1EESZ_EEDaSU_SV_EUlSU_E_NS1_11comp_targetILNS1_3genE10ELNS1_11target_archE1201ELNS1_3gpuE5ELNS1_3repE0EEENS1_30default_config_static_selectorELNS0_4arch9wavefront6targetE0EEEvT1_
                                        ; -- End function
	.set _ZN7rocprim17ROCPRIM_400000_NS6detail17trampoline_kernelINS0_14default_configENS1_33run_length_encode_config_selectorImjNS0_4plusIjEEEEZZNS1_33reduce_by_key_impl_wrapped_configILNS1_25lookback_scan_determinismE0ES3_S7_PKmNS0_17constant_iteratorIjlEEPmPlSF_S6_NS0_8equal_toImEEEE10hipError_tPvRmT2_T3_mT4_T5_T6_T7_T8_P12ihipStream_tbENKUlT_T0_E_clISt17integral_constantIbLb1EESZ_EEDaSU_SV_EUlSU_E_NS1_11comp_targetILNS1_3genE10ELNS1_11target_archE1201ELNS1_3gpuE5ELNS1_3repE0EEENS1_30default_config_static_selectorELNS0_4arch9wavefront6targetE0EEEvT1_.num_vgpr, 0
	.set _ZN7rocprim17ROCPRIM_400000_NS6detail17trampoline_kernelINS0_14default_configENS1_33run_length_encode_config_selectorImjNS0_4plusIjEEEEZZNS1_33reduce_by_key_impl_wrapped_configILNS1_25lookback_scan_determinismE0ES3_S7_PKmNS0_17constant_iteratorIjlEEPmPlSF_S6_NS0_8equal_toImEEEE10hipError_tPvRmT2_T3_mT4_T5_T6_T7_T8_P12ihipStream_tbENKUlT_T0_E_clISt17integral_constantIbLb1EESZ_EEDaSU_SV_EUlSU_E_NS1_11comp_targetILNS1_3genE10ELNS1_11target_archE1201ELNS1_3gpuE5ELNS1_3repE0EEENS1_30default_config_static_selectorELNS0_4arch9wavefront6targetE0EEEvT1_.num_agpr, 0
	.set _ZN7rocprim17ROCPRIM_400000_NS6detail17trampoline_kernelINS0_14default_configENS1_33run_length_encode_config_selectorImjNS0_4plusIjEEEEZZNS1_33reduce_by_key_impl_wrapped_configILNS1_25lookback_scan_determinismE0ES3_S7_PKmNS0_17constant_iteratorIjlEEPmPlSF_S6_NS0_8equal_toImEEEE10hipError_tPvRmT2_T3_mT4_T5_T6_T7_T8_P12ihipStream_tbENKUlT_T0_E_clISt17integral_constantIbLb1EESZ_EEDaSU_SV_EUlSU_E_NS1_11comp_targetILNS1_3genE10ELNS1_11target_archE1201ELNS1_3gpuE5ELNS1_3repE0EEENS1_30default_config_static_selectorELNS0_4arch9wavefront6targetE0EEEvT1_.numbered_sgpr, 0
	.set _ZN7rocprim17ROCPRIM_400000_NS6detail17trampoline_kernelINS0_14default_configENS1_33run_length_encode_config_selectorImjNS0_4plusIjEEEEZZNS1_33reduce_by_key_impl_wrapped_configILNS1_25lookback_scan_determinismE0ES3_S7_PKmNS0_17constant_iteratorIjlEEPmPlSF_S6_NS0_8equal_toImEEEE10hipError_tPvRmT2_T3_mT4_T5_T6_T7_T8_P12ihipStream_tbENKUlT_T0_E_clISt17integral_constantIbLb1EESZ_EEDaSU_SV_EUlSU_E_NS1_11comp_targetILNS1_3genE10ELNS1_11target_archE1201ELNS1_3gpuE5ELNS1_3repE0EEENS1_30default_config_static_selectorELNS0_4arch9wavefront6targetE0EEEvT1_.num_named_barrier, 0
	.set _ZN7rocprim17ROCPRIM_400000_NS6detail17trampoline_kernelINS0_14default_configENS1_33run_length_encode_config_selectorImjNS0_4plusIjEEEEZZNS1_33reduce_by_key_impl_wrapped_configILNS1_25lookback_scan_determinismE0ES3_S7_PKmNS0_17constant_iteratorIjlEEPmPlSF_S6_NS0_8equal_toImEEEE10hipError_tPvRmT2_T3_mT4_T5_T6_T7_T8_P12ihipStream_tbENKUlT_T0_E_clISt17integral_constantIbLb1EESZ_EEDaSU_SV_EUlSU_E_NS1_11comp_targetILNS1_3genE10ELNS1_11target_archE1201ELNS1_3gpuE5ELNS1_3repE0EEENS1_30default_config_static_selectorELNS0_4arch9wavefront6targetE0EEEvT1_.private_seg_size, 0
	.set _ZN7rocprim17ROCPRIM_400000_NS6detail17trampoline_kernelINS0_14default_configENS1_33run_length_encode_config_selectorImjNS0_4plusIjEEEEZZNS1_33reduce_by_key_impl_wrapped_configILNS1_25lookback_scan_determinismE0ES3_S7_PKmNS0_17constant_iteratorIjlEEPmPlSF_S6_NS0_8equal_toImEEEE10hipError_tPvRmT2_T3_mT4_T5_T6_T7_T8_P12ihipStream_tbENKUlT_T0_E_clISt17integral_constantIbLb1EESZ_EEDaSU_SV_EUlSU_E_NS1_11comp_targetILNS1_3genE10ELNS1_11target_archE1201ELNS1_3gpuE5ELNS1_3repE0EEENS1_30default_config_static_selectorELNS0_4arch9wavefront6targetE0EEEvT1_.uses_vcc, 0
	.set _ZN7rocprim17ROCPRIM_400000_NS6detail17trampoline_kernelINS0_14default_configENS1_33run_length_encode_config_selectorImjNS0_4plusIjEEEEZZNS1_33reduce_by_key_impl_wrapped_configILNS1_25lookback_scan_determinismE0ES3_S7_PKmNS0_17constant_iteratorIjlEEPmPlSF_S6_NS0_8equal_toImEEEE10hipError_tPvRmT2_T3_mT4_T5_T6_T7_T8_P12ihipStream_tbENKUlT_T0_E_clISt17integral_constantIbLb1EESZ_EEDaSU_SV_EUlSU_E_NS1_11comp_targetILNS1_3genE10ELNS1_11target_archE1201ELNS1_3gpuE5ELNS1_3repE0EEENS1_30default_config_static_selectorELNS0_4arch9wavefront6targetE0EEEvT1_.uses_flat_scratch, 0
	.set _ZN7rocprim17ROCPRIM_400000_NS6detail17trampoline_kernelINS0_14default_configENS1_33run_length_encode_config_selectorImjNS0_4plusIjEEEEZZNS1_33reduce_by_key_impl_wrapped_configILNS1_25lookback_scan_determinismE0ES3_S7_PKmNS0_17constant_iteratorIjlEEPmPlSF_S6_NS0_8equal_toImEEEE10hipError_tPvRmT2_T3_mT4_T5_T6_T7_T8_P12ihipStream_tbENKUlT_T0_E_clISt17integral_constantIbLb1EESZ_EEDaSU_SV_EUlSU_E_NS1_11comp_targetILNS1_3genE10ELNS1_11target_archE1201ELNS1_3gpuE5ELNS1_3repE0EEENS1_30default_config_static_selectorELNS0_4arch9wavefront6targetE0EEEvT1_.has_dyn_sized_stack, 0
	.set _ZN7rocprim17ROCPRIM_400000_NS6detail17trampoline_kernelINS0_14default_configENS1_33run_length_encode_config_selectorImjNS0_4plusIjEEEEZZNS1_33reduce_by_key_impl_wrapped_configILNS1_25lookback_scan_determinismE0ES3_S7_PKmNS0_17constant_iteratorIjlEEPmPlSF_S6_NS0_8equal_toImEEEE10hipError_tPvRmT2_T3_mT4_T5_T6_T7_T8_P12ihipStream_tbENKUlT_T0_E_clISt17integral_constantIbLb1EESZ_EEDaSU_SV_EUlSU_E_NS1_11comp_targetILNS1_3genE10ELNS1_11target_archE1201ELNS1_3gpuE5ELNS1_3repE0EEENS1_30default_config_static_selectorELNS0_4arch9wavefront6targetE0EEEvT1_.has_recursion, 0
	.set _ZN7rocprim17ROCPRIM_400000_NS6detail17trampoline_kernelINS0_14default_configENS1_33run_length_encode_config_selectorImjNS0_4plusIjEEEEZZNS1_33reduce_by_key_impl_wrapped_configILNS1_25lookback_scan_determinismE0ES3_S7_PKmNS0_17constant_iteratorIjlEEPmPlSF_S6_NS0_8equal_toImEEEE10hipError_tPvRmT2_T3_mT4_T5_T6_T7_T8_P12ihipStream_tbENKUlT_T0_E_clISt17integral_constantIbLb1EESZ_EEDaSU_SV_EUlSU_E_NS1_11comp_targetILNS1_3genE10ELNS1_11target_archE1201ELNS1_3gpuE5ELNS1_3repE0EEENS1_30default_config_static_selectorELNS0_4arch9wavefront6targetE0EEEvT1_.has_indirect_call, 0
	.section	.AMDGPU.csdata,"",@progbits
; Kernel info:
; codeLenInByte = 0
; TotalNumSgprs: 0
; NumVgprs: 0
; ScratchSize: 0
; MemoryBound: 0
; FloatMode: 240
; IeeeMode: 1
; LDSByteSize: 0 bytes/workgroup (compile time only)
; SGPRBlocks: 0
; VGPRBlocks: 0
; NumSGPRsForWavesPerEU: 1
; NumVGPRsForWavesPerEU: 1
; NamedBarCnt: 0
; Occupancy: 16
; WaveLimiterHint : 0
; COMPUTE_PGM_RSRC2:SCRATCH_EN: 0
; COMPUTE_PGM_RSRC2:USER_SGPR: 2
; COMPUTE_PGM_RSRC2:TRAP_HANDLER: 0
; COMPUTE_PGM_RSRC2:TGID_X_EN: 1
; COMPUTE_PGM_RSRC2:TGID_Y_EN: 0
; COMPUTE_PGM_RSRC2:TGID_Z_EN: 0
; COMPUTE_PGM_RSRC2:TIDIG_COMP_CNT: 0
	.section	.text._ZN7rocprim17ROCPRIM_400000_NS6detail17trampoline_kernelINS0_14default_configENS1_33run_length_encode_config_selectorImjNS0_4plusIjEEEEZZNS1_33reduce_by_key_impl_wrapped_configILNS1_25lookback_scan_determinismE0ES3_S7_PKmNS0_17constant_iteratorIjlEEPmPlSF_S6_NS0_8equal_toImEEEE10hipError_tPvRmT2_T3_mT4_T5_T6_T7_T8_P12ihipStream_tbENKUlT_T0_E_clISt17integral_constantIbLb1EESZ_EEDaSU_SV_EUlSU_E_NS1_11comp_targetILNS1_3genE10ELNS1_11target_archE1200ELNS1_3gpuE4ELNS1_3repE0EEENS1_30default_config_static_selectorELNS0_4arch9wavefront6targetE0EEEvT1_,"axG",@progbits,_ZN7rocprim17ROCPRIM_400000_NS6detail17trampoline_kernelINS0_14default_configENS1_33run_length_encode_config_selectorImjNS0_4plusIjEEEEZZNS1_33reduce_by_key_impl_wrapped_configILNS1_25lookback_scan_determinismE0ES3_S7_PKmNS0_17constant_iteratorIjlEEPmPlSF_S6_NS0_8equal_toImEEEE10hipError_tPvRmT2_T3_mT4_T5_T6_T7_T8_P12ihipStream_tbENKUlT_T0_E_clISt17integral_constantIbLb1EESZ_EEDaSU_SV_EUlSU_E_NS1_11comp_targetILNS1_3genE10ELNS1_11target_archE1200ELNS1_3gpuE4ELNS1_3repE0EEENS1_30default_config_static_selectorELNS0_4arch9wavefront6targetE0EEEvT1_,comdat
	.protected	_ZN7rocprim17ROCPRIM_400000_NS6detail17trampoline_kernelINS0_14default_configENS1_33run_length_encode_config_selectorImjNS0_4plusIjEEEEZZNS1_33reduce_by_key_impl_wrapped_configILNS1_25lookback_scan_determinismE0ES3_S7_PKmNS0_17constant_iteratorIjlEEPmPlSF_S6_NS0_8equal_toImEEEE10hipError_tPvRmT2_T3_mT4_T5_T6_T7_T8_P12ihipStream_tbENKUlT_T0_E_clISt17integral_constantIbLb1EESZ_EEDaSU_SV_EUlSU_E_NS1_11comp_targetILNS1_3genE10ELNS1_11target_archE1200ELNS1_3gpuE4ELNS1_3repE0EEENS1_30default_config_static_selectorELNS0_4arch9wavefront6targetE0EEEvT1_ ; -- Begin function _ZN7rocprim17ROCPRIM_400000_NS6detail17trampoline_kernelINS0_14default_configENS1_33run_length_encode_config_selectorImjNS0_4plusIjEEEEZZNS1_33reduce_by_key_impl_wrapped_configILNS1_25lookback_scan_determinismE0ES3_S7_PKmNS0_17constant_iteratorIjlEEPmPlSF_S6_NS0_8equal_toImEEEE10hipError_tPvRmT2_T3_mT4_T5_T6_T7_T8_P12ihipStream_tbENKUlT_T0_E_clISt17integral_constantIbLb1EESZ_EEDaSU_SV_EUlSU_E_NS1_11comp_targetILNS1_3genE10ELNS1_11target_archE1200ELNS1_3gpuE4ELNS1_3repE0EEENS1_30default_config_static_selectorELNS0_4arch9wavefront6targetE0EEEvT1_
	.globl	_ZN7rocprim17ROCPRIM_400000_NS6detail17trampoline_kernelINS0_14default_configENS1_33run_length_encode_config_selectorImjNS0_4plusIjEEEEZZNS1_33reduce_by_key_impl_wrapped_configILNS1_25lookback_scan_determinismE0ES3_S7_PKmNS0_17constant_iteratorIjlEEPmPlSF_S6_NS0_8equal_toImEEEE10hipError_tPvRmT2_T3_mT4_T5_T6_T7_T8_P12ihipStream_tbENKUlT_T0_E_clISt17integral_constantIbLb1EESZ_EEDaSU_SV_EUlSU_E_NS1_11comp_targetILNS1_3genE10ELNS1_11target_archE1200ELNS1_3gpuE4ELNS1_3repE0EEENS1_30default_config_static_selectorELNS0_4arch9wavefront6targetE0EEEvT1_
	.p2align	8
	.type	_ZN7rocprim17ROCPRIM_400000_NS6detail17trampoline_kernelINS0_14default_configENS1_33run_length_encode_config_selectorImjNS0_4plusIjEEEEZZNS1_33reduce_by_key_impl_wrapped_configILNS1_25lookback_scan_determinismE0ES3_S7_PKmNS0_17constant_iteratorIjlEEPmPlSF_S6_NS0_8equal_toImEEEE10hipError_tPvRmT2_T3_mT4_T5_T6_T7_T8_P12ihipStream_tbENKUlT_T0_E_clISt17integral_constantIbLb1EESZ_EEDaSU_SV_EUlSU_E_NS1_11comp_targetILNS1_3genE10ELNS1_11target_archE1200ELNS1_3gpuE4ELNS1_3repE0EEENS1_30default_config_static_selectorELNS0_4arch9wavefront6targetE0EEEvT1_,@function
_ZN7rocprim17ROCPRIM_400000_NS6detail17trampoline_kernelINS0_14default_configENS1_33run_length_encode_config_selectorImjNS0_4plusIjEEEEZZNS1_33reduce_by_key_impl_wrapped_configILNS1_25lookback_scan_determinismE0ES3_S7_PKmNS0_17constant_iteratorIjlEEPmPlSF_S6_NS0_8equal_toImEEEE10hipError_tPvRmT2_T3_mT4_T5_T6_T7_T8_P12ihipStream_tbENKUlT_T0_E_clISt17integral_constantIbLb1EESZ_EEDaSU_SV_EUlSU_E_NS1_11comp_targetILNS1_3genE10ELNS1_11target_archE1200ELNS1_3gpuE4ELNS1_3repE0EEENS1_30default_config_static_selectorELNS0_4arch9wavefront6targetE0EEEvT1_: ; @_ZN7rocprim17ROCPRIM_400000_NS6detail17trampoline_kernelINS0_14default_configENS1_33run_length_encode_config_selectorImjNS0_4plusIjEEEEZZNS1_33reduce_by_key_impl_wrapped_configILNS1_25lookback_scan_determinismE0ES3_S7_PKmNS0_17constant_iteratorIjlEEPmPlSF_S6_NS0_8equal_toImEEEE10hipError_tPvRmT2_T3_mT4_T5_T6_T7_T8_P12ihipStream_tbENKUlT_T0_E_clISt17integral_constantIbLb1EESZ_EEDaSU_SV_EUlSU_E_NS1_11comp_targetILNS1_3genE10ELNS1_11target_archE1200ELNS1_3gpuE4ELNS1_3repE0EEENS1_30default_config_static_selectorELNS0_4arch9wavefront6targetE0EEEvT1_
; %bb.0:
	.section	.rodata,"a",@progbits
	.p2align	6, 0x0
	.amdhsa_kernel _ZN7rocprim17ROCPRIM_400000_NS6detail17trampoline_kernelINS0_14default_configENS1_33run_length_encode_config_selectorImjNS0_4plusIjEEEEZZNS1_33reduce_by_key_impl_wrapped_configILNS1_25lookback_scan_determinismE0ES3_S7_PKmNS0_17constant_iteratorIjlEEPmPlSF_S6_NS0_8equal_toImEEEE10hipError_tPvRmT2_T3_mT4_T5_T6_T7_T8_P12ihipStream_tbENKUlT_T0_E_clISt17integral_constantIbLb1EESZ_EEDaSU_SV_EUlSU_E_NS1_11comp_targetILNS1_3genE10ELNS1_11target_archE1200ELNS1_3gpuE4ELNS1_3repE0EEENS1_30default_config_static_selectorELNS0_4arch9wavefront6targetE0EEEvT1_
		.amdhsa_group_segment_fixed_size 0
		.amdhsa_private_segment_fixed_size 0
		.amdhsa_kernarg_size 128
		.amdhsa_user_sgpr_count 2
		.amdhsa_user_sgpr_dispatch_ptr 0
		.amdhsa_user_sgpr_queue_ptr 0
		.amdhsa_user_sgpr_kernarg_segment_ptr 1
		.amdhsa_user_sgpr_dispatch_id 0
		.amdhsa_user_sgpr_kernarg_preload_length 0
		.amdhsa_user_sgpr_kernarg_preload_offset 0
		.amdhsa_user_sgpr_private_segment_size 0
		.amdhsa_wavefront_size32 1
		.amdhsa_uses_dynamic_stack 0
		.amdhsa_enable_private_segment 0
		.amdhsa_system_sgpr_workgroup_id_x 1
		.amdhsa_system_sgpr_workgroup_id_y 0
		.amdhsa_system_sgpr_workgroup_id_z 0
		.amdhsa_system_sgpr_workgroup_info 0
		.amdhsa_system_vgpr_workitem_id 0
		.amdhsa_next_free_vgpr 1
		.amdhsa_next_free_sgpr 1
		.amdhsa_named_barrier_count 0
		.amdhsa_reserve_vcc 0
		.amdhsa_float_round_mode_32 0
		.amdhsa_float_round_mode_16_64 0
		.amdhsa_float_denorm_mode_32 3
		.amdhsa_float_denorm_mode_16_64 3
		.amdhsa_fp16_overflow 0
		.amdhsa_memory_ordered 1
		.amdhsa_forward_progress 1
		.amdhsa_inst_pref_size 0
		.amdhsa_round_robin_scheduling 0
		.amdhsa_exception_fp_ieee_invalid_op 0
		.amdhsa_exception_fp_denorm_src 0
		.amdhsa_exception_fp_ieee_div_zero 0
		.amdhsa_exception_fp_ieee_overflow 0
		.amdhsa_exception_fp_ieee_underflow 0
		.amdhsa_exception_fp_ieee_inexact 0
		.amdhsa_exception_int_div_zero 0
	.end_amdhsa_kernel
	.section	.text._ZN7rocprim17ROCPRIM_400000_NS6detail17trampoline_kernelINS0_14default_configENS1_33run_length_encode_config_selectorImjNS0_4plusIjEEEEZZNS1_33reduce_by_key_impl_wrapped_configILNS1_25lookback_scan_determinismE0ES3_S7_PKmNS0_17constant_iteratorIjlEEPmPlSF_S6_NS0_8equal_toImEEEE10hipError_tPvRmT2_T3_mT4_T5_T6_T7_T8_P12ihipStream_tbENKUlT_T0_E_clISt17integral_constantIbLb1EESZ_EEDaSU_SV_EUlSU_E_NS1_11comp_targetILNS1_3genE10ELNS1_11target_archE1200ELNS1_3gpuE4ELNS1_3repE0EEENS1_30default_config_static_selectorELNS0_4arch9wavefront6targetE0EEEvT1_,"axG",@progbits,_ZN7rocprim17ROCPRIM_400000_NS6detail17trampoline_kernelINS0_14default_configENS1_33run_length_encode_config_selectorImjNS0_4plusIjEEEEZZNS1_33reduce_by_key_impl_wrapped_configILNS1_25lookback_scan_determinismE0ES3_S7_PKmNS0_17constant_iteratorIjlEEPmPlSF_S6_NS0_8equal_toImEEEE10hipError_tPvRmT2_T3_mT4_T5_T6_T7_T8_P12ihipStream_tbENKUlT_T0_E_clISt17integral_constantIbLb1EESZ_EEDaSU_SV_EUlSU_E_NS1_11comp_targetILNS1_3genE10ELNS1_11target_archE1200ELNS1_3gpuE4ELNS1_3repE0EEENS1_30default_config_static_selectorELNS0_4arch9wavefront6targetE0EEEvT1_,comdat
.Lfunc_end733:
	.size	_ZN7rocprim17ROCPRIM_400000_NS6detail17trampoline_kernelINS0_14default_configENS1_33run_length_encode_config_selectorImjNS0_4plusIjEEEEZZNS1_33reduce_by_key_impl_wrapped_configILNS1_25lookback_scan_determinismE0ES3_S7_PKmNS0_17constant_iteratorIjlEEPmPlSF_S6_NS0_8equal_toImEEEE10hipError_tPvRmT2_T3_mT4_T5_T6_T7_T8_P12ihipStream_tbENKUlT_T0_E_clISt17integral_constantIbLb1EESZ_EEDaSU_SV_EUlSU_E_NS1_11comp_targetILNS1_3genE10ELNS1_11target_archE1200ELNS1_3gpuE4ELNS1_3repE0EEENS1_30default_config_static_selectorELNS0_4arch9wavefront6targetE0EEEvT1_, .Lfunc_end733-_ZN7rocprim17ROCPRIM_400000_NS6detail17trampoline_kernelINS0_14default_configENS1_33run_length_encode_config_selectorImjNS0_4plusIjEEEEZZNS1_33reduce_by_key_impl_wrapped_configILNS1_25lookback_scan_determinismE0ES3_S7_PKmNS0_17constant_iteratorIjlEEPmPlSF_S6_NS0_8equal_toImEEEE10hipError_tPvRmT2_T3_mT4_T5_T6_T7_T8_P12ihipStream_tbENKUlT_T0_E_clISt17integral_constantIbLb1EESZ_EEDaSU_SV_EUlSU_E_NS1_11comp_targetILNS1_3genE10ELNS1_11target_archE1200ELNS1_3gpuE4ELNS1_3repE0EEENS1_30default_config_static_selectorELNS0_4arch9wavefront6targetE0EEEvT1_
                                        ; -- End function
	.set _ZN7rocprim17ROCPRIM_400000_NS6detail17trampoline_kernelINS0_14default_configENS1_33run_length_encode_config_selectorImjNS0_4plusIjEEEEZZNS1_33reduce_by_key_impl_wrapped_configILNS1_25lookback_scan_determinismE0ES3_S7_PKmNS0_17constant_iteratorIjlEEPmPlSF_S6_NS0_8equal_toImEEEE10hipError_tPvRmT2_T3_mT4_T5_T6_T7_T8_P12ihipStream_tbENKUlT_T0_E_clISt17integral_constantIbLb1EESZ_EEDaSU_SV_EUlSU_E_NS1_11comp_targetILNS1_3genE10ELNS1_11target_archE1200ELNS1_3gpuE4ELNS1_3repE0EEENS1_30default_config_static_selectorELNS0_4arch9wavefront6targetE0EEEvT1_.num_vgpr, 0
	.set _ZN7rocprim17ROCPRIM_400000_NS6detail17trampoline_kernelINS0_14default_configENS1_33run_length_encode_config_selectorImjNS0_4plusIjEEEEZZNS1_33reduce_by_key_impl_wrapped_configILNS1_25lookback_scan_determinismE0ES3_S7_PKmNS0_17constant_iteratorIjlEEPmPlSF_S6_NS0_8equal_toImEEEE10hipError_tPvRmT2_T3_mT4_T5_T6_T7_T8_P12ihipStream_tbENKUlT_T0_E_clISt17integral_constantIbLb1EESZ_EEDaSU_SV_EUlSU_E_NS1_11comp_targetILNS1_3genE10ELNS1_11target_archE1200ELNS1_3gpuE4ELNS1_3repE0EEENS1_30default_config_static_selectorELNS0_4arch9wavefront6targetE0EEEvT1_.num_agpr, 0
	.set _ZN7rocprim17ROCPRIM_400000_NS6detail17trampoline_kernelINS0_14default_configENS1_33run_length_encode_config_selectorImjNS0_4plusIjEEEEZZNS1_33reduce_by_key_impl_wrapped_configILNS1_25lookback_scan_determinismE0ES3_S7_PKmNS0_17constant_iteratorIjlEEPmPlSF_S6_NS0_8equal_toImEEEE10hipError_tPvRmT2_T3_mT4_T5_T6_T7_T8_P12ihipStream_tbENKUlT_T0_E_clISt17integral_constantIbLb1EESZ_EEDaSU_SV_EUlSU_E_NS1_11comp_targetILNS1_3genE10ELNS1_11target_archE1200ELNS1_3gpuE4ELNS1_3repE0EEENS1_30default_config_static_selectorELNS0_4arch9wavefront6targetE0EEEvT1_.numbered_sgpr, 0
	.set _ZN7rocprim17ROCPRIM_400000_NS6detail17trampoline_kernelINS0_14default_configENS1_33run_length_encode_config_selectorImjNS0_4plusIjEEEEZZNS1_33reduce_by_key_impl_wrapped_configILNS1_25lookback_scan_determinismE0ES3_S7_PKmNS0_17constant_iteratorIjlEEPmPlSF_S6_NS0_8equal_toImEEEE10hipError_tPvRmT2_T3_mT4_T5_T6_T7_T8_P12ihipStream_tbENKUlT_T0_E_clISt17integral_constantIbLb1EESZ_EEDaSU_SV_EUlSU_E_NS1_11comp_targetILNS1_3genE10ELNS1_11target_archE1200ELNS1_3gpuE4ELNS1_3repE0EEENS1_30default_config_static_selectorELNS0_4arch9wavefront6targetE0EEEvT1_.num_named_barrier, 0
	.set _ZN7rocprim17ROCPRIM_400000_NS6detail17trampoline_kernelINS0_14default_configENS1_33run_length_encode_config_selectorImjNS0_4plusIjEEEEZZNS1_33reduce_by_key_impl_wrapped_configILNS1_25lookback_scan_determinismE0ES3_S7_PKmNS0_17constant_iteratorIjlEEPmPlSF_S6_NS0_8equal_toImEEEE10hipError_tPvRmT2_T3_mT4_T5_T6_T7_T8_P12ihipStream_tbENKUlT_T0_E_clISt17integral_constantIbLb1EESZ_EEDaSU_SV_EUlSU_E_NS1_11comp_targetILNS1_3genE10ELNS1_11target_archE1200ELNS1_3gpuE4ELNS1_3repE0EEENS1_30default_config_static_selectorELNS0_4arch9wavefront6targetE0EEEvT1_.private_seg_size, 0
	.set _ZN7rocprim17ROCPRIM_400000_NS6detail17trampoline_kernelINS0_14default_configENS1_33run_length_encode_config_selectorImjNS0_4plusIjEEEEZZNS1_33reduce_by_key_impl_wrapped_configILNS1_25lookback_scan_determinismE0ES3_S7_PKmNS0_17constant_iteratorIjlEEPmPlSF_S6_NS0_8equal_toImEEEE10hipError_tPvRmT2_T3_mT4_T5_T6_T7_T8_P12ihipStream_tbENKUlT_T0_E_clISt17integral_constantIbLb1EESZ_EEDaSU_SV_EUlSU_E_NS1_11comp_targetILNS1_3genE10ELNS1_11target_archE1200ELNS1_3gpuE4ELNS1_3repE0EEENS1_30default_config_static_selectorELNS0_4arch9wavefront6targetE0EEEvT1_.uses_vcc, 0
	.set _ZN7rocprim17ROCPRIM_400000_NS6detail17trampoline_kernelINS0_14default_configENS1_33run_length_encode_config_selectorImjNS0_4plusIjEEEEZZNS1_33reduce_by_key_impl_wrapped_configILNS1_25lookback_scan_determinismE0ES3_S7_PKmNS0_17constant_iteratorIjlEEPmPlSF_S6_NS0_8equal_toImEEEE10hipError_tPvRmT2_T3_mT4_T5_T6_T7_T8_P12ihipStream_tbENKUlT_T0_E_clISt17integral_constantIbLb1EESZ_EEDaSU_SV_EUlSU_E_NS1_11comp_targetILNS1_3genE10ELNS1_11target_archE1200ELNS1_3gpuE4ELNS1_3repE0EEENS1_30default_config_static_selectorELNS0_4arch9wavefront6targetE0EEEvT1_.uses_flat_scratch, 0
	.set _ZN7rocprim17ROCPRIM_400000_NS6detail17trampoline_kernelINS0_14default_configENS1_33run_length_encode_config_selectorImjNS0_4plusIjEEEEZZNS1_33reduce_by_key_impl_wrapped_configILNS1_25lookback_scan_determinismE0ES3_S7_PKmNS0_17constant_iteratorIjlEEPmPlSF_S6_NS0_8equal_toImEEEE10hipError_tPvRmT2_T3_mT4_T5_T6_T7_T8_P12ihipStream_tbENKUlT_T0_E_clISt17integral_constantIbLb1EESZ_EEDaSU_SV_EUlSU_E_NS1_11comp_targetILNS1_3genE10ELNS1_11target_archE1200ELNS1_3gpuE4ELNS1_3repE0EEENS1_30default_config_static_selectorELNS0_4arch9wavefront6targetE0EEEvT1_.has_dyn_sized_stack, 0
	.set _ZN7rocprim17ROCPRIM_400000_NS6detail17trampoline_kernelINS0_14default_configENS1_33run_length_encode_config_selectorImjNS0_4plusIjEEEEZZNS1_33reduce_by_key_impl_wrapped_configILNS1_25lookback_scan_determinismE0ES3_S7_PKmNS0_17constant_iteratorIjlEEPmPlSF_S6_NS0_8equal_toImEEEE10hipError_tPvRmT2_T3_mT4_T5_T6_T7_T8_P12ihipStream_tbENKUlT_T0_E_clISt17integral_constantIbLb1EESZ_EEDaSU_SV_EUlSU_E_NS1_11comp_targetILNS1_3genE10ELNS1_11target_archE1200ELNS1_3gpuE4ELNS1_3repE0EEENS1_30default_config_static_selectorELNS0_4arch9wavefront6targetE0EEEvT1_.has_recursion, 0
	.set _ZN7rocprim17ROCPRIM_400000_NS6detail17trampoline_kernelINS0_14default_configENS1_33run_length_encode_config_selectorImjNS0_4plusIjEEEEZZNS1_33reduce_by_key_impl_wrapped_configILNS1_25lookback_scan_determinismE0ES3_S7_PKmNS0_17constant_iteratorIjlEEPmPlSF_S6_NS0_8equal_toImEEEE10hipError_tPvRmT2_T3_mT4_T5_T6_T7_T8_P12ihipStream_tbENKUlT_T0_E_clISt17integral_constantIbLb1EESZ_EEDaSU_SV_EUlSU_E_NS1_11comp_targetILNS1_3genE10ELNS1_11target_archE1200ELNS1_3gpuE4ELNS1_3repE0EEENS1_30default_config_static_selectorELNS0_4arch9wavefront6targetE0EEEvT1_.has_indirect_call, 0
	.section	.AMDGPU.csdata,"",@progbits
; Kernel info:
; codeLenInByte = 0
; TotalNumSgprs: 0
; NumVgprs: 0
; ScratchSize: 0
; MemoryBound: 0
; FloatMode: 240
; IeeeMode: 1
; LDSByteSize: 0 bytes/workgroup (compile time only)
; SGPRBlocks: 0
; VGPRBlocks: 0
; NumSGPRsForWavesPerEU: 1
; NumVGPRsForWavesPerEU: 1
; NamedBarCnt: 0
; Occupancy: 16
; WaveLimiterHint : 0
; COMPUTE_PGM_RSRC2:SCRATCH_EN: 0
; COMPUTE_PGM_RSRC2:USER_SGPR: 2
; COMPUTE_PGM_RSRC2:TRAP_HANDLER: 0
; COMPUTE_PGM_RSRC2:TGID_X_EN: 1
; COMPUTE_PGM_RSRC2:TGID_Y_EN: 0
; COMPUTE_PGM_RSRC2:TGID_Z_EN: 0
; COMPUTE_PGM_RSRC2:TIDIG_COMP_CNT: 0
	.section	.text._ZN7rocprim17ROCPRIM_400000_NS6detail17trampoline_kernelINS0_14default_configENS1_33run_length_encode_config_selectorImjNS0_4plusIjEEEEZZNS1_33reduce_by_key_impl_wrapped_configILNS1_25lookback_scan_determinismE0ES3_S7_PKmNS0_17constant_iteratorIjlEEPmPlSF_S6_NS0_8equal_toImEEEE10hipError_tPvRmT2_T3_mT4_T5_T6_T7_T8_P12ihipStream_tbENKUlT_T0_E_clISt17integral_constantIbLb1EESZ_EEDaSU_SV_EUlSU_E_NS1_11comp_targetILNS1_3genE9ELNS1_11target_archE1100ELNS1_3gpuE3ELNS1_3repE0EEENS1_30default_config_static_selectorELNS0_4arch9wavefront6targetE0EEEvT1_,"axG",@progbits,_ZN7rocprim17ROCPRIM_400000_NS6detail17trampoline_kernelINS0_14default_configENS1_33run_length_encode_config_selectorImjNS0_4plusIjEEEEZZNS1_33reduce_by_key_impl_wrapped_configILNS1_25lookback_scan_determinismE0ES3_S7_PKmNS0_17constant_iteratorIjlEEPmPlSF_S6_NS0_8equal_toImEEEE10hipError_tPvRmT2_T3_mT4_T5_T6_T7_T8_P12ihipStream_tbENKUlT_T0_E_clISt17integral_constantIbLb1EESZ_EEDaSU_SV_EUlSU_E_NS1_11comp_targetILNS1_3genE9ELNS1_11target_archE1100ELNS1_3gpuE3ELNS1_3repE0EEENS1_30default_config_static_selectorELNS0_4arch9wavefront6targetE0EEEvT1_,comdat
	.protected	_ZN7rocprim17ROCPRIM_400000_NS6detail17trampoline_kernelINS0_14default_configENS1_33run_length_encode_config_selectorImjNS0_4plusIjEEEEZZNS1_33reduce_by_key_impl_wrapped_configILNS1_25lookback_scan_determinismE0ES3_S7_PKmNS0_17constant_iteratorIjlEEPmPlSF_S6_NS0_8equal_toImEEEE10hipError_tPvRmT2_T3_mT4_T5_T6_T7_T8_P12ihipStream_tbENKUlT_T0_E_clISt17integral_constantIbLb1EESZ_EEDaSU_SV_EUlSU_E_NS1_11comp_targetILNS1_3genE9ELNS1_11target_archE1100ELNS1_3gpuE3ELNS1_3repE0EEENS1_30default_config_static_selectorELNS0_4arch9wavefront6targetE0EEEvT1_ ; -- Begin function _ZN7rocprim17ROCPRIM_400000_NS6detail17trampoline_kernelINS0_14default_configENS1_33run_length_encode_config_selectorImjNS0_4plusIjEEEEZZNS1_33reduce_by_key_impl_wrapped_configILNS1_25lookback_scan_determinismE0ES3_S7_PKmNS0_17constant_iteratorIjlEEPmPlSF_S6_NS0_8equal_toImEEEE10hipError_tPvRmT2_T3_mT4_T5_T6_T7_T8_P12ihipStream_tbENKUlT_T0_E_clISt17integral_constantIbLb1EESZ_EEDaSU_SV_EUlSU_E_NS1_11comp_targetILNS1_3genE9ELNS1_11target_archE1100ELNS1_3gpuE3ELNS1_3repE0EEENS1_30default_config_static_selectorELNS0_4arch9wavefront6targetE0EEEvT1_
	.globl	_ZN7rocprim17ROCPRIM_400000_NS6detail17trampoline_kernelINS0_14default_configENS1_33run_length_encode_config_selectorImjNS0_4plusIjEEEEZZNS1_33reduce_by_key_impl_wrapped_configILNS1_25lookback_scan_determinismE0ES3_S7_PKmNS0_17constant_iteratorIjlEEPmPlSF_S6_NS0_8equal_toImEEEE10hipError_tPvRmT2_T3_mT4_T5_T6_T7_T8_P12ihipStream_tbENKUlT_T0_E_clISt17integral_constantIbLb1EESZ_EEDaSU_SV_EUlSU_E_NS1_11comp_targetILNS1_3genE9ELNS1_11target_archE1100ELNS1_3gpuE3ELNS1_3repE0EEENS1_30default_config_static_selectorELNS0_4arch9wavefront6targetE0EEEvT1_
	.p2align	8
	.type	_ZN7rocprim17ROCPRIM_400000_NS6detail17trampoline_kernelINS0_14default_configENS1_33run_length_encode_config_selectorImjNS0_4plusIjEEEEZZNS1_33reduce_by_key_impl_wrapped_configILNS1_25lookback_scan_determinismE0ES3_S7_PKmNS0_17constant_iteratorIjlEEPmPlSF_S6_NS0_8equal_toImEEEE10hipError_tPvRmT2_T3_mT4_T5_T6_T7_T8_P12ihipStream_tbENKUlT_T0_E_clISt17integral_constantIbLb1EESZ_EEDaSU_SV_EUlSU_E_NS1_11comp_targetILNS1_3genE9ELNS1_11target_archE1100ELNS1_3gpuE3ELNS1_3repE0EEENS1_30default_config_static_selectorELNS0_4arch9wavefront6targetE0EEEvT1_,@function
_ZN7rocprim17ROCPRIM_400000_NS6detail17trampoline_kernelINS0_14default_configENS1_33run_length_encode_config_selectorImjNS0_4plusIjEEEEZZNS1_33reduce_by_key_impl_wrapped_configILNS1_25lookback_scan_determinismE0ES3_S7_PKmNS0_17constant_iteratorIjlEEPmPlSF_S6_NS0_8equal_toImEEEE10hipError_tPvRmT2_T3_mT4_T5_T6_T7_T8_P12ihipStream_tbENKUlT_T0_E_clISt17integral_constantIbLb1EESZ_EEDaSU_SV_EUlSU_E_NS1_11comp_targetILNS1_3genE9ELNS1_11target_archE1100ELNS1_3gpuE3ELNS1_3repE0EEENS1_30default_config_static_selectorELNS0_4arch9wavefront6targetE0EEEvT1_: ; @_ZN7rocprim17ROCPRIM_400000_NS6detail17trampoline_kernelINS0_14default_configENS1_33run_length_encode_config_selectorImjNS0_4plusIjEEEEZZNS1_33reduce_by_key_impl_wrapped_configILNS1_25lookback_scan_determinismE0ES3_S7_PKmNS0_17constant_iteratorIjlEEPmPlSF_S6_NS0_8equal_toImEEEE10hipError_tPvRmT2_T3_mT4_T5_T6_T7_T8_P12ihipStream_tbENKUlT_T0_E_clISt17integral_constantIbLb1EESZ_EEDaSU_SV_EUlSU_E_NS1_11comp_targetILNS1_3genE9ELNS1_11target_archE1100ELNS1_3gpuE3ELNS1_3repE0EEENS1_30default_config_static_selectorELNS0_4arch9wavefront6targetE0EEEvT1_
; %bb.0:
	.section	.rodata,"a",@progbits
	.p2align	6, 0x0
	.amdhsa_kernel _ZN7rocprim17ROCPRIM_400000_NS6detail17trampoline_kernelINS0_14default_configENS1_33run_length_encode_config_selectorImjNS0_4plusIjEEEEZZNS1_33reduce_by_key_impl_wrapped_configILNS1_25lookback_scan_determinismE0ES3_S7_PKmNS0_17constant_iteratorIjlEEPmPlSF_S6_NS0_8equal_toImEEEE10hipError_tPvRmT2_T3_mT4_T5_T6_T7_T8_P12ihipStream_tbENKUlT_T0_E_clISt17integral_constantIbLb1EESZ_EEDaSU_SV_EUlSU_E_NS1_11comp_targetILNS1_3genE9ELNS1_11target_archE1100ELNS1_3gpuE3ELNS1_3repE0EEENS1_30default_config_static_selectorELNS0_4arch9wavefront6targetE0EEEvT1_
		.amdhsa_group_segment_fixed_size 0
		.amdhsa_private_segment_fixed_size 0
		.amdhsa_kernarg_size 128
		.amdhsa_user_sgpr_count 2
		.amdhsa_user_sgpr_dispatch_ptr 0
		.amdhsa_user_sgpr_queue_ptr 0
		.amdhsa_user_sgpr_kernarg_segment_ptr 1
		.amdhsa_user_sgpr_dispatch_id 0
		.amdhsa_user_sgpr_kernarg_preload_length 0
		.amdhsa_user_sgpr_kernarg_preload_offset 0
		.amdhsa_user_sgpr_private_segment_size 0
		.amdhsa_wavefront_size32 1
		.amdhsa_uses_dynamic_stack 0
		.amdhsa_enable_private_segment 0
		.amdhsa_system_sgpr_workgroup_id_x 1
		.amdhsa_system_sgpr_workgroup_id_y 0
		.amdhsa_system_sgpr_workgroup_id_z 0
		.amdhsa_system_sgpr_workgroup_info 0
		.amdhsa_system_vgpr_workitem_id 0
		.amdhsa_next_free_vgpr 1
		.amdhsa_next_free_sgpr 1
		.amdhsa_named_barrier_count 0
		.amdhsa_reserve_vcc 0
		.amdhsa_float_round_mode_32 0
		.amdhsa_float_round_mode_16_64 0
		.amdhsa_float_denorm_mode_32 3
		.amdhsa_float_denorm_mode_16_64 3
		.amdhsa_fp16_overflow 0
		.amdhsa_memory_ordered 1
		.amdhsa_forward_progress 1
		.amdhsa_inst_pref_size 0
		.amdhsa_round_robin_scheduling 0
		.amdhsa_exception_fp_ieee_invalid_op 0
		.amdhsa_exception_fp_denorm_src 0
		.amdhsa_exception_fp_ieee_div_zero 0
		.amdhsa_exception_fp_ieee_overflow 0
		.amdhsa_exception_fp_ieee_underflow 0
		.amdhsa_exception_fp_ieee_inexact 0
		.amdhsa_exception_int_div_zero 0
	.end_amdhsa_kernel
	.section	.text._ZN7rocprim17ROCPRIM_400000_NS6detail17trampoline_kernelINS0_14default_configENS1_33run_length_encode_config_selectorImjNS0_4plusIjEEEEZZNS1_33reduce_by_key_impl_wrapped_configILNS1_25lookback_scan_determinismE0ES3_S7_PKmNS0_17constant_iteratorIjlEEPmPlSF_S6_NS0_8equal_toImEEEE10hipError_tPvRmT2_T3_mT4_T5_T6_T7_T8_P12ihipStream_tbENKUlT_T0_E_clISt17integral_constantIbLb1EESZ_EEDaSU_SV_EUlSU_E_NS1_11comp_targetILNS1_3genE9ELNS1_11target_archE1100ELNS1_3gpuE3ELNS1_3repE0EEENS1_30default_config_static_selectorELNS0_4arch9wavefront6targetE0EEEvT1_,"axG",@progbits,_ZN7rocprim17ROCPRIM_400000_NS6detail17trampoline_kernelINS0_14default_configENS1_33run_length_encode_config_selectorImjNS0_4plusIjEEEEZZNS1_33reduce_by_key_impl_wrapped_configILNS1_25lookback_scan_determinismE0ES3_S7_PKmNS0_17constant_iteratorIjlEEPmPlSF_S6_NS0_8equal_toImEEEE10hipError_tPvRmT2_T3_mT4_T5_T6_T7_T8_P12ihipStream_tbENKUlT_T0_E_clISt17integral_constantIbLb1EESZ_EEDaSU_SV_EUlSU_E_NS1_11comp_targetILNS1_3genE9ELNS1_11target_archE1100ELNS1_3gpuE3ELNS1_3repE0EEENS1_30default_config_static_selectorELNS0_4arch9wavefront6targetE0EEEvT1_,comdat
.Lfunc_end734:
	.size	_ZN7rocprim17ROCPRIM_400000_NS6detail17trampoline_kernelINS0_14default_configENS1_33run_length_encode_config_selectorImjNS0_4plusIjEEEEZZNS1_33reduce_by_key_impl_wrapped_configILNS1_25lookback_scan_determinismE0ES3_S7_PKmNS0_17constant_iteratorIjlEEPmPlSF_S6_NS0_8equal_toImEEEE10hipError_tPvRmT2_T3_mT4_T5_T6_T7_T8_P12ihipStream_tbENKUlT_T0_E_clISt17integral_constantIbLb1EESZ_EEDaSU_SV_EUlSU_E_NS1_11comp_targetILNS1_3genE9ELNS1_11target_archE1100ELNS1_3gpuE3ELNS1_3repE0EEENS1_30default_config_static_selectorELNS0_4arch9wavefront6targetE0EEEvT1_, .Lfunc_end734-_ZN7rocprim17ROCPRIM_400000_NS6detail17trampoline_kernelINS0_14default_configENS1_33run_length_encode_config_selectorImjNS0_4plusIjEEEEZZNS1_33reduce_by_key_impl_wrapped_configILNS1_25lookback_scan_determinismE0ES3_S7_PKmNS0_17constant_iteratorIjlEEPmPlSF_S6_NS0_8equal_toImEEEE10hipError_tPvRmT2_T3_mT4_T5_T6_T7_T8_P12ihipStream_tbENKUlT_T0_E_clISt17integral_constantIbLb1EESZ_EEDaSU_SV_EUlSU_E_NS1_11comp_targetILNS1_3genE9ELNS1_11target_archE1100ELNS1_3gpuE3ELNS1_3repE0EEENS1_30default_config_static_selectorELNS0_4arch9wavefront6targetE0EEEvT1_
                                        ; -- End function
	.set _ZN7rocprim17ROCPRIM_400000_NS6detail17trampoline_kernelINS0_14default_configENS1_33run_length_encode_config_selectorImjNS0_4plusIjEEEEZZNS1_33reduce_by_key_impl_wrapped_configILNS1_25lookback_scan_determinismE0ES3_S7_PKmNS0_17constant_iteratorIjlEEPmPlSF_S6_NS0_8equal_toImEEEE10hipError_tPvRmT2_T3_mT4_T5_T6_T7_T8_P12ihipStream_tbENKUlT_T0_E_clISt17integral_constantIbLb1EESZ_EEDaSU_SV_EUlSU_E_NS1_11comp_targetILNS1_3genE9ELNS1_11target_archE1100ELNS1_3gpuE3ELNS1_3repE0EEENS1_30default_config_static_selectorELNS0_4arch9wavefront6targetE0EEEvT1_.num_vgpr, 0
	.set _ZN7rocprim17ROCPRIM_400000_NS6detail17trampoline_kernelINS0_14default_configENS1_33run_length_encode_config_selectorImjNS0_4plusIjEEEEZZNS1_33reduce_by_key_impl_wrapped_configILNS1_25lookback_scan_determinismE0ES3_S7_PKmNS0_17constant_iteratorIjlEEPmPlSF_S6_NS0_8equal_toImEEEE10hipError_tPvRmT2_T3_mT4_T5_T6_T7_T8_P12ihipStream_tbENKUlT_T0_E_clISt17integral_constantIbLb1EESZ_EEDaSU_SV_EUlSU_E_NS1_11comp_targetILNS1_3genE9ELNS1_11target_archE1100ELNS1_3gpuE3ELNS1_3repE0EEENS1_30default_config_static_selectorELNS0_4arch9wavefront6targetE0EEEvT1_.num_agpr, 0
	.set _ZN7rocprim17ROCPRIM_400000_NS6detail17trampoline_kernelINS0_14default_configENS1_33run_length_encode_config_selectorImjNS0_4plusIjEEEEZZNS1_33reduce_by_key_impl_wrapped_configILNS1_25lookback_scan_determinismE0ES3_S7_PKmNS0_17constant_iteratorIjlEEPmPlSF_S6_NS0_8equal_toImEEEE10hipError_tPvRmT2_T3_mT4_T5_T6_T7_T8_P12ihipStream_tbENKUlT_T0_E_clISt17integral_constantIbLb1EESZ_EEDaSU_SV_EUlSU_E_NS1_11comp_targetILNS1_3genE9ELNS1_11target_archE1100ELNS1_3gpuE3ELNS1_3repE0EEENS1_30default_config_static_selectorELNS0_4arch9wavefront6targetE0EEEvT1_.numbered_sgpr, 0
	.set _ZN7rocprim17ROCPRIM_400000_NS6detail17trampoline_kernelINS0_14default_configENS1_33run_length_encode_config_selectorImjNS0_4plusIjEEEEZZNS1_33reduce_by_key_impl_wrapped_configILNS1_25lookback_scan_determinismE0ES3_S7_PKmNS0_17constant_iteratorIjlEEPmPlSF_S6_NS0_8equal_toImEEEE10hipError_tPvRmT2_T3_mT4_T5_T6_T7_T8_P12ihipStream_tbENKUlT_T0_E_clISt17integral_constantIbLb1EESZ_EEDaSU_SV_EUlSU_E_NS1_11comp_targetILNS1_3genE9ELNS1_11target_archE1100ELNS1_3gpuE3ELNS1_3repE0EEENS1_30default_config_static_selectorELNS0_4arch9wavefront6targetE0EEEvT1_.num_named_barrier, 0
	.set _ZN7rocprim17ROCPRIM_400000_NS6detail17trampoline_kernelINS0_14default_configENS1_33run_length_encode_config_selectorImjNS0_4plusIjEEEEZZNS1_33reduce_by_key_impl_wrapped_configILNS1_25lookback_scan_determinismE0ES3_S7_PKmNS0_17constant_iteratorIjlEEPmPlSF_S6_NS0_8equal_toImEEEE10hipError_tPvRmT2_T3_mT4_T5_T6_T7_T8_P12ihipStream_tbENKUlT_T0_E_clISt17integral_constantIbLb1EESZ_EEDaSU_SV_EUlSU_E_NS1_11comp_targetILNS1_3genE9ELNS1_11target_archE1100ELNS1_3gpuE3ELNS1_3repE0EEENS1_30default_config_static_selectorELNS0_4arch9wavefront6targetE0EEEvT1_.private_seg_size, 0
	.set _ZN7rocprim17ROCPRIM_400000_NS6detail17trampoline_kernelINS0_14default_configENS1_33run_length_encode_config_selectorImjNS0_4plusIjEEEEZZNS1_33reduce_by_key_impl_wrapped_configILNS1_25lookback_scan_determinismE0ES3_S7_PKmNS0_17constant_iteratorIjlEEPmPlSF_S6_NS0_8equal_toImEEEE10hipError_tPvRmT2_T3_mT4_T5_T6_T7_T8_P12ihipStream_tbENKUlT_T0_E_clISt17integral_constantIbLb1EESZ_EEDaSU_SV_EUlSU_E_NS1_11comp_targetILNS1_3genE9ELNS1_11target_archE1100ELNS1_3gpuE3ELNS1_3repE0EEENS1_30default_config_static_selectorELNS0_4arch9wavefront6targetE0EEEvT1_.uses_vcc, 0
	.set _ZN7rocprim17ROCPRIM_400000_NS6detail17trampoline_kernelINS0_14default_configENS1_33run_length_encode_config_selectorImjNS0_4plusIjEEEEZZNS1_33reduce_by_key_impl_wrapped_configILNS1_25lookback_scan_determinismE0ES3_S7_PKmNS0_17constant_iteratorIjlEEPmPlSF_S6_NS0_8equal_toImEEEE10hipError_tPvRmT2_T3_mT4_T5_T6_T7_T8_P12ihipStream_tbENKUlT_T0_E_clISt17integral_constantIbLb1EESZ_EEDaSU_SV_EUlSU_E_NS1_11comp_targetILNS1_3genE9ELNS1_11target_archE1100ELNS1_3gpuE3ELNS1_3repE0EEENS1_30default_config_static_selectorELNS0_4arch9wavefront6targetE0EEEvT1_.uses_flat_scratch, 0
	.set _ZN7rocprim17ROCPRIM_400000_NS6detail17trampoline_kernelINS0_14default_configENS1_33run_length_encode_config_selectorImjNS0_4plusIjEEEEZZNS1_33reduce_by_key_impl_wrapped_configILNS1_25lookback_scan_determinismE0ES3_S7_PKmNS0_17constant_iteratorIjlEEPmPlSF_S6_NS0_8equal_toImEEEE10hipError_tPvRmT2_T3_mT4_T5_T6_T7_T8_P12ihipStream_tbENKUlT_T0_E_clISt17integral_constantIbLb1EESZ_EEDaSU_SV_EUlSU_E_NS1_11comp_targetILNS1_3genE9ELNS1_11target_archE1100ELNS1_3gpuE3ELNS1_3repE0EEENS1_30default_config_static_selectorELNS0_4arch9wavefront6targetE0EEEvT1_.has_dyn_sized_stack, 0
	.set _ZN7rocprim17ROCPRIM_400000_NS6detail17trampoline_kernelINS0_14default_configENS1_33run_length_encode_config_selectorImjNS0_4plusIjEEEEZZNS1_33reduce_by_key_impl_wrapped_configILNS1_25lookback_scan_determinismE0ES3_S7_PKmNS0_17constant_iteratorIjlEEPmPlSF_S6_NS0_8equal_toImEEEE10hipError_tPvRmT2_T3_mT4_T5_T6_T7_T8_P12ihipStream_tbENKUlT_T0_E_clISt17integral_constantIbLb1EESZ_EEDaSU_SV_EUlSU_E_NS1_11comp_targetILNS1_3genE9ELNS1_11target_archE1100ELNS1_3gpuE3ELNS1_3repE0EEENS1_30default_config_static_selectorELNS0_4arch9wavefront6targetE0EEEvT1_.has_recursion, 0
	.set _ZN7rocprim17ROCPRIM_400000_NS6detail17trampoline_kernelINS0_14default_configENS1_33run_length_encode_config_selectorImjNS0_4plusIjEEEEZZNS1_33reduce_by_key_impl_wrapped_configILNS1_25lookback_scan_determinismE0ES3_S7_PKmNS0_17constant_iteratorIjlEEPmPlSF_S6_NS0_8equal_toImEEEE10hipError_tPvRmT2_T3_mT4_T5_T6_T7_T8_P12ihipStream_tbENKUlT_T0_E_clISt17integral_constantIbLb1EESZ_EEDaSU_SV_EUlSU_E_NS1_11comp_targetILNS1_3genE9ELNS1_11target_archE1100ELNS1_3gpuE3ELNS1_3repE0EEENS1_30default_config_static_selectorELNS0_4arch9wavefront6targetE0EEEvT1_.has_indirect_call, 0
	.section	.AMDGPU.csdata,"",@progbits
; Kernel info:
; codeLenInByte = 0
; TotalNumSgprs: 0
; NumVgprs: 0
; ScratchSize: 0
; MemoryBound: 0
; FloatMode: 240
; IeeeMode: 1
; LDSByteSize: 0 bytes/workgroup (compile time only)
; SGPRBlocks: 0
; VGPRBlocks: 0
; NumSGPRsForWavesPerEU: 1
; NumVGPRsForWavesPerEU: 1
; NamedBarCnt: 0
; Occupancy: 16
; WaveLimiterHint : 0
; COMPUTE_PGM_RSRC2:SCRATCH_EN: 0
; COMPUTE_PGM_RSRC2:USER_SGPR: 2
; COMPUTE_PGM_RSRC2:TRAP_HANDLER: 0
; COMPUTE_PGM_RSRC2:TGID_X_EN: 1
; COMPUTE_PGM_RSRC2:TGID_Y_EN: 0
; COMPUTE_PGM_RSRC2:TGID_Z_EN: 0
; COMPUTE_PGM_RSRC2:TIDIG_COMP_CNT: 0
	.section	.text._ZN7rocprim17ROCPRIM_400000_NS6detail17trampoline_kernelINS0_14default_configENS1_33run_length_encode_config_selectorImjNS0_4plusIjEEEEZZNS1_33reduce_by_key_impl_wrapped_configILNS1_25lookback_scan_determinismE0ES3_S7_PKmNS0_17constant_iteratorIjlEEPmPlSF_S6_NS0_8equal_toImEEEE10hipError_tPvRmT2_T3_mT4_T5_T6_T7_T8_P12ihipStream_tbENKUlT_T0_E_clISt17integral_constantIbLb1EESZ_EEDaSU_SV_EUlSU_E_NS1_11comp_targetILNS1_3genE8ELNS1_11target_archE1030ELNS1_3gpuE2ELNS1_3repE0EEENS1_30default_config_static_selectorELNS0_4arch9wavefront6targetE0EEEvT1_,"axG",@progbits,_ZN7rocprim17ROCPRIM_400000_NS6detail17trampoline_kernelINS0_14default_configENS1_33run_length_encode_config_selectorImjNS0_4plusIjEEEEZZNS1_33reduce_by_key_impl_wrapped_configILNS1_25lookback_scan_determinismE0ES3_S7_PKmNS0_17constant_iteratorIjlEEPmPlSF_S6_NS0_8equal_toImEEEE10hipError_tPvRmT2_T3_mT4_T5_T6_T7_T8_P12ihipStream_tbENKUlT_T0_E_clISt17integral_constantIbLb1EESZ_EEDaSU_SV_EUlSU_E_NS1_11comp_targetILNS1_3genE8ELNS1_11target_archE1030ELNS1_3gpuE2ELNS1_3repE0EEENS1_30default_config_static_selectorELNS0_4arch9wavefront6targetE0EEEvT1_,comdat
	.protected	_ZN7rocprim17ROCPRIM_400000_NS6detail17trampoline_kernelINS0_14default_configENS1_33run_length_encode_config_selectorImjNS0_4plusIjEEEEZZNS1_33reduce_by_key_impl_wrapped_configILNS1_25lookback_scan_determinismE0ES3_S7_PKmNS0_17constant_iteratorIjlEEPmPlSF_S6_NS0_8equal_toImEEEE10hipError_tPvRmT2_T3_mT4_T5_T6_T7_T8_P12ihipStream_tbENKUlT_T0_E_clISt17integral_constantIbLb1EESZ_EEDaSU_SV_EUlSU_E_NS1_11comp_targetILNS1_3genE8ELNS1_11target_archE1030ELNS1_3gpuE2ELNS1_3repE0EEENS1_30default_config_static_selectorELNS0_4arch9wavefront6targetE0EEEvT1_ ; -- Begin function _ZN7rocprim17ROCPRIM_400000_NS6detail17trampoline_kernelINS0_14default_configENS1_33run_length_encode_config_selectorImjNS0_4plusIjEEEEZZNS1_33reduce_by_key_impl_wrapped_configILNS1_25lookback_scan_determinismE0ES3_S7_PKmNS0_17constant_iteratorIjlEEPmPlSF_S6_NS0_8equal_toImEEEE10hipError_tPvRmT2_T3_mT4_T5_T6_T7_T8_P12ihipStream_tbENKUlT_T0_E_clISt17integral_constantIbLb1EESZ_EEDaSU_SV_EUlSU_E_NS1_11comp_targetILNS1_3genE8ELNS1_11target_archE1030ELNS1_3gpuE2ELNS1_3repE0EEENS1_30default_config_static_selectorELNS0_4arch9wavefront6targetE0EEEvT1_
	.globl	_ZN7rocprim17ROCPRIM_400000_NS6detail17trampoline_kernelINS0_14default_configENS1_33run_length_encode_config_selectorImjNS0_4plusIjEEEEZZNS1_33reduce_by_key_impl_wrapped_configILNS1_25lookback_scan_determinismE0ES3_S7_PKmNS0_17constant_iteratorIjlEEPmPlSF_S6_NS0_8equal_toImEEEE10hipError_tPvRmT2_T3_mT4_T5_T6_T7_T8_P12ihipStream_tbENKUlT_T0_E_clISt17integral_constantIbLb1EESZ_EEDaSU_SV_EUlSU_E_NS1_11comp_targetILNS1_3genE8ELNS1_11target_archE1030ELNS1_3gpuE2ELNS1_3repE0EEENS1_30default_config_static_selectorELNS0_4arch9wavefront6targetE0EEEvT1_
	.p2align	8
	.type	_ZN7rocprim17ROCPRIM_400000_NS6detail17trampoline_kernelINS0_14default_configENS1_33run_length_encode_config_selectorImjNS0_4plusIjEEEEZZNS1_33reduce_by_key_impl_wrapped_configILNS1_25lookback_scan_determinismE0ES3_S7_PKmNS0_17constant_iteratorIjlEEPmPlSF_S6_NS0_8equal_toImEEEE10hipError_tPvRmT2_T3_mT4_T5_T6_T7_T8_P12ihipStream_tbENKUlT_T0_E_clISt17integral_constantIbLb1EESZ_EEDaSU_SV_EUlSU_E_NS1_11comp_targetILNS1_3genE8ELNS1_11target_archE1030ELNS1_3gpuE2ELNS1_3repE0EEENS1_30default_config_static_selectorELNS0_4arch9wavefront6targetE0EEEvT1_,@function
_ZN7rocprim17ROCPRIM_400000_NS6detail17trampoline_kernelINS0_14default_configENS1_33run_length_encode_config_selectorImjNS0_4plusIjEEEEZZNS1_33reduce_by_key_impl_wrapped_configILNS1_25lookback_scan_determinismE0ES3_S7_PKmNS0_17constant_iteratorIjlEEPmPlSF_S6_NS0_8equal_toImEEEE10hipError_tPvRmT2_T3_mT4_T5_T6_T7_T8_P12ihipStream_tbENKUlT_T0_E_clISt17integral_constantIbLb1EESZ_EEDaSU_SV_EUlSU_E_NS1_11comp_targetILNS1_3genE8ELNS1_11target_archE1030ELNS1_3gpuE2ELNS1_3repE0EEENS1_30default_config_static_selectorELNS0_4arch9wavefront6targetE0EEEvT1_: ; @_ZN7rocprim17ROCPRIM_400000_NS6detail17trampoline_kernelINS0_14default_configENS1_33run_length_encode_config_selectorImjNS0_4plusIjEEEEZZNS1_33reduce_by_key_impl_wrapped_configILNS1_25lookback_scan_determinismE0ES3_S7_PKmNS0_17constant_iteratorIjlEEPmPlSF_S6_NS0_8equal_toImEEEE10hipError_tPvRmT2_T3_mT4_T5_T6_T7_T8_P12ihipStream_tbENKUlT_T0_E_clISt17integral_constantIbLb1EESZ_EEDaSU_SV_EUlSU_E_NS1_11comp_targetILNS1_3genE8ELNS1_11target_archE1030ELNS1_3gpuE2ELNS1_3repE0EEENS1_30default_config_static_selectorELNS0_4arch9wavefront6targetE0EEEvT1_
; %bb.0:
	.section	.rodata,"a",@progbits
	.p2align	6, 0x0
	.amdhsa_kernel _ZN7rocprim17ROCPRIM_400000_NS6detail17trampoline_kernelINS0_14default_configENS1_33run_length_encode_config_selectorImjNS0_4plusIjEEEEZZNS1_33reduce_by_key_impl_wrapped_configILNS1_25lookback_scan_determinismE0ES3_S7_PKmNS0_17constant_iteratorIjlEEPmPlSF_S6_NS0_8equal_toImEEEE10hipError_tPvRmT2_T3_mT4_T5_T6_T7_T8_P12ihipStream_tbENKUlT_T0_E_clISt17integral_constantIbLb1EESZ_EEDaSU_SV_EUlSU_E_NS1_11comp_targetILNS1_3genE8ELNS1_11target_archE1030ELNS1_3gpuE2ELNS1_3repE0EEENS1_30default_config_static_selectorELNS0_4arch9wavefront6targetE0EEEvT1_
		.amdhsa_group_segment_fixed_size 0
		.amdhsa_private_segment_fixed_size 0
		.amdhsa_kernarg_size 128
		.amdhsa_user_sgpr_count 2
		.amdhsa_user_sgpr_dispatch_ptr 0
		.amdhsa_user_sgpr_queue_ptr 0
		.amdhsa_user_sgpr_kernarg_segment_ptr 1
		.amdhsa_user_sgpr_dispatch_id 0
		.amdhsa_user_sgpr_kernarg_preload_length 0
		.amdhsa_user_sgpr_kernarg_preload_offset 0
		.amdhsa_user_sgpr_private_segment_size 0
		.amdhsa_wavefront_size32 1
		.amdhsa_uses_dynamic_stack 0
		.amdhsa_enable_private_segment 0
		.amdhsa_system_sgpr_workgroup_id_x 1
		.amdhsa_system_sgpr_workgroup_id_y 0
		.amdhsa_system_sgpr_workgroup_id_z 0
		.amdhsa_system_sgpr_workgroup_info 0
		.amdhsa_system_vgpr_workitem_id 0
		.amdhsa_next_free_vgpr 1
		.amdhsa_next_free_sgpr 1
		.amdhsa_named_barrier_count 0
		.amdhsa_reserve_vcc 0
		.amdhsa_float_round_mode_32 0
		.amdhsa_float_round_mode_16_64 0
		.amdhsa_float_denorm_mode_32 3
		.amdhsa_float_denorm_mode_16_64 3
		.amdhsa_fp16_overflow 0
		.amdhsa_memory_ordered 1
		.amdhsa_forward_progress 1
		.amdhsa_inst_pref_size 0
		.amdhsa_round_robin_scheduling 0
		.amdhsa_exception_fp_ieee_invalid_op 0
		.amdhsa_exception_fp_denorm_src 0
		.amdhsa_exception_fp_ieee_div_zero 0
		.amdhsa_exception_fp_ieee_overflow 0
		.amdhsa_exception_fp_ieee_underflow 0
		.amdhsa_exception_fp_ieee_inexact 0
		.amdhsa_exception_int_div_zero 0
	.end_amdhsa_kernel
	.section	.text._ZN7rocprim17ROCPRIM_400000_NS6detail17trampoline_kernelINS0_14default_configENS1_33run_length_encode_config_selectorImjNS0_4plusIjEEEEZZNS1_33reduce_by_key_impl_wrapped_configILNS1_25lookback_scan_determinismE0ES3_S7_PKmNS0_17constant_iteratorIjlEEPmPlSF_S6_NS0_8equal_toImEEEE10hipError_tPvRmT2_T3_mT4_T5_T6_T7_T8_P12ihipStream_tbENKUlT_T0_E_clISt17integral_constantIbLb1EESZ_EEDaSU_SV_EUlSU_E_NS1_11comp_targetILNS1_3genE8ELNS1_11target_archE1030ELNS1_3gpuE2ELNS1_3repE0EEENS1_30default_config_static_selectorELNS0_4arch9wavefront6targetE0EEEvT1_,"axG",@progbits,_ZN7rocprim17ROCPRIM_400000_NS6detail17trampoline_kernelINS0_14default_configENS1_33run_length_encode_config_selectorImjNS0_4plusIjEEEEZZNS1_33reduce_by_key_impl_wrapped_configILNS1_25lookback_scan_determinismE0ES3_S7_PKmNS0_17constant_iteratorIjlEEPmPlSF_S6_NS0_8equal_toImEEEE10hipError_tPvRmT2_T3_mT4_T5_T6_T7_T8_P12ihipStream_tbENKUlT_T0_E_clISt17integral_constantIbLb1EESZ_EEDaSU_SV_EUlSU_E_NS1_11comp_targetILNS1_3genE8ELNS1_11target_archE1030ELNS1_3gpuE2ELNS1_3repE0EEENS1_30default_config_static_selectorELNS0_4arch9wavefront6targetE0EEEvT1_,comdat
.Lfunc_end735:
	.size	_ZN7rocprim17ROCPRIM_400000_NS6detail17trampoline_kernelINS0_14default_configENS1_33run_length_encode_config_selectorImjNS0_4plusIjEEEEZZNS1_33reduce_by_key_impl_wrapped_configILNS1_25lookback_scan_determinismE0ES3_S7_PKmNS0_17constant_iteratorIjlEEPmPlSF_S6_NS0_8equal_toImEEEE10hipError_tPvRmT2_T3_mT4_T5_T6_T7_T8_P12ihipStream_tbENKUlT_T0_E_clISt17integral_constantIbLb1EESZ_EEDaSU_SV_EUlSU_E_NS1_11comp_targetILNS1_3genE8ELNS1_11target_archE1030ELNS1_3gpuE2ELNS1_3repE0EEENS1_30default_config_static_selectorELNS0_4arch9wavefront6targetE0EEEvT1_, .Lfunc_end735-_ZN7rocprim17ROCPRIM_400000_NS6detail17trampoline_kernelINS0_14default_configENS1_33run_length_encode_config_selectorImjNS0_4plusIjEEEEZZNS1_33reduce_by_key_impl_wrapped_configILNS1_25lookback_scan_determinismE0ES3_S7_PKmNS0_17constant_iteratorIjlEEPmPlSF_S6_NS0_8equal_toImEEEE10hipError_tPvRmT2_T3_mT4_T5_T6_T7_T8_P12ihipStream_tbENKUlT_T0_E_clISt17integral_constantIbLb1EESZ_EEDaSU_SV_EUlSU_E_NS1_11comp_targetILNS1_3genE8ELNS1_11target_archE1030ELNS1_3gpuE2ELNS1_3repE0EEENS1_30default_config_static_selectorELNS0_4arch9wavefront6targetE0EEEvT1_
                                        ; -- End function
	.set _ZN7rocprim17ROCPRIM_400000_NS6detail17trampoline_kernelINS0_14default_configENS1_33run_length_encode_config_selectorImjNS0_4plusIjEEEEZZNS1_33reduce_by_key_impl_wrapped_configILNS1_25lookback_scan_determinismE0ES3_S7_PKmNS0_17constant_iteratorIjlEEPmPlSF_S6_NS0_8equal_toImEEEE10hipError_tPvRmT2_T3_mT4_T5_T6_T7_T8_P12ihipStream_tbENKUlT_T0_E_clISt17integral_constantIbLb1EESZ_EEDaSU_SV_EUlSU_E_NS1_11comp_targetILNS1_3genE8ELNS1_11target_archE1030ELNS1_3gpuE2ELNS1_3repE0EEENS1_30default_config_static_selectorELNS0_4arch9wavefront6targetE0EEEvT1_.num_vgpr, 0
	.set _ZN7rocprim17ROCPRIM_400000_NS6detail17trampoline_kernelINS0_14default_configENS1_33run_length_encode_config_selectorImjNS0_4plusIjEEEEZZNS1_33reduce_by_key_impl_wrapped_configILNS1_25lookback_scan_determinismE0ES3_S7_PKmNS0_17constant_iteratorIjlEEPmPlSF_S6_NS0_8equal_toImEEEE10hipError_tPvRmT2_T3_mT4_T5_T6_T7_T8_P12ihipStream_tbENKUlT_T0_E_clISt17integral_constantIbLb1EESZ_EEDaSU_SV_EUlSU_E_NS1_11comp_targetILNS1_3genE8ELNS1_11target_archE1030ELNS1_3gpuE2ELNS1_3repE0EEENS1_30default_config_static_selectorELNS0_4arch9wavefront6targetE0EEEvT1_.num_agpr, 0
	.set _ZN7rocprim17ROCPRIM_400000_NS6detail17trampoline_kernelINS0_14default_configENS1_33run_length_encode_config_selectorImjNS0_4plusIjEEEEZZNS1_33reduce_by_key_impl_wrapped_configILNS1_25lookback_scan_determinismE0ES3_S7_PKmNS0_17constant_iteratorIjlEEPmPlSF_S6_NS0_8equal_toImEEEE10hipError_tPvRmT2_T3_mT4_T5_T6_T7_T8_P12ihipStream_tbENKUlT_T0_E_clISt17integral_constantIbLb1EESZ_EEDaSU_SV_EUlSU_E_NS1_11comp_targetILNS1_3genE8ELNS1_11target_archE1030ELNS1_3gpuE2ELNS1_3repE0EEENS1_30default_config_static_selectorELNS0_4arch9wavefront6targetE0EEEvT1_.numbered_sgpr, 0
	.set _ZN7rocprim17ROCPRIM_400000_NS6detail17trampoline_kernelINS0_14default_configENS1_33run_length_encode_config_selectorImjNS0_4plusIjEEEEZZNS1_33reduce_by_key_impl_wrapped_configILNS1_25lookback_scan_determinismE0ES3_S7_PKmNS0_17constant_iteratorIjlEEPmPlSF_S6_NS0_8equal_toImEEEE10hipError_tPvRmT2_T3_mT4_T5_T6_T7_T8_P12ihipStream_tbENKUlT_T0_E_clISt17integral_constantIbLb1EESZ_EEDaSU_SV_EUlSU_E_NS1_11comp_targetILNS1_3genE8ELNS1_11target_archE1030ELNS1_3gpuE2ELNS1_3repE0EEENS1_30default_config_static_selectorELNS0_4arch9wavefront6targetE0EEEvT1_.num_named_barrier, 0
	.set _ZN7rocprim17ROCPRIM_400000_NS6detail17trampoline_kernelINS0_14default_configENS1_33run_length_encode_config_selectorImjNS0_4plusIjEEEEZZNS1_33reduce_by_key_impl_wrapped_configILNS1_25lookback_scan_determinismE0ES3_S7_PKmNS0_17constant_iteratorIjlEEPmPlSF_S6_NS0_8equal_toImEEEE10hipError_tPvRmT2_T3_mT4_T5_T6_T7_T8_P12ihipStream_tbENKUlT_T0_E_clISt17integral_constantIbLb1EESZ_EEDaSU_SV_EUlSU_E_NS1_11comp_targetILNS1_3genE8ELNS1_11target_archE1030ELNS1_3gpuE2ELNS1_3repE0EEENS1_30default_config_static_selectorELNS0_4arch9wavefront6targetE0EEEvT1_.private_seg_size, 0
	.set _ZN7rocprim17ROCPRIM_400000_NS6detail17trampoline_kernelINS0_14default_configENS1_33run_length_encode_config_selectorImjNS0_4plusIjEEEEZZNS1_33reduce_by_key_impl_wrapped_configILNS1_25lookback_scan_determinismE0ES3_S7_PKmNS0_17constant_iteratorIjlEEPmPlSF_S6_NS0_8equal_toImEEEE10hipError_tPvRmT2_T3_mT4_T5_T6_T7_T8_P12ihipStream_tbENKUlT_T0_E_clISt17integral_constantIbLb1EESZ_EEDaSU_SV_EUlSU_E_NS1_11comp_targetILNS1_3genE8ELNS1_11target_archE1030ELNS1_3gpuE2ELNS1_3repE0EEENS1_30default_config_static_selectorELNS0_4arch9wavefront6targetE0EEEvT1_.uses_vcc, 0
	.set _ZN7rocprim17ROCPRIM_400000_NS6detail17trampoline_kernelINS0_14default_configENS1_33run_length_encode_config_selectorImjNS0_4plusIjEEEEZZNS1_33reduce_by_key_impl_wrapped_configILNS1_25lookback_scan_determinismE0ES3_S7_PKmNS0_17constant_iteratorIjlEEPmPlSF_S6_NS0_8equal_toImEEEE10hipError_tPvRmT2_T3_mT4_T5_T6_T7_T8_P12ihipStream_tbENKUlT_T0_E_clISt17integral_constantIbLb1EESZ_EEDaSU_SV_EUlSU_E_NS1_11comp_targetILNS1_3genE8ELNS1_11target_archE1030ELNS1_3gpuE2ELNS1_3repE0EEENS1_30default_config_static_selectorELNS0_4arch9wavefront6targetE0EEEvT1_.uses_flat_scratch, 0
	.set _ZN7rocprim17ROCPRIM_400000_NS6detail17trampoline_kernelINS0_14default_configENS1_33run_length_encode_config_selectorImjNS0_4plusIjEEEEZZNS1_33reduce_by_key_impl_wrapped_configILNS1_25lookback_scan_determinismE0ES3_S7_PKmNS0_17constant_iteratorIjlEEPmPlSF_S6_NS0_8equal_toImEEEE10hipError_tPvRmT2_T3_mT4_T5_T6_T7_T8_P12ihipStream_tbENKUlT_T0_E_clISt17integral_constantIbLb1EESZ_EEDaSU_SV_EUlSU_E_NS1_11comp_targetILNS1_3genE8ELNS1_11target_archE1030ELNS1_3gpuE2ELNS1_3repE0EEENS1_30default_config_static_selectorELNS0_4arch9wavefront6targetE0EEEvT1_.has_dyn_sized_stack, 0
	.set _ZN7rocprim17ROCPRIM_400000_NS6detail17trampoline_kernelINS0_14default_configENS1_33run_length_encode_config_selectorImjNS0_4plusIjEEEEZZNS1_33reduce_by_key_impl_wrapped_configILNS1_25lookback_scan_determinismE0ES3_S7_PKmNS0_17constant_iteratorIjlEEPmPlSF_S6_NS0_8equal_toImEEEE10hipError_tPvRmT2_T3_mT4_T5_T6_T7_T8_P12ihipStream_tbENKUlT_T0_E_clISt17integral_constantIbLb1EESZ_EEDaSU_SV_EUlSU_E_NS1_11comp_targetILNS1_3genE8ELNS1_11target_archE1030ELNS1_3gpuE2ELNS1_3repE0EEENS1_30default_config_static_selectorELNS0_4arch9wavefront6targetE0EEEvT1_.has_recursion, 0
	.set _ZN7rocprim17ROCPRIM_400000_NS6detail17trampoline_kernelINS0_14default_configENS1_33run_length_encode_config_selectorImjNS0_4plusIjEEEEZZNS1_33reduce_by_key_impl_wrapped_configILNS1_25lookback_scan_determinismE0ES3_S7_PKmNS0_17constant_iteratorIjlEEPmPlSF_S6_NS0_8equal_toImEEEE10hipError_tPvRmT2_T3_mT4_T5_T6_T7_T8_P12ihipStream_tbENKUlT_T0_E_clISt17integral_constantIbLb1EESZ_EEDaSU_SV_EUlSU_E_NS1_11comp_targetILNS1_3genE8ELNS1_11target_archE1030ELNS1_3gpuE2ELNS1_3repE0EEENS1_30default_config_static_selectorELNS0_4arch9wavefront6targetE0EEEvT1_.has_indirect_call, 0
	.section	.AMDGPU.csdata,"",@progbits
; Kernel info:
; codeLenInByte = 0
; TotalNumSgprs: 0
; NumVgprs: 0
; ScratchSize: 0
; MemoryBound: 0
; FloatMode: 240
; IeeeMode: 1
; LDSByteSize: 0 bytes/workgroup (compile time only)
; SGPRBlocks: 0
; VGPRBlocks: 0
; NumSGPRsForWavesPerEU: 1
; NumVGPRsForWavesPerEU: 1
; NamedBarCnt: 0
; Occupancy: 16
; WaveLimiterHint : 0
; COMPUTE_PGM_RSRC2:SCRATCH_EN: 0
; COMPUTE_PGM_RSRC2:USER_SGPR: 2
; COMPUTE_PGM_RSRC2:TRAP_HANDLER: 0
; COMPUTE_PGM_RSRC2:TGID_X_EN: 1
; COMPUTE_PGM_RSRC2:TGID_Y_EN: 0
; COMPUTE_PGM_RSRC2:TGID_Z_EN: 0
; COMPUTE_PGM_RSRC2:TIDIG_COMP_CNT: 0
	.section	.text._ZN7rocprim17ROCPRIM_400000_NS6detail17trampoline_kernelINS0_14default_configENS1_33run_length_encode_config_selectorImjNS0_4plusIjEEEEZZNS1_33reduce_by_key_impl_wrapped_configILNS1_25lookback_scan_determinismE0ES3_S7_PKmNS0_17constant_iteratorIjlEEPmPlSF_S6_NS0_8equal_toImEEEE10hipError_tPvRmT2_T3_mT4_T5_T6_T7_T8_P12ihipStream_tbENKUlT_T0_E_clISt17integral_constantIbLb1EESY_IbLb0EEEEDaSU_SV_EUlSU_E_NS1_11comp_targetILNS1_3genE0ELNS1_11target_archE4294967295ELNS1_3gpuE0ELNS1_3repE0EEENS1_30default_config_static_selectorELNS0_4arch9wavefront6targetE0EEEvT1_,"axG",@progbits,_ZN7rocprim17ROCPRIM_400000_NS6detail17trampoline_kernelINS0_14default_configENS1_33run_length_encode_config_selectorImjNS0_4plusIjEEEEZZNS1_33reduce_by_key_impl_wrapped_configILNS1_25lookback_scan_determinismE0ES3_S7_PKmNS0_17constant_iteratorIjlEEPmPlSF_S6_NS0_8equal_toImEEEE10hipError_tPvRmT2_T3_mT4_T5_T6_T7_T8_P12ihipStream_tbENKUlT_T0_E_clISt17integral_constantIbLb1EESY_IbLb0EEEEDaSU_SV_EUlSU_E_NS1_11comp_targetILNS1_3genE0ELNS1_11target_archE4294967295ELNS1_3gpuE0ELNS1_3repE0EEENS1_30default_config_static_selectorELNS0_4arch9wavefront6targetE0EEEvT1_,comdat
	.protected	_ZN7rocprim17ROCPRIM_400000_NS6detail17trampoline_kernelINS0_14default_configENS1_33run_length_encode_config_selectorImjNS0_4plusIjEEEEZZNS1_33reduce_by_key_impl_wrapped_configILNS1_25lookback_scan_determinismE0ES3_S7_PKmNS0_17constant_iteratorIjlEEPmPlSF_S6_NS0_8equal_toImEEEE10hipError_tPvRmT2_T3_mT4_T5_T6_T7_T8_P12ihipStream_tbENKUlT_T0_E_clISt17integral_constantIbLb1EESY_IbLb0EEEEDaSU_SV_EUlSU_E_NS1_11comp_targetILNS1_3genE0ELNS1_11target_archE4294967295ELNS1_3gpuE0ELNS1_3repE0EEENS1_30default_config_static_selectorELNS0_4arch9wavefront6targetE0EEEvT1_ ; -- Begin function _ZN7rocprim17ROCPRIM_400000_NS6detail17trampoline_kernelINS0_14default_configENS1_33run_length_encode_config_selectorImjNS0_4plusIjEEEEZZNS1_33reduce_by_key_impl_wrapped_configILNS1_25lookback_scan_determinismE0ES3_S7_PKmNS0_17constant_iteratorIjlEEPmPlSF_S6_NS0_8equal_toImEEEE10hipError_tPvRmT2_T3_mT4_T5_T6_T7_T8_P12ihipStream_tbENKUlT_T0_E_clISt17integral_constantIbLb1EESY_IbLb0EEEEDaSU_SV_EUlSU_E_NS1_11comp_targetILNS1_3genE0ELNS1_11target_archE4294967295ELNS1_3gpuE0ELNS1_3repE0EEENS1_30default_config_static_selectorELNS0_4arch9wavefront6targetE0EEEvT1_
	.globl	_ZN7rocprim17ROCPRIM_400000_NS6detail17trampoline_kernelINS0_14default_configENS1_33run_length_encode_config_selectorImjNS0_4plusIjEEEEZZNS1_33reduce_by_key_impl_wrapped_configILNS1_25lookback_scan_determinismE0ES3_S7_PKmNS0_17constant_iteratorIjlEEPmPlSF_S6_NS0_8equal_toImEEEE10hipError_tPvRmT2_T3_mT4_T5_T6_T7_T8_P12ihipStream_tbENKUlT_T0_E_clISt17integral_constantIbLb1EESY_IbLb0EEEEDaSU_SV_EUlSU_E_NS1_11comp_targetILNS1_3genE0ELNS1_11target_archE4294967295ELNS1_3gpuE0ELNS1_3repE0EEENS1_30default_config_static_selectorELNS0_4arch9wavefront6targetE0EEEvT1_
	.p2align	8
	.type	_ZN7rocprim17ROCPRIM_400000_NS6detail17trampoline_kernelINS0_14default_configENS1_33run_length_encode_config_selectorImjNS0_4plusIjEEEEZZNS1_33reduce_by_key_impl_wrapped_configILNS1_25lookback_scan_determinismE0ES3_S7_PKmNS0_17constant_iteratorIjlEEPmPlSF_S6_NS0_8equal_toImEEEE10hipError_tPvRmT2_T3_mT4_T5_T6_T7_T8_P12ihipStream_tbENKUlT_T0_E_clISt17integral_constantIbLb1EESY_IbLb0EEEEDaSU_SV_EUlSU_E_NS1_11comp_targetILNS1_3genE0ELNS1_11target_archE4294967295ELNS1_3gpuE0ELNS1_3repE0EEENS1_30default_config_static_selectorELNS0_4arch9wavefront6targetE0EEEvT1_,@function
_ZN7rocprim17ROCPRIM_400000_NS6detail17trampoline_kernelINS0_14default_configENS1_33run_length_encode_config_selectorImjNS0_4plusIjEEEEZZNS1_33reduce_by_key_impl_wrapped_configILNS1_25lookback_scan_determinismE0ES3_S7_PKmNS0_17constant_iteratorIjlEEPmPlSF_S6_NS0_8equal_toImEEEE10hipError_tPvRmT2_T3_mT4_T5_T6_T7_T8_P12ihipStream_tbENKUlT_T0_E_clISt17integral_constantIbLb1EESY_IbLb0EEEEDaSU_SV_EUlSU_E_NS1_11comp_targetILNS1_3genE0ELNS1_11target_archE4294967295ELNS1_3gpuE0ELNS1_3repE0EEENS1_30default_config_static_selectorELNS0_4arch9wavefront6targetE0EEEvT1_: ; @_ZN7rocprim17ROCPRIM_400000_NS6detail17trampoline_kernelINS0_14default_configENS1_33run_length_encode_config_selectorImjNS0_4plusIjEEEEZZNS1_33reduce_by_key_impl_wrapped_configILNS1_25lookback_scan_determinismE0ES3_S7_PKmNS0_17constant_iteratorIjlEEPmPlSF_S6_NS0_8equal_toImEEEE10hipError_tPvRmT2_T3_mT4_T5_T6_T7_T8_P12ihipStream_tbENKUlT_T0_E_clISt17integral_constantIbLb1EESY_IbLb0EEEEDaSU_SV_EUlSU_E_NS1_11comp_targetILNS1_3genE0ELNS1_11target_archE4294967295ELNS1_3gpuE0ELNS1_3repE0EEENS1_30default_config_static_selectorELNS0_4arch9wavefront6targetE0EEEvT1_
; %bb.0:
	s_endpgm
	.section	.rodata,"a",@progbits
	.p2align	6, 0x0
	.amdhsa_kernel _ZN7rocprim17ROCPRIM_400000_NS6detail17trampoline_kernelINS0_14default_configENS1_33run_length_encode_config_selectorImjNS0_4plusIjEEEEZZNS1_33reduce_by_key_impl_wrapped_configILNS1_25lookback_scan_determinismE0ES3_S7_PKmNS0_17constant_iteratorIjlEEPmPlSF_S6_NS0_8equal_toImEEEE10hipError_tPvRmT2_T3_mT4_T5_T6_T7_T8_P12ihipStream_tbENKUlT_T0_E_clISt17integral_constantIbLb1EESY_IbLb0EEEEDaSU_SV_EUlSU_E_NS1_11comp_targetILNS1_3genE0ELNS1_11target_archE4294967295ELNS1_3gpuE0ELNS1_3repE0EEENS1_30default_config_static_selectorELNS0_4arch9wavefront6targetE0EEEvT1_
		.amdhsa_group_segment_fixed_size 0
		.amdhsa_private_segment_fixed_size 0
		.amdhsa_kernarg_size 128
		.amdhsa_user_sgpr_count 2
		.amdhsa_user_sgpr_dispatch_ptr 0
		.amdhsa_user_sgpr_queue_ptr 0
		.amdhsa_user_sgpr_kernarg_segment_ptr 1
		.amdhsa_user_sgpr_dispatch_id 0
		.amdhsa_user_sgpr_kernarg_preload_length 0
		.amdhsa_user_sgpr_kernarg_preload_offset 0
		.amdhsa_user_sgpr_private_segment_size 0
		.amdhsa_wavefront_size32 1
		.amdhsa_uses_dynamic_stack 0
		.amdhsa_enable_private_segment 0
		.amdhsa_system_sgpr_workgroup_id_x 1
		.amdhsa_system_sgpr_workgroup_id_y 0
		.amdhsa_system_sgpr_workgroup_id_z 0
		.amdhsa_system_sgpr_workgroup_info 0
		.amdhsa_system_vgpr_workitem_id 0
		.amdhsa_next_free_vgpr 1
		.amdhsa_next_free_sgpr 1
		.amdhsa_named_barrier_count 0
		.amdhsa_reserve_vcc 0
		.amdhsa_float_round_mode_32 0
		.amdhsa_float_round_mode_16_64 0
		.amdhsa_float_denorm_mode_32 3
		.amdhsa_float_denorm_mode_16_64 3
		.amdhsa_fp16_overflow 0
		.amdhsa_memory_ordered 1
		.amdhsa_forward_progress 1
		.amdhsa_inst_pref_size 1
		.amdhsa_round_robin_scheduling 0
		.amdhsa_exception_fp_ieee_invalid_op 0
		.amdhsa_exception_fp_denorm_src 0
		.amdhsa_exception_fp_ieee_div_zero 0
		.amdhsa_exception_fp_ieee_overflow 0
		.amdhsa_exception_fp_ieee_underflow 0
		.amdhsa_exception_fp_ieee_inexact 0
		.amdhsa_exception_int_div_zero 0
	.end_amdhsa_kernel
	.section	.text._ZN7rocprim17ROCPRIM_400000_NS6detail17trampoline_kernelINS0_14default_configENS1_33run_length_encode_config_selectorImjNS0_4plusIjEEEEZZNS1_33reduce_by_key_impl_wrapped_configILNS1_25lookback_scan_determinismE0ES3_S7_PKmNS0_17constant_iteratorIjlEEPmPlSF_S6_NS0_8equal_toImEEEE10hipError_tPvRmT2_T3_mT4_T5_T6_T7_T8_P12ihipStream_tbENKUlT_T0_E_clISt17integral_constantIbLb1EESY_IbLb0EEEEDaSU_SV_EUlSU_E_NS1_11comp_targetILNS1_3genE0ELNS1_11target_archE4294967295ELNS1_3gpuE0ELNS1_3repE0EEENS1_30default_config_static_selectorELNS0_4arch9wavefront6targetE0EEEvT1_,"axG",@progbits,_ZN7rocprim17ROCPRIM_400000_NS6detail17trampoline_kernelINS0_14default_configENS1_33run_length_encode_config_selectorImjNS0_4plusIjEEEEZZNS1_33reduce_by_key_impl_wrapped_configILNS1_25lookback_scan_determinismE0ES3_S7_PKmNS0_17constant_iteratorIjlEEPmPlSF_S6_NS0_8equal_toImEEEE10hipError_tPvRmT2_T3_mT4_T5_T6_T7_T8_P12ihipStream_tbENKUlT_T0_E_clISt17integral_constantIbLb1EESY_IbLb0EEEEDaSU_SV_EUlSU_E_NS1_11comp_targetILNS1_3genE0ELNS1_11target_archE4294967295ELNS1_3gpuE0ELNS1_3repE0EEENS1_30default_config_static_selectorELNS0_4arch9wavefront6targetE0EEEvT1_,comdat
.Lfunc_end736:
	.size	_ZN7rocprim17ROCPRIM_400000_NS6detail17trampoline_kernelINS0_14default_configENS1_33run_length_encode_config_selectorImjNS0_4plusIjEEEEZZNS1_33reduce_by_key_impl_wrapped_configILNS1_25lookback_scan_determinismE0ES3_S7_PKmNS0_17constant_iteratorIjlEEPmPlSF_S6_NS0_8equal_toImEEEE10hipError_tPvRmT2_T3_mT4_T5_T6_T7_T8_P12ihipStream_tbENKUlT_T0_E_clISt17integral_constantIbLb1EESY_IbLb0EEEEDaSU_SV_EUlSU_E_NS1_11comp_targetILNS1_3genE0ELNS1_11target_archE4294967295ELNS1_3gpuE0ELNS1_3repE0EEENS1_30default_config_static_selectorELNS0_4arch9wavefront6targetE0EEEvT1_, .Lfunc_end736-_ZN7rocprim17ROCPRIM_400000_NS6detail17trampoline_kernelINS0_14default_configENS1_33run_length_encode_config_selectorImjNS0_4plusIjEEEEZZNS1_33reduce_by_key_impl_wrapped_configILNS1_25lookback_scan_determinismE0ES3_S7_PKmNS0_17constant_iteratorIjlEEPmPlSF_S6_NS0_8equal_toImEEEE10hipError_tPvRmT2_T3_mT4_T5_T6_T7_T8_P12ihipStream_tbENKUlT_T0_E_clISt17integral_constantIbLb1EESY_IbLb0EEEEDaSU_SV_EUlSU_E_NS1_11comp_targetILNS1_3genE0ELNS1_11target_archE4294967295ELNS1_3gpuE0ELNS1_3repE0EEENS1_30default_config_static_selectorELNS0_4arch9wavefront6targetE0EEEvT1_
                                        ; -- End function
	.set _ZN7rocprim17ROCPRIM_400000_NS6detail17trampoline_kernelINS0_14default_configENS1_33run_length_encode_config_selectorImjNS0_4plusIjEEEEZZNS1_33reduce_by_key_impl_wrapped_configILNS1_25lookback_scan_determinismE0ES3_S7_PKmNS0_17constant_iteratorIjlEEPmPlSF_S6_NS0_8equal_toImEEEE10hipError_tPvRmT2_T3_mT4_T5_T6_T7_T8_P12ihipStream_tbENKUlT_T0_E_clISt17integral_constantIbLb1EESY_IbLb0EEEEDaSU_SV_EUlSU_E_NS1_11comp_targetILNS1_3genE0ELNS1_11target_archE4294967295ELNS1_3gpuE0ELNS1_3repE0EEENS1_30default_config_static_selectorELNS0_4arch9wavefront6targetE0EEEvT1_.num_vgpr, 0
	.set _ZN7rocprim17ROCPRIM_400000_NS6detail17trampoline_kernelINS0_14default_configENS1_33run_length_encode_config_selectorImjNS0_4plusIjEEEEZZNS1_33reduce_by_key_impl_wrapped_configILNS1_25lookback_scan_determinismE0ES3_S7_PKmNS0_17constant_iteratorIjlEEPmPlSF_S6_NS0_8equal_toImEEEE10hipError_tPvRmT2_T3_mT4_T5_T6_T7_T8_P12ihipStream_tbENKUlT_T0_E_clISt17integral_constantIbLb1EESY_IbLb0EEEEDaSU_SV_EUlSU_E_NS1_11comp_targetILNS1_3genE0ELNS1_11target_archE4294967295ELNS1_3gpuE0ELNS1_3repE0EEENS1_30default_config_static_selectorELNS0_4arch9wavefront6targetE0EEEvT1_.num_agpr, 0
	.set _ZN7rocprim17ROCPRIM_400000_NS6detail17trampoline_kernelINS0_14default_configENS1_33run_length_encode_config_selectorImjNS0_4plusIjEEEEZZNS1_33reduce_by_key_impl_wrapped_configILNS1_25lookback_scan_determinismE0ES3_S7_PKmNS0_17constant_iteratorIjlEEPmPlSF_S6_NS0_8equal_toImEEEE10hipError_tPvRmT2_T3_mT4_T5_T6_T7_T8_P12ihipStream_tbENKUlT_T0_E_clISt17integral_constantIbLb1EESY_IbLb0EEEEDaSU_SV_EUlSU_E_NS1_11comp_targetILNS1_3genE0ELNS1_11target_archE4294967295ELNS1_3gpuE0ELNS1_3repE0EEENS1_30default_config_static_selectorELNS0_4arch9wavefront6targetE0EEEvT1_.numbered_sgpr, 0
	.set _ZN7rocprim17ROCPRIM_400000_NS6detail17trampoline_kernelINS0_14default_configENS1_33run_length_encode_config_selectorImjNS0_4plusIjEEEEZZNS1_33reduce_by_key_impl_wrapped_configILNS1_25lookback_scan_determinismE0ES3_S7_PKmNS0_17constant_iteratorIjlEEPmPlSF_S6_NS0_8equal_toImEEEE10hipError_tPvRmT2_T3_mT4_T5_T6_T7_T8_P12ihipStream_tbENKUlT_T0_E_clISt17integral_constantIbLb1EESY_IbLb0EEEEDaSU_SV_EUlSU_E_NS1_11comp_targetILNS1_3genE0ELNS1_11target_archE4294967295ELNS1_3gpuE0ELNS1_3repE0EEENS1_30default_config_static_selectorELNS0_4arch9wavefront6targetE0EEEvT1_.num_named_barrier, 0
	.set _ZN7rocprim17ROCPRIM_400000_NS6detail17trampoline_kernelINS0_14default_configENS1_33run_length_encode_config_selectorImjNS0_4plusIjEEEEZZNS1_33reduce_by_key_impl_wrapped_configILNS1_25lookback_scan_determinismE0ES3_S7_PKmNS0_17constant_iteratorIjlEEPmPlSF_S6_NS0_8equal_toImEEEE10hipError_tPvRmT2_T3_mT4_T5_T6_T7_T8_P12ihipStream_tbENKUlT_T0_E_clISt17integral_constantIbLb1EESY_IbLb0EEEEDaSU_SV_EUlSU_E_NS1_11comp_targetILNS1_3genE0ELNS1_11target_archE4294967295ELNS1_3gpuE0ELNS1_3repE0EEENS1_30default_config_static_selectorELNS0_4arch9wavefront6targetE0EEEvT1_.private_seg_size, 0
	.set _ZN7rocprim17ROCPRIM_400000_NS6detail17trampoline_kernelINS0_14default_configENS1_33run_length_encode_config_selectorImjNS0_4plusIjEEEEZZNS1_33reduce_by_key_impl_wrapped_configILNS1_25lookback_scan_determinismE0ES3_S7_PKmNS0_17constant_iteratorIjlEEPmPlSF_S6_NS0_8equal_toImEEEE10hipError_tPvRmT2_T3_mT4_T5_T6_T7_T8_P12ihipStream_tbENKUlT_T0_E_clISt17integral_constantIbLb1EESY_IbLb0EEEEDaSU_SV_EUlSU_E_NS1_11comp_targetILNS1_3genE0ELNS1_11target_archE4294967295ELNS1_3gpuE0ELNS1_3repE0EEENS1_30default_config_static_selectorELNS0_4arch9wavefront6targetE0EEEvT1_.uses_vcc, 0
	.set _ZN7rocprim17ROCPRIM_400000_NS6detail17trampoline_kernelINS0_14default_configENS1_33run_length_encode_config_selectorImjNS0_4plusIjEEEEZZNS1_33reduce_by_key_impl_wrapped_configILNS1_25lookback_scan_determinismE0ES3_S7_PKmNS0_17constant_iteratorIjlEEPmPlSF_S6_NS0_8equal_toImEEEE10hipError_tPvRmT2_T3_mT4_T5_T6_T7_T8_P12ihipStream_tbENKUlT_T0_E_clISt17integral_constantIbLb1EESY_IbLb0EEEEDaSU_SV_EUlSU_E_NS1_11comp_targetILNS1_3genE0ELNS1_11target_archE4294967295ELNS1_3gpuE0ELNS1_3repE0EEENS1_30default_config_static_selectorELNS0_4arch9wavefront6targetE0EEEvT1_.uses_flat_scratch, 0
	.set _ZN7rocprim17ROCPRIM_400000_NS6detail17trampoline_kernelINS0_14default_configENS1_33run_length_encode_config_selectorImjNS0_4plusIjEEEEZZNS1_33reduce_by_key_impl_wrapped_configILNS1_25lookback_scan_determinismE0ES3_S7_PKmNS0_17constant_iteratorIjlEEPmPlSF_S6_NS0_8equal_toImEEEE10hipError_tPvRmT2_T3_mT4_T5_T6_T7_T8_P12ihipStream_tbENKUlT_T0_E_clISt17integral_constantIbLb1EESY_IbLb0EEEEDaSU_SV_EUlSU_E_NS1_11comp_targetILNS1_3genE0ELNS1_11target_archE4294967295ELNS1_3gpuE0ELNS1_3repE0EEENS1_30default_config_static_selectorELNS0_4arch9wavefront6targetE0EEEvT1_.has_dyn_sized_stack, 0
	.set _ZN7rocprim17ROCPRIM_400000_NS6detail17trampoline_kernelINS0_14default_configENS1_33run_length_encode_config_selectorImjNS0_4plusIjEEEEZZNS1_33reduce_by_key_impl_wrapped_configILNS1_25lookback_scan_determinismE0ES3_S7_PKmNS0_17constant_iteratorIjlEEPmPlSF_S6_NS0_8equal_toImEEEE10hipError_tPvRmT2_T3_mT4_T5_T6_T7_T8_P12ihipStream_tbENKUlT_T0_E_clISt17integral_constantIbLb1EESY_IbLb0EEEEDaSU_SV_EUlSU_E_NS1_11comp_targetILNS1_3genE0ELNS1_11target_archE4294967295ELNS1_3gpuE0ELNS1_3repE0EEENS1_30default_config_static_selectorELNS0_4arch9wavefront6targetE0EEEvT1_.has_recursion, 0
	.set _ZN7rocprim17ROCPRIM_400000_NS6detail17trampoline_kernelINS0_14default_configENS1_33run_length_encode_config_selectorImjNS0_4plusIjEEEEZZNS1_33reduce_by_key_impl_wrapped_configILNS1_25lookback_scan_determinismE0ES3_S7_PKmNS0_17constant_iteratorIjlEEPmPlSF_S6_NS0_8equal_toImEEEE10hipError_tPvRmT2_T3_mT4_T5_T6_T7_T8_P12ihipStream_tbENKUlT_T0_E_clISt17integral_constantIbLb1EESY_IbLb0EEEEDaSU_SV_EUlSU_E_NS1_11comp_targetILNS1_3genE0ELNS1_11target_archE4294967295ELNS1_3gpuE0ELNS1_3repE0EEENS1_30default_config_static_selectorELNS0_4arch9wavefront6targetE0EEEvT1_.has_indirect_call, 0
	.section	.AMDGPU.csdata,"",@progbits
; Kernel info:
; codeLenInByte = 4
; TotalNumSgprs: 0
; NumVgprs: 0
; ScratchSize: 0
; MemoryBound: 0
; FloatMode: 240
; IeeeMode: 1
; LDSByteSize: 0 bytes/workgroup (compile time only)
; SGPRBlocks: 0
; VGPRBlocks: 0
; NumSGPRsForWavesPerEU: 1
; NumVGPRsForWavesPerEU: 1
; NamedBarCnt: 0
; Occupancy: 16
; WaveLimiterHint : 0
; COMPUTE_PGM_RSRC2:SCRATCH_EN: 0
; COMPUTE_PGM_RSRC2:USER_SGPR: 2
; COMPUTE_PGM_RSRC2:TRAP_HANDLER: 0
; COMPUTE_PGM_RSRC2:TGID_X_EN: 1
; COMPUTE_PGM_RSRC2:TGID_Y_EN: 0
; COMPUTE_PGM_RSRC2:TGID_Z_EN: 0
; COMPUTE_PGM_RSRC2:TIDIG_COMP_CNT: 0
	.section	.text._ZN7rocprim17ROCPRIM_400000_NS6detail17trampoline_kernelINS0_14default_configENS1_33run_length_encode_config_selectorImjNS0_4plusIjEEEEZZNS1_33reduce_by_key_impl_wrapped_configILNS1_25lookback_scan_determinismE0ES3_S7_PKmNS0_17constant_iteratorIjlEEPmPlSF_S6_NS0_8equal_toImEEEE10hipError_tPvRmT2_T3_mT4_T5_T6_T7_T8_P12ihipStream_tbENKUlT_T0_E_clISt17integral_constantIbLb1EESY_IbLb0EEEEDaSU_SV_EUlSU_E_NS1_11comp_targetILNS1_3genE5ELNS1_11target_archE942ELNS1_3gpuE9ELNS1_3repE0EEENS1_30default_config_static_selectorELNS0_4arch9wavefront6targetE0EEEvT1_,"axG",@progbits,_ZN7rocprim17ROCPRIM_400000_NS6detail17trampoline_kernelINS0_14default_configENS1_33run_length_encode_config_selectorImjNS0_4plusIjEEEEZZNS1_33reduce_by_key_impl_wrapped_configILNS1_25lookback_scan_determinismE0ES3_S7_PKmNS0_17constant_iteratorIjlEEPmPlSF_S6_NS0_8equal_toImEEEE10hipError_tPvRmT2_T3_mT4_T5_T6_T7_T8_P12ihipStream_tbENKUlT_T0_E_clISt17integral_constantIbLb1EESY_IbLb0EEEEDaSU_SV_EUlSU_E_NS1_11comp_targetILNS1_3genE5ELNS1_11target_archE942ELNS1_3gpuE9ELNS1_3repE0EEENS1_30default_config_static_selectorELNS0_4arch9wavefront6targetE0EEEvT1_,comdat
	.protected	_ZN7rocprim17ROCPRIM_400000_NS6detail17trampoline_kernelINS0_14default_configENS1_33run_length_encode_config_selectorImjNS0_4plusIjEEEEZZNS1_33reduce_by_key_impl_wrapped_configILNS1_25lookback_scan_determinismE0ES3_S7_PKmNS0_17constant_iteratorIjlEEPmPlSF_S6_NS0_8equal_toImEEEE10hipError_tPvRmT2_T3_mT4_T5_T6_T7_T8_P12ihipStream_tbENKUlT_T0_E_clISt17integral_constantIbLb1EESY_IbLb0EEEEDaSU_SV_EUlSU_E_NS1_11comp_targetILNS1_3genE5ELNS1_11target_archE942ELNS1_3gpuE9ELNS1_3repE0EEENS1_30default_config_static_selectorELNS0_4arch9wavefront6targetE0EEEvT1_ ; -- Begin function _ZN7rocprim17ROCPRIM_400000_NS6detail17trampoline_kernelINS0_14default_configENS1_33run_length_encode_config_selectorImjNS0_4plusIjEEEEZZNS1_33reduce_by_key_impl_wrapped_configILNS1_25lookback_scan_determinismE0ES3_S7_PKmNS0_17constant_iteratorIjlEEPmPlSF_S6_NS0_8equal_toImEEEE10hipError_tPvRmT2_T3_mT4_T5_T6_T7_T8_P12ihipStream_tbENKUlT_T0_E_clISt17integral_constantIbLb1EESY_IbLb0EEEEDaSU_SV_EUlSU_E_NS1_11comp_targetILNS1_3genE5ELNS1_11target_archE942ELNS1_3gpuE9ELNS1_3repE0EEENS1_30default_config_static_selectorELNS0_4arch9wavefront6targetE0EEEvT1_
	.globl	_ZN7rocprim17ROCPRIM_400000_NS6detail17trampoline_kernelINS0_14default_configENS1_33run_length_encode_config_selectorImjNS0_4plusIjEEEEZZNS1_33reduce_by_key_impl_wrapped_configILNS1_25lookback_scan_determinismE0ES3_S7_PKmNS0_17constant_iteratorIjlEEPmPlSF_S6_NS0_8equal_toImEEEE10hipError_tPvRmT2_T3_mT4_T5_T6_T7_T8_P12ihipStream_tbENKUlT_T0_E_clISt17integral_constantIbLb1EESY_IbLb0EEEEDaSU_SV_EUlSU_E_NS1_11comp_targetILNS1_3genE5ELNS1_11target_archE942ELNS1_3gpuE9ELNS1_3repE0EEENS1_30default_config_static_selectorELNS0_4arch9wavefront6targetE0EEEvT1_
	.p2align	8
	.type	_ZN7rocprim17ROCPRIM_400000_NS6detail17trampoline_kernelINS0_14default_configENS1_33run_length_encode_config_selectorImjNS0_4plusIjEEEEZZNS1_33reduce_by_key_impl_wrapped_configILNS1_25lookback_scan_determinismE0ES3_S7_PKmNS0_17constant_iteratorIjlEEPmPlSF_S6_NS0_8equal_toImEEEE10hipError_tPvRmT2_T3_mT4_T5_T6_T7_T8_P12ihipStream_tbENKUlT_T0_E_clISt17integral_constantIbLb1EESY_IbLb0EEEEDaSU_SV_EUlSU_E_NS1_11comp_targetILNS1_3genE5ELNS1_11target_archE942ELNS1_3gpuE9ELNS1_3repE0EEENS1_30default_config_static_selectorELNS0_4arch9wavefront6targetE0EEEvT1_,@function
_ZN7rocprim17ROCPRIM_400000_NS6detail17trampoline_kernelINS0_14default_configENS1_33run_length_encode_config_selectorImjNS0_4plusIjEEEEZZNS1_33reduce_by_key_impl_wrapped_configILNS1_25lookback_scan_determinismE0ES3_S7_PKmNS0_17constant_iteratorIjlEEPmPlSF_S6_NS0_8equal_toImEEEE10hipError_tPvRmT2_T3_mT4_T5_T6_T7_T8_P12ihipStream_tbENKUlT_T0_E_clISt17integral_constantIbLb1EESY_IbLb0EEEEDaSU_SV_EUlSU_E_NS1_11comp_targetILNS1_3genE5ELNS1_11target_archE942ELNS1_3gpuE9ELNS1_3repE0EEENS1_30default_config_static_selectorELNS0_4arch9wavefront6targetE0EEEvT1_: ; @_ZN7rocprim17ROCPRIM_400000_NS6detail17trampoline_kernelINS0_14default_configENS1_33run_length_encode_config_selectorImjNS0_4plusIjEEEEZZNS1_33reduce_by_key_impl_wrapped_configILNS1_25lookback_scan_determinismE0ES3_S7_PKmNS0_17constant_iteratorIjlEEPmPlSF_S6_NS0_8equal_toImEEEE10hipError_tPvRmT2_T3_mT4_T5_T6_T7_T8_P12ihipStream_tbENKUlT_T0_E_clISt17integral_constantIbLb1EESY_IbLb0EEEEDaSU_SV_EUlSU_E_NS1_11comp_targetILNS1_3genE5ELNS1_11target_archE942ELNS1_3gpuE9ELNS1_3repE0EEENS1_30default_config_static_selectorELNS0_4arch9wavefront6targetE0EEEvT1_
; %bb.0:
	.section	.rodata,"a",@progbits
	.p2align	6, 0x0
	.amdhsa_kernel _ZN7rocprim17ROCPRIM_400000_NS6detail17trampoline_kernelINS0_14default_configENS1_33run_length_encode_config_selectorImjNS0_4plusIjEEEEZZNS1_33reduce_by_key_impl_wrapped_configILNS1_25lookback_scan_determinismE0ES3_S7_PKmNS0_17constant_iteratorIjlEEPmPlSF_S6_NS0_8equal_toImEEEE10hipError_tPvRmT2_T3_mT4_T5_T6_T7_T8_P12ihipStream_tbENKUlT_T0_E_clISt17integral_constantIbLb1EESY_IbLb0EEEEDaSU_SV_EUlSU_E_NS1_11comp_targetILNS1_3genE5ELNS1_11target_archE942ELNS1_3gpuE9ELNS1_3repE0EEENS1_30default_config_static_selectorELNS0_4arch9wavefront6targetE0EEEvT1_
		.amdhsa_group_segment_fixed_size 0
		.amdhsa_private_segment_fixed_size 0
		.amdhsa_kernarg_size 128
		.amdhsa_user_sgpr_count 2
		.amdhsa_user_sgpr_dispatch_ptr 0
		.amdhsa_user_sgpr_queue_ptr 0
		.amdhsa_user_sgpr_kernarg_segment_ptr 1
		.amdhsa_user_sgpr_dispatch_id 0
		.amdhsa_user_sgpr_kernarg_preload_length 0
		.amdhsa_user_sgpr_kernarg_preload_offset 0
		.amdhsa_user_sgpr_private_segment_size 0
		.amdhsa_wavefront_size32 1
		.amdhsa_uses_dynamic_stack 0
		.amdhsa_enable_private_segment 0
		.amdhsa_system_sgpr_workgroup_id_x 1
		.amdhsa_system_sgpr_workgroup_id_y 0
		.amdhsa_system_sgpr_workgroup_id_z 0
		.amdhsa_system_sgpr_workgroup_info 0
		.amdhsa_system_vgpr_workitem_id 0
		.amdhsa_next_free_vgpr 1
		.amdhsa_next_free_sgpr 1
		.amdhsa_named_barrier_count 0
		.amdhsa_reserve_vcc 0
		.amdhsa_float_round_mode_32 0
		.amdhsa_float_round_mode_16_64 0
		.amdhsa_float_denorm_mode_32 3
		.amdhsa_float_denorm_mode_16_64 3
		.amdhsa_fp16_overflow 0
		.amdhsa_memory_ordered 1
		.amdhsa_forward_progress 1
		.amdhsa_inst_pref_size 0
		.amdhsa_round_robin_scheduling 0
		.amdhsa_exception_fp_ieee_invalid_op 0
		.amdhsa_exception_fp_denorm_src 0
		.amdhsa_exception_fp_ieee_div_zero 0
		.amdhsa_exception_fp_ieee_overflow 0
		.amdhsa_exception_fp_ieee_underflow 0
		.amdhsa_exception_fp_ieee_inexact 0
		.amdhsa_exception_int_div_zero 0
	.end_amdhsa_kernel
	.section	.text._ZN7rocprim17ROCPRIM_400000_NS6detail17trampoline_kernelINS0_14default_configENS1_33run_length_encode_config_selectorImjNS0_4plusIjEEEEZZNS1_33reduce_by_key_impl_wrapped_configILNS1_25lookback_scan_determinismE0ES3_S7_PKmNS0_17constant_iteratorIjlEEPmPlSF_S6_NS0_8equal_toImEEEE10hipError_tPvRmT2_T3_mT4_T5_T6_T7_T8_P12ihipStream_tbENKUlT_T0_E_clISt17integral_constantIbLb1EESY_IbLb0EEEEDaSU_SV_EUlSU_E_NS1_11comp_targetILNS1_3genE5ELNS1_11target_archE942ELNS1_3gpuE9ELNS1_3repE0EEENS1_30default_config_static_selectorELNS0_4arch9wavefront6targetE0EEEvT1_,"axG",@progbits,_ZN7rocprim17ROCPRIM_400000_NS6detail17trampoline_kernelINS0_14default_configENS1_33run_length_encode_config_selectorImjNS0_4plusIjEEEEZZNS1_33reduce_by_key_impl_wrapped_configILNS1_25lookback_scan_determinismE0ES3_S7_PKmNS0_17constant_iteratorIjlEEPmPlSF_S6_NS0_8equal_toImEEEE10hipError_tPvRmT2_T3_mT4_T5_T6_T7_T8_P12ihipStream_tbENKUlT_T0_E_clISt17integral_constantIbLb1EESY_IbLb0EEEEDaSU_SV_EUlSU_E_NS1_11comp_targetILNS1_3genE5ELNS1_11target_archE942ELNS1_3gpuE9ELNS1_3repE0EEENS1_30default_config_static_selectorELNS0_4arch9wavefront6targetE0EEEvT1_,comdat
.Lfunc_end737:
	.size	_ZN7rocprim17ROCPRIM_400000_NS6detail17trampoline_kernelINS0_14default_configENS1_33run_length_encode_config_selectorImjNS0_4plusIjEEEEZZNS1_33reduce_by_key_impl_wrapped_configILNS1_25lookback_scan_determinismE0ES3_S7_PKmNS0_17constant_iteratorIjlEEPmPlSF_S6_NS0_8equal_toImEEEE10hipError_tPvRmT2_T3_mT4_T5_T6_T7_T8_P12ihipStream_tbENKUlT_T0_E_clISt17integral_constantIbLb1EESY_IbLb0EEEEDaSU_SV_EUlSU_E_NS1_11comp_targetILNS1_3genE5ELNS1_11target_archE942ELNS1_3gpuE9ELNS1_3repE0EEENS1_30default_config_static_selectorELNS0_4arch9wavefront6targetE0EEEvT1_, .Lfunc_end737-_ZN7rocprim17ROCPRIM_400000_NS6detail17trampoline_kernelINS0_14default_configENS1_33run_length_encode_config_selectorImjNS0_4plusIjEEEEZZNS1_33reduce_by_key_impl_wrapped_configILNS1_25lookback_scan_determinismE0ES3_S7_PKmNS0_17constant_iteratorIjlEEPmPlSF_S6_NS0_8equal_toImEEEE10hipError_tPvRmT2_T3_mT4_T5_T6_T7_T8_P12ihipStream_tbENKUlT_T0_E_clISt17integral_constantIbLb1EESY_IbLb0EEEEDaSU_SV_EUlSU_E_NS1_11comp_targetILNS1_3genE5ELNS1_11target_archE942ELNS1_3gpuE9ELNS1_3repE0EEENS1_30default_config_static_selectorELNS0_4arch9wavefront6targetE0EEEvT1_
                                        ; -- End function
	.set _ZN7rocprim17ROCPRIM_400000_NS6detail17trampoline_kernelINS0_14default_configENS1_33run_length_encode_config_selectorImjNS0_4plusIjEEEEZZNS1_33reduce_by_key_impl_wrapped_configILNS1_25lookback_scan_determinismE0ES3_S7_PKmNS0_17constant_iteratorIjlEEPmPlSF_S6_NS0_8equal_toImEEEE10hipError_tPvRmT2_T3_mT4_T5_T6_T7_T8_P12ihipStream_tbENKUlT_T0_E_clISt17integral_constantIbLb1EESY_IbLb0EEEEDaSU_SV_EUlSU_E_NS1_11comp_targetILNS1_3genE5ELNS1_11target_archE942ELNS1_3gpuE9ELNS1_3repE0EEENS1_30default_config_static_selectorELNS0_4arch9wavefront6targetE0EEEvT1_.num_vgpr, 0
	.set _ZN7rocprim17ROCPRIM_400000_NS6detail17trampoline_kernelINS0_14default_configENS1_33run_length_encode_config_selectorImjNS0_4plusIjEEEEZZNS1_33reduce_by_key_impl_wrapped_configILNS1_25lookback_scan_determinismE0ES3_S7_PKmNS0_17constant_iteratorIjlEEPmPlSF_S6_NS0_8equal_toImEEEE10hipError_tPvRmT2_T3_mT4_T5_T6_T7_T8_P12ihipStream_tbENKUlT_T0_E_clISt17integral_constantIbLb1EESY_IbLb0EEEEDaSU_SV_EUlSU_E_NS1_11comp_targetILNS1_3genE5ELNS1_11target_archE942ELNS1_3gpuE9ELNS1_3repE0EEENS1_30default_config_static_selectorELNS0_4arch9wavefront6targetE0EEEvT1_.num_agpr, 0
	.set _ZN7rocprim17ROCPRIM_400000_NS6detail17trampoline_kernelINS0_14default_configENS1_33run_length_encode_config_selectorImjNS0_4plusIjEEEEZZNS1_33reduce_by_key_impl_wrapped_configILNS1_25lookback_scan_determinismE0ES3_S7_PKmNS0_17constant_iteratorIjlEEPmPlSF_S6_NS0_8equal_toImEEEE10hipError_tPvRmT2_T3_mT4_T5_T6_T7_T8_P12ihipStream_tbENKUlT_T0_E_clISt17integral_constantIbLb1EESY_IbLb0EEEEDaSU_SV_EUlSU_E_NS1_11comp_targetILNS1_3genE5ELNS1_11target_archE942ELNS1_3gpuE9ELNS1_3repE0EEENS1_30default_config_static_selectorELNS0_4arch9wavefront6targetE0EEEvT1_.numbered_sgpr, 0
	.set _ZN7rocprim17ROCPRIM_400000_NS6detail17trampoline_kernelINS0_14default_configENS1_33run_length_encode_config_selectorImjNS0_4plusIjEEEEZZNS1_33reduce_by_key_impl_wrapped_configILNS1_25lookback_scan_determinismE0ES3_S7_PKmNS0_17constant_iteratorIjlEEPmPlSF_S6_NS0_8equal_toImEEEE10hipError_tPvRmT2_T3_mT4_T5_T6_T7_T8_P12ihipStream_tbENKUlT_T0_E_clISt17integral_constantIbLb1EESY_IbLb0EEEEDaSU_SV_EUlSU_E_NS1_11comp_targetILNS1_3genE5ELNS1_11target_archE942ELNS1_3gpuE9ELNS1_3repE0EEENS1_30default_config_static_selectorELNS0_4arch9wavefront6targetE0EEEvT1_.num_named_barrier, 0
	.set _ZN7rocprim17ROCPRIM_400000_NS6detail17trampoline_kernelINS0_14default_configENS1_33run_length_encode_config_selectorImjNS0_4plusIjEEEEZZNS1_33reduce_by_key_impl_wrapped_configILNS1_25lookback_scan_determinismE0ES3_S7_PKmNS0_17constant_iteratorIjlEEPmPlSF_S6_NS0_8equal_toImEEEE10hipError_tPvRmT2_T3_mT4_T5_T6_T7_T8_P12ihipStream_tbENKUlT_T0_E_clISt17integral_constantIbLb1EESY_IbLb0EEEEDaSU_SV_EUlSU_E_NS1_11comp_targetILNS1_3genE5ELNS1_11target_archE942ELNS1_3gpuE9ELNS1_3repE0EEENS1_30default_config_static_selectorELNS0_4arch9wavefront6targetE0EEEvT1_.private_seg_size, 0
	.set _ZN7rocprim17ROCPRIM_400000_NS6detail17trampoline_kernelINS0_14default_configENS1_33run_length_encode_config_selectorImjNS0_4plusIjEEEEZZNS1_33reduce_by_key_impl_wrapped_configILNS1_25lookback_scan_determinismE0ES3_S7_PKmNS0_17constant_iteratorIjlEEPmPlSF_S6_NS0_8equal_toImEEEE10hipError_tPvRmT2_T3_mT4_T5_T6_T7_T8_P12ihipStream_tbENKUlT_T0_E_clISt17integral_constantIbLb1EESY_IbLb0EEEEDaSU_SV_EUlSU_E_NS1_11comp_targetILNS1_3genE5ELNS1_11target_archE942ELNS1_3gpuE9ELNS1_3repE0EEENS1_30default_config_static_selectorELNS0_4arch9wavefront6targetE0EEEvT1_.uses_vcc, 0
	.set _ZN7rocprim17ROCPRIM_400000_NS6detail17trampoline_kernelINS0_14default_configENS1_33run_length_encode_config_selectorImjNS0_4plusIjEEEEZZNS1_33reduce_by_key_impl_wrapped_configILNS1_25lookback_scan_determinismE0ES3_S7_PKmNS0_17constant_iteratorIjlEEPmPlSF_S6_NS0_8equal_toImEEEE10hipError_tPvRmT2_T3_mT4_T5_T6_T7_T8_P12ihipStream_tbENKUlT_T0_E_clISt17integral_constantIbLb1EESY_IbLb0EEEEDaSU_SV_EUlSU_E_NS1_11comp_targetILNS1_3genE5ELNS1_11target_archE942ELNS1_3gpuE9ELNS1_3repE0EEENS1_30default_config_static_selectorELNS0_4arch9wavefront6targetE0EEEvT1_.uses_flat_scratch, 0
	.set _ZN7rocprim17ROCPRIM_400000_NS6detail17trampoline_kernelINS0_14default_configENS1_33run_length_encode_config_selectorImjNS0_4plusIjEEEEZZNS1_33reduce_by_key_impl_wrapped_configILNS1_25lookback_scan_determinismE0ES3_S7_PKmNS0_17constant_iteratorIjlEEPmPlSF_S6_NS0_8equal_toImEEEE10hipError_tPvRmT2_T3_mT4_T5_T6_T7_T8_P12ihipStream_tbENKUlT_T0_E_clISt17integral_constantIbLb1EESY_IbLb0EEEEDaSU_SV_EUlSU_E_NS1_11comp_targetILNS1_3genE5ELNS1_11target_archE942ELNS1_3gpuE9ELNS1_3repE0EEENS1_30default_config_static_selectorELNS0_4arch9wavefront6targetE0EEEvT1_.has_dyn_sized_stack, 0
	.set _ZN7rocprim17ROCPRIM_400000_NS6detail17trampoline_kernelINS0_14default_configENS1_33run_length_encode_config_selectorImjNS0_4plusIjEEEEZZNS1_33reduce_by_key_impl_wrapped_configILNS1_25lookback_scan_determinismE0ES3_S7_PKmNS0_17constant_iteratorIjlEEPmPlSF_S6_NS0_8equal_toImEEEE10hipError_tPvRmT2_T3_mT4_T5_T6_T7_T8_P12ihipStream_tbENKUlT_T0_E_clISt17integral_constantIbLb1EESY_IbLb0EEEEDaSU_SV_EUlSU_E_NS1_11comp_targetILNS1_3genE5ELNS1_11target_archE942ELNS1_3gpuE9ELNS1_3repE0EEENS1_30default_config_static_selectorELNS0_4arch9wavefront6targetE0EEEvT1_.has_recursion, 0
	.set _ZN7rocprim17ROCPRIM_400000_NS6detail17trampoline_kernelINS0_14default_configENS1_33run_length_encode_config_selectorImjNS0_4plusIjEEEEZZNS1_33reduce_by_key_impl_wrapped_configILNS1_25lookback_scan_determinismE0ES3_S7_PKmNS0_17constant_iteratorIjlEEPmPlSF_S6_NS0_8equal_toImEEEE10hipError_tPvRmT2_T3_mT4_T5_T6_T7_T8_P12ihipStream_tbENKUlT_T0_E_clISt17integral_constantIbLb1EESY_IbLb0EEEEDaSU_SV_EUlSU_E_NS1_11comp_targetILNS1_3genE5ELNS1_11target_archE942ELNS1_3gpuE9ELNS1_3repE0EEENS1_30default_config_static_selectorELNS0_4arch9wavefront6targetE0EEEvT1_.has_indirect_call, 0
	.section	.AMDGPU.csdata,"",@progbits
; Kernel info:
; codeLenInByte = 0
; TotalNumSgprs: 0
; NumVgprs: 0
; ScratchSize: 0
; MemoryBound: 0
; FloatMode: 240
; IeeeMode: 1
; LDSByteSize: 0 bytes/workgroup (compile time only)
; SGPRBlocks: 0
; VGPRBlocks: 0
; NumSGPRsForWavesPerEU: 1
; NumVGPRsForWavesPerEU: 1
; NamedBarCnt: 0
; Occupancy: 16
; WaveLimiterHint : 0
; COMPUTE_PGM_RSRC2:SCRATCH_EN: 0
; COMPUTE_PGM_RSRC2:USER_SGPR: 2
; COMPUTE_PGM_RSRC2:TRAP_HANDLER: 0
; COMPUTE_PGM_RSRC2:TGID_X_EN: 1
; COMPUTE_PGM_RSRC2:TGID_Y_EN: 0
; COMPUTE_PGM_RSRC2:TGID_Z_EN: 0
; COMPUTE_PGM_RSRC2:TIDIG_COMP_CNT: 0
	.section	.text._ZN7rocprim17ROCPRIM_400000_NS6detail17trampoline_kernelINS0_14default_configENS1_33run_length_encode_config_selectorImjNS0_4plusIjEEEEZZNS1_33reduce_by_key_impl_wrapped_configILNS1_25lookback_scan_determinismE0ES3_S7_PKmNS0_17constant_iteratorIjlEEPmPlSF_S6_NS0_8equal_toImEEEE10hipError_tPvRmT2_T3_mT4_T5_T6_T7_T8_P12ihipStream_tbENKUlT_T0_E_clISt17integral_constantIbLb1EESY_IbLb0EEEEDaSU_SV_EUlSU_E_NS1_11comp_targetILNS1_3genE4ELNS1_11target_archE910ELNS1_3gpuE8ELNS1_3repE0EEENS1_30default_config_static_selectorELNS0_4arch9wavefront6targetE0EEEvT1_,"axG",@progbits,_ZN7rocprim17ROCPRIM_400000_NS6detail17trampoline_kernelINS0_14default_configENS1_33run_length_encode_config_selectorImjNS0_4plusIjEEEEZZNS1_33reduce_by_key_impl_wrapped_configILNS1_25lookback_scan_determinismE0ES3_S7_PKmNS0_17constant_iteratorIjlEEPmPlSF_S6_NS0_8equal_toImEEEE10hipError_tPvRmT2_T3_mT4_T5_T6_T7_T8_P12ihipStream_tbENKUlT_T0_E_clISt17integral_constantIbLb1EESY_IbLb0EEEEDaSU_SV_EUlSU_E_NS1_11comp_targetILNS1_3genE4ELNS1_11target_archE910ELNS1_3gpuE8ELNS1_3repE0EEENS1_30default_config_static_selectorELNS0_4arch9wavefront6targetE0EEEvT1_,comdat
	.protected	_ZN7rocprim17ROCPRIM_400000_NS6detail17trampoline_kernelINS0_14default_configENS1_33run_length_encode_config_selectorImjNS0_4plusIjEEEEZZNS1_33reduce_by_key_impl_wrapped_configILNS1_25lookback_scan_determinismE0ES3_S7_PKmNS0_17constant_iteratorIjlEEPmPlSF_S6_NS0_8equal_toImEEEE10hipError_tPvRmT2_T3_mT4_T5_T6_T7_T8_P12ihipStream_tbENKUlT_T0_E_clISt17integral_constantIbLb1EESY_IbLb0EEEEDaSU_SV_EUlSU_E_NS1_11comp_targetILNS1_3genE4ELNS1_11target_archE910ELNS1_3gpuE8ELNS1_3repE0EEENS1_30default_config_static_selectorELNS0_4arch9wavefront6targetE0EEEvT1_ ; -- Begin function _ZN7rocprim17ROCPRIM_400000_NS6detail17trampoline_kernelINS0_14default_configENS1_33run_length_encode_config_selectorImjNS0_4plusIjEEEEZZNS1_33reduce_by_key_impl_wrapped_configILNS1_25lookback_scan_determinismE0ES3_S7_PKmNS0_17constant_iteratorIjlEEPmPlSF_S6_NS0_8equal_toImEEEE10hipError_tPvRmT2_T3_mT4_T5_T6_T7_T8_P12ihipStream_tbENKUlT_T0_E_clISt17integral_constantIbLb1EESY_IbLb0EEEEDaSU_SV_EUlSU_E_NS1_11comp_targetILNS1_3genE4ELNS1_11target_archE910ELNS1_3gpuE8ELNS1_3repE0EEENS1_30default_config_static_selectorELNS0_4arch9wavefront6targetE0EEEvT1_
	.globl	_ZN7rocprim17ROCPRIM_400000_NS6detail17trampoline_kernelINS0_14default_configENS1_33run_length_encode_config_selectorImjNS0_4plusIjEEEEZZNS1_33reduce_by_key_impl_wrapped_configILNS1_25lookback_scan_determinismE0ES3_S7_PKmNS0_17constant_iteratorIjlEEPmPlSF_S6_NS0_8equal_toImEEEE10hipError_tPvRmT2_T3_mT4_T5_T6_T7_T8_P12ihipStream_tbENKUlT_T0_E_clISt17integral_constantIbLb1EESY_IbLb0EEEEDaSU_SV_EUlSU_E_NS1_11comp_targetILNS1_3genE4ELNS1_11target_archE910ELNS1_3gpuE8ELNS1_3repE0EEENS1_30default_config_static_selectorELNS0_4arch9wavefront6targetE0EEEvT1_
	.p2align	8
	.type	_ZN7rocprim17ROCPRIM_400000_NS6detail17trampoline_kernelINS0_14default_configENS1_33run_length_encode_config_selectorImjNS0_4plusIjEEEEZZNS1_33reduce_by_key_impl_wrapped_configILNS1_25lookback_scan_determinismE0ES3_S7_PKmNS0_17constant_iteratorIjlEEPmPlSF_S6_NS0_8equal_toImEEEE10hipError_tPvRmT2_T3_mT4_T5_T6_T7_T8_P12ihipStream_tbENKUlT_T0_E_clISt17integral_constantIbLb1EESY_IbLb0EEEEDaSU_SV_EUlSU_E_NS1_11comp_targetILNS1_3genE4ELNS1_11target_archE910ELNS1_3gpuE8ELNS1_3repE0EEENS1_30default_config_static_selectorELNS0_4arch9wavefront6targetE0EEEvT1_,@function
_ZN7rocprim17ROCPRIM_400000_NS6detail17trampoline_kernelINS0_14default_configENS1_33run_length_encode_config_selectorImjNS0_4plusIjEEEEZZNS1_33reduce_by_key_impl_wrapped_configILNS1_25lookback_scan_determinismE0ES3_S7_PKmNS0_17constant_iteratorIjlEEPmPlSF_S6_NS0_8equal_toImEEEE10hipError_tPvRmT2_T3_mT4_T5_T6_T7_T8_P12ihipStream_tbENKUlT_T0_E_clISt17integral_constantIbLb1EESY_IbLb0EEEEDaSU_SV_EUlSU_E_NS1_11comp_targetILNS1_3genE4ELNS1_11target_archE910ELNS1_3gpuE8ELNS1_3repE0EEENS1_30default_config_static_selectorELNS0_4arch9wavefront6targetE0EEEvT1_: ; @_ZN7rocprim17ROCPRIM_400000_NS6detail17trampoline_kernelINS0_14default_configENS1_33run_length_encode_config_selectorImjNS0_4plusIjEEEEZZNS1_33reduce_by_key_impl_wrapped_configILNS1_25lookback_scan_determinismE0ES3_S7_PKmNS0_17constant_iteratorIjlEEPmPlSF_S6_NS0_8equal_toImEEEE10hipError_tPvRmT2_T3_mT4_T5_T6_T7_T8_P12ihipStream_tbENKUlT_T0_E_clISt17integral_constantIbLb1EESY_IbLb0EEEEDaSU_SV_EUlSU_E_NS1_11comp_targetILNS1_3genE4ELNS1_11target_archE910ELNS1_3gpuE8ELNS1_3repE0EEENS1_30default_config_static_selectorELNS0_4arch9wavefront6targetE0EEEvT1_
; %bb.0:
	.section	.rodata,"a",@progbits
	.p2align	6, 0x0
	.amdhsa_kernel _ZN7rocprim17ROCPRIM_400000_NS6detail17trampoline_kernelINS0_14default_configENS1_33run_length_encode_config_selectorImjNS0_4plusIjEEEEZZNS1_33reduce_by_key_impl_wrapped_configILNS1_25lookback_scan_determinismE0ES3_S7_PKmNS0_17constant_iteratorIjlEEPmPlSF_S6_NS0_8equal_toImEEEE10hipError_tPvRmT2_T3_mT4_T5_T6_T7_T8_P12ihipStream_tbENKUlT_T0_E_clISt17integral_constantIbLb1EESY_IbLb0EEEEDaSU_SV_EUlSU_E_NS1_11comp_targetILNS1_3genE4ELNS1_11target_archE910ELNS1_3gpuE8ELNS1_3repE0EEENS1_30default_config_static_selectorELNS0_4arch9wavefront6targetE0EEEvT1_
		.amdhsa_group_segment_fixed_size 0
		.amdhsa_private_segment_fixed_size 0
		.amdhsa_kernarg_size 128
		.amdhsa_user_sgpr_count 2
		.amdhsa_user_sgpr_dispatch_ptr 0
		.amdhsa_user_sgpr_queue_ptr 0
		.amdhsa_user_sgpr_kernarg_segment_ptr 1
		.amdhsa_user_sgpr_dispatch_id 0
		.amdhsa_user_sgpr_kernarg_preload_length 0
		.amdhsa_user_sgpr_kernarg_preload_offset 0
		.amdhsa_user_sgpr_private_segment_size 0
		.amdhsa_wavefront_size32 1
		.amdhsa_uses_dynamic_stack 0
		.amdhsa_enable_private_segment 0
		.amdhsa_system_sgpr_workgroup_id_x 1
		.amdhsa_system_sgpr_workgroup_id_y 0
		.amdhsa_system_sgpr_workgroup_id_z 0
		.amdhsa_system_sgpr_workgroup_info 0
		.amdhsa_system_vgpr_workitem_id 0
		.amdhsa_next_free_vgpr 1
		.amdhsa_next_free_sgpr 1
		.amdhsa_named_barrier_count 0
		.amdhsa_reserve_vcc 0
		.amdhsa_float_round_mode_32 0
		.amdhsa_float_round_mode_16_64 0
		.amdhsa_float_denorm_mode_32 3
		.amdhsa_float_denorm_mode_16_64 3
		.amdhsa_fp16_overflow 0
		.amdhsa_memory_ordered 1
		.amdhsa_forward_progress 1
		.amdhsa_inst_pref_size 0
		.amdhsa_round_robin_scheduling 0
		.amdhsa_exception_fp_ieee_invalid_op 0
		.amdhsa_exception_fp_denorm_src 0
		.amdhsa_exception_fp_ieee_div_zero 0
		.amdhsa_exception_fp_ieee_overflow 0
		.amdhsa_exception_fp_ieee_underflow 0
		.amdhsa_exception_fp_ieee_inexact 0
		.amdhsa_exception_int_div_zero 0
	.end_amdhsa_kernel
	.section	.text._ZN7rocprim17ROCPRIM_400000_NS6detail17trampoline_kernelINS0_14default_configENS1_33run_length_encode_config_selectorImjNS0_4plusIjEEEEZZNS1_33reduce_by_key_impl_wrapped_configILNS1_25lookback_scan_determinismE0ES3_S7_PKmNS0_17constant_iteratorIjlEEPmPlSF_S6_NS0_8equal_toImEEEE10hipError_tPvRmT2_T3_mT4_T5_T6_T7_T8_P12ihipStream_tbENKUlT_T0_E_clISt17integral_constantIbLb1EESY_IbLb0EEEEDaSU_SV_EUlSU_E_NS1_11comp_targetILNS1_3genE4ELNS1_11target_archE910ELNS1_3gpuE8ELNS1_3repE0EEENS1_30default_config_static_selectorELNS0_4arch9wavefront6targetE0EEEvT1_,"axG",@progbits,_ZN7rocprim17ROCPRIM_400000_NS6detail17trampoline_kernelINS0_14default_configENS1_33run_length_encode_config_selectorImjNS0_4plusIjEEEEZZNS1_33reduce_by_key_impl_wrapped_configILNS1_25lookback_scan_determinismE0ES3_S7_PKmNS0_17constant_iteratorIjlEEPmPlSF_S6_NS0_8equal_toImEEEE10hipError_tPvRmT2_T3_mT4_T5_T6_T7_T8_P12ihipStream_tbENKUlT_T0_E_clISt17integral_constantIbLb1EESY_IbLb0EEEEDaSU_SV_EUlSU_E_NS1_11comp_targetILNS1_3genE4ELNS1_11target_archE910ELNS1_3gpuE8ELNS1_3repE0EEENS1_30default_config_static_selectorELNS0_4arch9wavefront6targetE0EEEvT1_,comdat
.Lfunc_end738:
	.size	_ZN7rocprim17ROCPRIM_400000_NS6detail17trampoline_kernelINS0_14default_configENS1_33run_length_encode_config_selectorImjNS0_4plusIjEEEEZZNS1_33reduce_by_key_impl_wrapped_configILNS1_25lookback_scan_determinismE0ES3_S7_PKmNS0_17constant_iteratorIjlEEPmPlSF_S6_NS0_8equal_toImEEEE10hipError_tPvRmT2_T3_mT4_T5_T6_T7_T8_P12ihipStream_tbENKUlT_T0_E_clISt17integral_constantIbLb1EESY_IbLb0EEEEDaSU_SV_EUlSU_E_NS1_11comp_targetILNS1_3genE4ELNS1_11target_archE910ELNS1_3gpuE8ELNS1_3repE0EEENS1_30default_config_static_selectorELNS0_4arch9wavefront6targetE0EEEvT1_, .Lfunc_end738-_ZN7rocprim17ROCPRIM_400000_NS6detail17trampoline_kernelINS0_14default_configENS1_33run_length_encode_config_selectorImjNS0_4plusIjEEEEZZNS1_33reduce_by_key_impl_wrapped_configILNS1_25lookback_scan_determinismE0ES3_S7_PKmNS0_17constant_iteratorIjlEEPmPlSF_S6_NS0_8equal_toImEEEE10hipError_tPvRmT2_T3_mT4_T5_T6_T7_T8_P12ihipStream_tbENKUlT_T0_E_clISt17integral_constantIbLb1EESY_IbLb0EEEEDaSU_SV_EUlSU_E_NS1_11comp_targetILNS1_3genE4ELNS1_11target_archE910ELNS1_3gpuE8ELNS1_3repE0EEENS1_30default_config_static_selectorELNS0_4arch9wavefront6targetE0EEEvT1_
                                        ; -- End function
	.set _ZN7rocprim17ROCPRIM_400000_NS6detail17trampoline_kernelINS0_14default_configENS1_33run_length_encode_config_selectorImjNS0_4plusIjEEEEZZNS1_33reduce_by_key_impl_wrapped_configILNS1_25lookback_scan_determinismE0ES3_S7_PKmNS0_17constant_iteratorIjlEEPmPlSF_S6_NS0_8equal_toImEEEE10hipError_tPvRmT2_T3_mT4_T5_T6_T7_T8_P12ihipStream_tbENKUlT_T0_E_clISt17integral_constantIbLb1EESY_IbLb0EEEEDaSU_SV_EUlSU_E_NS1_11comp_targetILNS1_3genE4ELNS1_11target_archE910ELNS1_3gpuE8ELNS1_3repE0EEENS1_30default_config_static_selectorELNS0_4arch9wavefront6targetE0EEEvT1_.num_vgpr, 0
	.set _ZN7rocprim17ROCPRIM_400000_NS6detail17trampoline_kernelINS0_14default_configENS1_33run_length_encode_config_selectorImjNS0_4plusIjEEEEZZNS1_33reduce_by_key_impl_wrapped_configILNS1_25lookback_scan_determinismE0ES3_S7_PKmNS0_17constant_iteratorIjlEEPmPlSF_S6_NS0_8equal_toImEEEE10hipError_tPvRmT2_T3_mT4_T5_T6_T7_T8_P12ihipStream_tbENKUlT_T0_E_clISt17integral_constantIbLb1EESY_IbLb0EEEEDaSU_SV_EUlSU_E_NS1_11comp_targetILNS1_3genE4ELNS1_11target_archE910ELNS1_3gpuE8ELNS1_3repE0EEENS1_30default_config_static_selectorELNS0_4arch9wavefront6targetE0EEEvT1_.num_agpr, 0
	.set _ZN7rocprim17ROCPRIM_400000_NS6detail17trampoline_kernelINS0_14default_configENS1_33run_length_encode_config_selectorImjNS0_4plusIjEEEEZZNS1_33reduce_by_key_impl_wrapped_configILNS1_25lookback_scan_determinismE0ES3_S7_PKmNS0_17constant_iteratorIjlEEPmPlSF_S6_NS0_8equal_toImEEEE10hipError_tPvRmT2_T3_mT4_T5_T6_T7_T8_P12ihipStream_tbENKUlT_T0_E_clISt17integral_constantIbLb1EESY_IbLb0EEEEDaSU_SV_EUlSU_E_NS1_11comp_targetILNS1_3genE4ELNS1_11target_archE910ELNS1_3gpuE8ELNS1_3repE0EEENS1_30default_config_static_selectorELNS0_4arch9wavefront6targetE0EEEvT1_.numbered_sgpr, 0
	.set _ZN7rocprim17ROCPRIM_400000_NS6detail17trampoline_kernelINS0_14default_configENS1_33run_length_encode_config_selectorImjNS0_4plusIjEEEEZZNS1_33reduce_by_key_impl_wrapped_configILNS1_25lookback_scan_determinismE0ES3_S7_PKmNS0_17constant_iteratorIjlEEPmPlSF_S6_NS0_8equal_toImEEEE10hipError_tPvRmT2_T3_mT4_T5_T6_T7_T8_P12ihipStream_tbENKUlT_T0_E_clISt17integral_constantIbLb1EESY_IbLb0EEEEDaSU_SV_EUlSU_E_NS1_11comp_targetILNS1_3genE4ELNS1_11target_archE910ELNS1_3gpuE8ELNS1_3repE0EEENS1_30default_config_static_selectorELNS0_4arch9wavefront6targetE0EEEvT1_.num_named_barrier, 0
	.set _ZN7rocprim17ROCPRIM_400000_NS6detail17trampoline_kernelINS0_14default_configENS1_33run_length_encode_config_selectorImjNS0_4plusIjEEEEZZNS1_33reduce_by_key_impl_wrapped_configILNS1_25lookback_scan_determinismE0ES3_S7_PKmNS0_17constant_iteratorIjlEEPmPlSF_S6_NS0_8equal_toImEEEE10hipError_tPvRmT2_T3_mT4_T5_T6_T7_T8_P12ihipStream_tbENKUlT_T0_E_clISt17integral_constantIbLb1EESY_IbLb0EEEEDaSU_SV_EUlSU_E_NS1_11comp_targetILNS1_3genE4ELNS1_11target_archE910ELNS1_3gpuE8ELNS1_3repE0EEENS1_30default_config_static_selectorELNS0_4arch9wavefront6targetE0EEEvT1_.private_seg_size, 0
	.set _ZN7rocprim17ROCPRIM_400000_NS6detail17trampoline_kernelINS0_14default_configENS1_33run_length_encode_config_selectorImjNS0_4plusIjEEEEZZNS1_33reduce_by_key_impl_wrapped_configILNS1_25lookback_scan_determinismE0ES3_S7_PKmNS0_17constant_iteratorIjlEEPmPlSF_S6_NS0_8equal_toImEEEE10hipError_tPvRmT2_T3_mT4_T5_T6_T7_T8_P12ihipStream_tbENKUlT_T0_E_clISt17integral_constantIbLb1EESY_IbLb0EEEEDaSU_SV_EUlSU_E_NS1_11comp_targetILNS1_3genE4ELNS1_11target_archE910ELNS1_3gpuE8ELNS1_3repE0EEENS1_30default_config_static_selectorELNS0_4arch9wavefront6targetE0EEEvT1_.uses_vcc, 0
	.set _ZN7rocprim17ROCPRIM_400000_NS6detail17trampoline_kernelINS0_14default_configENS1_33run_length_encode_config_selectorImjNS0_4plusIjEEEEZZNS1_33reduce_by_key_impl_wrapped_configILNS1_25lookback_scan_determinismE0ES3_S7_PKmNS0_17constant_iteratorIjlEEPmPlSF_S6_NS0_8equal_toImEEEE10hipError_tPvRmT2_T3_mT4_T5_T6_T7_T8_P12ihipStream_tbENKUlT_T0_E_clISt17integral_constantIbLb1EESY_IbLb0EEEEDaSU_SV_EUlSU_E_NS1_11comp_targetILNS1_3genE4ELNS1_11target_archE910ELNS1_3gpuE8ELNS1_3repE0EEENS1_30default_config_static_selectorELNS0_4arch9wavefront6targetE0EEEvT1_.uses_flat_scratch, 0
	.set _ZN7rocprim17ROCPRIM_400000_NS6detail17trampoline_kernelINS0_14default_configENS1_33run_length_encode_config_selectorImjNS0_4plusIjEEEEZZNS1_33reduce_by_key_impl_wrapped_configILNS1_25lookback_scan_determinismE0ES3_S7_PKmNS0_17constant_iteratorIjlEEPmPlSF_S6_NS0_8equal_toImEEEE10hipError_tPvRmT2_T3_mT4_T5_T6_T7_T8_P12ihipStream_tbENKUlT_T0_E_clISt17integral_constantIbLb1EESY_IbLb0EEEEDaSU_SV_EUlSU_E_NS1_11comp_targetILNS1_3genE4ELNS1_11target_archE910ELNS1_3gpuE8ELNS1_3repE0EEENS1_30default_config_static_selectorELNS0_4arch9wavefront6targetE0EEEvT1_.has_dyn_sized_stack, 0
	.set _ZN7rocprim17ROCPRIM_400000_NS6detail17trampoline_kernelINS0_14default_configENS1_33run_length_encode_config_selectorImjNS0_4plusIjEEEEZZNS1_33reduce_by_key_impl_wrapped_configILNS1_25lookback_scan_determinismE0ES3_S7_PKmNS0_17constant_iteratorIjlEEPmPlSF_S6_NS0_8equal_toImEEEE10hipError_tPvRmT2_T3_mT4_T5_T6_T7_T8_P12ihipStream_tbENKUlT_T0_E_clISt17integral_constantIbLb1EESY_IbLb0EEEEDaSU_SV_EUlSU_E_NS1_11comp_targetILNS1_3genE4ELNS1_11target_archE910ELNS1_3gpuE8ELNS1_3repE0EEENS1_30default_config_static_selectorELNS0_4arch9wavefront6targetE0EEEvT1_.has_recursion, 0
	.set _ZN7rocprim17ROCPRIM_400000_NS6detail17trampoline_kernelINS0_14default_configENS1_33run_length_encode_config_selectorImjNS0_4plusIjEEEEZZNS1_33reduce_by_key_impl_wrapped_configILNS1_25lookback_scan_determinismE0ES3_S7_PKmNS0_17constant_iteratorIjlEEPmPlSF_S6_NS0_8equal_toImEEEE10hipError_tPvRmT2_T3_mT4_T5_T6_T7_T8_P12ihipStream_tbENKUlT_T0_E_clISt17integral_constantIbLb1EESY_IbLb0EEEEDaSU_SV_EUlSU_E_NS1_11comp_targetILNS1_3genE4ELNS1_11target_archE910ELNS1_3gpuE8ELNS1_3repE0EEENS1_30default_config_static_selectorELNS0_4arch9wavefront6targetE0EEEvT1_.has_indirect_call, 0
	.section	.AMDGPU.csdata,"",@progbits
; Kernel info:
; codeLenInByte = 0
; TotalNumSgprs: 0
; NumVgprs: 0
; ScratchSize: 0
; MemoryBound: 0
; FloatMode: 240
; IeeeMode: 1
; LDSByteSize: 0 bytes/workgroup (compile time only)
; SGPRBlocks: 0
; VGPRBlocks: 0
; NumSGPRsForWavesPerEU: 1
; NumVGPRsForWavesPerEU: 1
; NamedBarCnt: 0
; Occupancy: 16
; WaveLimiterHint : 0
; COMPUTE_PGM_RSRC2:SCRATCH_EN: 0
; COMPUTE_PGM_RSRC2:USER_SGPR: 2
; COMPUTE_PGM_RSRC2:TRAP_HANDLER: 0
; COMPUTE_PGM_RSRC2:TGID_X_EN: 1
; COMPUTE_PGM_RSRC2:TGID_Y_EN: 0
; COMPUTE_PGM_RSRC2:TGID_Z_EN: 0
; COMPUTE_PGM_RSRC2:TIDIG_COMP_CNT: 0
	.section	.text._ZN7rocprim17ROCPRIM_400000_NS6detail17trampoline_kernelINS0_14default_configENS1_33run_length_encode_config_selectorImjNS0_4plusIjEEEEZZNS1_33reduce_by_key_impl_wrapped_configILNS1_25lookback_scan_determinismE0ES3_S7_PKmNS0_17constant_iteratorIjlEEPmPlSF_S6_NS0_8equal_toImEEEE10hipError_tPvRmT2_T3_mT4_T5_T6_T7_T8_P12ihipStream_tbENKUlT_T0_E_clISt17integral_constantIbLb1EESY_IbLb0EEEEDaSU_SV_EUlSU_E_NS1_11comp_targetILNS1_3genE3ELNS1_11target_archE908ELNS1_3gpuE7ELNS1_3repE0EEENS1_30default_config_static_selectorELNS0_4arch9wavefront6targetE0EEEvT1_,"axG",@progbits,_ZN7rocprim17ROCPRIM_400000_NS6detail17trampoline_kernelINS0_14default_configENS1_33run_length_encode_config_selectorImjNS0_4plusIjEEEEZZNS1_33reduce_by_key_impl_wrapped_configILNS1_25lookback_scan_determinismE0ES3_S7_PKmNS0_17constant_iteratorIjlEEPmPlSF_S6_NS0_8equal_toImEEEE10hipError_tPvRmT2_T3_mT4_T5_T6_T7_T8_P12ihipStream_tbENKUlT_T0_E_clISt17integral_constantIbLb1EESY_IbLb0EEEEDaSU_SV_EUlSU_E_NS1_11comp_targetILNS1_3genE3ELNS1_11target_archE908ELNS1_3gpuE7ELNS1_3repE0EEENS1_30default_config_static_selectorELNS0_4arch9wavefront6targetE0EEEvT1_,comdat
	.protected	_ZN7rocprim17ROCPRIM_400000_NS6detail17trampoline_kernelINS0_14default_configENS1_33run_length_encode_config_selectorImjNS0_4plusIjEEEEZZNS1_33reduce_by_key_impl_wrapped_configILNS1_25lookback_scan_determinismE0ES3_S7_PKmNS0_17constant_iteratorIjlEEPmPlSF_S6_NS0_8equal_toImEEEE10hipError_tPvRmT2_T3_mT4_T5_T6_T7_T8_P12ihipStream_tbENKUlT_T0_E_clISt17integral_constantIbLb1EESY_IbLb0EEEEDaSU_SV_EUlSU_E_NS1_11comp_targetILNS1_3genE3ELNS1_11target_archE908ELNS1_3gpuE7ELNS1_3repE0EEENS1_30default_config_static_selectorELNS0_4arch9wavefront6targetE0EEEvT1_ ; -- Begin function _ZN7rocprim17ROCPRIM_400000_NS6detail17trampoline_kernelINS0_14default_configENS1_33run_length_encode_config_selectorImjNS0_4plusIjEEEEZZNS1_33reduce_by_key_impl_wrapped_configILNS1_25lookback_scan_determinismE0ES3_S7_PKmNS0_17constant_iteratorIjlEEPmPlSF_S6_NS0_8equal_toImEEEE10hipError_tPvRmT2_T3_mT4_T5_T6_T7_T8_P12ihipStream_tbENKUlT_T0_E_clISt17integral_constantIbLb1EESY_IbLb0EEEEDaSU_SV_EUlSU_E_NS1_11comp_targetILNS1_3genE3ELNS1_11target_archE908ELNS1_3gpuE7ELNS1_3repE0EEENS1_30default_config_static_selectorELNS0_4arch9wavefront6targetE0EEEvT1_
	.globl	_ZN7rocprim17ROCPRIM_400000_NS6detail17trampoline_kernelINS0_14default_configENS1_33run_length_encode_config_selectorImjNS0_4plusIjEEEEZZNS1_33reduce_by_key_impl_wrapped_configILNS1_25lookback_scan_determinismE0ES3_S7_PKmNS0_17constant_iteratorIjlEEPmPlSF_S6_NS0_8equal_toImEEEE10hipError_tPvRmT2_T3_mT4_T5_T6_T7_T8_P12ihipStream_tbENKUlT_T0_E_clISt17integral_constantIbLb1EESY_IbLb0EEEEDaSU_SV_EUlSU_E_NS1_11comp_targetILNS1_3genE3ELNS1_11target_archE908ELNS1_3gpuE7ELNS1_3repE0EEENS1_30default_config_static_selectorELNS0_4arch9wavefront6targetE0EEEvT1_
	.p2align	8
	.type	_ZN7rocprim17ROCPRIM_400000_NS6detail17trampoline_kernelINS0_14default_configENS1_33run_length_encode_config_selectorImjNS0_4plusIjEEEEZZNS1_33reduce_by_key_impl_wrapped_configILNS1_25lookback_scan_determinismE0ES3_S7_PKmNS0_17constant_iteratorIjlEEPmPlSF_S6_NS0_8equal_toImEEEE10hipError_tPvRmT2_T3_mT4_T5_T6_T7_T8_P12ihipStream_tbENKUlT_T0_E_clISt17integral_constantIbLb1EESY_IbLb0EEEEDaSU_SV_EUlSU_E_NS1_11comp_targetILNS1_3genE3ELNS1_11target_archE908ELNS1_3gpuE7ELNS1_3repE0EEENS1_30default_config_static_selectorELNS0_4arch9wavefront6targetE0EEEvT1_,@function
_ZN7rocprim17ROCPRIM_400000_NS6detail17trampoline_kernelINS0_14default_configENS1_33run_length_encode_config_selectorImjNS0_4plusIjEEEEZZNS1_33reduce_by_key_impl_wrapped_configILNS1_25lookback_scan_determinismE0ES3_S7_PKmNS0_17constant_iteratorIjlEEPmPlSF_S6_NS0_8equal_toImEEEE10hipError_tPvRmT2_T3_mT4_T5_T6_T7_T8_P12ihipStream_tbENKUlT_T0_E_clISt17integral_constantIbLb1EESY_IbLb0EEEEDaSU_SV_EUlSU_E_NS1_11comp_targetILNS1_3genE3ELNS1_11target_archE908ELNS1_3gpuE7ELNS1_3repE0EEENS1_30default_config_static_selectorELNS0_4arch9wavefront6targetE0EEEvT1_: ; @_ZN7rocprim17ROCPRIM_400000_NS6detail17trampoline_kernelINS0_14default_configENS1_33run_length_encode_config_selectorImjNS0_4plusIjEEEEZZNS1_33reduce_by_key_impl_wrapped_configILNS1_25lookback_scan_determinismE0ES3_S7_PKmNS0_17constant_iteratorIjlEEPmPlSF_S6_NS0_8equal_toImEEEE10hipError_tPvRmT2_T3_mT4_T5_T6_T7_T8_P12ihipStream_tbENKUlT_T0_E_clISt17integral_constantIbLb1EESY_IbLb0EEEEDaSU_SV_EUlSU_E_NS1_11comp_targetILNS1_3genE3ELNS1_11target_archE908ELNS1_3gpuE7ELNS1_3repE0EEENS1_30default_config_static_selectorELNS0_4arch9wavefront6targetE0EEEvT1_
; %bb.0:
	.section	.rodata,"a",@progbits
	.p2align	6, 0x0
	.amdhsa_kernel _ZN7rocprim17ROCPRIM_400000_NS6detail17trampoline_kernelINS0_14default_configENS1_33run_length_encode_config_selectorImjNS0_4plusIjEEEEZZNS1_33reduce_by_key_impl_wrapped_configILNS1_25lookback_scan_determinismE0ES3_S7_PKmNS0_17constant_iteratorIjlEEPmPlSF_S6_NS0_8equal_toImEEEE10hipError_tPvRmT2_T3_mT4_T5_T6_T7_T8_P12ihipStream_tbENKUlT_T0_E_clISt17integral_constantIbLb1EESY_IbLb0EEEEDaSU_SV_EUlSU_E_NS1_11comp_targetILNS1_3genE3ELNS1_11target_archE908ELNS1_3gpuE7ELNS1_3repE0EEENS1_30default_config_static_selectorELNS0_4arch9wavefront6targetE0EEEvT1_
		.amdhsa_group_segment_fixed_size 0
		.amdhsa_private_segment_fixed_size 0
		.amdhsa_kernarg_size 128
		.amdhsa_user_sgpr_count 2
		.amdhsa_user_sgpr_dispatch_ptr 0
		.amdhsa_user_sgpr_queue_ptr 0
		.amdhsa_user_sgpr_kernarg_segment_ptr 1
		.amdhsa_user_sgpr_dispatch_id 0
		.amdhsa_user_sgpr_kernarg_preload_length 0
		.amdhsa_user_sgpr_kernarg_preload_offset 0
		.amdhsa_user_sgpr_private_segment_size 0
		.amdhsa_wavefront_size32 1
		.amdhsa_uses_dynamic_stack 0
		.amdhsa_enable_private_segment 0
		.amdhsa_system_sgpr_workgroup_id_x 1
		.amdhsa_system_sgpr_workgroup_id_y 0
		.amdhsa_system_sgpr_workgroup_id_z 0
		.amdhsa_system_sgpr_workgroup_info 0
		.amdhsa_system_vgpr_workitem_id 0
		.amdhsa_next_free_vgpr 1
		.amdhsa_next_free_sgpr 1
		.amdhsa_named_barrier_count 0
		.amdhsa_reserve_vcc 0
		.amdhsa_float_round_mode_32 0
		.amdhsa_float_round_mode_16_64 0
		.amdhsa_float_denorm_mode_32 3
		.amdhsa_float_denorm_mode_16_64 3
		.amdhsa_fp16_overflow 0
		.amdhsa_memory_ordered 1
		.amdhsa_forward_progress 1
		.amdhsa_inst_pref_size 0
		.amdhsa_round_robin_scheduling 0
		.amdhsa_exception_fp_ieee_invalid_op 0
		.amdhsa_exception_fp_denorm_src 0
		.amdhsa_exception_fp_ieee_div_zero 0
		.amdhsa_exception_fp_ieee_overflow 0
		.amdhsa_exception_fp_ieee_underflow 0
		.amdhsa_exception_fp_ieee_inexact 0
		.amdhsa_exception_int_div_zero 0
	.end_amdhsa_kernel
	.section	.text._ZN7rocprim17ROCPRIM_400000_NS6detail17trampoline_kernelINS0_14default_configENS1_33run_length_encode_config_selectorImjNS0_4plusIjEEEEZZNS1_33reduce_by_key_impl_wrapped_configILNS1_25lookback_scan_determinismE0ES3_S7_PKmNS0_17constant_iteratorIjlEEPmPlSF_S6_NS0_8equal_toImEEEE10hipError_tPvRmT2_T3_mT4_T5_T6_T7_T8_P12ihipStream_tbENKUlT_T0_E_clISt17integral_constantIbLb1EESY_IbLb0EEEEDaSU_SV_EUlSU_E_NS1_11comp_targetILNS1_3genE3ELNS1_11target_archE908ELNS1_3gpuE7ELNS1_3repE0EEENS1_30default_config_static_selectorELNS0_4arch9wavefront6targetE0EEEvT1_,"axG",@progbits,_ZN7rocprim17ROCPRIM_400000_NS6detail17trampoline_kernelINS0_14default_configENS1_33run_length_encode_config_selectorImjNS0_4plusIjEEEEZZNS1_33reduce_by_key_impl_wrapped_configILNS1_25lookback_scan_determinismE0ES3_S7_PKmNS0_17constant_iteratorIjlEEPmPlSF_S6_NS0_8equal_toImEEEE10hipError_tPvRmT2_T3_mT4_T5_T6_T7_T8_P12ihipStream_tbENKUlT_T0_E_clISt17integral_constantIbLb1EESY_IbLb0EEEEDaSU_SV_EUlSU_E_NS1_11comp_targetILNS1_3genE3ELNS1_11target_archE908ELNS1_3gpuE7ELNS1_3repE0EEENS1_30default_config_static_selectorELNS0_4arch9wavefront6targetE0EEEvT1_,comdat
.Lfunc_end739:
	.size	_ZN7rocprim17ROCPRIM_400000_NS6detail17trampoline_kernelINS0_14default_configENS1_33run_length_encode_config_selectorImjNS0_4plusIjEEEEZZNS1_33reduce_by_key_impl_wrapped_configILNS1_25lookback_scan_determinismE0ES3_S7_PKmNS0_17constant_iteratorIjlEEPmPlSF_S6_NS0_8equal_toImEEEE10hipError_tPvRmT2_T3_mT4_T5_T6_T7_T8_P12ihipStream_tbENKUlT_T0_E_clISt17integral_constantIbLb1EESY_IbLb0EEEEDaSU_SV_EUlSU_E_NS1_11comp_targetILNS1_3genE3ELNS1_11target_archE908ELNS1_3gpuE7ELNS1_3repE0EEENS1_30default_config_static_selectorELNS0_4arch9wavefront6targetE0EEEvT1_, .Lfunc_end739-_ZN7rocprim17ROCPRIM_400000_NS6detail17trampoline_kernelINS0_14default_configENS1_33run_length_encode_config_selectorImjNS0_4plusIjEEEEZZNS1_33reduce_by_key_impl_wrapped_configILNS1_25lookback_scan_determinismE0ES3_S7_PKmNS0_17constant_iteratorIjlEEPmPlSF_S6_NS0_8equal_toImEEEE10hipError_tPvRmT2_T3_mT4_T5_T6_T7_T8_P12ihipStream_tbENKUlT_T0_E_clISt17integral_constantIbLb1EESY_IbLb0EEEEDaSU_SV_EUlSU_E_NS1_11comp_targetILNS1_3genE3ELNS1_11target_archE908ELNS1_3gpuE7ELNS1_3repE0EEENS1_30default_config_static_selectorELNS0_4arch9wavefront6targetE0EEEvT1_
                                        ; -- End function
	.set _ZN7rocprim17ROCPRIM_400000_NS6detail17trampoline_kernelINS0_14default_configENS1_33run_length_encode_config_selectorImjNS0_4plusIjEEEEZZNS1_33reduce_by_key_impl_wrapped_configILNS1_25lookback_scan_determinismE0ES3_S7_PKmNS0_17constant_iteratorIjlEEPmPlSF_S6_NS0_8equal_toImEEEE10hipError_tPvRmT2_T3_mT4_T5_T6_T7_T8_P12ihipStream_tbENKUlT_T0_E_clISt17integral_constantIbLb1EESY_IbLb0EEEEDaSU_SV_EUlSU_E_NS1_11comp_targetILNS1_3genE3ELNS1_11target_archE908ELNS1_3gpuE7ELNS1_3repE0EEENS1_30default_config_static_selectorELNS0_4arch9wavefront6targetE0EEEvT1_.num_vgpr, 0
	.set _ZN7rocprim17ROCPRIM_400000_NS6detail17trampoline_kernelINS0_14default_configENS1_33run_length_encode_config_selectorImjNS0_4plusIjEEEEZZNS1_33reduce_by_key_impl_wrapped_configILNS1_25lookback_scan_determinismE0ES3_S7_PKmNS0_17constant_iteratorIjlEEPmPlSF_S6_NS0_8equal_toImEEEE10hipError_tPvRmT2_T3_mT4_T5_T6_T7_T8_P12ihipStream_tbENKUlT_T0_E_clISt17integral_constantIbLb1EESY_IbLb0EEEEDaSU_SV_EUlSU_E_NS1_11comp_targetILNS1_3genE3ELNS1_11target_archE908ELNS1_3gpuE7ELNS1_3repE0EEENS1_30default_config_static_selectorELNS0_4arch9wavefront6targetE0EEEvT1_.num_agpr, 0
	.set _ZN7rocprim17ROCPRIM_400000_NS6detail17trampoline_kernelINS0_14default_configENS1_33run_length_encode_config_selectorImjNS0_4plusIjEEEEZZNS1_33reduce_by_key_impl_wrapped_configILNS1_25lookback_scan_determinismE0ES3_S7_PKmNS0_17constant_iteratorIjlEEPmPlSF_S6_NS0_8equal_toImEEEE10hipError_tPvRmT2_T3_mT4_T5_T6_T7_T8_P12ihipStream_tbENKUlT_T0_E_clISt17integral_constantIbLb1EESY_IbLb0EEEEDaSU_SV_EUlSU_E_NS1_11comp_targetILNS1_3genE3ELNS1_11target_archE908ELNS1_3gpuE7ELNS1_3repE0EEENS1_30default_config_static_selectorELNS0_4arch9wavefront6targetE0EEEvT1_.numbered_sgpr, 0
	.set _ZN7rocprim17ROCPRIM_400000_NS6detail17trampoline_kernelINS0_14default_configENS1_33run_length_encode_config_selectorImjNS0_4plusIjEEEEZZNS1_33reduce_by_key_impl_wrapped_configILNS1_25lookback_scan_determinismE0ES3_S7_PKmNS0_17constant_iteratorIjlEEPmPlSF_S6_NS0_8equal_toImEEEE10hipError_tPvRmT2_T3_mT4_T5_T6_T7_T8_P12ihipStream_tbENKUlT_T0_E_clISt17integral_constantIbLb1EESY_IbLb0EEEEDaSU_SV_EUlSU_E_NS1_11comp_targetILNS1_3genE3ELNS1_11target_archE908ELNS1_3gpuE7ELNS1_3repE0EEENS1_30default_config_static_selectorELNS0_4arch9wavefront6targetE0EEEvT1_.num_named_barrier, 0
	.set _ZN7rocprim17ROCPRIM_400000_NS6detail17trampoline_kernelINS0_14default_configENS1_33run_length_encode_config_selectorImjNS0_4plusIjEEEEZZNS1_33reduce_by_key_impl_wrapped_configILNS1_25lookback_scan_determinismE0ES3_S7_PKmNS0_17constant_iteratorIjlEEPmPlSF_S6_NS0_8equal_toImEEEE10hipError_tPvRmT2_T3_mT4_T5_T6_T7_T8_P12ihipStream_tbENKUlT_T0_E_clISt17integral_constantIbLb1EESY_IbLb0EEEEDaSU_SV_EUlSU_E_NS1_11comp_targetILNS1_3genE3ELNS1_11target_archE908ELNS1_3gpuE7ELNS1_3repE0EEENS1_30default_config_static_selectorELNS0_4arch9wavefront6targetE0EEEvT1_.private_seg_size, 0
	.set _ZN7rocprim17ROCPRIM_400000_NS6detail17trampoline_kernelINS0_14default_configENS1_33run_length_encode_config_selectorImjNS0_4plusIjEEEEZZNS1_33reduce_by_key_impl_wrapped_configILNS1_25lookback_scan_determinismE0ES3_S7_PKmNS0_17constant_iteratorIjlEEPmPlSF_S6_NS0_8equal_toImEEEE10hipError_tPvRmT2_T3_mT4_T5_T6_T7_T8_P12ihipStream_tbENKUlT_T0_E_clISt17integral_constantIbLb1EESY_IbLb0EEEEDaSU_SV_EUlSU_E_NS1_11comp_targetILNS1_3genE3ELNS1_11target_archE908ELNS1_3gpuE7ELNS1_3repE0EEENS1_30default_config_static_selectorELNS0_4arch9wavefront6targetE0EEEvT1_.uses_vcc, 0
	.set _ZN7rocprim17ROCPRIM_400000_NS6detail17trampoline_kernelINS0_14default_configENS1_33run_length_encode_config_selectorImjNS0_4plusIjEEEEZZNS1_33reduce_by_key_impl_wrapped_configILNS1_25lookback_scan_determinismE0ES3_S7_PKmNS0_17constant_iteratorIjlEEPmPlSF_S6_NS0_8equal_toImEEEE10hipError_tPvRmT2_T3_mT4_T5_T6_T7_T8_P12ihipStream_tbENKUlT_T0_E_clISt17integral_constantIbLb1EESY_IbLb0EEEEDaSU_SV_EUlSU_E_NS1_11comp_targetILNS1_3genE3ELNS1_11target_archE908ELNS1_3gpuE7ELNS1_3repE0EEENS1_30default_config_static_selectorELNS0_4arch9wavefront6targetE0EEEvT1_.uses_flat_scratch, 0
	.set _ZN7rocprim17ROCPRIM_400000_NS6detail17trampoline_kernelINS0_14default_configENS1_33run_length_encode_config_selectorImjNS0_4plusIjEEEEZZNS1_33reduce_by_key_impl_wrapped_configILNS1_25lookback_scan_determinismE0ES3_S7_PKmNS0_17constant_iteratorIjlEEPmPlSF_S6_NS0_8equal_toImEEEE10hipError_tPvRmT2_T3_mT4_T5_T6_T7_T8_P12ihipStream_tbENKUlT_T0_E_clISt17integral_constantIbLb1EESY_IbLb0EEEEDaSU_SV_EUlSU_E_NS1_11comp_targetILNS1_3genE3ELNS1_11target_archE908ELNS1_3gpuE7ELNS1_3repE0EEENS1_30default_config_static_selectorELNS0_4arch9wavefront6targetE0EEEvT1_.has_dyn_sized_stack, 0
	.set _ZN7rocprim17ROCPRIM_400000_NS6detail17trampoline_kernelINS0_14default_configENS1_33run_length_encode_config_selectorImjNS0_4plusIjEEEEZZNS1_33reduce_by_key_impl_wrapped_configILNS1_25lookback_scan_determinismE0ES3_S7_PKmNS0_17constant_iteratorIjlEEPmPlSF_S6_NS0_8equal_toImEEEE10hipError_tPvRmT2_T3_mT4_T5_T6_T7_T8_P12ihipStream_tbENKUlT_T0_E_clISt17integral_constantIbLb1EESY_IbLb0EEEEDaSU_SV_EUlSU_E_NS1_11comp_targetILNS1_3genE3ELNS1_11target_archE908ELNS1_3gpuE7ELNS1_3repE0EEENS1_30default_config_static_selectorELNS0_4arch9wavefront6targetE0EEEvT1_.has_recursion, 0
	.set _ZN7rocprim17ROCPRIM_400000_NS6detail17trampoline_kernelINS0_14default_configENS1_33run_length_encode_config_selectorImjNS0_4plusIjEEEEZZNS1_33reduce_by_key_impl_wrapped_configILNS1_25lookback_scan_determinismE0ES3_S7_PKmNS0_17constant_iteratorIjlEEPmPlSF_S6_NS0_8equal_toImEEEE10hipError_tPvRmT2_T3_mT4_T5_T6_T7_T8_P12ihipStream_tbENKUlT_T0_E_clISt17integral_constantIbLb1EESY_IbLb0EEEEDaSU_SV_EUlSU_E_NS1_11comp_targetILNS1_3genE3ELNS1_11target_archE908ELNS1_3gpuE7ELNS1_3repE0EEENS1_30default_config_static_selectorELNS0_4arch9wavefront6targetE0EEEvT1_.has_indirect_call, 0
	.section	.AMDGPU.csdata,"",@progbits
; Kernel info:
; codeLenInByte = 0
; TotalNumSgprs: 0
; NumVgprs: 0
; ScratchSize: 0
; MemoryBound: 0
; FloatMode: 240
; IeeeMode: 1
; LDSByteSize: 0 bytes/workgroup (compile time only)
; SGPRBlocks: 0
; VGPRBlocks: 0
; NumSGPRsForWavesPerEU: 1
; NumVGPRsForWavesPerEU: 1
; NamedBarCnt: 0
; Occupancy: 16
; WaveLimiterHint : 0
; COMPUTE_PGM_RSRC2:SCRATCH_EN: 0
; COMPUTE_PGM_RSRC2:USER_SGPR: 2
; COMPUTE_PGM_RSRC2:TRAP_HANDLER: 0
; COMPUTE_PGM_RSRC2:TGID_X_EN: 1
; COMPUTE_PGM_RSRC2:TGID_Y_EN: 0
; COMPUTE_PGM_RSRC2:TGID_Z_EN: 0
; COMPUTE_PGM_RSRC2:TIDIG_COMP_CNT: 0
	.section	.text._ZN7rocprim17ROCPRIM_400000_NS6detail17trampoline_kernelINS0_14default_configENS1_33run_length_encode_config_selectorImjNS0_4plusIjEEEEZZNS1_33reduce_by_key_impl_wrapped_configILNS1_25lookback_scan_determinismE0ES3_S7_PKmNS0_17constant_iteratorIjlEEPmPlSF_S6_NS0_8equal_toImEEEE10hipError_tPvRmT2_T3_mT4_T5_T6_T7_T8_P12ihipStream_tbENKUlT_T0_E_clISt17integral_constantIbLb1EESY_IbLb0EEEEDaSU_SV_EUlSU_E_NS1_11comp_targetILNS1_3genE2ELNS1_11target_archE906ELNS1_3gpuE6ELNS1_3repE0EEENS1_30default_config_static_selectorELNS0_4arch9wavefront6targetE0EEEvT1_,"axG",@progbits,_ZN7rocprim17ROCPRIM_400000_NS6detail17trampoline_kernelINS0_14default_configENS1_33run_length_encode_config_selectorImjNS0_4plusIjEEEEZZNS1_33reduce_by_key_impl_wrapped_configILNS1_25lookback_scan_determinismE0ES3_S7_PKmNS0_17constant_iteratorIjlEEPmPlSF_S6_NS0_8equal_toImEEEE10hipError_tPvRmT2_T3_mT4_T5_T6_T7_T8_P12ihipStream_tbENKUlT_T0_E_clISt17integral_constantIbLb1EESY_IbLb0EEEEDaSU_SV_EUlSU_E_NS1_11comp_targetILNS1_3genE2ELNS1_11target_archE906ELNS1_3gpuE6ELNS1_3repE0EEENS1_30default_config_static_selectorELNS0_4arch9wavefront6targetE0EEEvT1_,comdat
	.protected	_ZN7rocprim17ROCPRIM_400000_NS6detail17trampoline_kernelINS0_14default_configENS1_33run_length_encode_config_selectorImjNS0_4plusIjEEEEZZNS1_33reduce_by_key_impl_wrapped_configILNS1_25lookback_scan_determinismE0ES3_S7_PKmNS0_17constant_iteratorIjlEEPmPlSF_S6_NS0_8equal_toImEEEE10hipError_tPvRmT2_T3_mT4_T5_T6_T7_T8_P12ihipStream_tbENKUlT_T0_E_clISt17integral_constantIbLb1EESY_IbLb0EEEEDaSU_SV_EUlSU_E_NS1_11comp_targetILNS1_3genE2ELNS1_11target_archE906ELNS1_3gpuE6ELNS1_3repE0EEENS1_30default_config_static_selectorELNS0_4arch9wavefront6targetE0EEEvT1_ ; -- Begin function _ZN7rocprim17ROCPRIM_400000_NS6detail17trampoline_kernelINS0_14default_configENS1_33run_length_encode_config_selectorImjNS0_4plusIjEEEEZZNS1_33reduce_by_key_impl_wrapped_configILNS1_25lookback_scan_determinismE0ES3_S7_PKmNS0_17constant_iteratorIjlEEPmPlSF_S6_NS0_8equal_toImEEEE10hipError_tPvRmT2_T3_mT4_T5_T6_T7_T8_P12ihipStream_tbENKUlT_T0_E_clISt17integral_constantIbLb1EESY_IbLb0EEEEDaSU_SV_EUlSU_E_NS1_11comp_targetILNS1_3genE2ELNS1_11target_archE906ELNS1_3gpuE6ELNS1_3repE0EEENS1_30default_config_static_selectorELNS0_4arch9wavefront6targetE0EEEvT1_
	.globl	_ZN7rocprim17ROCPRIM_400000_NS6detail17trampoline_kernelINS0_14default_configENS1_33run_length_encode_config_selectorImjNS0_4plusIjEEEEZZNS1_33reduce_by_key_impl_wrapped_configILNS1_25lookback_scan_determinismE0ES3_S7_PKmNS0_17constant_iteratorIjlEEPmPlSF_S6_NS0_8equal_toImEEEE10hipError_tPvRmT2_T3_mT4_T5_T6_T7_T8_P12ihipStream_tbENKUlT_T0_E_clISt17integral_constantIbLb1EESY_IbLb0EEEEDaSU_SV_EUlSU_E_NS1_11comp_targetILNS1_3genE2ELNS1_11target_archE906ELNS1_3gpuE6ELNS1_3repE0EEENS1_30default_config_static_selectorELNS0_4arch9wavefront6targetE0EEEvT1_
	.p2align	8
	.type	_ZN7rocprim17ROCPRIM_400000_NS6detail17trampoline_kernelINS0_14default_configENS1_33run_length_encode_config_selectorImjNS0_4plusIjEEEEZZNS1_33reduce_by_key_impl_wrapped_configILNS1_25lookback_scan_determinismE0ES3_S7_PKmNS0_17constant_iteratorIjlEEPmPlSF_S6_NS0_8equal_toImEEEE10hipError_tPvRmT2_T3_mT4_T5_T6_T7_T8_P12ihipStream_tbENKUlT_T0_E_clISt17integral_constantIbLb1EESY_IbLb0EEEEDaSU_SV_EUlSU_E_NS1_11comp_targetILNS1_3genE2ELNS1_11target_archE906ELNS1_3gpuE6ELNS1_3repE0EEENS1_30default_config_static_selectorELNS0_4arch9wavefront6targetE0EEEvT1_,@function
_ZN7rocprim17ROCPRIM_400000_NS6detail17trampoline_kernelINS0_14default_configENS1_33run_length_encode_config_selectorImjNS0_4plusIjEEEEZZNS1_33reduce_by_key_impl_wrapped_configILNS1_25lookback_scan_determinismE0ES3_S7_PKmNS0_17constant_iteratorIjlEEPmPlSF_S6_NS0_8equal_toImEEEE10hipError_tPvRmT2_T3_mT4_T5_T6_T7_T8_P12ihipStream_tbENKUlT_T0_E_clISt17integral_constantIbLb1EESY_IbLb0EEEEDaSU_SV_EUlSU_E_NS1_11comp_targetILNS1_3genE2ELNS1_11target_archE906ELNS1_3gpuE6ELNS1_3repE0EEENS1_30default_config_static_selectorELNS0_4arch9wavefront6targetE0EEEvT1_: ; @_ZN7rocprim17ROCPRIM_400000_NS6detail17trampoline_kernelINS0_14default_configENS1_33run_length_encode_config_selectorImjNS0_4plusIjEEEEZZNS1_33reduce_by_key_impl_wrapped_configILNS1_25lookback_scan_determinismE0ES3_S7_PKmNS0_17constant_iteratorIjlEEPmPlSF_S6_NS0_8equal_toImEEEE10hipError_tPvRmT2_T3_mT4_T5_T6_T7_T8_P12ihipStream_tbENKUlT_T0_E_clISt17integral_constantIbLb1EESY_IbLb0EEEEDaSU_SV_EUlSU_E_NS1_11comp_targetILNS1_3genE2ELNS1_11target_archE906ELNS1_3gpuE6ELNS1_3repE0EEENS1_30default_config_static_selectorELNS0_4arch9wavefront6targetE0EEEvT1_
; %bb.0:
	.section	.rodata,"a",@progbits
	.p2align	6, 0x0
	.amdhsa_kernel _ZN7rocprim17ROCPRIM_400000_NS6detail17trampoline_kernelINS0_14default_configENS1_33run_length_encode_config_selectorImjNS0_4plusIjEEEEZZNS1_33reduce_by_key_impl_wrapped_configILNS1_25lookback_scan_determinismE0ES3_S7_PKmNS0_17constant_iteratorIjlEEPmPlSF_S6_NS0_8equal_toImEEEE10hipError_tPvRmT2_T3_mT4_T5_T6_T7_T8_P12ihipStream_tbENKUlT_T0_E_clISt17integral_constantIbLb1EESY_IbLb0EEEEDaSU_SV_EUlSU_E_NS1_11comp_targetILNS1_3genE2ELNS1_11target_archE906ELNS1_3gpuE6ELNS1_3repE0EEENS1_30default_config_static_selectorELNS0_4arch9wavefront6targetE0EEEvT1_
		.amdhsa_group_segment_fixed_size 0
		.amdhsa_private_segment_fixed_size 0
		.amdhsa_kernarg_size 128
		.amdhsa_user_sgpr_count 2
		.amdhsa_user_sgpr_dispatch_ptr 0
		.amdhsa_user_sgpr_queue_ptr 0
		.amdhsa_user_sgpr_kernarg_segment_ptr 1
		.amdhsa_user_sgpr_dispatch_id 0
		.amdhsa_user_sgpr_kernarg_preload_length 0
		.amdhsa_user_sgpr_kernarg_preload_offset 0
		.amdhsa_user_sgpr_private_segment_size 0
		.amdhsa_wavefront_size32 1
		.amdhsa_uses_dynamic_stack 0
		.amdhsa_enable_private_segment 0
		.amdhsa_system_sgpr_workgroup_id_x 1
		.amdhsa_system_sgpr_workgroup_id_y 0
		.amdhsa_system_sgpr_workgroup_id_z 0
		.amdhsa_system_sgpr_workgroup_info 0
		.amdhsa_system_vgpr_workitem_id 0
		.amdhsa_next_free_vgpr 1
		.amdhsa_next_free_sgpr 1
		.amdhsa_named_barrier_count 0
		.amdhsa_reserve_vcc 0
		.amdhsa_float_round_mode_32 0
		.amdhsa_float_round_mode_16_64 0
		.amdhsa_float_denorm_mode_32 3
		.amdhsa_float_denorm_mode_16_64 3
		.amdhsa_fp16_overflow 0
		.amdhsa_memory_ordered 1
		.amdhsa_forward_progress 1
		.amdhsa_inst_pref_size 0
		.amdhsa_round_robin_scheduling 0
		.amdhsa_exception_fp_ieee_invalid_op 0
		.amdhsa_exception_fp_denorm_src 0
		.amdhsa_exception_fp_ieee_div_zero 0
		.amdhsa_exception_fp_ieee_overflow 0
		.amdhsa_exception_fp_ieee_underflow 0
		.amdhsa_exception_fp_ieee_inexact 0
		.amdhsa_exception_int_div_zero 0
	.end_amdhsa_kernel
	.section	.text._ZN7rocprim17ROCPRIM_400000_NS6detail17trampoline_kernelINS0_14default_configENS1_33run_length_encode_config_selectorImjNS0_4plusIjEEEEZZNS1_33reduce_by_key_impl_wrapped_configILNS1_25lookback_scan_determinismE0ES3_S7_PKmNS0_17constant_iteratorIjlEEPmPlSF_S6_NS0_8equal_toImEEEE10hipError_tPvRmT2_T3_mT4_T5_T6_T7_T8_P12ihipStream_tbENKUlT_T0_E_clISt17integral_constantIbLb1EESY_IbLb0EEEEDaSU_SV_EUlSU_E_NS1_11comp_targetILNS1_3genE2ELNS1_11target_archE906ELNS1_3gpuE6ELNS1_3repE0EEENS1_30default_config_static_selectorELNS0_4arch9wavefront6targetE0EEEvT1_,"axG",@progbits,_ZN7rocprim17ROCPRIM_400000_NS6detail17trampoline_kernelINS0_14default_configENS1_33run_length_encode_config_selectorImjNS0_4plusIjEEEEZZNS1_33reduce_by_key_impl_wrapped_configILNS1_25lookback_scan_determinismE0ES3_S7_PKmNS0_17constant_iteratorIjlEEPmPlSF_S6_NS0_8equal_toImEEEE10hipError_tPvRmT2_T3_mT4_T5_T6_T7_T8_P12ihipStream_tbENKUlT_T0_E_clISt17integral_constantIbLb1EESY_IbLb0EEEEDaSU_SV_EUlSU_E_NS1_11comp_targetILNS1_3genE2ELNS1_11target_archE906ELNS1_3gpuE6ELNS1_3repE0EEENS1_30default_config_static_selectorELNS0_4arch9wavefront6targetE0EEEvT1_,comdat
.Lfunc_end740:
	.size	_ZN7rocprim17ROCPRIM_400000_NS6detail17trampoline_kernelINS0_14default_configENS1_33run_length_encode_config_selectorImjNS0_4plusIjEEEEZZNS1_33reduce_by_key_impl_wrapped_configILNS1_25lookback_scan_determinismE0ES3_S7_PKmNS0_17constant_iteratorIjlEEPmPlSF_S6_NS0_8equal_toImEEEE10hipError_tPvRmT2_T3_mT4_T5_T6_T7_T8_P12ihipStream_tbENKUlT_T0_E_clISt17integral_constantIbLb1EESY_IbLb0EEEEDaSU_SV_EUlSU_E_NS1_11comp_targetILNS1_3genE2ELNS1_11target_archE906ELNS1_3gpuE6ELNS1_3repE0EEENS1_30default_config_static_selectorELNS0_4arch9wavefront6targetE0EEEvT1_, .Lfunc_end740-_ZN7rocprim17ROCPRIM_400000_NS6detail17trampoline_kernelINS0_14default_configENS1_33run_length_encode_config_selectorImjNS0_4plusIjEEEEZZNS1_33reduce_by_key_impl_wrapped_configILNS1_25lookback_scan_determinismE0ES3_S7_PKmNS0_17constant_iteratorIjlEEPmPlSF_S6_NS0_8equal_toImEEEE10hipError_tPvRmT2_T3_mT4_T5_T6_T7_T8_P12ihipStream_tbENKUlT_T0_E_clISt17integral_constantIbLb1EESY_IbLb0EEEEDaSU_SV_EUlSU_E_NS1_11comp_targetILNS1_3genE2ELNS1_11target_archE906ELNS1_3gpuE6ELNS1_3repE0EEENS1_30default_config_static_selectorELNS0_4arch9wavefront6targetE0EEEvT1_
                                        ; -- End function
	.set _ZN7rocprim17ROCPRIM_400000_NS6detail17trampoline_kernelINS0_14default_configENS1_33run_length_encode_config_selectorImjNS0_4plusIjEEEEZZNS1_33reduce_by_key_impl_wrapped_configILNS1_25lookback_scan_determinismE0ES3_S7_PKmNS0_17constant_iteratorIjlEEPmPlSF_S6_NS0_8equal_toImEEEE10hipError_tPvRmT2_T3_mT4_T5_T6_T7_T8_P12ihipStream_tbENKUlT_T0_E_clISt17integral_constantIbLb1EESY_IbLb0EEEEDaSU_SV_EUlSU_E_NS1_11comp_targetILNS1_3genE2ELNS1_11target_archE906ELNS1_3gpuE6ELNS1_3repE0EEENS1_30default_config_static_selectorELNS0_4arch9wavefront6targetE0EEEvT1_.num_vgpr, 0
	.set _ZN7rocprim17ROCPRIM_400000_NS6detail17trampoline_kernelINS0_14default_configENS1_33run_length_encode_config_selectorImjNS0_4plusIjEEEEZZNS1_33reduce_by_key_impl_wrapped_configILNS1_25lookback_scan_determinismE0ES3_S7_PKmNS0_17constant_iteratorIjlEEPmPlSF_S6_NS0_8equal_toImEEEE10hipError_tPvRmT2_T3_mT4_T5_T6_T7_T8_P12ihipStream_tbENKUlT_T0_E_clISt17integral_constantIbLb1EESY_IbLb0EEEEDaSU_SV_EUlSU_E_NS1_11comp_targetILNS1_3genE2ELNS1_11target_archE906ELNS1_3gpuE6ELNS1_3repE0EEENS1_30default_config_static_selectorELNS0_4arch9wavefront6targetE0EEEvT1_.num_agpr, 0
	.set _ZN7rocprim17ROCPRIM_400000_NS6detail17trampoline_kernelINS0_14default_configENS1_33run_length_encode_config_selectorImjNS0_4plusIjEEEEZZNS1_33reduce_by_key_impl_wrapped_configILNS1_25lookback_scan_determinismE0ES3_S7_PKmNS0_17constant_iteratorIjlEEPmPlSF_S6_NS0_8equal_toImEEEE10hipError_tPvRmT2_T3_mT4_T5_T6_T7_T8_P12ihipStream_tbENKUlT_T0_E_clISt17integral_constantIbLb1EESY_IbLb0EEEEDaSU_SV_EUlSU_E_NS1_11comp_targetILNS1_3genE2ELNS1_11target_archE906ELNS1_3gpuE6ELNS1_3repE0EEENS1_30default_config_static_selectorELNS0_4arch9wavefront6targetE0EEEvT1_.numbered_sgpr, 0
	.set _ZN7rocprim17ROCPRIM_400000_NS6detail17trampoline_kernelINS0_14default_configENS1_33run_length_encode_config_selectorImjNS0_4plusIjEEEEZZNS1_33reduce_by_key_impl_wrapped_configILNS1_25lookback_scan_determinismE0ES3_S7_PKmNS0_17constant_iteratorIjlEEPmPlSF_S6_NS0_8equal_toImEEEE10hipError_tPvRmT2_T3_mT4_T5_T6_T7_T8_P12ihipStream_tbENKUlT_T0_E_clISt17integral_constantIbLb1EESY_IbLb0EEEEDaSU_SV_EUlSU_E_NS1_11comp_targetILNS1_3genE2ELNS1_11target_archE906ELNS1_3gpuE6ELNS1_3repE0EEENS1_30default_config_static_selectorELNS0_4arch9wavefront6targetE0EEEvT1_.num_named_barrier, 0
	.set _ZN7rocprim17ROCPRIM_400000_NS6detail17trampoline_kernelINS0_14default_configENS1_33run_length_encode_config_selectorImjNS0_4plusIjEEEEZZNS1_33reduce_by_key_impl_wrapped_configILNS1_25lookback_scan_determinismE0ES3_S7_PKmNS0_17constant_iteratorIjlEEPmPlSF_S6_NS0_8equal_toImEEEE10hipError_tPvRmT2_T3_mT4_T5_T6_T7_T8_P12ihipStream_tbENKUlT_T0_E_clISt17integral_constantIbLb1EESY_IbLb0EEEEDaSU_SV_EUlSU_E_NS1_11comp_targetILNS1_3genE2ELNS1_11target_archE906ELNS1_3gpuE6ELNS1_3repE0EEENS1_30default_config_static_selectorELNS0_4arch9wavefront6targetE0EEEvT1_.private_seg_size, 0
	.set _ZN7rocprim17ROCPRIM_400000_NS6detail17trampoline_kernelINS0_14default_configENS1_33run_length_encode_config_selectorImjNS0_4plusIjEEEEZZNS1_33reduce_by_key_impl_wrapped_configILNS1_25lookback_scan_determinismE0ES3_S7_PKmNS0_17constant_iteratorIjlEEPmPlSF_S6_NS0_8equal_toImEEEE10hipError_tPvRmT2_T3_mT4_T5_T6_T7_T8_P12ihipStream_tbENKUlT_T0_E_clISt17integral_constantIbLb1EESY_IbLb0EEEEDaSU_SV_EUlSU_E_NS1_11comp_targetILNS1_3genE2ELNS1_11target_archE906ELNS1_3gpuE6ELNS1_3repE0EEENS1_30default_config_static_selectorELNS0_4arch9wavefront6targetE0EEEvT1_.uses_vcc, 0
	.set _ZN7rocprim17ROCPRIM_400000_NS6detail17trampoline_kernelINS0_14default_configENS1_33run_length_encode_config_selectorImjNS0_4plusIjEEEEZZNS1_33reduce_by_key_impl_wrapped_configILNS1_25lookback_scan_determinismE0ES3_S7_PKmNS0_17constant_iteratorIjlEEPmPlSF_S6_NS0_8equal_toImEEEE10hipError_tPvRmT2_T3_mT4_T5_T6_T7_T8_P12ihipStream_tbENKUlT_T0_E_clISt17integral_constantIbLb1EESY_IbLb0EEEEDaSU_SV_EUlSU_E_NS1_11comp_targetILNS1_3genE2ELNS1_11target_archE906ELNS1_3gpuE6ELNS1_3repE0EEENS1_30default_config_static_selectorELNS0_4arch9wavefront6targetE0EEEvT1_.uses_flat_scratch, 0
	.set _ZN7rocprim17ROCPRIM_400000_NS6detail17trampoline_kernelINS0_14default_configENS1_33run_length_encode_config_selectorImjNS0_4plusIjEEEEZZNS1_33reduce_by_key_impl_wrapped_configILNS1_25lookback_scan_determinismE0ES3_S7_PKmNS0_17constant_iteratorIjlEEPmPlSF_S6_NS0_8equal_toImEEEE10hipError_tPvRmT2_T3_mT4_T5_T6_T7_T8_P12ihipStream_tbENKUlT_T0_E_clISt17integral_constantIbLb1EESY_IbLb0EEEEDaSU_SV_EUlSU_E_NS1_11comp_targetILNS1_3genE2ELNS1_11target_archE906ELNS1_3gpuE6ELNS1_3repE0EEENS1_30default_config_static_selectorELNS0_4arch9wavefront6targetE0EEEvT1_.has_dyn_sized_stack, 0
	.set _ZN7rocprim17ROCPRIM_400000_NS6detail17trampoline_kernelINS0_14default_configENS1_33run_length_encode_config_selectorImjNS0_4plusIjEEEEZZNS1_33reduce_by_key_impl_wrapped_configILNS1_25lookback_scan_determinismE0ES3_S7_PKmNS0_17constant_iteratorIjlEEPmPlSF_S6_NS0_8equal_toImEEEE10hipError_tPvRmT2_T3_mT4_T5_T6_T7_T8_P12ihipStream_tbENKUlT_T0_E_clISt17integral_constantIbLb1EESY_IbLb0EEEEDaSU_SV_EUlSU_E_NS1_11comp_targetILNS1_3genE2ELNS1_11target_archE906ELNS1_3gpuE6ELNS1_3repE0EEENS1_30default_config_static_selectorELNS0_4arch9wavefront6targetE0EEEvT1_.has_recursion, 0
	.set _ZN7rocprim17ROCPRIM_400000_NS6detail17trampoline_kernelINS0_14default_configENS1_33run_length_encode_config_selectorImjNS0_4plusIjEEEEZZNS1_33reduce_by_key_impl_wrapped_configILNS1_25lookback_scan_determinismE0ES3_S7_PKmNS0_17constant_iteratorIjlEEPmPlSF_S6_NS0_8equal_toImEEEE10hipError_tPvRmT2_T3_mT4_T5_T6_T7_T8_P12ihipStream_tbENKUlT_T0_E_clISt17integral_constantIbLb1EESY_IbLb0EEEEDaSU_SV_EUlSU_E_NS1_11comp_targetILNS1_3genE2ELNS1_11target_archE906ELNS1_3gpuE6ELNS1_3repE0EEENS1_30default_config_static_selectorELNS0_4arch9wavefront6targetE0EEEvT1_.has_indirect_call, 0
	.section	.AMDGPU.csdata,"",@progbits
; Kernel info:
; codeLenInByte = 0
; TotalNumSgprs: 0
; NumVgprs: 0
; ScratchSize: 0
; MemoryBound: 0
; FloatMode: 240
; IeeeMode: 1
; LDSByteSize: 0 bytes/workgroup (compile time only)
; SGPRBlocks: 0
; VGPRBlocks: 0
; NumSGPRsForWavesPerEU: 1
; NumVGPRsForWavesPerEU: 1
; NamedBarCnt: 0
; Occupancy: 16
; WaveLimiterHint : 0
; COMPUTE_PGM_RSRC2:SCRATCH_EN: 0
; COMPUTE_PGM_RSRC2:USER_SGPR: 2
; COMPUTE_PGM_RSRC2:TRAP_HANDLER: 0
; COMPUTE_PGM_RSRC2:TGID_X_EN: 1
; COMPUTE_PGM_RSRC2:TGID_Y_EN: 0
; COMPUTE_PGM_RSRC2:TGID_Z_EN: 0
; COMPUTE_PGM_RSRC2:TIDIG_COMP_CNT: 0
	.section	.text._ZN7rocprim17ROCPRIM_400000_NS6detail17trampoline_kernelINS0_14default_configENS1_33run_length_encode_config_selectorImjNS0_4plusIjEEEEZZNS1_33reduce_by_key_impl_wrapped_configILNS1_25lookback_scan_determinismE0ES3_S7_PKmNS0_17constant_iteratorIjlEEPmPlSF_S6_NS0_8equal_toImEEEE10hipError_tPvRmT2_T3_mT4_T5_T6_T7_T8_P12ihipStream_tbENKUlT_T0_E_clISt17integral_constantIbLb1EESY_IbLb0EEEEDaSU_SV_EUlSU_E_NS1_11comp_targetILNS1_3genE10ELNS1_11target_archE1201ELNS1_3gpuE5ELNS1_3repE0EEENS1_30default_config_static_selectorELNS0_4arch9wavefront6targetE0EEEvT1_,"axG",@progbits,_ZN7rocprim17ROCPRIM_400000_NS6detail17trampoline_kernelINS0_14default_configENS1_33run_length_encode_config_selectorImjNS0_4plusIjEEEEZZNS1_33reduce_by_key_impl_wrapped_configILNS1_25lookback_scan_determinismE0ES3_S7_PKmNS0_17constant_iteratorIjlEEPmPlSF_S6_NS0_8equal_toImEEEE10hipError_tPvRmT2_T3_mT4_T5_T6_T7_T8_P12ihipStream_tbENKUlT_T0_E_clISt17integral_constantIbLb1EESY_IbLb0EEEEDaSU_SV_EUlSU_E_NS1_11comp_targetILNS1_3genE10ELNS1_11target_archE1201ELNS1_3gpuE5ELNS1_3repE0EEENS1_30default_config_static_selectorELNS0_4arch9wavefront6targetE0EEEvT1_,comdat
	.protected	_ZN7rocprim17ROCPRIM_400000_NS6detail17trampoline_kernelINS0_14default_configENS1_33run_length_encode_config_selectorImjNS0_4plusIjEEEEZZNS1_33reduce_by_key_impl_wrapped_configILNS1_25lookback_scan_determinismE0ES3_S7_PKmNS0_17constant_iteratorIjlEEPmPlSF_S6_NS0_8equal_toImEEEE10hipError_tPvRmT2_T3_mT4_T5_T6_T7_T8_P12ihipStream_tbENKUlT_T0_E_clISt17integral_constantIbLb1EESY_IbLb0EEEEDaSU_SV_EUlSU_E_NS1_11comp_targetILNS1_3genE10ELNS1_11target_archE1201ELNS1_3gpuE5ELNS1_3repE0EEENS1_30default_config_static_selectorELNS0_4arch9wavefront6targetE0EEEvT1_ ; -- Begin function _ZN7rocprim17ROCPRIM_400000_NS6detail17trampoline_kernelINS0_14default_configENS1_33run_length_encode_config_selectorImjNS0_4plusIjEEEEZZNS1_33reduce_by_key_impl_wrapped_configILNS1_25lookback_scan_determinismE0ES3_S7_PKmNS0_17constant_iteratorIjlEEPmPlSF_S6_NS0_8equal_toImEEEE10hipError_tPvRmT2_T3_mT4_T5_T6_T7_T8_P12ihipStream_tbENKUlT_T0_E_clISt17integral_constantIbLb1EESY_IbLb0EEEEDaSU_SV_EUlSU_E_NS1_11comp_targetILNS1_3genE10ELNS1_11target_archE1201ELNS1_3gpuE5ELNS1_3repE0EEENS1_30default_config_static_selectorELNS0_4arch9wavefront6targetE0EEEvT1_
	.globl	_ZN7rocprim17ROCPRIM_400000_NS6detail17trampoline_kernelINS0_14default_configENS1_33run_length_encode_config_selectorImjNS0_4plusIjEEEEZZNS1_33reduce_by_key_impl_wrapped_configILNS1_25lookback_scan_determinismE0ES3_S7_PKmNS0_17constant_iteratorIjlEEPmPlSF_S6_NS0_8equal_toImEEEE10hipError_tPvRmT2_T3_mT4_T5_T6_T7_T8_P12ihipStream_tbENKUlT_T0_E_clISt17integral_constantIbLb1EESY_IbLb0EEEEDaSU_SV_EUlSU_E_NS1_11comp_targetILNS1_3genE10ELNS1_11target_archE1201ELNS1_3gpuE5ELNS1_3repE0EEENS1_30default_config_static_selectorELNS0_4arch9wavefront6targetE0EEEvT1_
	.p2align	8
	.type	_ZN7rocprim17ROCPRIM_400000_NS6detail17trampoline_kernelINS0_14default_configENS1_33run_length_encode_config_selectorImjNS0_4plusIjEEEEZZNS1_33reduce_by_key_impl_wrapped_configILNS1_25lookback_scan_determinismE0ES3_S7_PKmNS0_17constant_iteratorIjlEEPmPlSF_S6_NS0_8equal_toImEEEE10hipError_tPvRmT2_T3_mT4_T5_T6_T7_T8_P12ihipStream_tbENKUlT_T0_E_clISt17integral_constantIbLb1EESY_IbLb0EEEEDaSU_SV_EUlSU_E_NS1_11comp_targetILNS1_3genE10ELNS1_11target_archE1201ELNS1_3gpuE5ELNS1_3repE0EEENS1_30default_config_static_selectorELNS0_4arch9wavefront6targetE0EEEvT1_,@function
_ZN7rocprim17ROCPRIM_400000_NS6detail17trampoline_kernelINS0_14default_configENS1_33run_length_encode_config_selectorImjNS0_4plusIjEEEEZZNS1_33reduce_by_key_impl_wrapped_configILNS1_25lookback_scan_determinismE0ES3_S7_PKmNS0_17constant_iteratorIjlEEPmPlSF_S6_NS0_8equal_toImEEEE10hipError_tPvRmT2_T3_mT4_T5_T6_T7_T8_P12ihipStream_tbENKUlT_T0_E_clISt17integral_constantIbLb1EESY_IbLb0EEEEDaSU_SV_EUlSU_E_NS1_11comp_targetILNS1_3genE10ELNS1_11target_archE1201ELNS1_3gpuE5ELNS1_3repE0EEENS1_30default_config_static_selectorELNS0_4arch9wavefront6targetE0EEEvT1_: ; @_ZN7rocprim17ROCPRIM_400000_NS6detail17trampoline_kernelINS0_14default_configENS1_33run_length_encode_config_selectorImjNS0_4plusIjEEEEZZNS1_33reduce_by_key_impl_wrapped_configILNS1_25lookback_scan_determinismE0ES3_S7_PKmNS0_17constant_iteratorIjlEEPmPlSF_S6_NS0_8equal_toImEEEE10hipError_tPvRmT2_T3_mT4_T5_T6_T7_T8_P12ihipStream_tbENKUlT_T0_E_clISt17integral_constantIbLb1EESY_IbLb0EEEEDaSU_SV_EUlSU_E_NS1_11comp_targetILNS1_3genE10ELNS1_11target_archE1201ELNS1_3gpuE5ELNS1_3repE0EEENS1_30default_config_static_selectorELNS0_4arch9wavefront6targetE0EEEvT1_
; %bb.0:
	.section	.rodata,"a",@progbits
	.p2align	6, 0x0
	.amdhsa_kernel _ZN7rocprim17ROCPRIM_400000_NS6detail17trampoline_kernelINS0_14default_configENS1_33run_length_encode_config_selectorImjNS0_4plusIjEEEEZZNS1_33reduce_by_key_impl_wrapped_configILNS1_25lookback_scan_determinismE0ES3_S7_PKmNS0_17constant_iteratorIjlEEPmPlSF_S6_NS0_8equal_toImEEEE10hipError_tPvRmT2_T3_mT4_T5_T6_T7_T8_P12ihipStream_tbENKUlT_T0_E_clISt17integral_constantIbLb1EESY_IbLb0EEEEDaSU_SV_EUlSU_E_NS1_11comp_targetILNS1_3genE10ELNS1_11target_archE1201ELNS1_3gpuE5ELNS1_3repE0EEENS1_30default_config_static_selectorELNS0_4arch9wavefront6targetE0EEEvT1_
		.amdhsa_group_segment_fixed_size 0
		.amdhsa_private_segment_fixed_size 0
		.amdhsa_kernarg_size 128
		.amdhsa_user_sgpr_count 2
		.amdhsa_user_sgpr_dispatch_ptr 0
		.amdhsa_user_sgpr_queue_ptr 0
		.amdhsa_user_sgpr_kernarg_segment_ptr 1
		.amdhsa_user_sgpr_dispatch_id 0
		.amdhsa_user_sgpr_kernarg_preload_length 0
		.amdhsa_user_sgpr_kernarg_preload_offset 0
		.amdhsa_user_sgpr_private_segment_size 0
		.amdhsa_wavefront_size32 1
		.amdhsa_uses_dynamic_stack 0
		.amdhsa_enable_private_segment 0
		.amdhsa_system_sgpr_workgroup_id_x 1
		.amdhsa_system_sgpr_workgroup_id_y 0
		.amdhsa_system_sgpr_workgroup_id_z 0
		.amdhsa_system_sgpr_workgroup_info 0
		.amdhsa_system_vgpr_workitem_id 0
		.amdhsa_next_free_vgpr 1
		.amdhsa_next_free_sgpr 1
		.amdhsa_named_barrier_count 0
		.amdhsa_reserve_vcc 0
		.amdhsa_float_round_mode_32 0
		.amdhsa_float_round_mode_16_64 0
		.amdhsa_float_denorm_mode_32 3
		.amdhsa_float_denorm_mode_16_64 3
		.amdhsa_fp16_overflow 0
		.amdhsa_memory_ordered 1
		.amdhsa_forward_progress 1
		.amdhsa_inst_pref_size 0
		.amdhsa_round_robin_scheduling 0
		.amdhsa_exception_fp_ieee_invalid_op 0
		.amdhsa_exception_fp_denorm_src 0
		.amdhsa_exception_fp_ieee_div_zero 0
		.amdhsa_exception_fp_ieee_overflow 0
		.amdhsa_exception_fp_ieee_underflow 0
		.amdhsa_exception_fp_ieee_inexact 0
		.amdhsa_exception_int_div_zero 0
	.end_amdhsa_kernel
	.section	.text._ZN7rocprim17ROCPRIM_400000_NS6detail17trampoline_kernelINS0_14default_configENS1_33run_length_encode_config_selectorImjNS0_4plusIjEEEEZZNS1_33reduce_by_key_impl_wrapped_configILNS1_25lookback_scan_determinismE0ES3_S7_PKmNS0_17constant_iteratorIjlEEPmPlSF_S6_NS0_8equal_toImEEEE10hipError_tPvRmT2_T3_mT4_T5_T6_T7_T8_P12ihipStream_tbENKUlT_T0_E_clISt17integral_constantIbLb1EESY_IbLb0EEEEDaSU_SV_EUlSU_E_NS1_11comp_targetILNS1_3genE10ELNS1_11target_archE1201ELNS1_3gpuE5ELNS1_3repE0EEENS1_30default_config_static_selectorELNS0_4arch9wavefront6targetE0EEEvT1_,"axG",@progbits,_ZN7rocprim17ROCPRIM_400000_NS6detail17trampoline_kernelINS0_14default_configENS1_33run_length_encode_config_selectorImjNS0_4plusIjEEEEZZNS1_33reduce_by_key_impl_wrapped_configILNS1_25lookback_scan_determinismE0ES3_S7_PKmNS0_17constant_iteratorIjlEEPmPlSF_S6_NS0_8equal_toImEEEE10hipError_tPvRmT2_T3_mT4_T5_T6_T7_T8_P12ihipStream_tbENKUlT_T0_E_clISt17integral_constantIbLb1EESY_IbLb0EEEEDaSU_SV_EUlSU_E_NS1_11comp_targetILNS1_3genE10ELNS1_11target_archE1201ELNS1_3gpuE5ELNS1_3repE0EEENS1_30default_config_static_selectorELNS0_4arch9wavefront6targetE0EEEvT1_,comdat
.Lfunc_end741:
	.size	_ZN7rocprim17ROCPRIM_400000_NS6detail17trampoline_kernelINS0_14default_configENS1_33run_length_encode_config_selectorImjNS0_4plusIjEEEEZZNS1_33reduce_by_key_impl_wrapped_configILNS1_25lookback_scan_determinismE0ES3_S7_PKmNS0_17constant_iteratorIjlEEPmPlSF_S6_NS0_8equal_toImEEEE10hipError_tPvRmT2_T3_mT4_T5_T6_T7_T8_P12ihipStream_tbENKUlT_T0_E_clISt17integral_constantIbLb1EESY_IbLb0EEEEDaSU_SV_EUlSU_E_NS1_11comp_targetILNS1_3genE10ELNS1_11target_archE1201ELNS1_3gpuE5ELNS1_3repE0EEENS1_30default_config_static_selectorELNS0_4arch9wavefront6targetE0EEEvT1_, .Lfunc_end741-_ZN7rocprim17ROCPRIM_400000_NS6detail17trampoline_kernelINS0_14default_configENS1_33run_length_encode_config_selectorImjNS0_4plusIjEEEEZZNS1_33reduce_by_key_impl_wrapped_configILNS1_25lookback_scan_determinismE0ES3_S7_PKmNS0_17constant_iteratorIjlEEPmPlSF_S6_NS0_8equal_toImEEEE10hipError_tPvRmT2_T3_mT4_T5_T6_T7_T8_P12ihipStream_tbENKUlT_T0_E_clISt17integral_constantIbLb1EESY_IbLb0EEEEDaSU_SV_EUlSU_E_NS1_11comp_targetILNS1_3genE10ELNS1_11target_archE1201ELNS1_3gpuE5ELNS1_3repE0EEENS1_30default_config_static_selectorELNS0_4arch9wavefront6targetE0EEEvT1_
                                        ; -- End function
	.set _ZN7rocprim17ROCPRIM_400000_NS6detail17trampoline_kernelINS0_14default_configENS1_33run_length_encode_config_selectorImjNS0_4plusIjEEEEZZNS1_33reduce_by_key_impl_wrapped_configILNS1_25lookback_scan_determinismE0ES3_S7_PKmNS0_17constant_iteratorIjlEEPmPlSF_S6_NS0_8equal_toImEEEE10hipError_tPvRmT2_T3_mT4_T5_T6_T7_T8_P12ihipStream_tbENKUlT_T0_E_clISt17integral_constantIbLb1EESY_IbLb0EEEEDaSU_SV_EUlSU_E_NS1_11comp_targetILNS1_3genE10ELNS1_11target_archE1201ELNS1_3gpuE5ELNS1_3repE0EEENS1_30default_config_static_selectorELNS0_4arch9wavefront6targetE0EEEvT1_.num_vgpr, 0
	.set _ZN7rocprim17ROCPRIM_400000_NS6detail17trampoline_kernelINS0_14default_configENS1_33run_length_encode_config_selectorImjNS0_4plusIjEEEEZZNS1_33reduce_by_key_impl_wrapped_configILNS1_25lookback_scan_determinismE0ES3_S7_PKmNS0_17constant_iteratorIjlEEPmPlSF_S6_NS0_8equal_toImEEEE10hipError_tPvRmT2_T3_mT4_T5_T6_T7_T8_P12ihipStream_tbENKUlT_T0_E_clISt17integral_constantIbLb1EESY_IbLb0EEEEDaSU_SV_EUlSU_E_NS1_11comp_targetILNS1_3genE10ELNS1_11target_archE1201ELNS1_3gpuE5ELNS1_3repE0EEENS1_30default_config_static_selectorELNS0_4arch9wavefront6targetE0EEEvT1_.num_agpr, 0
	.set _ZN7rocprim17ROCPRIM_400000_NS6detail17trampoline_kernelINS0_14default_configENS1_33run_length_encode_config_selectorImjNS0_4plusIjEEEEZZNS1_33reduce_by_key_impl_wrapped_configILNS1_25lookback_scan_determinismE0ES3_S7_PKmNS0_17constant_iteratorIjlEEPmPlSF_S6_NS0_8equal_toImEEEE10hipError_tPvRmT2_T3_mT4_T5_T6_T7_T8_P12ihipStream_tbENKUlT_T0_E_clISt17integral_constantIbLb1EESY_IbLb0EEEEDaSU_SV_EUlSU_E_NS1_11comp_targetILNS1_3genE10ELNS1_11target_archE1201ELNS1_3gpuE5ELNS1_3repE0EEENS1_30default_config_static_selectorELNS0_4arch9wavefront6targetE0EEEvT1_.numbered_sgpr, 0
	.set _ZN7rocprim17ROCPRIM_400000_NS6detail17trampoline_kernelINS0_14default_configENS1_33run_length_encode_config_selectorImjNS0_4plusIjEEEEZZNS1_33reduce_by_key_impl_wrapped_configILNS1_25lookback_scan_determinismE0ES3_S7_PKmNS0_17constant_iteratorIjlEEPmPlSF_S6_NS0_8equal_toImEEEE10hipError_tPvRmT2_T3_mT4_T5_T6_T7_T8_P12ihipStream_tbENKUlT_T0_E_clISt17integral_constantIbLb1EESY_IbLb0EEEEDaSU_SV_EUlSU_E_NS1_11comp_targetILNS1_3genE10ELNS1_11target_archE1201ELNS1_3gpuE5ELNS1_3repE0EEENS1_30default_config_static_selectorELNS0_4arch9wavefront6targetE0EEEvT1_.num_named_barrier, 0
	.set _ZN7rocprim17ROCPRIM_400000_NS6detail17trampoline_kernelINS0_14default_configENS1_33run_length_encode_config_selectorImjNS0_4plusIjEEEEZZNS1_33reduce_by_key_impl_wrapped_configILNS1_25lookback_scan_determinismE0ES3_S7_PKmNS0_17constant_iteratorIjlEEPmPlSF_S6_NS0_8equal_toImEEEE10hipError_tPvRmT2_T3_mT4_T5_T6_T7_T8_P12ihipStream_tbENKUlT_T0_E_clISt17integral_constantIbLb1EESY_IbLb0EEEEDaSU_SV_EUlSU_E_NS1_11comp_targetILNS1_3genE10ELNS1_11target_archE1201ELNS1_3gpuE5ELNS1_3repE0EEENS1_30default_config_static_selectorELNS0_4arch9wavefront6targetE0EEEvT1_.private_seg_size, 0
	.set _ZN7rocprim17ROCPRIM_400000_NS6detail17trampoline_kernelINS0_14default_configENS1_33run_length_encode_config_selectorImjNS0_4plusIjEEEEZZNS1_33reduce_by_key_impl_wrapped_configILNS1_25lookback_scan_determinismE0ES3_S7_PKmNS0_17constant_iteratorIjlEEPmPlSF_S6_NS0_8equal_toImEEEE10hipError_tPvRmT2_T3_mT4_T5_T6_T7_T8_P12ihipStream_tbENKUlT_T0_E_clISt17integral_constantIbLb1EESY_IbLb0EEEEDaSU_SV_EUlSU_E_NS1_11comp_targetILNS1_3genE10ELNS1_11target_archE1201ELNS1_3gpuE5ELNS1_3repE0EEENS1_30default_config_static_selectorELNS0_4arch9wavefront6targetE0EEEvT1_.uses_vcc, 0
	.set _ZN7rocprim17ROCPRIM_400000_NS6detail17trampoline_kernelINS0_14default_configENS1_33run_length_encode_config_selectorImjNS0_4plusIjEEEEZZNS1_33reduce_by_key_impl_wrapped_configILNS1_25lookback_scan_determinismE0ES3_S7_PKmNS0_17constant_iteratorIjlEEPmPlSF_S6_NS0_8equal_toImEEEE10hipError_tPvRmT2_T3_mT4_T5_T6_T7_T8_P12ihipStream_tbENKUlT_T0_E_clISt17integral_constantIbLb1EESY_IbLb0EEEEDaSU_SV_EUlSU_E_NS1_11comp_targetILNS1_3genE10ELNS1_11target_archE1201ELNS1_3gpuE5ELNS1_3repE0EEENS1_30default_config_static_selectorELNS0_4arch9wavefront6targetE0EEEvT1_.uses_flat_scratch, 0
	.set _ZN7rocprim17ROCPRIM_400000_NS6detail17trampoline_kernelINS0_14default_configENS1_33run_length_encode_config_selectorImjNS0_4plusIjEEEEZZNS1_33reduce_by_key_impl_wrapped_configILNS1_25lookback_scan_determinismE0ES3_S7_PKmNS0_17constant_iteratorIjlEEPmPlSF_S6_NS0_8equal_toImEEEE10hipError_tPvRmT2_T3_mT4_T5_T6_T7_T8_P12ihipStream_tbENKUlT_T0_E_clISt17integral_constantIbLb1EESY_IbLb0EEEEDaSU_SV_EUlSU_E_NS1_11comp_targetILNS1_3genE10ELNS1_11target_archE1201ELNS1_3gpuE5ELNS1_3repE0EEENS1_30default_config_static_selectorELNS0_4arch9wavefront6targetE0EEEvT1_.has_dyn_sized_stack, 0
	.set _ZN7rocprim17ROCPRIM_400000_NS6detail17trampoline_kernelINS0_14default_configENS1_33run_length_encode_config_selectorImjNS0_4plusIjEEEEZZNS1_33reduce_by_key_impl_wrapped_configILNS1_25lookback_scan_determinismE0ES3_S7_PKmNS0_17constant_iteratorIjlEEPmPlSF_S6_NS0_8equal_toImEEEE10hipError_tPvRmT2_T3_mT4_T5_T6_T7_T8_P12ihipStream_tbENKUlT_T0_E_clISt17integral_constantIbLb1EESY_IbLb0EEEEDaSU_SV_EUlSU_E_NS1_11comp_targetILNS1_3genE10ELNS1_11target_archE1201ELNS1_3gpuE5ELNS1_3repE0EEENS1_30default_config_static_selectorELNS0_4arch9wavefront6targetE0EEEvT1_.has_recursion, 0
	.set _ZN7rocprim17ROCPRIM_400000_NS6detail17trampoline_kernelINS0_14default_configENS1_33run_length_encode_config_selectorImjNS0_4plusIjEEEEZZNS1_33reduce_by_key_impl_wrapped_configILNS1_25lookback_scan_determinismE0ES3_S7_PKmNS0_17constant_iteratorIjlEEPmPlSF_S6_NS0_8equal_toImEEEE10hipError_tPvRmT2_T3_mT4_T5_T6_T7_T8_P12ihipStream_tbENKUlT_T0_E_clISt17integral_constantIbLb1EESY_IbLb0EEEEDaSU_SV_EUlSU_E_NS1_11comp_targetILNS1_3genE10ELNS1_11target_archE1201ELNS1_3gpuE5ELNS1_3repE0EEENS1_30default_config_static_selectorELNS0_4arch9wavefront6targetE0EEEvT1_.has_indirect_call, 0
	.section	.AMDGPU.csdata,"",@progbits
; Kernel info:
; codeLenInByte = 0
; TotalNumSgprs: 0
; NumVgprs: 0
; ScratchSize: 0
; MemoryBound: 0
; FloatMode: 240
; IeeeMode: 1
; LDSByteSize: 0 bytes/workgroup (compile time only)
; SGPRBlocks: 0
; VGPRBlocks: 0
; NumSGPRsForWavesPerEU: 1
; NumVGPRsForWavesPerEU: 1
; NamedBarCnt: 0
; Occupancy: 16
; WaveLimiterHint : 0
; COMPUTE_PGM_RSRC2:SCRATCH_EN: 0
; COMPUTE_PGM_RSRC2:USER_SGPR: 2
; COMPUTE_PGM_RSRC2:TRAP_HANDLER: 0
; COMPUTE_PGM_RSRC2:TGID_X_EN: 1
; COMPUTE_PGM_RSRC2:TGID_Y_EN: 0
; COMPUTE_PGM_RSRC2:TGID_Z_EN: 0
; COMPUTE_PGM_RSRC2:TIDIG_COMP_CNT: 0
	.section	.text._ZN7rocprim17ROCPRIM_400000_NS6detail17trampoline_kernelINS0_14default_configENS1_33run_length_encode_config_selectorImjNS0_4plusIjEEEEZZNS1_33reduce_by_key_impl_wrapped_configILNS1_25lookback_scan_determinismE0ES3_S7_PKmNS0_17constant_iteratorIjlEEPmPlSF_S6_NS0_8equal_toImEEEE10hipError_tPvRmT2_T3_mT4_T5_T6_T7_T8_P12ihipStream_tbENKUlT_T0_E_clISt17integral_constantIbLb1EESY_IbLb0EEEEDaSU_SV_EUlSU_E_NS1_11comp_targetILNS1_3genE10ELNS1_11target_archE1200ELNS1_3gpuE4ELNS1_3repE0EEENS1_30default_config_static_selectorELNS0_4arch9wavefront6targetE0EEEvT1_,"axG",@progbits,_ZN7rocprim17ROCPRIM_400000_NS6detail17trampoline_kernelINS0_14default_configENS1_33run_length_encode_config_selectorImjNS0_4plusIjEEEEZZNS1_33reduce_by_key_impl_wrapped_configILNS1_25lookback_scan_determinismE0ES3_S7_PKmNS0_17constant_iteratorIjlEEPmPlSF_S6_NS0_8equal_toImEEEE10hipError_tPvRmT2_T3_mT4_T5_T6_T7_T8_P12ihipStream_tbENKUlT_T0_E_clISt17integral_constantIbLb1EESY_IbLb0EEEEDaSU_SV_EUlSU_E_NS1_11comp_targetILNS1_3genE10ELNS1_11target_archE1200ELNS1_3gpuE4ELNS1_3repE0EEENS1_30default_config_static_selectorELNS0_4arch9wavefront6targetE0EEEvT1_,comdat
	.protected	_ZN7rocprim17ROCPRIM_400000_NS6detail17trampoline_kernelINS0_14default_configENS1_33run_length_encode_config_selectorImjNS0_4plusIjEEEEZZNS1_33reduce_by_key_impl_wrapped_configILNS1_25lookback_scan_determinismE0ES3_S7_PKmNS0_17constant_iteratorIjlEEPmPlSF_S6_NS0_8equal_toImEEEE10hipError_tPvRmT2_T3_mT4_T5_T6_T7_T8_P12ihipStream_tbENKUlT_T0_E_clISt17integral_constantIbLb1EESY_IbLb0EEEEDaSU_SV_EUlSU_E_NS1_11comp_targetILNS1_3genE10ELNS1_11target_archE1200ELNS1_3gpuE4ELNS1_3repE0EEENS1_30default_config_static_selectorELNS0_4arch9wavefront6targetE0EEEvT1_ ; -- Begin function _ZN7rocprim17ROCPRIM_400000_NS6detail17trampoline_kernelINS0_14default_configENS1_33run_length_encode_config_selectorImjNS0_4plusIjEEEEZZNS1_33reduce_by_key_impl_wrapped_configILNS1_25lookback_scan_determinismE0ES3_S7_PKmNS0_17constant_iteratorIjlEEPmPlSF_S6_NS0_8equal_toImEEEE10hipError_tPvRmT2_T3_mT4_T5_T6_T7_T8_P12ihipStream_tbENKUlT_T0_E_clISt17integral_constantIbLb1EESY_IbLb0EEEEDaSU_SV_EUlSU_E_NS1_11comp_targetILNS1_3genE10ELNS1_11target_archE1200ELNS1_3gpuE4ELNS1_3repE0EEENS1_30default_config_static_selectorELNS0_4arch9wavefront6targetE0EEEvT1_
	.globl	_ZN7rocprim17ROCPRIM_400000_NS6detail17trampoline_kernelINS0_14default_configENS1_33run_length_encode_config_selectorImjNS0_4plusIjEEEEZZNS1_33reduce_by_key_impl_wrapped_configILNS1_25lookback_scan_determinismE0ES3_S7_PKmNS0_17constant_iteratorIjlEEPmPlSF_S6_NS0_8equal_toImEEEE10hipError_tPvRmT2_T3_mT4_T5_T6_T7_T8_P12ihipStream_tbENKUlT_T0_E_clISt17integral_constantIbLb1EESY_IbLb0EEEEDaSU_SV_EUlSU_E_NS1_11comp_targetILNS1_3genE10ELNS1_11target_archE1200ELNS1_3gpuE4ELNS1_3repE0EEENS1_30default_config_static_selectorELNS0_4arch9wavefront6targetE0EEEvT1_
	.p2align	8
	.type	_ZN7rocprim17ROCPRIM_400000_NS6detail17trampoline_kernelINS0_14default_configENS1_33run_length_encode_config_selectorImjNS0_4plusIjEEEEZZNS1_33reduce_by_key_impl_wrapped_configILNS1_25lookback_scan_determinismE0ES3_S7_PKmNS0_17constant_iteratorIjlEEPmPlSF_S6_NS0_8equal_toImEEEE10hipError_tPvRmT2_T3_mT4_T5_T6_T7_T8_P12ihipStream_tbENKUlT_T0_E_clISt17integral_constantIbLb1EESY_IbLb0EEEEDaSU_SV_EUlSU_E_NS1_11comp_targetILNS1_3genE10ELNS1_11target_archE1200ELNS1_3gpuE4ELNS1_3repE0EEENS1_30default_config_static_selectorELNS0_4arch9wavefront6targetE0EEEvT1_,@function
_ZN7rocprim17ROCPRIM_400000_NS6detail17trampoline_kernelINS0_14default_configENS1_33run_length_encode_config_selectorImjNS0_4plusIjEEEEZZNS1_33reduce_by_key_impl_wrapped_configILNS1_25lookback_scan_determinismE0ES3_S7_PKmNS0_17constant_iteratorIjlEEPmPlSF_S6_NS0_8equal_toImEEEE10hipError_tPvRmT2_T3_mT4_T5_T6_T7_T8_P12ihipStream_tbENKUlT_T0_E_clISt17integral_constantIbLb1EESY_IbLb0EEEEDaSU_SV_EUlSU_E_NS1_11comp_targetILNS1_3genE10ELNS1_11target_archE1200ELNS1_3gpuE4ELNS1_3repE0EEENS1_30default_config_static_selectorELNS0_4arch9wavefront6targetE0EEEvT1_: ; @_ZN7rocprim17ROCPRIM_400000_NS6detail17trampoline_kernelINS0_14default_configENS1_33run_length_encode_config_selectorImjNS0_4plusIjEEEEZZNS1_33reduce_by_key_impl_wrapped_configILNS1_25lookback_scan_determinismE0ES3_S7_PKmNS0_17constant_iteratorIjlEEPmPlSF_S6_NS0_8equal_toImEEEE10hipError_tPvRmT2_T3_mT4_T5_T6_T7_T8_P12ihipStream_tbENKUlT_T0_E_clISt17integral_constantIbLb1EESY_IbLb0EEEEDaSU_SV_EUlSU_E_NS1_11comp_targetILNS1_3genE10ELNS1_11target_archE1200ELNS1_3gpuE4ELNS1_3repE0EEENS1_30default_config_static_selectorELNS0_4arch9wavefront6targetE0EEEvT1_
; %bb.0:
	.section	.rodata,"a",@progbits
	.p2align	6, 0x0
	.amdhsa_kernel _ZN7rocprim17ROCPRIM_400000_NS6detail17trampoline_kernelINS0_14default_configENS1_33run_length_encode_config_selectorImjNS0_4plusIjEEEEZZNS1_33reduce_by_key_impl_wrapped_configILNS1_25lookback_scan_determinismE0ES3_S7_PKmNS0_17constant_iteratorIjlEEPmPlSF_S6_NS0_8equal_toImEEEE10hipError_tPvRmT2_T3_mT4_T5_T6_T7_T8_P12ihipStream_tbENKUlT_T0_E_clISt17integral_constantIbLb1EESY_IbLb0EEEEDaSU_SV_EUlSU_E_NS1_11comp_targetILNS1_3genE10ELNS1_11target_archE1200ELNS1_3gpuE4ELNS1_3repE0EEENS1_30default_config_static_selectorELNS0_4arch9wavefront6targetE0EEEvT1_
		.amdhsa_group_segment_fixed_size 0
		.amdhsa_private_segment_fixed_size 0
		.amdhsa_kernarg_size 128
		.amdhsa_user_sgpr_count 2
		.amdhsa_user_sgpr_dispatch_ptr 0
		.amdhsa_user_sgpr_queue_ptr 0
		.amdhsa_user_sgpr_kernarg_segment_ptr 1
		.amdhsa_user_sgpr_dispatch_id 0
		.amdhsa_user_sgpr_kernarg_preload_length 0
		.amdhsa_user_sgpr_kernarg_preload_offset 0
		.amdhsa_user_sgpr_private_segment_size 0
		.amdhsa_wavefront_size32 1
		.amdhsa_uses_dynamic_stack 0
		.amdhsa_enable_private_segment 0
		.amdhsa_system_sgpr_workgroup_id_x 1
		.amdhsa_system_sgpr_workgroup_id_y 0
		.amdhsa_system_sgpr_workgroup_id_z 0
		.amdhsa_system_sgpr_workgroup_info 0
		.amdhsa_system_vgpr_workitem_id 0
		.amdhsa_next_free_vgpr 1
		.amdhsa_next_free_sgpr 1
		.amdhsa_named_barrier_count 0
		.amdhsa_reserve_vcc 0
		.amdhsa_float_round_mode_32 0
		.amdhsa_float_round_mode_16_64 0
		.amdhsa_float_denorm_mode_32 3
		.amdhsa_float_denorm_mode_16_64 3
		.amdhsa_fp16_overflow 0
		.amdhsa_memory_ordered 1
		.amdhsa_forward_progress 1
		.amdhsa_inst_pref_size 0
		.amdhsa_round_robin_scheduling 0
		.amdhsa_exception_fp_ieee_invalid_op 0
		.amdhsa_exception_fp_denorm_src 0
		.amdhsa_exception_fp_ieee_div_zero 0
		.amdhsa_exception_fp_ieee_overflow 0
		.amdhsa_exception_fp_ieee_underflow 0
		.amdhsa_exception_fp_ieee_inexact 0
		.amdhsa_exception_int_div_zero 0
	.end_amdhsa_kernel
	.section	.text._ZN7rocprim17ROCPRIM_400000_NS6detail17trampoline_kernelINS0_14default_configENS1_33run_length_encode_config_selectorImjNS0_4plusIjEEEEZZNS1_33reduce_by_key_impl_wrapped_configILNS1_25lookback_scan_determinismE0ES3_S7_PKmNS0_17constant_iteratorIjlEEPmPlSF_S6_NS0_8equal_toImEEEE10hipError_tPvRmT2_T3_mT4_T5_T6_T7_T8_P12ihipStream_tbENKUlT_T0_E_clISt17integral_constantIbLb1EESY_IbLb0EEEEDaSU_SV_EUlSU_E_NS1_11comp_targetILNS1_3genE10ELNS1_11target_archE1200ELNS1_3gpuE4ELNS1_3repE0EEENS1_30default_config_static_selectorELNS0_4arch9wavefront6targetE0EEEvT1_,"axG",@progbits,_ZN7rocprim17ROCPRIM_400000_NS6detail17trampoline_kernelINS0_14default_configENS1_33run_length_encode_config_selectorImjNS0_4plusIjEEEEZZNS1_33reduce_by_key_impl_wrapped_configILNS1_25lookback_scan_determinismE0ES3_S7_PKmNS0_17constant_iteratorIjlEEPmPlSF_S6_NS0_8equal_toImEEEE10hipError_tPvRmT2_T3_mT4_T5_T6_T7_T8_P12ihipStream_tbENKUlT_T0_E_clISt17integral_constantIbLb1EESY_IbLb0EEEEDaSU_SV_EUlSU_E_NS1_11comp_targetILNS1_3genE10ELNS1_11target_archE1200ELNS1_3gpuE4ELNS1_3repE0EEENS1_30default_config_static_selectorELNS0_4arch9wavefront6targetE0EEEvT1_,comdat
.Lfunc_end742:
	.size	_ZN7rocprim17ROCPRIM_400000_NS6detail17trampoline_kernelINS0_14default_configENS1_33run_length_encode_config_selectorImjNS0_4plusIjEEEEZZNS1_33reduce_by_key_impl_wrapped_configILNS1_25lookback_scan_determinismE0ES3_S7_PKmNS0_17constant_iteratorIjlEEPmPlSF_S6_NS0_8equal_toImEEEE10hipError_tPvRmT2_T3_mT4_T5_T6_T7_T8_P12ihipStream_tbENKUlT_T0_E_clISt17integral_constantIbLb1EESY_IbLb0EEEEDaSU_SV_EUlSU_E_NS1_11comp_targetILNS1_3genE10ELNS1_11target_archE1200ELNS1_3gpuE4ELNS1_3repE0EEENS1_30default_config_static_selectorELNS0_4arch9wavefront6targetE0EEEvT1_, .Lfunc_end742-_ZN7rocprim17ROCPRIM_400000_NS6detail17trampoline_kernelINS0_14default_configENS1_33run_length_encode_config_selectorImjNS0_4plusIjEEEEZZNS1_33reduce_by_key_impl_wrapped_configILNS1_25lookback_scan_determinismE0ES3_S7_PKmNS0_17constant_iteratorIjlEEPmPlSF_S6_NS0_8equal_toImEEEE10hipError_tPvRmT2_T3_mT4_T5_T6_T7_T8_P12ihipStream_tbENKUlT_T0_E_clISt17integral_constantIbLb1EESY_IbLb0EEEEDaSU_SV_EUlSU_E_NS1_11comp_targetILNS1_3genE10ELNS1_11target_archE1200ELNS1_3gpuE4ELNS1_3repE0EEENS1_30default_config_static_selectorELNS0_4arch9wavefront6targetE0EEEvT1_
                                        ; -- End function
	.set _ZN7rocprim17ROCPRIM_400000_NS6detail17trampoline_kernelINS0_14default_configENS1_33run_length_encode_config_selectorImjNS0_4plusIjEEEEZZNS1_33reduce_by_key_impl_wrapped_configILNS1_25lookback_scan_determinismE0ES3_S7_PKmNS0_17constant_iteratorIjlEEPmPlSF_S6_NS0_8equal_toImEEEE10hipError_tPvRmT2_T3_mT4_T5_T6_T7_T8_P12ihipStream_tbENKUlT_T0_E_clISt17integral_constantIbLb1EESY_IbLb0EEEEDaSU_SV_EUlSU_E_NS1_11comp_targetILNS1_3genE10ELNS1_11target_archE1200ELNS1_3gpuE4ELNS1_3repE0EEENS1_30default_config_static_selectorELNS0_4arch9wavefront6targetE0EEEvT1_.num_vgpr, 0
	.set _ZN7rocprim17ROCPRIM_400000_NS6detail17trampoline_kernelINS0_14default_configENS1_33run_length_encode_config_selectorImjNS0_4plusIjEEEEZZNS1_33reduce_by_key_impl_wrapped_configILNS1_25lookback_scan_determinismE0ES3_S7_PKmNS0_17constant_iteratorIjlEEPmPlSF_S6_NS0_8equal_toImEEEE10hipError_tPvRmT2_T3_mT4_T5_T6_T7_T8_P12ihipStream_tbENKUlT_T0_E_clISt17integral_constantIbLb1EESY_IbLb0EEEEDaSU_SV_EUlSU_E_NS1_11comp_targetILNS1_3genE10ELNS1_11target_archE1200ELNS1_3gpuE4ELNS1_3repE0EEENS1_30default_config_static_selectorELNS0_4arch9wavefront6targetE0EEEvT1_.num_agpr, 0
	.set _ZN7rocprim17ROCPRIM_400000_NS6detail17trampoline_kernelINS0_14default_configENS1_33run_length_encode_config_selectorImjNS0_4plusIjEEEEZZNS1_33reduce_by_key_impl_wrapped_configILNS1_25lookback_scan_determinismE0ES3_S7_PKmNS0_17constant_iteratorIjlEEPmPlSF_S6_NS0_8equal_toImEEEE10hipError_tPvRmT2_T3_mT4_T5_T6_T7_T8_P12ihipStream_tbENKUlT_T0_E_clISt17integral_constantIbLb1EESY_IbLb0EEEEDaSU_SV_EUlSU_E_NS1_11comp_targetILNS1_3genE10ELNS1_11target_archE1200ELNS1_3gpuE4ELNS1_3repE0EEENS1_30default_config_static_selectorELNS0_4arch9wavefront6targetE0EEEvT1_.numbered_sgpr, 0
	.set _ZN7rocprim17ROCPRIM_400000_NS6detail17trampoline_kernelINS0_14default_configENS1_33run_length_encode_config_selectorImjNS0_4plusIjEEEEZZNS1_33reduce_by_key_impl_wrapped_configILNS1_25lookback_scan_determinismE0ES3_S7_PKmNS0_17constant_iteratorIjlEEPmPlSF_S6_NS0_8equal_toImEEEE10hipError_tPvRmT2_T3_mT4_T5_T6_T7_T8_P12ihipStream_tbENKUlT_T0_E_clISt17integral_constantIbLb1EESY_IbLb0EEEEDaSU_SV_EUlSU_E_NS1_11comp_targetILNS1_3genE10ELNS1_11target_archE1200ELNS1_3gpuE4ELNS1_3repE0EEENS1_30default_config_static_selectorELNS0_4arch9wavefront6targetE0EEEvT1_.num_named_barrier, 0
	.set _ZN7rocprim17ROCPRIM_400000_NS6detail17trampoline_kernelINS0_14default_configENS1_33run_length_encode_config_selectorImjNS0_4plusIjEEEEZZNS1_33reduce_by_key_impl_wrapped_configILNS1_25lookback_scan_determinismE0ES3_S7_PKmNS0_17constant_iteratorIjlEEPmPlSF_S6_NS0_8equal_toImEEEE10hipError_tPvRmT2_T3_mT4_T5_T6_T7_T8_P12ihipStream_tbENKUlT_T0_E_clISt17integral_constantIbLb1EESY_IbLb0EEEEDaSU_SV_EUlSU_E_NS1_11comp_targetILNS1_3genE10ELNS1_11target_archE1200ELNS1_3gpuE4ELNS1_3repE0EEENS1_30default_config_static_selectorELNS0_4arch9wavefront6targetE0EEEvT1_.private_seg_size, 0
	.set _ZN7rocprim17ROCPRIM_400000_NS6detail17trampoline_kernelINS0_14default_configENS1_33run_length_encode_config_selectorImjNS0_4plusIjEEEEZZNS1_33reduce_by_key_impl_wrapped_configILNS1_25lookback_scan_determinismE0ES3_S7_PKmNS0_17constant_iteratorIjlEEPmPlSF_S6_NS0_8equal_toImEEEE10hipError_tPvRmT2_T3_mT4_T5_T6_T7_T8_P12ihipStream_tbENKUlT_T0_E_clISt17integral_constantIbLb1EESY_IbLb0EEEEDaSU_SV_EUlSU_E_NS1_11comp_targetILNS1_3genE10ELNS1_11target_archE1200ELNS1_3gpuE4ELNS1_3repE0EEENS1_30default_config_static_selectorELNS0_4arch9wavefront6targetE0EEEvT1_.uses_vcc, 0
	.set _ZN7rocprim17ROCPRIM_400000_NS6detail17trampoline_kernelINS0_14default_configENS1_33run_length_encode_config_selectorImjNS0_4plusIjEEEEZZNS1_33reduce_by_key_impl_wrapped_configILNS1_25lookback_scan_determinismE0ES3_S7_PKmNS0_17constant_iteratorIjlEEPmPlSF_S6_NS0_8equal_toImEEEE10hipError_tPvRmT2_T3_mT4_T5_T6_T7_T8_P12ihipStream_tbENKUlT_T0_E_clISt17integral_constantIbLb1EESY_IbLb0EEEEDaSU_SV_EUlSU_E_NS1_11comp_targetILNS1_3genE10ELNS1_11target_archE1200ELNS1_3gpuE4ELNS1_3repE0EEENS1_30default_config_static_selectorELNS0_4arch9wavefront6targetE0EEEvT1_.uses_flat_scratch, 0
	.set _ZN7rocprim17ROCPRIM_400000_NS6detail17trampoline_kernelINS0_14default_configENS1_33run_length_encode_config_selectorImjNS0_4plusIjEEEEZZNS1_33reduce_by_key_impl_wrapped_configILNS1_25lookback_scan_determinismE0ES3_S7_PKmNS0_17constant_iteratorIjlEEPmPlSF_S6_NS0_8equal_toImEEEE10hipError_tPvRmT2_T3_mT4_T5_T6_T7_T8_P12ihipStream_tbENKUlT_T0_E_clISt17integral_constantIbLb1EESY_IbLb0EEEEDaSU_SV_EUlSU_E_NS1_11comp_targetILNS1_3genE10ELNS1_11target_archE1200ELNS1_3gpuE4ELNS1_3repE0EEENS1_30default_config_static_selectorELNS0_4arch9wavefront6targetE0EEEvT1_.has_dyn_sized_stack, 0
	.set _ZN7rocprim17ROCPRIM_400000_NS6detail17trampoline_kernelINS0_14default_configENS1_33run_length_encode_config_selectorImjNS0_4plusIjEEEEZZNS1_33reduce_by_key_impl_wrapped_configILNS1_25lookback_scan_determinismE0ES3_S7_PKmNS0_17constant_iteratorIjlEEPmPlSF_S6_NS0_8equal_toImEEEE10hipError_tPvRmT2_T3_mT4_T5_T6_T7_T8_P12ihipStream_tbENKUlT_T0_E_clISt17integral_constantIbLb1EESY_IbLb0EEEEDaSU_SV_EUlSU_E_NS1_11comp_targetILNS1_3genE10ELNS1_11target_archE1200ELNS1_3gpuE4ELNS1_3repE0EEENS1_30default_config_static_selectorELNS0_4arch9wavefront6targetE0EEEvT1_.has_recursion, 0
	.set _ZN7rocprim17ROCPRIM_400000_NS6detail17trampoline_kernelINS0_14default_configENS1_33run_length_encode_config_selectorImjNS0_4plusIjEEEEZZNS1_33reduce_by_key_impl_wrapped_configILNS1_25lookback_scan_determinismE0ES3_S7_PKmNS0_17constant_iteratorIjlEEPmPlSF_S6_NS0_8equal_toImEEEE10hipError_tPvRmT2_T3_mT4_T5_T6_T7_T8_P12ihipStream_tbENKUlT_T0_E_clISt17integral_constantIbLb1EESY_IbLb0EEEEDaSU_SV_EUlSU_E_NS1_11comp_targetILNS1_3genE10ELNS1_11target_archE1200ELNS1_3gpuE4ELNS1_3repE0EEENS1_30default_config_static_selectorELNS0_4arch9wavefront6targetE0EEEvT1_.has_indirect_call, 0
	.section	.AMDGPU.csdata,"",@progbits
; Kernel info:
; codeLenInByte = 0
; TotalNumSgprs: 0
; NumVgprs: 0
; ScratchSize: 0
; MemoryBound: 0
; FloatMode: 240
; IeeeMode: 1
; LDSByteSize: 0 bytes/workgroup (compile time only)
; SGPRBlocks: 0
; VGPRBlocks: 0
; NumSGPRsForWavesPerEU: 1
; NumVGPRsForWavesPerEU: 1
; NamedBarCnt: 0
; Occupancy: 16
; WaveLimiterHint : 0
; COMPUTE_PGM_RSRC2:SCRATCH_EN: 0
; COMPUTE_PGM_RSRC2:USER_SGPR: 2
; COMPUTE_PGM_RSRC2:TRAP_HANDLER: 0
; COMPUTE_PGM_RSRC2:TGID_X_EN: 1
; COMPUTE_PGM_RSRC2:TGID_Y_EN: 0
; COMPUTE_PGM_RSRC2:TGID_Z_EN: 0
; COMPUTE_PGM_RSRC2:TIDIG_COMP_CNT: 0
	.section	.text._ZN7rocprim17ROCPRIM_400000_NS6detail17trampoline_kernelINS0_14default_configENS1_33run_length_encode_config_selectorImjNS0_4plusIjEEEEZZNS1_33reduce_by_key_impl_wrapped_configILNS1_25lookback_scan_determinismE0ES3_S7_PKmNS0_17constant_iteratorIjlEEPmPlSF_S6_NS0_8equal_toImEEEE10hipError_tPvRmT2_T3_mT4_T5_T6_T7_T8_P12ihipStream_tbENKUlT_T0_E_clISt17integral_constantIbLb1EESY_IbLb0EEEEDaSU_SV_EUlSU_E_NS1_11comp_targetILNS1_3genE9ELNS1_11target_archE1100ELNS1_3gpuE3ELNS1_3repE0EEENS1_30default_config_static_selectorELNS0_4arch9wavefront6targetE0EEEvT1_,"axG",@progbits,_ZN7rocprim17ROCPRIM_400000_NS6detail17trampoline_kernelINS0_14default_configENS1_33run_length_encode_config_selectorImjNS0_4plusIjEEEEZZNS1_33reduce_by_key_impl_wrapped_configILNS1_25lookback_scan_determinismE0ES3_S7_PKmNS0_17constant_iteratorIjlEEPmPlSF_S6_NS0_8equal_toImEEEE10hipError_tPvRmT2_T3_mT4_T5_T6_T7_T8_P12ihipStream_tbENKUlT_T0_E_clISt17integral_constantIbLb1EESY_IbLb0EEEEDaSU_SV_EUlSU_E_NS1_11comp_targetILNS1_3genE9ELNS1_11target_archE1100ELNS1_3gpuE3ELNS1_3repE0EEENS1_30default_config_static_selectorELNS0_4arch9wavefront6targetE0EEEvT1_,comdat
	.protected	_ZN7rocprim17ROCPRIM_400000_NS6detail17trampoline_kernelINS0_14default_configENS1_33run_length_encode_config_selectorImjNS0_4plusIjEEEEZZNS1_33reduce_by_key_impl_wrapped_configILNS1_25lookback_scan_determinismE0ES3_S7_PKmNS0_17constant_iteratorIjlEEPmPlSF_S6_NS0_8equal_toImEEEE10hipError_tPvRmT2_T3_mT4_T5_T6_T7_T8_P12ihipStream_tbENKUlT_T0_E_clISt17integral_constantIbLb1EESY_IbLb0EEEEDaSU_SV_EUlSU_E_NS1_11comp_targetILNS1_3genE9ELNS1_11target_archE1100ELNS1_3gpuE3ELNS1_3repE0EEENS1_30default_config_static_selectorELNS0_4arch9wavefront6targetE0EEEvT1_ ; -- Begin function _ZN7rocprim17ROCPRIM_400000_NS6detail17trampoline_kernelINS0_14default_configENS1_33run_length_encode_config_selectorImjNS0_4plusIjEEEEZZNS1_33reduce_by_key_impl_wrapped_configILNS1_25lookback_scan_determinismE0ES3_S7_PKmNS0_17constant_iteratorIjlEEPmPlSF_S6_NS0_8equal_toImEEEE10hipError_tPvRmT2_T3_mT4_T5_T6_T7_T8_P12ihipStream_tbENKUlT_T0_E_clISt17integral_constantIbLb1EESY_IbLb0EEEEDaSU_SV_EUlSU_E_NS1_11comp_targetILNS1_3genE9ELNS1_11target_archE1100ELNS1_3gpuE3ELNS1_3repE0EEENS1_30default_config_static_selectorELNS0_4arch9wavefront6targetE0EEEvT1_
	.globl	_ZN7rocprim17ROCPRIM_400000_NS6detail17trampoline_kernelINS0_14default_configENS1_33run_length_encode_config_selectorImjNS0_4plusIjEEEEZZNS1_33reduce_by_key_impl_wrapped_configILNS1_25lookback_scan_determinismE0ES3_S7_PKmNS0_17constant_iteratorIjlEEPmPlSF_S6_NS0_8equal_toImEEEE10hipError_tPvRmT2_T3_mT4_T5_T6_T7_T8_P12ihipStream_tbENKUlT_T0_E_clISt17integral_constantIbLb1EESY_IbLb0EEEEDaSU_SV_EUlSU_E_NS1_11comp_targetILNS1_3genE9ELNS1_11target_archE1100ELNS1_3gpuE3ELNS1_3repE0EEENS1_30default_config_static_selectorELNS0_4arch9wavefront6targetE0EEEvT1_
	.p2align	8
	.type	_ZN7rocprim17ROCPRIM_400000_NS6detail17trampoline_kernelINS0_14default_configENS1_33run_length_encode_config_selectorImjNS0_4plusIjEEEEZZNS1_33reduce_by_key_impl_wrapped_configILNS1_25lookback_scan_determinismE0ES3_S7_PKmNS0_17constant_iteratorIjlEEPmPlSF_S6_NS0_8equal_toImEEEE10hipError_tPvRmT2_T3_mT4_T5_T6_T7_T8_P12ihipStream_tbENKUlT_T0_E_clISt17integral_constantIbLb1EESY_IbLb0EEEEDaSU_SV_EUlSU_E_NS1_11comp_targetILNS1_3genE9ELNS1_11target_archE1100ELNS1_3gpuE3ELNS1_3repE0EEENS1_30default_config_static_selectorELNS0_4arch9wavefront6targetE0EEEvT1_,@function
_ZN7rocprim17ROCPRIM_400000_NS6detail17trampoline_kernelINS0_14default_configENS1_33run_length_encode_config_selectorImjNS0_4plusIjEEEEZZNS1_33reduce_by_key_impl_wrapped_configILNS1_25lookback_scan_determinismE0ES3_S7_PKmNS0_17constant_iteratorIjlEEPmPlSF_S6_NS0_8equal_toImEEEE10hipError_tPvRmT2_T3_mT4_T5_T6_T7_T8_P12ihipStream_tbENKUlT_T0_E_clISt17integral_constantIbLb1EESY_IbLb0EEEEDaSU_SV_EUlSU_E_NS1_11comp_targetILNS1_3genE9ELNS1_11target_archE1100ELNS1_3gpuE3ELNS1_3repE0EEENS1_30default_config_static_selectorELNS0_4arch9wavefront6targetE0EEEvT1_: ; @_ZN7rocprim17ROCPRIM_400000_NS6detail17trampoline_kernelINS0_14default_configENS1_33run_length_encode_config_selectorImjNS0_4plusIjEEEEZZNS1_33reduce_by_key_impl_wrapped_configILNS1_25lookback_scan_determinismE0ES3_S7_PKmNS0_17constant_iteratorIjlEEPmPlSF_S6_NS0_8equal_toImEEEE10hipError_tPvRmT2_T3_mT4_T5_T6_T7_T8_P12ihipStream_tbENKUlT_T0_E_clISt17integral_constantIbLb1EESY_IbLb0EEEEDaSU_SV_EUlSU_E_NS1_11comp_targetILNS1_3genE9ELNS1_11target_archE1100ELNS1_3gpuE3ELNS1_3repE0EEENS1_30default_config_static_selectorELNS0_4arch9wavefront6targetE0EEEvT1_
; %bb.0:
	.section	.rodata,"a",@progbits
	.p2align	6, 0x0
	.amdhsa_kernel _ZN7rocprim17ROCPRIM_400000_NS6detail17trampoline_kernelINS0_14default_configENS1_33run_length_encode_config_selectorImjNS0_4plusIjEEEEZZNS1_33reduce_by_key_impl_wrapped_configILNS1_25lookback_scan_determinismE0ES3_S7_PKmNS0_17constant_iteratorIjlEEPmPlSF_S6_NS0_8equal_toImEEEE10hipError_tPvRmT2_T3_mT4_T5_T6_T7_T8_P12ihipStream_tbENKUlT_T0_E_clISt17integral_constantIbLb1EESY_IbLb0EEEEDaSU_SV_EUlSU_E_NS1_11comp_targetILNS1_3genE9ELNS1_11target_archE1100ELNS1_3gpuE3ELNS1_3repE0EEENS1_30default_config_static_selectorELNS0_4arch9wavefront6targetE0EEEvT1_
		.amdhsa_group_segment_fixed_size 0
		.amdhsa_private_segment_fixed_size 0
		.amdhsa_kernarg_size 128
		.amdhsa_user_sgpr_count 2
		.amdhsa_user_sgpr_dispatch_ptr 0
		.amdhsa_user_sgpr_queue_ptr 0
		.amdhsa_user_sgpr_kernarg_segment_ptr 1
		.amdhsa_user_sgpr_dispatch_id 0
		.amdhsa_user_sgpr_kernarg_preload_length 0
		.amdhsa_user_sgpr_kernarg_preload_offset 0
		.amdhsa_user_sgpr_private_segment_size 0
		.amdhsa_wavefront_size32 1
		.amdhsa_uses_dynamic_stack 0
		.amdhsa_enable_private_segment 0
		.amdhsa_system_sgpr_workgroup_id_x 1
		.amdhsa_system_sgpr_workgroup_id_y 0
		.amdhsa_system_sgpr_workgroup_id_z 0
		.amdhsa_system_sgpr_workgroup_info 0
		.amdhsa_system_vgpr_workitem_id 0
		.amdhsa_next_free_vgpr 1
		.amdhsa_next_free_sgpr 1
		.amdhsa_named_barrier_count 0
		.amdhsa_reserve_vcc 0
		.amdhsa_float_round_mode_32 0
		.amdhsa_float_round_mode_16_64 0
		.amdhsa_float_denorm_mode_32 3
		.amdhsa_float_denorm_mode_16_64 3
		.amdhsa_fp16_overflow 0
		.amdhsa_memory_ordered 1
		.amdhsa_forward_progress 1
		.amdhsa_inst_pref_size 0
		.amdhsa_round_robin_scheduling 0
		.amdhsa_exception_fp_ieee_invalid_op 0
		.amdhsa_exception_fp_denorm_src 0
		.amdhsa_exception_fp_ieee_div_zero 0
		.amdhsa_exception_fp_ieee_overflow 0
		.amdhsa_exception_fp_ieee_underflow 0
		.amdhsa_exception_fp_ieee_inexact 0
		.amdhsa_exception_int_div_zero 0
	.end_amdhsa_kernel
	.section	.text._ZN7rocprim17ROCPRIM_400000_NS6detail17trampoline_kernelINS0_14default_configENS1_33run_length_encode_config_selectorImjNS0_4plusIjEEEEZZNS1_33reduce_by_key_impl_wrapped_configILNS1_25lookback_scan_determinismE0ES3_S7_PKmNS0_17constant_iteratorIjlEEPmPlSF_S6_NS0_8equal_toImEEEE10hipError_tPvRmT2_T3_mT4_T5_T6_T7_T8_P12ihipStream_tbENKUlT_T0_E_clISt17integral_constantIbLb1EESY_IbLb0EEEEDaSU_SV_EUlSU_E_NS1_11comp_targetILNS1_3genE9ELNS1_11target_archE1100ELNS1_3gpuE3ELNS1_3repE0EEENS1_30default_config_static_selectorELNS0_4arch9wavefront6targetE0EEEvT1_,"axG",@progbits,_ZN7rocprim17ROCPRIM_400000_NS6detail17trampoline_kernelINS0_14default_configENS1_33run_length_encode_config_selectorImjNS0_4plusIjEEEEZZNS1_33reduce_by_key_impl_wrapped_configILNS1_25lookback_scan_determinismE0ES3_S7_PKmNS0_17constant_iteratorIjlEEPmPlSF_S6_NS0_8equal_toImEEEE10hipError_tPvRmT2_T3_mT4_T5_T6_T7_T8_P12ihipStream_tbENKUlT_T0_E_clISt17integral_constantIbLb1EESY_IbLb0EEEEDaSU_SV_EUlSU_E_NS1_11comp_targetILNS1_3genE9ELNS1_11target_archE1100ELNS1_3gpuE3ELNS1_3repE0EEENS1_30default_config_static_selectorELNS0_4arch9wavefront6targetE0EEEvT1_,comdat
.Lfunc_end743:
	.size	_ZN7rocprim17ROCPRIM_400000_NS6detail17trampoline_kernelINS0_14default_configENS1_33run_length_encode_config_selectorImjNS0_4plusIjEEEEZZNS1_33reduce_by_key_impl_wrapped_configILNS1_25lookback_scan_determinismE0ES3_S7_PKmNS0_17constant_iteratorIjlEEPmPlSF_S6_NS0_8equal_toImEEEE10hipError_tPvRmT2_T3_mT4_T5_T6_T7_T8_P12ihipStream_tbENKUlT_T0_E_clISt17integral_constantIbLb1EESY_IbLb0EEEEDaSU_SV_EUlSU_E_NS1_11comp_targetILNS1_3genE9ELNS1_11target_archE1100ELNS1_3gpuE3ELNS1_3repE0EEENS1_30default_config_static_selectorELNS0_4arch9wavefront6targetE0EEEvT1_, .Lfunc_end743-_ZN7rocprim17ROCPRIM_400000_NS6detail17trampoline_kernelINS0_14default_configENS1_33run_length_encode_config_selectorImjNS0_4plusIjEEEEZZNS1_33reduce_by_key_impl_wrapped_configILNS1_25lookback_scan_determinismE0ES3_S7_PKmNS0_17constant_iteratorIjlEEPmPlSF_S6_NS0_8equal_toImEEEE10hipError_tPvRmT2_T3_mT4_T5_T6_T7_T8_P12ihipStream_tbENKUlT_T0_E_clISt17integral_constantIbLb1EESY_IbLb0EEEEDaSU_SV_EUlSU_E_NS1_11comp_targetILNS1_3genE9ELNS1_11target_archE1100ELNS1_3gpuE3ELNS1_3repE0EEENS1_30default_config_static_selectorELNS0_4arch9wavefront6targetE0EEEvT1_
                                        ; -- End function
	.set _ZN7rocprim17ROCPRIM_400000_NS6detail17trampoline_kernelINS0_14default_configENS1_33run_length_encode_config_selectorImjNS0_4plusIjEEEEZZNS1_33reduce_by_key_impl_wrapped_configILNS1_25lookback_scan_determinismE0ES3_S7_PKmNS0_17constant_iteratorIjlEEPmPlSF_S6_NS0_8equal_toImEEEE10hipError_tPvRmT2_T3_mT4_T5_T6_T7_T8_P12ihipStream_tbENKUlT_T0_E_clISt17integral_constantIbLb1EESY_IbLb0EEEEDaSU_SV_EUlSU_E_NS1_11comp_targetILNS1_3genE9ELNS1_11target_archE1100ELNS1_3gpuE3ELNS1_3repE0EEENS1_30default_config_static_selectorELNS0_4arch9wavefront6targetE0EEEvT1_.num_vgpr, 0
	.set _ZN7rocprim17ROCPRIM_400000_NS6detail17trampoline_kernelINS0_14default_configENS1_33run_length_encode_config_selectorImjNS0_4plusIjEEEEZZNS1_33reduce_by_key_impl_wrapped_configILNS1_25lookback_scan_determinismE0ES3_S7_PKmNS0_17constant_iteratorIjlEEPmPlSF_S6_NS0_8equal_toImEEEE10hipError_tPvRmT2_T3_mT4_T5_T6_T7_T8_P12ihipStream_tbENKUlT_T0_E_clISt17integral_constantIbLb1EESY_IbLb0EEEEDaSU_SV_EUlSU_E_NS1_11comp_targetILNS1_3genE9ELNS1_11target_archE1100ELNS1_3gpuE3ELNS1_3repE0EEENS1_30default_config_static_selectorELNS0_4arch9wavefront6targetE0EEEvT1_.num_agpr, 0
	.set _ZN7rocprim17ROCPRIM_400000_NS6detail17trampoline_kernelINS0_14default_configENS1_33run_length_encode_config_selectorImjNS0_4plusIjEEEEZZNS1_33reduce_by_key_impl_wrapped_configILNS1_25lookback_scan_determinismE0ES3_S7_PKmNS0_17constant_iteratorIjlEEPmPlSF_S6_NS0_8equal_toImEEEE10hipError_tPvRmT2_T3_mT4_T5_T6_T7_T8_P12ihipStream_tbENKUlT_T0_E_clISt17integral_constantIbLb1EESY_IbLb0EEEEDaSU_SV_EUlSU_E_NS1_11comp_targetILNS1_3genE9ELNS1_11target_archE1100ELNS1_3gpuE3ELNS1_3repE0EEENS1_30default_config_static_selectorELNS0_4arch9wavefront6targetE0EEEvT1_.numbered_sgpr, 0
	.set _ZN7rocprim17ROCPRIM_400000_NS6detail17trampoline_kernelINS0_14default_configENS1_33run_length_encode_config_selectorImjNS0_4plusIjEEEEZZNS1_33reduce_by_key_impl_wrapped_configILNS1_25lookback_scan_determinismE0ES3_S7_PKmNS0_17constant_iteratorIjlEEPmPlSF_S6_NS0_8equal_toImEEEE10hipError_tPvRmT2_T3_mT4_T5_T6_T7_T8_P12ihipStream_tbENKUlT_T0_E_clISt17integral_constantIbLb1EESY_IbLb0EEEEDaSU_SV_EUlSU_E_NS1_11comp_targetILNS1_3genE9ELNS1_11target_archE1100ELNS1_3gpuE3ELNS1_3repE0EEENS1_30default_config_static_selectorELNS0_4arch9wavefront6targetE0EEEvT1_.num_named_barrier, 0
	.set _ZN7rocprim17ROCPRIM_400000_NS6detail17trampoline_kernelINS0_14default_configENS1_33run_length_encode_config_selectorImjNS0_4plusIjEEEEZZNS1_33reduce_by_key_impl_wrapped_configILNS1_25lookback_scan_determinismE0ES3_S7_PKmNS0_17constant_iteratorIjlEEPmPlSF_S6_NS0_8equal_toImEEEE10hipError_tPvRmT2_T3_mT4_T5_T6_T7_T8_P12ihipStream_tbENKUlT_T0_E_clISt17integral_constantIbLb1EESY_IbLb0EEEEDaSU_SV_EUlSU_E_NS1_11comp_targetILNS1_3genE9ELNS1_11target_archE1100ELNS1_3gpuE3ELNS1_3repE0EEENS1_30default_config_static_selectorELNS0_4arch9wavefront6targetE0EEEvT1_.private_seg_size, 0
	.set _ZN7rocprim17ROCPRIM_400000_NS6detail17trampoline_kernelINS0_14default_configENS1_33run_length_encode_config_selectorImjNS0_4plusIjEEEEZZNS1_33reduce_by_key_impl_wrapped_configILNS1_25lookback_scan_determinismE0ES3_S7_PKmNS0_17constant_iteratorIjlEEPmPlSF_S6_NS0_8equal_toImEEEE10hipError_tPvRmT2_T3_mT4_T5_T6_T7_T8_P12ihipStream_tbENKUlT_T0_E_clISt17integral_constantIbLb1EESY_IbLb0EEEEDaSU_SV_EUlSU_E_NS1_11comp_targetILNS1_3genE9ELNS1_11target_archE1100ELNS1_3gpuE3ELNS1_3repE0EEENS1_30default_config_static_selectorELNS0_4arch9wavefront6targetE0EEEvT1_.uses_vcc, 0
	.set _ZN7rocprim17ROCPRIM_400000_NS6detail17trampoline_kernelINS0_14default_configENS1_33run_length_encode_config_selectorImjNS0_4plusIjEEEEZZNS1_33reduce_by_key_impl_wrapped_configILNS1_25lookback_scan_determinismE0ES3_S7_PKmNS0_17constant_iteratorIjlEEPmPlSF_S6_NS0_8equal_toImEEEE10hipError_tPvRmT2_T3_mT4_T5_T6_T7_T8_P12ihipStream_tbENKUlT_T0_E_clISt17integral_constantIbLb1EESY_IbLb0EEEEDaSU_SV_EUlSU_E_NS1_11comp_targetILNS1_3genE9ELNS1_11target_archE1100ELNS1_3gpuE3ELNS1_3repE0EEENS1_30default_config_static_selectorELNS0_4arch9wavefront6targetE0EEEvT1_.uses_flat_scratch, 0
	.set _ZN7rocprim17ROCPRIM_400000_NS6detail17trampoline_kernelINS0_14default_configENS1_33run_length_encode_config_selectorImjNS0_4plusIjEEEEZZNS1_33reduce_by_key_impl_wrapped_configILNS1_25lookback_scan_determinismE0ES3_S7_PKmNS0_17constant_iteratorIjlEEPmPlSF_S6_NS0_8equal_toImEEEE10hipError_tPvRmT2_T3_mT4_T5_T6_T7_T8_P12ihipStream_tbENKUlT_T0_E_clISt17integral_constantIbLb1EESY_IbLb0EEEEDaSU_SV_EUlSU_E_NS1_11comp_targetILNS1_3genE9ELNS1_11target_archE1100ELNS1_3gpuE3ELNS1_3repE0EEENS1_30default_config_static_selectorELNS0_4arch9wavefront6targetE0EEEvT1_.has_dyn_sized_stack, 0
	.set _ZN7rocprim17ROCPRIM_400000_NS6detail17trampoline_kernelINS0_14default_configENS1_33run_length_encode_config_selectorImjNS0_4plusIjEEEEZZNS1_33reduce_by_key_impl_wrapped_configILNS1_25lookback_scan_determinismE0ES3_S7_PKmNS0_17constant_iteratorIjlEEPmPlSF_S6_NS0_8equal_toImEEEE10hipError_tPvRmT2_T3_mT4_T5_T6_T7_T8_P12ihipStream_tbENKUlT_T0_E_clISt17integral_constantIbLb1EESY_IbLb0EEEEDaSU_SV_EUlSU_E_NS1_11comp_targetILNS1_3genE9ELNS1_11target_archE1100ELNS1_3gpuE3ELNS1_3repE0EEENS1_30default_config_static_selectorELNS0_4arch9wavefront6targetE0EEEvT1_.has_recursion, 0
	.set _ZN7rocprim17ROCPRIM_400000_NS6detail17trampoline_kernelINS0_14default_configENS1_33run_length_encode_config_selectorImjNS0_4plusIjEEEEZZNS1_33reduce_by_key_impl_wrapped_configILNS1_25lookback_scan_determinismE0ES3_S7_PKmNS0_17constant_iteratorIjlEEPmPlSF_S6_NS0_8equal_toImEEEE10hipError_tPvRmT2_T3_mT4_T5_T6_T7_T8_P12ihipStream_tbENKUlT_T0_E_clISt17integral_constantIbLb1EESY_IbLb0EEEEDaSU_SV_EUlSU_E_NS1_11comp_targetILNS1_3genE9ELNS1_11target_archE1100ELNS1_3gpuE3ELNS1_3repE0EEENS1_30default_config_static_selectorELNS0_4arch9wavefront6targetE0EEEvT1_.has_indirect_call, 0
	.section	.AMDGPU.csdata,"",@progbits
; Kernel info:
; codeLenInByte = 0
; TotalNumSgprs: 0
; NumVgprs: 0
; ScratchSize: 0
; MemoryBound: 0
; FloatMode: 240
; IeeeMode: 1
; LDSByteSize: 0 bytes/workgroup (compile time only)
; SGPRBlocks: 0
; VGPRBlocks: 0
; NumSGPRsForWavesPerEU: 1
; NumVGPRsForWavesPerEU: 1
; NamedBarCnt: 0
; Occupancy: 16
; WaveLimiterHint : 0
; COMPUTE_PGM_RSRC2:SCRATCH_EN: 0
; COMPUTE_PGM_RSRC2:USER_SGPR: 2
; COMPUTE_PGM_RSRC2:TRAP_HANDLER: 0
; COMPUTE_PGM_RSRC2:TGID_X_EN: 1
; COMPUTE_PGM_RSRC2:TGID_Y_EN: 0
; COMPUTE_PGM_RSRC2:TGID_Z_EN: 0
; COMPUTE_PGM_RSRC2:TIDIG_COMP_CNT: 0
	.section	.text._ZN7rocprim17ROCPRIM_400000_NS6detail17trampoline_kernelINS0_14default_configENS1_33run_length_encode_config_selectorImjNS0_4plusIjEEEEZZNS1_33reduce_by_key_impl_wrapped_configILNS1_25lookback_scan_determinismE0ES3_S7_PKmNS0_17constant_iteratorIjlEEPmPlSF_S6_NS0_8equal_toImEEEE10hipError_tPvRmT2_T3_mT4_T5_T6_T7_T8_P12ihipStream_tbENKUlT_T0_E_clISt17integral_constantIbLb1EESY_IbLb0EEEEDaSU_SV_EUlSU_E_NS1_11comp_targetILNS1_3genE8ELNS1_11target_archE1030ELNS1_3gpuE2ELNS1_3repE0EEENS1_30default_config_static_selectorELNS0_4arch9wavefront6targetE0EEEvT1_,"axG",@progbits,_ZN7rocprim17ROCPRIM_400000_NS6detail17trampoline_kernelINS0_14default_configENS1_33run_length_encode_config_selectorImjNS0_4plusIjEEEEZZNS1_33reduce_by_key_impl_wrapped_configILNS1_25lookback_scan_determinismE0ES3_S7_PKmNS0_17constant_iteratorIjlEEPmPlSF_S6_NS0_8equal_toImEEEE10hipError_tPvRmT2_T3_mT4_T5_T6_T7_T8_P12ihipStream_tbENKUlT_T0_E_clISt17integral_constantIbLb1EESY_IbLb0EEEEDaSU_SV_EUlSU_E_NS1_11comp_targetILNS1_3genE8ELNS1_11target_archE1030ELNS1_3gpuE2ELNS1_3repE0EEENS1_30default_config_static_selectorELNS0_4arch9wavefront6targetE0EEEvT1_,comdat
	.protected	_ZN7rocprim17ROCPRIM_400000_NS6detail17trampoline_kernelINS0_14default_configENS1_33run_length_encode_config_selectorImjNS0_4plusIjEEEEZZNS1_33reduce_by_key_impl_wrapped_configILNS1_25lookback_scan_determinismE0ES3_S7_PKmNS0_17constant_iteratorIjlEEPmPlSF_S6_NS0_8equal_toImEEEE10hipError_tPvRmT2_T3_mT4_T5_T6_T7_T8_P12ihipStream_tbENKUlT_T0_E_clISt17integral_constantIbLb1EESY_IbLb0EEEEDaSU_SV_EUlSU_E_NS1_11comp_targetILNS1_3genE8ELNS1_11target_archE1030ELNS1_3gpuE2ELNS1_3repE0EEENS1_30default_config_static_selectorELNS0_4arch9wavefront6targetE0EEEvT1_ ; -- Begin function _ZN7rocprim17ROCPRIM_400000_NS6detail17trampoline_kernelINS0_14default_configENS1_33run_length_encode_config_selectorImjNS0_4plusIjEEEEZZNS1_33reduce_by_key_impl_wrapped_configILNS1_25lookback_scan_determinismE0ES3_S7_PKmNS0_17constant_iteratorIjlEEPmPlSF_S6_NS0_8equal_toImEEEE10hipError_tPvRmT2_T3_mT4_T5_T6_T7_T8_P12ihipStream_tbENKUlT_T0_E_clISt17integral_constantIbLb1EESY_IbLb0EEEEDaSU_SV_EUlSU_E_NS1_11comp_targetILNS1_3genE8ELNS1_11target_archE1030ELNS1_3gpuE2ELNS1_3repE0EEENS1_30default_config_static_selectorELNS0_4arch9wavefront6targetE0EEEvT1_
	.globl	_ZN7rocprim17ROCPRIM_400000_NS6detail17trampoline_kernelINS0_14default_configENS1_33run_length_encode_config_selectorImjNS0_4plusIjEEEEZZNS1_33reduce_by_key_impl_wrapped_configILNS1_25lookback_scan_determinismE0ES3_S7_PKmNS0_17constant_iteratorIjlEEPmPlSF_S6_NS0_8equal_toImEEEE10hipError_tPvRmT2_T3_mT4_T5_T6_T7_T8_P12ihipStream_tbENKUlT_T0_E_clISt17integral_constantIbLb1EESY_IbLb0EEEEDaSU_SV_EUlSU_E_NS1_11comp_targetILNS1_3genE8ELNS1_11target_archE1030ELNS1_3gpuE2ELNS1_3repE0EEENS1_30default_config_static_selectorELNS0_4arch9wavefront6targetE0EEEvT1_
	.p2align	8
	.type	_ZN7rocprim17ROCPRIM_400000_NS6detail17trampoline_kernelINS0_14default_configENS1_33run_length_encode_config_selectorImjNS0_4plusIjEEEEZZNS1_33reduce_by_key_impl_wrapped_configILNS1_25lookback_scan_determinismE0ES3_S7_PKmNS0_17constant_iteratorIjlEEPmPlSF_S6_NS0_8equal_toImEEEE10hipError_tPvRmT2_T3_mT4_T5_T6_T7_T8_P12ihipStream_tbENKUlT_T0_E_clISt17integral_constantIbLb1EESY_IbLb0EEEEDaSU_SV_EUlSU_E_NS1_11comp_targetILNS1_3genE8ELNS1_11target_archE1030ELNS1_3gpuE2ELNS1_3repE0EEENS1_30default_config_static_selectorELNS0_4arch9wavefront6targetE0EEEvT1_,@function
_ZN7rocprim17ROCPRIM_400000_NS6detail17trampoline_kernelINS0_14default_configENS1_33run_length_encode_config_selectorImjNS0_4plusIjEEEEZZNS1_33reduce_by_key_impl_wrapped_configILNS1_25lookback_scan_determinismE0ES3_S7_PKmNS0_17constant_iteratorIjlEEPmPlSF_S6_NS0_8equal_toImEEEE10hipError_tPvRmT2_T3_mT4_T5_T6_T7_T8_P12ihipStream_tbENKUlT_T0_E_clISt17integral_constantIbLb1EESY_IbLb0EEEEDaSU_SV_EUlSU_E_NS1_11comp_targetILNS1_3genE8ELNS1_11target_archE1030ELNS1_3gpuE2ELNS1_3repE0EEENS1_30default_config_static_selectorELNS0_4arch9wavefront6targetE0EEEvT1_: ; @_ZN7rocprim17ROCPRIM_400000_NS6detail17trampoline_kernelINS0_14default_configENS1_33run_length_encode_config_selectorImjNS0_4plusIjEEEEZZNS1_33reduce_by_key_impl_wrapped_configILNS1_25lookback_scan_determinismE0ES3_S7_PKmNS0_17constant_iteratorIjlEEPmPlSF_S6_NS0_8equal_toImEEEE10hipError_tPvRmT2_T3_mT4_T5_T6_T7_T8_P12ihipStream_tbENKUlT_T0_E_clISt17integral_constantIbLb1EESY_IbLb0EEEEDaSU_SV_EUlSU_E_NS1_11comp_targetILNS1_3genE8ELNS1_11target_archE1030ELNS1_3gpuE2ELNS1_3repE0EEENS1_30default_config_static_selectorELNS0_4arch9wavefront6targetE0EEEvT1_
; %bb.0:
	.section	.rodata,"a",@progbits
	.p2align	6, 0x0
	.amdhsa_kernel _ZN7rocprim17ROCPRIM_400000_NS6detail17trampoline_kernelINS0_14default_configENS1_33run_length_encode_config_selectorImjNS0_4plusIjEEEEZZNS1_33reduce_by_key_impl_wrapped_configILNS1_25lookback_scan_determinismE0ES3_S7_PKmNS0_17constant_iteratorIjlEEPmPlSF_S6_NS0_8equal_toImEEEE10hipError_tPvRmT2_T3_mT4_T5_T6_T7_T8_P12ihipStream_tbENKUlT_T0_E_clISt17integral_constantIbLb1EESY_IbLb0EEEEDaSU_SV_EUlSU_E_NS1_11comp_targetILNS1_3genE8ELNS1_11target_archE1030ELNS1_3gpuE2ELNS1_3repE0EEENS1_30default_config_static_selectorELNS0_4arch9wavefront6targetE0EEEvT1_
		.amdhsa_group_segment_fixed_size 0
		.amdhsa_private_segment_fixed_size 0
		.amdhsa_kernarg_size 128
		.amdhsa_user_sgpr_count 2
		.amdhsa_user_sgpr_dispatch_ptr 0
		.amdhsa_user_sgpr_queue_ptr 0
		.amdhsa_user_sgpr_kernarg_segment_ptr 1
		.amdhsa_user_sgpr_dispatch_id 0
		.amdhsa_user_sgpr_kernarg_preload_length 0
		.amdhsa_user_sgpr_kernarg_preload_offset 0
		.amdhsa_user_sgpr_private_segment_size 0
		.amdhsa_wavefront_size32 1
		.amdhsa_uses_dynamic_stack 0
		.amdhsa_enable_private_segment 0
		.amdhsa_system_sgpr_workgroup_id_x 1
		.amdhsa_system_sgpr_workgroup_id_y 0
		.amdhsa_system_sgpr_workgroup_id_z 0
		.amdhsa_system_sgpr_workgroup_info 0
		.amdhsa_system_vgpr_workitem_id 0
		.amdhsa_next_free_vgpr 1
		.amdhsa_next_free_sgpr 1
		.amdhsa_named_barrier_count 0
		.amdhsa_reserve_vcc 0
		.amdhsa_float_round_mode_32 0
		.amdhsa_float_round_mode_16_64 0
		.amdhsa_float_denorm_mode_32 3
		.amdhsa_float_denorm_mode_16_64 3
		.amdhsa_fp16_overflow 0
		.amdhsa_memory_ordered 1
		.amdhsa_forward_progress 1
		.amdhsa_inst_pref_size 0
		.amdhsa_round_robin_scheduling 0
		.amdhsa_exception_fp_ieee_invalid_op 0
		.amdhsa_exception_fp_denorm_src 0
		.amdhsa_exception_fp_ieee_div_zero 0
		.amdhsa_exception_fp_ieee_overflow 0
		.amdhsa_exception_fp_ieee_underflow 0
		.amdhsa_exception_fp_ieee_inexact 0
		.amdhsa_exception_int_div_zero 0
	.end_amdhsa_kernel
	.section	.text._ZN7rocprim17ROCPRIM_400000_NS6detail17trampoline_kernelINS0_14default_configENS1_33run_length_encode_config_selectorImjNS0_4plusIjEEEEZZNS1_33reduce_by_key_impl_wrapped_configILNS1_25lookback_scan_determinismE0ES3_S7_PKmNS0_17constant_iteratorIjlEEPmPlSF_S6_NS0_8equal_toImEEEE10hipError_tPvRmT2_T3_mT4_T5_T6_T7_T8_P12ihipStream_tbENKUlT_T0_E_clISt17integral_constantIbLb1EESY_IbLb0EEEEDaSU_SV_EUlSU_E_NS1_11comp_targetILNS1_3genE8ELNS1_11target_archE1030ELNS1_3gpuE2ELNS1_3repE0EEENS1_30default_config_static_selectorELNS0_4arch9wavefront6targetE0EEEvT1_,"axG",@progbits,_ZN7rocprim17ROCPRIM_400000_NS6detail17trampoline_kernelINS0_14default_configENS1_33run_length_encode_config_selectorImjNS0_4plusIjEEEEZZNS1_33reduce_by_key_impl_wrapped_configILNS1_25lookback_scan_determinismE0ES3_S7_PKmNS0_17constant_iteratorIjlEEPmPlSF_S6_NS0_8equal_toImEEEE10hipError_tPvRmT2_T3_mT4_T5_T6_T7_T8_P12ihipStream_tbENKUlT_T0_E_clISt17integral_constantIbLb1EESY_IbLb0EEEEDaSU_SV_EUlSU_E_NS1_11comp_targetILNS1_3genE8ELNS1_11target_archE1030ELNS1_3gpuE2ELNS1_3repE0EEENS1_30default_config_static_selectorELNS0_4arch9wavefront6targetE0EEEvT1_,comdat
.Lfunc_end744:
	.size	_ZN7rocprim17ROCPRIM_400000_NS6detail17trampoline_kernelINS0_14default_configENS1_33run_length_encode_config_selectorImjNS0_4plusIjEEEEZZNS1_33reduce_by_key_impl_wrapped_configILNS1_25lookback_scan_determinismE0ES3_S7_PKmNS0_17constant_iteratorIjlEEPmPlSF_S6_NS0_8equal_toImEEEE10hipError_tPvRmT2_T3_mT4_T5_T6_T7_T8_P12ihipStream_tbENKUlT_T0_E_clISt17integral_constantIbLb1EESY_IbLb0EEEEDaSU_SV_EUlSU_E_NS1_11comp_targetILNS1_3genE8ELNS1_11target_archE1030ELNS1_3gpuE2ELNS1_3repE0EEENS1_30default_config_static_selectorELNS0_4arch9wavefront6targetE0EEEvT1_, .Lfunc_end744-_ZN7rocprim17ROCPRIM_400000_NS6detail17trampoline_kernelINS0_14default_configENS1_33run_length_encode_config_selectorImjNS0_4plusIjEEEEZZNS1_33reduce_by_key_impl_wrapped_configILNS1_25lookback_scan_determinismE0ES3_S7_PKmNS0_17constant_iteratorIjlEEPmPlSF_S6_NS0_8equal_toImEEEE10hipError_tPvRmT2_T3_mT4_T5_T6_T7_T8_P12ihipStream_tbENKUlT_T0_E_clISt17integral_constantIbLb1EESY_IbLb0EEEEDaSU_SV_EUlSU_E_NS1_11comp_targetILNS1_3genE8ELNS1_11target_archE1030ELNS1_3gpuE2ELNS1_3repE0EEENS1_30default_config_static_selectorELNS0_4arch9wavefront6targetE0EEEvT1_
                                        ; -- End function
	.set _ZN7rocprim17ROCPRIM_400000_NS6detail17trampoline_kernelINS0_14default_configENS1_33run_length_encode_config_selectorImjNS0_4plusIjEEEEZZNS1_33reduce_by_key_impl_wrapped_configILNS1_25lookback_scan_determinismE0ES3_S7_PKmNS0_17constant_iteratorIjlEEPmPlSF_S6_NS0_8equal_toImEEEE10hipError_tPvRmT2_T3_mT4_T5_T6_T7_T8_P12ihipStream_tbENKUlT_T0_E_clISt17integral_constantIbLb1EESY_IbLb0EEEEDaSU_SV_EUlSU_E_NS1_11comp_targetILNS1_3genE8ELNS1_11target_archE1030ELNS1_3gpuE2ELNS1_3repE0EEENS1_30default_config_static_selectorELNS0_4arch9wavefront6targetE0EEEvT1_.num_vgpr, 0
	.set _ZN7rocprim17ROCPRIM_400000_NS6detail17trampoline_kernelINS0_14default_configENS1_33run_length_encode_config_selectorImjNS0_4plusIjEEEEZZNS1_33reduce_by_key_impl_wrapped_configILNS1_25lookback_scan_determinismE0ES3_S7_PKmNS0_17constant_iteratorIjlEEPmPlSF_S6_NS0_8equal_toImEEEE10hipError_tPvRmT2_T3_mT4_T5_T6_T7_T8_P12ihipStream_tbENKUlT_T0_E_clISt17integral_constantIbLb1EESY_IbLb0EEEEDaSU_SV_EUlSU_E_NS1_11comp_targetILNS1_3genE8ELNS1_11target_archE1030ELNS1_3gpuE2ELNS1_3repE0EEENS1_30default_config_static_selectorELNS0_4arch9wavefront6targetE0EEEvT1_.num_agpr, 0
	.set _ZN7rocprim17ROCPRIM_400000_NS6detail17trampoline_kernelINS0_14default_configENS1_33run_length_encode_config_selectorImjNS0_4plusIjEEEEZZNS1_33reduce_by_key_impl_wrapped_configILNS1_25lookback_scan_determinismE0ES3_S7_PKmNS0_17constant_iteratorIjlEEPmPlSF_S6_NS0_8equal_toImEEEE10hipError_tPvRmT2_T3_mT4_T5_T6_T7_T8_P12ihipStream_tbENKUlT_T0_E_clISt17integral_constantIbLb1EESY_IbLb0EEEEDaSU_SV_EUlSU_E_NS1_11comp_targetILNS1_3genE8ELNS1_11target_archE1030ELNS1_3gpuE2ELNS1_3repE0EEENS1_30default_config_static_selectorELNS0_4arch9wavefront6targetE0EEEvT1_.numbered_sgpr, 0
	.set _ZN7rocprim17ROCPRIM_400000_NS6detail17trampoline_kernelINS0_14default_configENS1_33run_length_encode_config_selectorImjNS0_4plusIjEEEEZZNS1_33reduce_by_key_impl_wrapped_configILNS1_25lookback_scan_determinismE0ES3_S7_PKmNS0_17constant_iteratorIjlEEPmPlSF_S6_NS0_8equal_toImEEEE10hipError_tPvRmT2_T3_mT4_T5_T6_T7_T8_P12ihipStream_tbENKUlT_T0_E_clISt17integral_constantIbLb1EESY_IbLb0EEEEDaSU_SV_EUlSU_E_NS1_11comp_targetILNS1_3genE8ELNS1_11target_archE1030ELNS1_3gpuE2ELNS1_3repE0EEENS1_30default_config_static_selectorELNS0_4arch9wavefront6targetE0EEEvT1_.num_named_barrier, 0
	.set _ZN7rocprim17ROCPRIM_400000_NS6detail17trampoline_kernelINS0_14default_configENS1_33run_length_encode_config_selectorImjNS0_4plusIjEEEEZZNS1_33reduce_by_key_impl_wrapped_configILNS1_25lookback_scan_determinismE0ES3_S7_PKmNS0_17constant_iteratorIjlEEPmPlSF_S6_NS0_8equal_toImEEEE10hipError_tPvRmT2_T3_mT4_T5_T6_T7_T8_P12ihipStream_tbENKUlT_T0_E_clISt17integral_constantIbLb1EESY_IbLb0EEEEDaSU_SV_EUlSU_E_NS1_11comp_targetILNS1_3genE8ELNS1_11target_archE1030ELNS1_3gpuE2ELNS1_3repE0EEENS1_30default_config_static_selectorELNS0_4arch9wavefront6targetE0EEEvT1_.private_seg_size, 0
	.set _ZN7rocprim17ROCPRIM_400000_NS6detail17trampoline_kernelINS0_14default_configENS1_33run_length_encode_config_selectorImjNS0_4plusIjEEEEZZNS1_33reduce_by_key_impl_wrapped_configILNS1_25lookback_scan_determinismE0ES3_S7_PKmNS0_17constant_iteratorIjlEEPmPlSF_S6_NS0_8equal_toImEEEE10hipError_tPvRmT2_T3_mT4_T5_T6_T7_T8_P12ihipStream_tbENKUlT_T0_E_clISt17integral_constantIbLb1EESY_IbLb0EEEEDaSU_SV_EUlSU_E_NS1_11comp_targetILNS1_3genE8ELNS1_11target_archE1030ELNS1_3gpuE2ELNS1_3repE0EEENS1_30default_config_static_selectorELNS0_4arch9wavefront6targetE0EEEvT1_.uses_vcc, 0
	.set _ZN7rocprim17ROCPRIM_400000_NS6detail17trampoline_kernelINS0_14default_configENS1_33run_length_encode_config_selectorImjNS0_4plusIjEEEEZZNS1_33reduce_by_key_impl_wrapped_configILNS1_25lookback_scan_determinismE0ES3_S7_PKmNS0_17constant_iteratorIjlEEPmPlSF_S6_NS0_8equal_toImEEEE10hipError_tPvRmT2_T3_mT4_T5_T6_T7_T8_P12ihipStream_tbENKUlT_T0_E_clISt17integral_constantIbLb1EESY_IbLb0EEEEDaSU_SV_EUlSU_E_NS1_11comp_targetILNS1_3genE8ELNS1_11target_archE1030ELNS1_3gpuE2ELNS1_3repE0EEENS1_30default_config_static_selectorELNS0_4arch9wavefront6targetE0EEEvT1_.uses_flat_scratch, 0
	.set _ZN7rocprim17ROCPRIM_400000_NS6detail17trampoline_kernelINS0_14default_configENS1_33run_length_encode_config_selectorImjNS0_4plusIjEEEEZZNS1_33reduce_by_key_impl_wrapped_configILNS1_25lookback_scan_determinismE0ES3_S7_PKmNS0_17constant_iteratorIjlEEPmPlSF_S6_NS0_8equal_toImEEEE10hipError_tPvRmT2_T3_mT4_T5_T6_T7_T8_P12ihipStream_tbENKUlT_T0_E_clISt17integral_constantIbLb1EESY_IbLb0EEEEDaSU_SV_EUlSU_E_NS1_11comp_targetILNS1_3genE8ELNS1_11target_archE1030ELNS1_3gpuE2ELNS1_3repE0EEENS1_30default_config_static_selectorELNS0_4arch9wavefront6targetE0EEEvT1_.has_dyn_sized_stack, 0
	.set _ZN7rocprim17ROCPRIM_400000_NS6detail17trampoline_kernelINS0_14default_configENS1_33run_length_encode_config_selectorImjNS0_4plusIjEEEEZZNS1_33reduce_by_key_impl_wrapped_configILNS1_25lookback_scan_determinismE0ES3_S7_PKmNS0_17constant_iteratorIjlEEPmPlSF_S6_NS0_8equal_toImEEEE10hipError_tPvRmT2_T3_mT4_T5_T6_T7_T8_P12ihipStream_tbENKUlT_T0_E_clISt17integral_constantIbLb1EESY_IbLb0EEEEDaSU_SV_EUlSU_E_NS1_11comp_targetILNS1_3genE8ELNS1_11target_archE1030ELNS1_3gpuE2ELNS1_3repE0EEENS1_30default_config_static_selectorELNS0_4arch9wavefront6targetE0EEEvT1_.has_recursion, 0
	.set _ZN7rocprim17ROCPRIM_400000_NS6detail17trampoline_kernelINS0_14default_configENS1_33run_length_encode_config_selectorImjNS0_4plusIjEEEEZZNS1_33reduce_by_key_impl_wrapped_configILNS1_25lookback_scan_determinismE0ES3_S7_PKmNS0_17constant_iteratorIjlEEPmPlSF_S6_NS0_8equal_toImEEEE10hipError_tPvRmT2_T3_mT4_T5_T6_T7_T8_P12ihipStream_tbENKUlT_T0_E_clISt17integral_constantIbLb1EESY_IbLb0EEEEDaSU_SV_EUlSU_E_NS1_11comp_targetILNS1_3genE8ELNS1_11target_archE1030ELNS1_3gpuE2ELNS1_3repE0EEENS1_30default_config_static_selectorELNS0_4arch9wavefront6targetE0EEEvT1_.has_indirect_call, 0
	.section	.AMDGPU.csdata,"",@progbits
; Kernel info:
; codeLenInByte = 0
; TotalNumSgprs: 0
; NumVgprs: 0
; ScratchSize: 0
; MemoryBound: 0
; FloatMode: 240
; IeeeMode: 1
; LDSByteSize: 0 bytes/workgroup (compile time only)
; SGPRBlocks: 0
; VGPRBlocks: 0
; NumSGPRsForWavesPerEU: 1
; NumVGPRsForWavesPerEU: 1
; NamedBarCnt: 0
; Occupancy: 16
; WaveLimiterHint : 0
; COMPUTE_PGM_RSRC2:SCRATCH_EN: 0
; COMPUTE_PGM_RSRC2:USER_SGPR: 2
; COMPUTE_PGM_RSRC2:TRAP_HANDLER: 0
; COMPUTE_PGM_RSRC2:TGID_X_EN: 1
; COMPUTE_PGM_RSRC2:TGID_Y_EN: 0
; COMPUTE_PGM_RSRC2:TGID_Z_EN: 0
; COMPUTE_PGM_RSRC2:TIDIG_COMP_CNT: 0
	.section	.text._ZN7rocprim17ROCPRIM_400000_NS6detail17trampoline_kernelINS0_14default_configENS1_33run_length_encode_config_selectorImjNS0_4plusIjEEEEZZNS1_33reduce_by_key_impl_wrapped_configILNS1_25lookback_scan_determinismE0ES3_S7_PKmNS0_17constant_iteratorIjlEEPmPlSF_S6_NS0_8equal_toImEEEE10hipError_tPvRmT2_T3_mT4_T5_T6_T7_T8_P12ihipStream_tbENKUlT_T0_E_clISt17integral_constantIbLb0EESY_IbLb1EEEEDaSU_SV_EUlSU_E_NS1_11comp_targetILNS1_3genE0ELNS1_11target_archE4294967295ELNS1_3gpuE0ELNS1_3repE0EEENS1_30default_config_static_selectorELNS0_4arch9wavefront6targetE0EEEvT1_,"axG",@progbits,_ZN7rocprim17ROCPRIM_400000_NS6detail17trampoline_kernelINS0_14default_configENS1_33run_length_encode_config_selectorImjNS0_4plusIjEEEEZZNS1_33reduce_by_key_impl_wrapped_configILNS1_25lookback_scan_determinismE0ES3_S7_PKmNS0_17constant_iteratorIjlEEPmPlSF_S6_NS0_8equal_toImEEEE10hipError_tPvRmT2_T3_mT4_T5_T6_T7_T8_P12ihipStream_tbENKUlT_T0_E_clISt17integral_constantIbLb0EESY_IbLb1EEEEDaSU_SV_EUlSU_E_NS1_11comp_targetILNS1_3genE0ELNS1_11target_archE4294967295ELNS1_3gpuE0ELNS1_3repE0EEENS1_30default_config_static_selectorELNS0_4arch9wavefront6targetE0EEEvT1_,comdat
	.protected	_ZN7rocprim17ROCPRIM_400000_NS6detail17trampoline_kernelINS0_14default_configENS1_33run_length_encode_config_selectorImjNS0_4plusIjEEEEZZNS1_33reduce_by_key_impl_wrapped_configILNS1_25lookback_scan_determinismE0ES3_S7_PKmNS0_17constant_iteratorIjlEEPmPlSF_S6_NS0_8equal_toImEEEE10hipError_tPvRmT2_T3_mT4_T5_T6_T7_T8_P12ihipStream_tbENKUlT_T0_E_clISt17integral_constantIbLb0EESY_IbLb1EEEEDaSU_SV_EUlSU_E_NS1_11comp_targetILNS1_3genE0ELNS1_11target_archE4294967295ELNS1_3gpuE0ELNS1_3repE0EEENS1_30default_config_static_selectorELNS0_4arch9wavefront6targetE0EEEvT1_ ; -- Begin function _ZN7rocprim17ROCPRIM_400000_NS6detail17trampoline_kernelINS0_14default_configENS1_33run_length_encode_config_selectorImjNS0_4plusIjEEEEZZNS1_33reduce_by_key_impl_wrapped_configILNS1_25lookback_scan_determinismE0ES3_S7_PKmNS0_17constant_iteratorIjlEEPmPlSF_S6_NS0_8equal_toImEEEE10hipError_tPvRmT2_T3_mT4_T5_T6_T7_T8_P12ihipStream_tbENKUlT_T0_E_clISt17integral_constantIbLb0EESY_IbLb1EEEEDaSU_SV_EUlSU_E_NS1_11comp_targetILNS1_3genE0ELNS1_11target_archE4294967295ELNS1_3gpuE0ELNS1_3repE0EEENS1_30default_config_static_selectorELNS0_4arch9wavefront6targetE0EEEvT1_
	.globl	_ZN7rocprim17ROCPRIM_400000_NS6detail17trampoline_kernelINS0_14default_configENS1_33run_length_encode_config_selectorImjNS0_4plusIjEEEEZZNS1_33reduce_by_key_impl_wrapped_configILNS1_25lookback_scan_determinismE0ES3_S7_PKmNS0_17constant_iteratorIjlEEPmPlSF_S6_NS0_8equal_toImEEEE10hipError_tPvRmT2_T3_mT4_T5_T6_T7_T8_P12ihipStream_tbENKUlT_T0_E_clISt17integral_constantIbLb0EESY_IbLb1EEEEDaSU_SV_EUlSU_E_NS1_11comp_targetILNS1_3genE0ELNS1_11target_archE4294967295ELNS1_3gpuE0ELNS1_3repE0EEENS1_30default_config_static_selectorELNS0_4arch9wavefront6targetE0EEEvT1_
	.p2align	8
	.type	_ZN7rocprim17ROCPRIM_400000_NS6detail17trampoline_kernelINS0_14default_configENS1_33run_length_encode_config_selectorImjNS0_4plusIjEEEEZZNS1_33reduce_by_key_impl_wrapped_configILNS1_25lookback_scan_determinismE0ES3_S7_PKmNS0_17constant_iteratorIjlEEPmPlSF_S6_NS0_8equal_toImEEEE10hipError_tPvRmT2_T3_mT4_T5_T6_T7_T8_P12ihipStream_tbENKUlT_T0_E_clISt17integral_constantIbLb0EESY_IbLb1EEEEDaSU_SV_EUlSU_E_NS1_11comp_targetILNS1_3genE0ELNS1_11target_archE4294967295ELNS1_3gpuE0ELNS1_3repE0EEENS1_30default_config_static_selectorELNS0_4arch9wavefront6targetE0EEEvT1_,@function
_ZN7rocprim17ROCPRIM_400000_NS6detail17trampoline_kernelINS0_14default_configENS1_33run_length_encode_config_selectorImjNS0_4plusIjEEEEZZNS1_33reduce_by_key_impl_wrapped_configILNS1_25lookback_scan_determinismE0ES3_S7_PKmNS0_17constant_iteratorIjlEEPmPlSF_S6_NS0_8equal_toImEEEE10hipError_tPvRmT2_T3_mT4_T5_T6_T7_T8_P12ihipStream_tbENKUlT_T0_E_clISt17integral_constantIbLb0EESY_IbLb1EEEEDaSU_SV_EUlSU_E_NS1_11comp_targetILNS1_3genE0ELNS1_11target_archE4294967295ELNS1_3gpuE0ELNS1_3repE0EEENS1_30default_config_static_selectorELNS0_4arch9wavefront6targetE0EEEvT1_: ; @_ZN7rocprim17ROCPRIM_400000_NS6detail17trampoline_kernelINS0_14default_configENS1_33run_length_encode_config_selectorImjNS0_4plusIjEEEEZZNS1_33reduce_by_key_impl_wrapped_configILNS1_25lookback_scan_determinismE0ES3_S7_PKmNS0_17constant_iteratorIjlEEPmPlSF_S6_NS0_8equal_toImEEEE10hipError_tPvRmT2_T3_mT4_T5_T6_T7_T8_P12ihipStream_tbENKUlT_T0_E_clISt17integral_constantIbLb0EESY_IbLb1EEEEDaSU_SV_EUlSU_E_NS1_11comp_targetILNS1_3genE0ELNS1_11target_archE4294967295ELNS1_3gpuE0ELNS1_3repE0EEENS1_30default_config_static_selectorELNS0_4arch9wavefront6targetE0EEEvT1_
; %bb.0:
	s_clause 0x5
	s_load_b32 s8, s[0:1], 0x10
	s_load_b128 s[28:31], s[0:1], 0x20
	s_load_b64 s[34:35], s[0:1], 0x30
	s_load_b64 s[40:41], s[0:1], 0x70
	s_load_b128 s[36:39], s[0:1], 0x60
	s_load_b256 s[20:27], s[0:1], 0x40
	v_cmp_ne_u32_e64 s3, 0, v0
	v_cmp_eq_u32_e64 s2, 0, v0
	s_and_saveexec_b32 s4, s2
	s_cbranch_execz .LBB745_4
; %bb.1:
	s_mov_b32 s6, exec_lo
	s_mov_b32 s5, exec_lo
	v_mbcnt_lo_u32_b32 v1, s6, 0
                                        ; implicit-def: $vgpr2
	s_delay_alu instid0(VALU_DEP_1)
	v_cmpx_eq_u32_e32 0, v1
	s_cbranch_execz .LBB745_3
; %bb.2:
	s_load_b64 s[10:11], s[0:1], 0x78
	s_bcnt1_i32_b32 s6, s6
	s_delay_alu instid0(SALU_CYCLE_1)
	v_dual_mov_b32 v2, 0 :: v_dual_mov_b32 v3, s6
	s_wait_xcnt 0x0
	s_wait_kmcnt 0x0
	global_atomic_add_u32 v2, v2, v3, s[10:11] th:TH_ATOMIC_RETURN scope:SCOPE_DEV
.LBB745_3:
	s_wait_xcnt 0x0
	s_or_b32 exec_lo, exec_lo, s5
	s_wait_loadcnt 0x0
	v_readfirstlane_b32 s5, v2
	s_delay_alu instid0(VALU_DEP_1)
	v_dual_mov_b32 v2, 0 :: v_dual_add_nc_u32 v1, s5, v1
	ds_store_b32 v2, v1
.LBB745_4:
	s_or_b32 exec_lo, exec_lo, s4
	v_mov_b32_e32 v3, 0
	s_wait_dscnt 0x0
	s_barrier_signal -1
	s_barrier_wait -1
	ds_load_b32 v1, v3
	s_load_b128 s[4:7], s[0:1], 0x0
	s_wait_kmcnt 0x0
	s_mul_u64 s[0:1], s[24:25], s[22:23]
	s_mov_b32 s25, 0
	s_wait_dscnt 0x0
	s_barrier_signal -1
	s_barrier_wait -1
	v_mul_lo_u32 v2, 0xf00, v1
	v_readfirstlane_b32 s24, v1
	s_lshl_b64 s[6:7], s[6:7], 3
	s_delay_alu instid0(SALU_CYCLE_1)
	s_add_nc_u64 s[4:5], s[4:5], s[6:7]
	s_add_nc_u64 s[6:7], s[26:27], -1
	s_add_nc_u64 s[16:17], s[0:1], s[24:25]
	s_mul_i32 s33, s6, 0xfffff100
	s_cmp_eq_u64 s[16:17], s[6:7]
	s_cselect_b32 s19, -1, 0
	v_lshlrev_b64_e32 v[2:3], 3, v[2:3]
	s_cmp_lg_u64 s[16:17], s[6:7]
	s_cselect_b32 s0, -1, 0
	s_and_b32 vcc_lo, exec_lo, s19
	s_delay_alu instid0(VALU_DEP_1)
	v_add_nc_u64_e32 v[44:45], s[4:5], v[2:3]
	s_cbranch_vccnz .LBB745_6
; %bb.5:
	s_delay_alu instid0(VALU_DEP_1) | instskip(NEXT) | instid1(VALU_DEP_2)
	v_readfirstlane_b32 s4, v44
	v_readfirstlane_b32 s5, v45
	v_lshlrev_b32_e32 v1, 3, v0
	s_mov_b32 s1, 0
	s_mov_b32 s25, -1
	s_clause 0xe
	global_load_b64 v[2:3], v0, s[4:5] scale_offset
	global_load_b64 v[4:5], v0, s[4:5] offset:2048 scale_offset
	global_load_b64 v[6:7], v0, s[4:5] offset:4096 scale_offset
	;; [unrolled: 1-line block ×14, first 2 shown]
	v_mad_u32_u24 v32, 0x70, v0, v1
	s_wait_loadcnt 0xd
	ds_store_2addr_stride64_b64 v1, v[2:3], v[4:5] offset1:4
	s_wait_loadcnt 0xb
	ds_store_2addr_stride64_b64 v1, v[6:7], v[8:9] offset0:8 offset1:12
	s_wait_loadcnt 0x9
	ds_store_2addr_stride64_b64 v1, v[10:11], v[12:13] offset0:16 offset1:20
	;; [unrolled: 2-line block ×6, first 2 shown]
	s_wait_loadcnt 0x0
	ds_store_b64 v1, v[30:31] offset:28672
	s_wait_dscnt 0x0
	s_barrier_signal -1
	s_barrier_wait -1
	ds_load_2addr_b64 v[26:29], v32 offset1:1
	ds_load_2addr_b64 v[22:25], v32 offset0:2 offset1:3
	ds_load_2addr_b64 v[18:21], v32 offset0:4 offset1:5
	;; [unrolled: 1-line block ×6, first 2 shown]
	ds_load_b64 v[42:43], v32 offset:112
	s_wait_dscnt 0x7
	v_dual_mov_b32 v30, v26 :: v_dual_mov_b32 v31, v27
	s_wait_dscnt 0x6
	v_dual_mov_b32 v32, v22 :: v_dual_mov_b32 v33, v23
	;; [unrolled: 2-line block ×7, first 2 shown]
	s_branch .LBB745_7
.LBB745_6:
	s_mov_b32 s1, -1
                                        ; implicit-def: $vgpr42_vgpr43
                                        ; implicit-def: $vgpr2_vgpr3
                                        ; implicit-def: $vgpr6_vgpr7
                                        ; implicit-def: $vgpr10_vgpr11
                                        ; implicit-def: $vgpr14_vgpr15
                                        ; implicit-def: $vgpr18_vgpr19
                                        ; implicit-def: $vgpr22_vgpr23
                                        ; implicit-def: $vgpr26_vgpr27
                                        ; implicit-def: $vgpr38_vgpr39_vgpr40_vgpr41
                                        ; implicit-def: $vgpr34_vgpr35_vgpr36_vgpr37
                                        ; implicit-def: $vgpr30_vgpr31_vgpr32_vgpr33
                                        ; implicit-def: $vgpr46_vgpr47
.LBB745_7:
	v_dual_mov_b32 v68, s8 :: v_dual_mov_b32 v69, s8
	v_dual_mov_b32 v70, s8 :: v_dual_mov_b32 v71, s8
	;; [unrolled: 1-line block ×7, first 2 shown]
	s_and_not1_b32 vcc_lo, exec_lo, s1
	s_add_co_i32 s33, s33, s36
                                        ; implicit-def: $vgpr96
	s_cbranch_vccnz .LBB745_39
; %bb.8:
	s_mov_b32 s1, exec_lo
                                        ; implicit-def: $vgpr2_vgpr3
	v_cmpx_gt_u32_e64 s33, v0
	s_cbranch_execz .LBB745_10
; %bb.9:
	v_readfirstlane_b32 s4, v44
	v_readfirstlane_b32 s5, v45
	global_load_b64 v[2:3], v0, s[4:5] scale_offset
.LBB745_10:
	s_wait_xcnt 0x0
	s_or_b32 exec_lo, exec_lo, s1
	v_or_b32_e32 v1, 0x100, v0
	s_mov_b32 s1, exec_lo
                                        ; implicit-def: $vgpr4_vgpr5
	s_delay_alu instid0(VALU_DEP_1)
	v_cmpx_gt_u32_e64 s33, v1
	s_cbranch_execz .LBB745_12
; %bb.11:
	v_readfirstlane_b32 s4, v44
	v_readfirstlane_b32 s5, v45
	global_load_b64 v[4:5], v0, s[4:5] offset:2048 scale_offset
.LBB745_12:
	s_wait_xcnt 0x0
	s_or_b32 exec_lo, exec_lo, s1
	v_or_b32_e32 v1, 0x200, v0
	s_mov_b32 s1, exec_lo
                                        ; implicit-def: $vgpr6_vgpr7
	s_delay_alu instid0(VALU_DEP_1)
	v_cmpx_gt_u32_e64 s33, v1
	s_cbranch_execz .LBB745_14
; %bb.13:
	v_readfirstlane_b32 s4, v44
	v_readfirstlane_b32 s5, v45
	global_load_b64 v[6:7], v0, s[4:5] offset:4096 scale_offset
.LBB745_14:
	s_wait_xcnt 0x0
	s_or_b32 exec_lo, exec_lo, s1
	v_or_b32_e32 v1, 0x300, v0
	s_mov_b32 s1, exec_lo
                                        ; implicit-def: $vgpr8_vgpr9
	s_delay_alu instid0(VALU_DEP_1)
	v_cmpx_gt_u32_e64 s33, v1
	s_cbranch_execz .LBB745_16
; %bb.15:
	v_readfirstlane_b32 s4, v44
	v_readfirstlane_b32 s5, v45
	global_load_b64 v[8:9], v0, s[4:5] offset:6144 scale_offset
.LBB745_16:
	s_wait_xcnt 0x0
	s_or_b32 exec_lo, exec_lo, s1
	v_or_b32_e32 v1, 0x400, v0
	s_mov_b32 s1, exec_lo
                                        ; implicit-def: $vgpr10_vgpr11
	s_delay_alu instid0(VALU_DEP_1)
	v_cmpx_gt_u32_e64 s33, v1
	s_cbranch_execz .LBB745_18
; %bb.17:
	v_readfirstlane_b32 s4, v44
	v_readfirstlane_b32 s5, v45
	global_load_b64 v[10:11], v0, s[4:5] offset:8192 scale_offset
.LBB745_18:
	s_wait_xcnt 0x0
	s_or_b32 exec_lo, exec_lo, s1
	v_or_b32_e32 v1, 0x500, v0
	s_mov_b32 s1, exec_lo
                                        ; implicit-def: $vgpr12_vgpr13
	s_delay_alu instid0(VALU_DEP_1)
	v_cmpx_gt_u32_e64 s33, v1
	s_cbranch_execz .LBB745_20
; %bb.19:
	v_readfirstlane_b32 s4, v44
	v_readfirstlane_b32 s5, v45
	global_load_b64 v[12:13], v0, s[4:5] offset:10240 scale_offset
.LBB745_20:
	s_wait_xcnt 0x0
	s_or_b32 exec_lo, exec_lo, s1
	v_or_b32_e32 v1, 0x600, v0
	s_mov_b32 s1, exec_lo
                                        ; implicit-def: $vgpr14_vgpr15
	s_delay_alu instid0(VALU_DEP_1)
	v_cmpx_gt_u32_e64 s33, v1
	s_cbranch_execz .LBB745_22
; %bb.21:
	v_readfirstlane_b32 s4, v44
	v_readfirstlane_b32 s5, v45
	global_load_b64 v[14:15], v0, s[4:5] offset:12288 scale_offset
.LBB745_22:
	s_wait_xcnt 0x0
	s_or_b32 exec_lo, exec_lo, s1
	v_or_b32_e32 v1, 0x700, v0
	s_mov_b32 s1, exec_lo
                                        ; implicit-def: $vgpr16_vgpr17
	s_delay_alu instid0(VALU_DEP_1)
	v_cmpx_gt_u32_e64 s33, v1
	s_cbranch_execz .LBB745_24
; %bb.23:
	v_readfirstlane_b32 s4, v44
	v_readfirstlane_b32 s5, v45
	global_load_b64 v[16:17], v0, s[4:5] offset:14336 scale_offset
.LBB745_24:
	s_wait_xcnt 0x0
	s_or_b32 exec_lo, exec_lo, s1
	v_or_b32_e32 v1, 0x800, v0
	s_mov_b32 s1, exec_lo
                                        ; implicit-def: $vgpr18_vgpr19
	s_delay_alu instid0(VALU_DEP_1)
	v_cmpx_gt_u32_e64 s33, v1
	s_cbranch_execz .LBB745_26
; %bb.25:
	v_readfirstlane_b32 s4, v44
	v_readfirstlane_b32 s5, v45
	global_load_b64 v[18:19], v0, s[4:5] offset:16384 scale_offset
.LBB745_26:
	s_wait_xcnt 0x0
	s_or_b32 exec_lo, exec_lo, s1
	v_or_b32_e32 v1, 0x900, v0
	s_mov_b32 s1, exec_lo
                                        ; implicit-def: $vgpr20_vgpr21
	s_delay_alu instid0(VALU_DEP_1)
	v_cmpx_gt_u32_e64 s33, v1
	s_cbranch_execz .LBB745_28
; %bb.27:
	v_readfirstlane_b32 s4, v44
	v_readfirstlane_b32 s5, v45
	global_load_b64 v[20:21], v0, s[4:5] offset:18432 scale_offset
.LBB745_28:
	s_wait_xcnt 0x0
	s_or_b32 exec_lo, exec_lo, s1
	v_or_b32_e32 v1, 0xa00, v0
	s_mov_b32 s1, exec_lo
                                        ; implicit-def: $vgpr22_vgpr23
	s_delay_alu instid0(VALU_DEP_1)
	v_cmpx_gt_u32_e64 s33, v1
	s_cbranch_execz .LBB745_30
; %bb.29:
	v_readfirstlane_b32 s4, v44
	v_readfirstlane_b32 s5, v45
	global_load_b64 v[22:23], v0, s[4:5] offset:20480 scale_offset
.LBB745_30:
	s_wait_xcnt 0x0
	s_or_b32 exec_lo, exec_lo, s1
	v_or_b32_e32 v1, 0xb00, v0
	s_mov_b32 s1, exec_lo
                                        ; implicit-def: $vgpr24_vgpr25
	s_delay_alu instid0(VALU_DEP_1)
	v_cmpx_gt_u32_e64 s33, v1
	s_cbranch_execz .LBB745_32
; %bb.31:
	v_readfirstlane_b32 s4, v44
	v_readfirstlane_b32 s5, v45
	global_load_b64 v[24:25], v0, s[4:5] offset:22528 scale_offset
.LBB745_32:
	s_wait_xcnt 0x0
	s_or_b32 exec_lo, exec_lo, s1
	v_or_b32_e32 v1, 0xc00, v0
	s_mov_b32 s1, exec_lo
                                        ; implicit-def: $vgpr26_vgpr27
	s_delay_alu instid0(VALU_DEP_1)
	v_cmpx_gt_u32_e64 s33, v1
	s_cbranch_execz .LBB745_34
; %bb.33:
	v_readfirstlane_b32 s4, v44
	v_readfirstlane_b32 s5, v45
	global_load_b64 v[26:27], v0, s[4:5] offset:24576 scale_offset
.LBB745_34:
	s_wait_xcnt 0x0
	s_or_b32 exec_lo, exec_lo, s1
	v_or_b32_e32 v1, 0xd00, v0
	s_mov_b32 s1, exec_lo
                                        ; implicit-def: $vgpr28_vgpr29
	s_delay_alu instid0(VALU_DEP_1)
	v_cmpx_gt_u32_e64 s33, v1
	s_cbranch_execz .LBB745_36
; %bb.35:
	v_readfirstlane_b32 s4, v44
	v_readfirstlane_b32 s5, v45
	global_load_b64 v[28:29], v0, s[4:5] offset:26624 scale_offset
.LBB745_36:
	s_wait_xcnt 0x0
	s_or_b32 exec_lo, exec_lo, s1
	v_or_b32_e32 v1, 0xe00, v0
	s_mov_b32 s1, exec_lo
                                        ; implicit-def: $vgpr30_vgpr31
	s_delay_alu instid0(VALU_DEP_1)
	v_cmpx_gt_u32_e64 s33, v1
	s_cbranch_execz .LBB745_38
; %bb.37:
	v_readfirstlane_b32 s4, v44
	v_readfirstlane_b32 s5, v45
	global_load_b64 v[30:31], v0, s[4:5] offset:28672 scale_offset
.LBB745_38:
	s_wait_xcnt 0x0
	s_or_b32 exec_lo, exec_lo, s1
	v_lshlrev_b32_e32 v1, 3, v0
	s_wait_loadcnt 0x0
	ds_store_2addr_stride64_b64 v1, v[2:3], v[4:5] offset1:4
	ds_store_2addr_stride64_b64 v1, v[6:7], v[8:9] offset0:8 offset1:12
	ds_store_2addr_stride64_b64 v1, v[10:11], v[12:13] offset0:16 offset1:20
	;; [unrolled: 1-line block ×6, first 2 shown]
	ds_store_b64 v1, v[30:31] offset:28672
	v_mul_u32_u24_e32 v30, 15, v0
	v_mad_u32_u24 v1, 0x70, v0, v1
	v_mad_u32_u24 v31, v0, 15, 1
	s_wait_dscnt 0x0
	s_barrier_signal -1
	v_cmp_gt_u32_e32 vcc_lo, s33, v30
	s_barrier_wait -1
	ds_load_2addr_b64 v[26:29], v1 offset1:1
	ds_load_2addr_b64 v[22:25], v1 offset0:2 offset1:3
	ds_load_2addr_b64 v[18:21], v1 offset0:4 offset1:5
	;; [unrolled: 1-line block ×6, first 2 shown]
	ds_load_b64 v[42:43], v1 offset:112
	v_mad_u32_u24 v1, v0, 15, 2
	v_cndmask_b32_e64 v75, 0, s8, vcc_lo
	v_cmp_gt_u32_e32 vcc_lo, s33, v31
	v_mad_u32_u24 v30, v0, 15, 3
	v_mad_u32_u24 v31, v0, 15, 5
	v_mov_b32_e32 v96, 0
	v_cndmask_b32_e64 v72, 0, s8, vcc_lo
	v_cmp_gt_u32_e32 vcc_lo, s33, v1
	v_mad_u32_u24 v1, v0, 15, 4
	v_cndmask_b32_e64 v74, 0, s8, vcc_lo
	v_cmp_gt_u32_e32 vcc_lo, s33, v30
	v_mad_u32_u24 v30, v0, 15, 6
	s_wait_dscnt 0x5
	v_dual_mov_b32 v33, v23 :: v_dual_mov_b32 v34, v18
	s_wait_dscnt 0x4
	v_dual_mov_b32 v35, v19 :: v_dual_mov_b32 v36, v14
	v_cndmask_b32_e64 v92, 0, s8, vcc_lo
	v_cmp_gt_u32_e32 vcc_lo, s33, v1
	v_mad_u32_u24 v1, v0, 15, 7
	s_wait_dscnt 0x3
	v_dual_mov_b32 v37, v15 :: v_dual_mov_b32 v38, v10
	s_wait_dscnt 0x2
	v_dual_mov_b32 v39, v11 :: v_dual_mov_b32 v40, v6
	v_cndmask_b32_e64 v94, 0, s8, vcc_lo
	v_cmp_gt_u32_e32 vcc_lo, s33, v31
	v_mad_u32_u24 v31, v0, 15, 9
	s_wait_dscnt 0x1
	v_dual_mov_b32 v41, v7 :: v_dual_mov_b32 v46, v2
	v_mov_b32_e32 v47, v3
	v_cndmask_b32_e64 v90, 0, s8, vcc_lo
	v_cmp_gt_u32_e32 vcc_lo, s33, v30
	v_mad_u32_u24 v30, v0, 15, 8
	v_mov_b32_e32 v32, v22
	v_cndmask_b32_e64 v89, 0, s8, vcc_lo
	v_cmp_gt_u32_e32 vcc_lo, s33, v1
	v_mad_u32_u24 v1, v0, 15, 10
	v_cndmask_b32_e64 v93, 0, s8, vcc_lo
	v_cmp_gt_u32_e32 vcc_lo, s33, v30
	v_mad_u32_u24 v30, v0, 15, 11
	;; [unrolled: 3-line block ×5, first 2 shown]
	v_cndmask_b32_e64 v70, 0, s8, vcc_lo
	v_cmp_gt_u32_e32 vcc_lo, s33, v1
	s_delay_alu instid0(VALU_DEP_3)
	v_cmp_gt_u32_e64 s25, s33, v30
	v_mov_b32_e32 v30, v26
	v_cndmask_b32_e64 v69, 0, s8, vcc_lo
	v_cmp_gt_u32_e32 vcc_lo, s33, v31
	v_mov_b32_e32 v31, v27
	v_cndmask_b32_e64 v68, 0, s8, vcc_lo
.LBB745_39:
	s_and_saveexec_b32 s1, s25
; %bb.40:
	v_mov_b32_e32 v96, s8
; %bb.41:
	s_or_b32 exec_lo, exec_lo, s1
	s_cmp_eq_u64 s[16:17], 0
	s_wait_dscnt 0x0
	s_cselect_b32 s25, -1, 0
	s_cmp_lg_u64 s[16:17], 0
	s_barrier_signal -1
	s_cselect_b32 s26, -1, 0
	s_and_b32 vcc_lo, exec_lo, s0
	s_barrier_wait -1
	s_cbranch_vccz .LBB745_46
; %bb.42:
	s_and_b32 vcc_lo, exec_lo, s26
	s_cbranch_vccz .LBB745_47
; %bb.43:
	global_load_b64 v[48:49], v[44:45], off offset:-8
	v_lshlrev_b32_e32 v1, 3, v0
	ds_store_b64 v1, v[42:43]
	s_wait_loadcnt_dscnt 0x0
	s_barrier_signal -1
	s_barrier_wait -1
	s_and_saveexec_b32 s0, s3
; %bb.44:
	v_add_nc_u32_e32 v1, -8, v1
	ds_load_b64 v[48:49], v1
; %bb.45:
	s_or_b32 exec_lo, exec_lo, s0
	v_cmp_ne_u64_e32 vcc_lo, v[30:31], v[28:29]
	s_wait_dscnt 0x0
	v_cmp_ne_u64_e64 s15, v[48:49], v[26:27]
	s_mov_b32 s18, -1
	v_cndmask_b32_e64 v88, 0, 1, vcc_lo
	v_cmp_ne_u64_e32 vcc_lo, v[32:33], v[28:29]
	v_cndmask_b32_e64 v87, 0, 1, vcc_lo
	v_cmp_ne_u64_e32 vcc_lo, v[32:33], v[24:25]
	;; [unrolled: 2-line block ×13, first 2 shown]
	v_cndmask_b32_e64 v86, 0, 1, vcc_lo
	s_branch .LBB745_51
.LBB745_46:
	s_mov_b32 s18, 0
                                        ; implicit-def: $sgpr15
                                        ; implicit-def: $vgpr86
                                        ; implicit-def: $vgpr81
                                        ; implicit-def: $vgpr82
                                        ; implicit-def: $vgpr1
                                        ; implicit-def: $vgpr76
                                        ; implicit-def: $vgpr77
                                        ; implicit-def: $vgpr78
                                        ; implicit-def: $vgpr79
                                        ; implicit-def: $vgpr83
                                        ; implicit-def: $vgpr80
                                        ; implicit-def: $vgpr84
                                        ; implicit-def: $vgpr85
                                        ; implicit-def: $vgpr87
                                        ; implicit-def: $vgpr88
	s_cbranch_execnz .LBB745_52
	s_branch .LBB745_60
.LBB745_47:
	s_mov_b32 s18, 0
                                        ; implicit-def: $sgpr15
                                        ; implicit-def: $vgpr86
                                        ; implicit-def: $vgpr81
                                        ; implicit-def: $vgpr82
                                        ; implicit-def: $vgpr1
                                        ; implicit-def: $vgpr76
                                        ; implicit-def: $vgpr77
                                        ; implicit-def: $vgpr78
                                        ; implicit-def: $vgpr79
                                        ; implicit-def: $vgpr83
                                        ; implicit-def: $vgpr80
                                        ; implicit-def: $vgpr84
                                        ; implicit-def: $vgpr85
                                        ; implicit-def: $vgpr87
                                        ; implicit-def: $vgpr88
	s_cbranch_execz .LBB745_51
; %bb.48:
	v_cmp_ne_u64_e64 s0, v[4:5], v[46:47]
	v_cmp_ne_u64_e64 s1, v[46:47], v[8:9]
	v_cmp_ne_u64_e64 s4, v[40:41], v[8:9]
	v_cmp_ne_u64_e64 s5, v[12:13], v[40:41]
	v_cmp_ne_u64_e64 s6, v[12:13], v[38:39]
	v_cmp_ne_u64_e64 s7, v[38:39], v[16:17]
	v_cmp_ne_u64_e64 s8, v[36:37], v[16:17]
	v_cmp_ne_u64_e64 s9, v[20:21], v[36:37]
	v_cmp_ne_u64_e64 s10, v[20:21], v[34:35]
	v_cmp_ne_u64_e64 s11, v[34:35], v[24:25]
	v_cmp_ne_u64_e64 s12, v[32:33], v[24:25]
	v_cmp_ne_u64_e64 s13, v[28:29], v[32:33]
	v_cmp_ne_u64_e64 s14, v[28:29], v[30:31]
	v_lshlrev_b32_e32 v1, 3, v0
	v_cmp_ne_u64_e32 vcc_lo, v[4:5], v[42:43]
                                        ; implicit-def: $sgpr15
	ds_store_b64 v1, v[42:43]
	s_wait_dscnt 0x0
	s_barrier_signal -1
	s_barrier_wait -1
	s_and_saveexec_b32 s27, s3
	s_delay_alu instid0(SALU_CYCLE_1)
	s_xor_b32 s27, exec_lo, s27
	s_cbranch_execz .LBB745_50
; %bb.49:
	v_add_nc_u32_e32 v1, -8, v1
	s_or_b32 s18, s18, exec_lo
	ds_load_b64 v[30:31], v1
	s_wait_dscnt 0x0
	v_cmp_ne_u64_e64 s15, v[30:31], v[26:27]
.LBB745_50:
	s_or_b32 exec_lo, exec_lo, s27
	v_cndmask_b32_e64 v88, 0, 1, s14
	v_cndmask_b32_e64 v87, 0, 1, s13
	;; [unrolled: 1-line block ×13, first 2 shown]
	v_cndmask_b32_e64 v86, 0, 1, vcc_lo
.LBB745_51:
	s_branch .LBB745_60
.LBB745_52:
	s_mov_b64 s[0:1], 0xfffffffffffff100
	v_cmp_ne_u64_e64 s14, v[4:5], v[42:43]
	s_mul_u64 s[16:17], s[16:17], s[0:1]
	v_cmp_ne_u64_e64 s15, v[2:3], v[4:5]
	v_cmp_ne_u64_e64 s12, v[8:9], v[2:3]
	;; [unrolled: 1-line block ×13, first 2 shown]
	v_mad_u32_u24 v30, v0, 15, 14
	v_mad_u32_u24 v60, v0, 15, 13
	v_mad_u32_u24 v58, v0, 15, 12
	v_mad_u32_u24 v56, v0, 15, 11
	v_mad_u32_u24 v54, v0, 15, 10
	v_mad_u32_u24 v52, v0, 15, 9
	v_mad_u32_u24 v50, v0, 15, 8
	v_mad_u32_u24 v48, v0, 15, 7
	v_mad_u32_u24 v46, v0, 15, 6
	v_mad_u32_u24 v40, v0, 15, 5
	v_mad_u32_u24 v38, v0, 15, 4
	v_mad_u32_u24 v36, v0, 15, 3
	v_mad_u32_u24 v34, v0, 15, 2
	v_mad_u32_u24 v32, v0, 15, 1
	s_and_b32 vcc_lo, exec_lo, s26
	s_add_nc_u64 s[26:27], s[16:17], s[36:37]
	s_cbranch_vccz .LBB745_56
; %bb.53:
	global_load_b64 v[44:45], v[44:45], off offset:-8
	v_dual_lshlrev_b32 v1, 3, v0 :: v_dual_mov_b32 v31, 0
	v_mul_u32_u24_e32 v62, 15, v0
	ds_store_b64 v1, v[42:43]
	v_dual_mov_b32 v61, v31 :: v_dual_mov_b32 v59, v31
	v_cmp_gt_u64_e32 vcc_lo, s[26:27], v[30:31]
	v_dual_mov_b32 v57, v31 :: v_dual_mov_b32 v55, v31
	s_delay_alu instid0(VALU_DEP_3) | instskip(SKIP_2) | instid1(VALU_DEP_4)
	v_cmp_gt_u64_e64 s16, s[26:27], v[60:61]
	v_dual_mov_b32 v53, v31 :: v_dual_mov_b32 v51, v31
	v_cmp_gt_u64_e64 s17, s[26:27], v[58:59]
	v_cmp_gt_u64_e64 s18, s[26:27], v[56:57]
	s_and_b32 s36, vcc_lo, s14
	v_cmp_gt_u64_e32 vcc_lo, s[26:27], v[54:55]
	s_and_b32 s37, s16, s15
	v_cmp_gt_u64_e64 s14, s[26:27], v[52:53]
	v_cmp_gt_u64_e64 s15, s[26:27], v[50:51]
	v_dual_mov_b32 v49, v31 :: v_dual_mov_b32 v47, v31
	v_dual_mov_b32 v41, v31 :: v_dual_mov_b32 v39, v31
	;; [unrolled: 1-line block ×3, first 2 shown]
	v_mov_b32_e32 v33, v31
	s_and_b32 s42, s17, s12
	s_and_b32 s18, s18, s13
	s_and_b32 s16, vcc_lo, s9
	s_and_b32 s17, s14, s10
	s_and_b32 s15, s15, s11
	v_cmp_gt_u64_e32 vcc_lo, s[26:27], v[48:49]
	v_cmp_gt_u64_e64 s9, s[26:27], v[46:47]
	v_cmp_gt_u64_e64 s10, s[26:27], v[40:41]
	v_cmp_gt_u64_e64 s11, s[26:27], v[38:39]
	v_cmp_gt_u64_e64 s12, s[26:27], v[36:37]
	v_cmp_gt_u64_e64 s13, s[26:27], v[34:35]
	v_cmp_gt_u64_e64 s14, s[26:27], v[32:33]
	s_and_b32 s0, vcc_lo, s0
	s_and_b32 s1, s9, s1
	s_and_b32 s4, s10, s4
	;; [unrolled: 1-line block ×6, first 2 shown]
	s_wait_loadcnt_dscnt 0x0
	s_barrier_signal -1
	s_barrier_wait -1
	s_and_saveexec_b32 s9, s3
; %bb.54:
	v_add_nc_u32_e32 v1, -8, v1
	ds_load_b64 v[44:45], v1
; %bb.55:
	s_or_b32 exec_lo, exec_lo, s9
	v_mov_b32_e32 v63, v31
	v_cndmask_b32_e64 v79, 0, 1, s0
	s_wait_dscnt 0x0
	v_cmp_ne_u64_e64 s0, v[44:45], v[26:27]
	v_cndmask_b32_e64 v86, 0, 1, s36
	v_cndmask_b32_e64 v81, 0, 1, s37
	v_cmp_gt_u64_e32 vcc_lo, s[26:27], v[62:63]
	v_cndmask_b32_e64 v82, 0, 1, s42
	v_cndmask_b32_e64 v1, 0, 1, s18
	;; [unrolled: 1-line block ×11, first 2 shown]
	s_and_b32 s15, vcc_lo, s0
	s_mov_b32 s18, -1
	s_branch .LBB745_60
.LBB745_56:
                                        ; implicit-def: $sgpr15
                                        ; implicit-def: $vgpr86
                                        ; implicit-def: $vgpr81
                                        ; implicit-def: $vgpr82
                                        ; implicit-def: $vgpr1
                                        ; implicit-def: $vgpr76
                                        ; implicit-def: $vgpr77
                                        ; implicit-def: $vgpr78
                                        ; implicit-def: $vgpr79
                                        ; implicit-def: $vgpr83
                                        ; implicit-def: $vgpr80
                                        ; implicit-def: $vgpr84
                                        ; implicit-def: $vgpr85
                                        ; implicit-def: $vgpr87
                                        ; implicit-def: $vgpr88
	s_cbranch_execz .LBB745_60
; %bb.57:
	v_dual_mov_b32 v31, 0 :: v_dual_lshlrev_b32 v1, 3, v0
	v_cmp_ne_u64_e32 vcc_lo, v[4:5], v[42:43]
	v_cmp_ne_u64_e64 s0, v[2:3], v[4:5]
	v_cmp_ne_u64_e64 s1, v[8:9], v[2:3]
	s_delay_alu instid0(VALU_DEP_4) | instskip(SKIP_2) | instid1(VALU_DEP_3)
	v_dual_mov_b32 v61, v31 :: v_dual_mov_b32 v59, v31
	v_cmp_gt_u64_e64 s5, s[26:27], v[30:31]
	v_dual_mov_b32 v57, v31 :: v_dual_mov_b32 v55, v31
	v_cmp_gt_u64_e64 s6, s[26:27], v[60:61]
	v_dual_mov_b32 v53, v31 :: v_dual_mov_b32 v51, v31
	v_cmp_ne_u64_e64 s4, v[6:7], v[8:9]
	v_cmp_gt_u64_e64 s7, s[26:27], v[58:59]
	v_cmp_gt_u64_e64 s8, s[26:27], v[56:57]
	s_and_b32 s16, s5, vcc_lo
	s_and_b32 s17, s6, s0
	v_cmp_gt_u64_e32 vcc_lo, s[26:27], v[54:55]
	v_cmp_ne_u64_e64 s0, v[12:13], v[6:7]
	v_cmp_gt_u64_e64 s5, s[26:27], v[52:53]
	v_cmp_ne_u64_e64 s6, v[10:11], v[12:13]
	v_cmp_gt_u64_e64 s9, s[26:27], v[50:51]
	v_cmp_ne_u64_e64 s10, v[16:17], v[10:11]
	v_dual_mov_b32 v49, v31 :: v_dual_mov_b32 v47, v31
	v_dual_mov_b32 v41, v31 :: v_dual_mov_b32 v39, v31
	;; [unrolled: 1-line block ×3, first 2 shown]
	v_mov_b32_e32 v33, v31
	s_and_b32 s36, s7, s1
	s_and_b32 s37, s8, s4
	s_and_b32 s42, vcc_lo, s0
	s_and_b32 s43, s5, s6
	s_and_b32 s44, s9, s10
	v_cmp_gt_u64_e32 vcc_lo, s[26:27], v[48:49]
	v_cmp_ne_u64_e64 s0, v[14:15], v[16:17]
	v_cmp_gt_u64_e64 s1, s[26:27], v[46:47]
	v_cmp_ne_u64_e64 s4, v[20:21], v[14:15]
	v_cmp_gt_u64_e64 s5, s[26:27], v[40:41]
	;; [unrolled: 2-line block ×6, first 2 shown]
	v_cmp_ne_u64_e64 s14, v[26:27], v[28:29]
	s_and_b32 s45, vcc_lo, s0
	s_and_b32 s1, s1, s4
	s_and_b32 s4, s5, s6
	;; [unrolled: 1-line block ×6, first 2 shown]
	ds_store_b64 v1, v[42:43]
	s_wait_dscnt 0x0
	s_barrier_signal -1
	s_barrier_wait -1
                                        ; implicit-def: $sgpr15
	s_and_saveexec_b32 s9, s3
	s_cbranch_execz .LBB745_59
; %bb.58:
	v_add_nc_u32_e32 v1, -8, v1
	v_mul_u32_u24_e32 v30, 15, v0
	s_or_b32 s18, s18, exec_lo
	ds_load_b64 v[32:33], v1
	v_cmp_gt_u64_e32 vcc_lo, s[26:27], v[30:31]
	s_wait_dscnt 0x0
	v_cmp_ne_u64_e64 s0, v[32:33], v[26:27]
	s_and_b32 s15, vcc_lo, s0
.LBB745_59:
	s_or_b32 exec_lo, exec_lo, s9
	v_cndmask_b32_e64 v86, 0, 1, s16
	v_cndmask_b32_e64 v81, 0, 1, s17
	;; [unrolled: 1-line block ×14, first 2 shown]
.LBB745_60:
	v_mov_b32_e32 v95, 1
	s_and_saveexec_b32 s0, s18
; %bb.61:
	v_cndmask_b32_e64 v95, 0, 1, s15
; %bb.62:
	s_or_b32 exec_lo, exec_lo, s0
	s_delay_alu instid0(VALU_DEP_1)
	v_add3_u32 v30, v88, v95, v87
	v_cmp_eq_u32_e64 s13, 0, v88
	v_cmp_eq_u32_e64 s12, 0, v87
	;; [unrolled: 1-line block ×4, first 2 shown]
	v_add3_u32 v100, v30, v85, v84
	v_cmp_eq_u32_e64 s9, 0, v80
	v_cmp_eq_u32_e64 s8, 0, v83
	;; [unrolled: 1-line block ×9, first 2 shown]
	v_mbcnt_lo_u32_b32 v97, -1, 0
	v_dual_lshrrev_b32 v98, 5, v0 :: v_dual_bitop2_b32 v99, 31, v0 bitop3:0x54
	s_cmp_eq_u64 s[22:23], 0
	v_cmp_eq_u32_e32 vcc_lo, 0, v86
	s_cselect_b32 s17, -1, 0
	s_cmp_lg_u32 s24, 0
	s_cbranch_scc0 .LBB745_83
; %bb.63:
	v_dual_cndmask_b32 v30, 0, v75, s13 :: v_dual_bitop2_b32 v33, 15, v97 bitop3:0x40
	v_add3_u32 v31, v100, v80, v83
	s_delay_alu instid0(VALU_DEP_2) | instskip(NEXT) | instid1(VALU_DEP_2)
	v_add_nc_u32_e32 v30, v30, v72
	v_add3_u32 v31, v31, v79, v78
	s_delay_alu instid0(VALU_DEP_2) | instskip(NEXT) | instid1(VALU_DEP_2)
	v_cndmask_b32_e64 v30, 0, v30, s12
	v_add3_u32 v31, v31, v77, v76
	s_delay_alu instid0(VALU_DEP_2) | instskip(NEXT) | instid1(VALU_DEP_2)
	v_add_nc_u32_e32 v30, v30, v74
	v_add3_u32 v31, v31, v1, v82
	s_delay_alu instid0(VALU_DEP_1) | instskip(NEXT) | instid1(VALU_DEP_3)
	v_add3_u32 v31, v31, v81, v86
	v_cndmask_b32_e64 v30, 0, v30, s11
	s_delay_alu instid0(VALU_DEP_2) | instskip(NEXT) | instid1(VALU_DEP_2)
	v_mov_b32_dpp v34, v31 row_shr:1 row_mask:0xf bank_mask:0xf
	v_add_nc_u32_e32 v30, v30, v92
	s_delay_alu instid0(VALU_DEP_1) | instskip(NEXT) | instid1(VALU_DEP_1)
	v_cndmask_b32_e64 v30, 0, v30, s10
	v_add_nc_u32_e32 v30, v30, v94
	s_delay_alu instid0(VALU_DEP_1) | instskip(NEXT) | instid1(VALU_DEP_1)
	v_cndmask_b32_e64 v30, 0, v30, s9
	;; [unrolled: 3-line block ×10, first 2 shown]
	v_add_nc_u32_e32 v30, v30, v68
	s_delay_alu instid0(VALU_DEP_1) | instskip(SKIP_1) | instid1(VALU_DEP_2)
	v_cndmask_b32_e32 v30, 0, v30, vcc_lo
	v_cmp_eq_u32_e32 vcc_lo, 0, v31
	v_add_nc_u32_e32 v30, v30, v96
	s_delay_alu instid0(VALU_DEP_1) | instskip(NEXT) | instid1(VALU_DEP_1)
	v_mov_b32_dpp v32, v30 row_shr:1 row_mask:0xf bank_mask:0xf
	v_cndmask_b32_e32 v32, 0, v32, vcc_lo
	v_cmp_eq_u32_e32 vcc_lo, 0, v33
	v_cndmask_b32_e64 v34, v34, 0, vcc_lo
	s_delay_alu instid0(VALU_DEP_3) | instskip(SKIP_1) | instid1(VALU_DEP_2)
	v_cndmask_b32_e64 v32, v32, 0, vcc_lo
	v_cmp_lt_u32_e32 vcc_lo, 1, v33
	v_dual_add_nc_u32 v31, v34, v31 :: v_dual_add_nc_u32 v30, v32, v30
	s_delay_alu instid0(VALU_DEP_1) | instskip(SKIP_1) | instid1(VALU_DEP_3)
	v_mov_b32_dpp v32, v31 row_shr:2 row_mask:0xf bank_mask:0xf
	v_cmp_eq_u32_e64 s14, 0, v31
	v_mov_b32_dpp v34, v30 row_shr:2 row_mask:0xf bank_mask:0xf
	s_delay_alu instid0(VALU_DEP_3) | instskip(SKIP_1) | instid1(VALU_DEP_2)
	v_cndmask_b32_e32 v32, 0, v32, vcc_lo
	s_and_b32 vcc_lo, vcc_lo, s14
	v_cndmask_b32_e32 v34, 0, v34, vcc_lo
	v_cmp_lt_u32_e32 vcc_lo, 3, v33
	s_delay_alu instid0(VALU_DEP_2) | instskip(NEXT) | instid1(VALU_DEP_1)
	v_dual_add_nc_u32 v31, v31, v32 :: v_dual_add_nc_u32 v30, v34, v30
	v_mov_b32_dpp v32, v31 row_shr:4 row_mask:0xf bank_mask:0xf
	v_cmp_eq_u32_e64 s14, 0, v31
	s_delay_alu instid0(VALU_DEP_3) | instskip(NEXT) | instid1(VALU_DEP_3)
	v_mov_b32_dpp v34, v30 row_shr:4 row_mask:0xf bank_mask:0xf
	v_cndmask_b32_e32 v32, 0, v32, vcc_lo
	s_and_b32 vcc_lo, vcc_lo, s14
	s_delay_alu instid0(VALU_DEP_2) | instskip(SKIP_1) | instid1(VALU_DEP_2)
	v_cndmask_b32_e32 v34, 0, v34, vcc_lo
	v_cmp_lt_u32_e32 vcc_lo, 7, v33
	v_dual_add_nc_u32 v31, v32, v31 :: v_dual_add_nc_u32 v30, v30, v34
	v_bfe_i32 v34, v97, 4, 1
	s_delay_alu instid0(VALU_DEP_2) | instskip(SKIP_1) | instid1(VALU_DEP_4)
	v_mov_b32_dpp v32, v31 row_shr:8 row_mask:0xf bank_mask:0xf
	v_cmp_eq_u32_e64 s14, 0, v31
	v_mov_b32_dpp v33, v30 row_shr:8 row_mask:0xf bank_mask:0xf
	s_delay_alu instid0(VALU_DEP_3) | instskip(SKIP_2) | instid1(VALU_DEP_2)
	v_cndmask_b32_e32 v32, 0, v32, vcc_lo
	s_and_b32 vcc_lo, vcc_lo, s14
	s_mov_b32 s14, exec_lo
	v_cndmask_b32_e32 v33, 0, v33, vcc_lo
	s_delay_alu instid0(VALU_DEP_1)
	v_dual_add_nc_u32 v33, v33, v30 :: v_dual_add_nc_u32 v30, v32, v31
	ds_swizzle_b32 v31, v33 offset:swizzle(BROADCAST,32,15)
	ds_swizzle_b32 v32, v30 offset:swizzle(BROADCAST,32,15)
	v_cmp_eq_u32_e32 vcc_lo, 0, v30
	s_wait_dscnt 0x0
	v_dual_cndmask_b32 v31, 0, v31, vcc_lo :: v_dual_bitop2_b32 v32, v34, v32 bitop3:0x40
	s_delay_alu instid0(VALU_DEP_1) | instskip(NEXT) | instid1(VALU_DEP_1)
	v_dual_add_nc_u32 v30, v32, v30 :: v_dual_bitop2_b32 v31, v34, v31 bitop3:0x40
	v_dual_lshlrev_b32 v32, 3, v98 :: v_dual_add_nc_u32 v31, v31, v33
	v_cmpx_eq_u32_e64 v0, v99
; %bb.64:
	ds_store_b64 v32, v[30:31] offset:4112
; %bb.65:
	s_or_b32 exec_lo, exec_lo, s14
	s_delay_alu instid0(SALU_CYCLE_1)
	s_mov_b32 s15, exec_lo
	s_wait_dscnt 0x0
	s_barrier_signal -1
	s_barrier_wait -1
	v_cmpx_gt_u32_e32 8, v0
	s_cbranch_execz .LBB745_67
; %bb.66:
	v_dual_lshlrev_b32 v33, 3, v0 :: v_dual_bitop2_b32 v37, 7, v97 bitop3:0x40
	ds_load_b64 v[34:35], v33 offset:4112
	s_wait_dscnt 0x0
	v_mov_b32_dpp v36, v35 row_shr:1 row_mask:0xf bank_mask:0xf
	v_cmp_eq_u32_e32 vcc_lo, 0, v34
	v_mov_b32_dpp v38, v34 row_shr:1 row_mask:0xf bank_mask:0xf
	s_delay_alu instid0(VALU_DEP_3) | instskip(SKIP_1) | instid1(VALU_DEP_3)
	v_cndmask_b32_e32 v36, 0, v36, vcc_lo
	v_cmp_eq_u32_e32 vcc_lo, 0, v37
	v_cndmask_b32_e64 v38, v38, 0, vcc_lo
	s_delay_alu instid0(VALU_DEP_1) | instskip(NEXT) | instid1(VALU_DEP_4)
	v_add_nc_u32_e32 v34, v38, v34
	v_cndmask_b32_e64 v36, v36, 0, vcc_lo
	v_cmp_lt_u32_e32 vcc_lo, 1, v37
	s_delay_alu instid0(VALU_DEP_3) | instskip(NEXT) | instid1(VALU_DEP_3)
	v_cmp_eq_u32_e64 s14, 0, v34
	v_add_nc_u32_e32 v35, v36, v35
	v_mov_b32_dpp v36, v34 row_shr:2 row_mask:0xf bank_mask:0xf
	s_delay_alu instid0(VALU_DEP_1) | instskip(NEXT) | instid1(VALU_DEP_3)
	v_cndmask_b32_e32 v36, 0, v36, vcc_lo
	v_mov_b32_dpp v38, v35 row_shr:2 row_mask:0xf bank_mask:0xf
	s_and_b32 vcc_lo, vcc_lo, s14
	s_delay_alu instid0(VALU_DEP_2) | instskip(NEXT) | instid1(VALU_DEP_1)
	v_add_nc_u32_e32 v34, v36, v34
	v_mov_b32_dpp v36, v34 row_shr:4 row_mask:0xf bank_mask:0xf
	s_delay_alu instid0(VALU_DEP_3) | instskip(SKIP_1) | instid1(VALU_DEP_2)
	v_cndmask_b32_e32 v38, 0, v38, vcc_lo
	v_cmp_lt_u32_e32 vcc_lo, 3, v37
	v_dual_cndmask_b32 v36, 0, v36 :: v_dual_add_nc_u32 v35, v38, v35
	v_cmp_eq_u32_e64 s14, 0, v34
	s_delay_alu instid0(VALU_DEP_2) | instskip(NEXT) | instid1(VALU_DEP_3)
	v_add_nc_u32_e32 v34, v36, v34
	v_mov_b32_dpp v37, v35 row_shr:4 row_mask:0xf bank_mask:0xf
	s_and_b32 vcc_lo, vcc_lo, s14
	s_delay_alu instid0(VALU_DEP_1) | instskip(NEXT) | instid1(VALU_DEP_1)
	v_cndmask_b32_e32 v37, 0, v37, vcc_lo
	v_add_nc_u32_e32 v35, v37, v35
	ds_store_b64 v33, v[34:35] offset:4112
.LBB745_67:
	s_or_b32 exec_lo, exec_lo, s15
	v_dual_mov_b32 v38, 0 :: v_dual_mov_b32 v39, 0
	s_mov_b32 s15, exec_lo
	v_cmp_gt_u32_e32 vcc_lo, 32, v0
	s_wait_dscnt 0x0
	s_barrier_signal -1
	s_barrier_wait -1
	v_cmpx_lt_u32_e32 31, v0
	s_cbranch_execz .LBB745_69
; %bb.68:
	ds_load_b64 v[38:39], v32 offset:4104
	v_cmp_eq_u32_e64 s14, 0, v30
	s_wait_dscnt 0x0
	s_delay_alu instid0(VALU_DEP_1) | instskip(NEXT) | instid1(VALU_DEP_1)
	v_dual_cndmask_b32 v32, 0, v39, s14 :: v_dual_add_nc_u32 v30, v38, v30
	v_add_nc_u32_e32 v31, v32, v31
.LBB745_69:
	s_or_b32 exec_lo, exec_lo, s15
	v_sub_co_u32 v32, s14, v97, 1
	s_delay_alu instid0(VALU_DEP_1) | instskip(NEXT) | instid1(VALU_DEP_1)
	v_cmp_gt_i32_e64 s15, 0, v32
	v_cndmask_b32_e64 v32, v32, v97, s15
	s_delay_alu instid0(VALU_DEP_1)
	v_lshlrev_b32_e32 v32, 2, v32
	ds_bpermute_b32 v46, v32, v30
	ds_bpermute_b32 v47, v32, v31
	s_and_saveexec_b32 s18, vcc_lo
	s_cbranch_execz .LBB745_88
; %bb.70:
	v_mov_b32_e32 v33, 0
	ds_load_b64 v[30:31], v33 offset:4168
	s_and_saveexec_b32 s15, s14
	s_cbranch_execz .LBB745_72
; %bb.71:
	s_add_co_i32 s22, s24, 32
	s_mov_b32 s23, 0
	v_mov_b32_e32 v32, 1
	s_lshl_b64 s[22:23], s[22:23], 4
	s_delay_alu instid0(SALU_CYCLE_1) | instskip(NEXT) | instid1(SALU_CYCLE_1)
	s_add_nc_u64 s[22:23], s[20:21], s[22:23]
	v_mov_b64_e32 v[34:35], s[22:23]
	s_wait_dscnt 0x0
	;;#ASMSTART
	global_store_b128 v[34:35], v[30:33] off scope:SCOPE_DEV	
s_wait_storecnt 0x0
	;;#ASMEND
.LBB745_72:
	s_or_b32 exec_lo, exec_lo, s15
	v_xad_u32 v40, v97, -1, s24
	s_mov_b32 s16, 0
	s_mov_b32 s15, exec_lo
	s_delay_alu instid0(VALU_DEP_1) | instskip(NEXT) | instid1(VALU_DEP_1)
	v_add_nc_u32_e32 v32, 32, v40
	v_lshl_add_u64 v[32:33], v[32:33], 4, s[20:21]
	;;#ASMSTART
	global_load_b128 v[34:37], v[32:33] off scope:SCOPE_DEV	
s_wait_loadcnt 0x0
	;;#ASMEND
	v_and_b32_e32 v37, 0xff, v36
	s_delay_alu instid0(VALU_DEP_1)
	v_cmpx_eq_u16_e32 0, v37
	s_cbranch_execz .LBB745_75
.LBB745_73:                             ; =>This Inner Loop Header: Depth=1
	;;#ASMSTART
	global_load_b128 v[34:37], v[32:33] off scope:SCOPE_DEV	
s_wait_loadcnt 0x0
	;;#ASMEND
	v_and_b32_e32 v37, 0xff, v36
	s_delay_alu instid0(VALU_DEP_1) | instskip(SKIP_1) | instid1(SALU_CYCLE_1)
	v_cmp_ne_u16_e32 vcc_lo, 0, v37
	s_or_b32 s16, vcc_lo, s16
	s_and_not1_b32 exec_lo, exec_lo, s16
	s_cbranch_execnz .LBB745_73
; %bb.74:
	s_or_b32 exec_lo, exec_lo, s16
.LBB745_75:
	s_delay_alu instid0(SALU_CYCLE_1)
	s_or_b32 exec_lo, exec_lo, s15
	v_cmp_ne_u32_e32 vcc_lo, 31, v97
	v_lshlrev_b32_e64 v49, v97, -1
	v_cmp_gt_u32_e64 s16, 30, v97
	v_lshl_or_b32 v56, v97, 2, 64
	v_add_nc_u32_e32 v51, 2, v97
	v_add_co_ci_u32_e64 v32, null, 0, v97, vcc_lo
	s_delay_alu instid0(VALU_DEP_4) | instskip(SKIP_1) | instid1(VALU_DEP_3)
	v_cndmask_b32_e64 v41, 0, 2, s16
	v_dual_add_nc_u32 v53, 4, v97 :: v_dual_add_nc_u32 v55, 8, v97
	v_lshlrev_b32_e32 v48, 2, v32
	v_and_b32_e32 v32, 0xff, v36
	s_delay_alu instid0(VALU_DEP_4)
	v_add_lshl_u32 v50, v41, v97, 2
	v_add_nc_u32_e32 v57, 16, v97
	ds_bpermute_b32 v33, v48, v34
	v_cmp_eq_u16_e32 vcc_lo, 2, v32
	v_and_or_b32 v37, vcc_lo, v49, 0x80000000
	v_cmp_eq_u32_e32 vcc_lo, 0, v34
	s_delay_alu instid0(VALU_DEP_2) | instskip(NEXT) | instid1(VALU_DEP_1)
	v_ctz_i32_b32_e32 v37, v37
	v_cmp_lt_u32_e64 s15, v97, v37
	s_wait_dscnt 0x0
	s_delay_alu instid0(VALU_DEP_1) | instskip(SKIP_4) | instid1(VALU_DEP_1)
	v_cndmask_b32_e64 v33, 0, v33, s15
	ds_bpermute_b32 v32, v48, v35
	s_and_b32 vcc_lo, s15, vcc_lo
	s_wait_dscnt 0x0
	v_dual_cndmask_b32 v32, 0, v32 :: v_dual_add_nc_u32 v33, v33, v34
	v_cmp_eq_u32_e32 vcc_lo, 0, v33
	s_delay_alu instid0(VALU_DEP_2)
	v_add_nc_u32_e32 v32, v32, v35
	ds_bpermute_b32 v35, v50, v32
	s_wait_dscnt 0x0
	v_cndmask_b32_e32 v34, 0, v35, vcc_lo
	ds_bpermute_b32 v35, v50, v33
	v_cmp_gt_u32_e32 vcc_lo, 28, v97
	v_cndmask_b32_e64 v41, 0, 4, vcc_lo
	v_cmp_gt_u32_e32 vcc_lo, v51, v37
	s_delay_alu instid0(VALU_DEP_2) | instskip(SKIP_2) | instid1(VALU_DEP_1)
	v_add_lshl_u32 v52, v41, v97, 2
	s_wait_dscnt 0x0
	v_cndmask_b32_e64 v35, v35, 0, vcc_lo
	v_add_nc_u32_e32 v33, v33, v35
	v_cndmask_b32_e64 v34, v34, 0, vcc_lo
	ds_bpermute_b32 v35, v52, v33
	v_add_nc_u32_e32 v32, v34, v32
	v_cmp_eq_u32_e32 vcc_lo, 0, v33
	ds_bpermute_b32 v34, v52, v32
	s_wait_dscnt 0x0
	v_cndmask_b32_e32 v34, 0, v34, vcc_lo
	v_cmp_gt_u32_e32 vcc_lo, 24, v97
	v_cndmask_b32_e64 v41, 0, 8, vcc_lo
	v_cmp_gt_u32_e32 vcc_lo, v53, v37
	s_delay_alu instid0(VALU_DEP_2) | instskip(SKIP_1) | instid1(VALU_DEP_1)
	v_add_lshl_u32 v54, v41, v97, 2
	v_cndmask_b32_e64 v35, v35, 0, vcc_lo
	v_dual_mov_b32 v41, 0 :: v_dual_add_nc_u32 v33, v33, v35
	v_cndmask_b32_e64 v34, v34, 0, vcc_lo
	ds_bpermute_b32 v35, v54, v33
	v_add_nc_u32_e32 v32, v32, v34
	v_cmp_eq_u32_e32 vcc_lo, 0, v33
	ds_bpermute_b32 v34, v54, v32
	s_wait_dscnt 0x0
	v_cndmask_b32_e32 v34, 0, v34, vcc_lo
	v_cmp_gt_u32_e32 vcc_lo, v55, v37
	s_delay_alu instid0(VALU_DEP_2) | instskip(NEXT) | instid1(VALU_DEP_1)
	v_cndmask_b32_e64 v34, v34, 0, vcc_lo
	v_add_nc_u32_e32 v32, v32, v34
	v_cndmask_b32_e64 v34, v35, 0, vcc_lo
	s_delay_alu instid0(VALU_DEP_1)
	v_add_nc_u32_e32 v33, v33, v34
	ds_bpermute_b32 v35, v56, v32
	ds_bpermute_b32 v34, v56, v33
	v_cmp_eq_u32_e32 vcc_lo, 0, v33
	s_wait_dscnt 0x1
	v_cndmask_b32_e32 v35, 0, v35, vcc_lo
	v_cmp_gt_u32_e32 vcc_lo, v57, v37
	s_wait_dscnt 0x0
	v_cndmask_b32_e64 v34, v34, 0, vcc_lo
	s_delay_alu instid0(VALU_DEP_1) | instskip(SKIP_1) | instid1(VALU_DEP_1)
	v_add_nc_u32_e32 v34, v34, v33
	v_cndmask_b32_e64 v35, v35, 0, vcc_lo
	v_add_nc_u32_e32 v35, v35, v32
	s_branch .LBB745_79
.LBB745_76:                             ;   in Loop: Header=BB745_79 Depth=1
	s_or_b32 exec_lo, exec_lo, s16
.LBB745_77:                             ;   in Loop: Header=BB745_79 Depth=1
	s_delay_alu instid0(SALU_CYCLE_1)
	s_or_b32 exec_lo, exec_lo, s15
	v_and_b32_e32 v37, 0xff, v36
	ds_bpermute_b32 v44, v48, v34
	v_subrev_nc_u32_e32 v40, 32, v40
	v_cmp_eq_u16_e32 vcc_lo, 2, v37
	ds_bpermute_b32 v37, v48, v35
	v_and_or_b32 v45, vcc_lo, v49, 0x80000000
	v_cmp_eq_u32_e32 vcc_lo, 0, v34
	s_delay_alu instid0(VALU_DEP_2) | instskip(NEXT) | instid1(VALU_DEP_1)
	v_ctz_i32_b32_e32 v45, v45
	v_cmp_lt_u32_e64 s15, v97, v45
	s_and_b32 vcc_lo, s15, vcc_lo
	s_wait_dscnt 0x0
	v_dual_cndmask_b32 v44, 0, v44, s15 :: v_dual_cndmask_b32 v37, 0, v37, vcc_lo
	s_mov_b32 s15, 0
	s_delay_alu instid0(VALU_DEP_1)
	v_dual_add_nc_u32 v34, v44, v34 :: v_dual_add_nc_u32 v35, v37, v35
	ds_bpermute_b32 v44, v50, v34
	ds_bpermute_b32 v37, v50, v35
	v_cmp_eq_u32_e32 vcc_lo, 0, v34
	s_wait_dscnt 0x0
	v_cndmask_b32_e32 v37, 0, v37, vcc_lo
	v_cmp_gt_u32_e32 vcc_lo, v51, v45
	v_cndmask_b32_e64 v44, v44, 0, vcc_lo
	s_delay_alu instid0(VALU_DEP_1) | instskip(NEXT) | instid1(VALU_DEP_4)
	v_add_nc_u32_e32 v34, v34, v44
	v_cndmask_b32_e64 v37, v37, 0, vcc_lo
	s_delay_alu instid0(VALU_DEP_2) | instskip(NEXT) | instid1(VALU_DEP_2)
	v_cmp_eq_u32_e32 vcc_lo, 0, v34
	v_add_nc_u32_e32 v35, v37, v35
	ds_bpermute_b32 v44, v52, v34
	ds_bpermute_b32 v37, v52, v35
	s_wait_dscnt 0x0
	v_cndmask_b32_e32 v37, 0, v37, vcc_lo
	v_cmp_gt_u32_e32 vcc_lo, v53, v45
	s_delay_alu instid0(VALU_DEP_2) | instskip(SKIP_1) | instid1(VALU_DEP_1)
	v_cndmask_b32_e64 v37, v37, 0, vcc_lo
	v_cndmask_b32_e64 v44, v44, 0, vcc_lo
	v_dual_add_nc_u32 v35, v35, v37 :: v_dual_add_nc_u32 v34, v34, v44
	ds_bpermute_b32 v37, v54, v35
	ds_bpermute_b32 v44, v54, v34
	v_cmp_eq_u32_e32 vcc_lo, 0, v34
	s_wait_dscnt 0x1
	v_cndmask_b32_e32 v37, 0, v37, vcc_lo
	v_cmp_gt_u32_e32 vcc_lo, v55, v45
	s_wait_dscnt 0x0
	v_cndmask_b32_e64 v44, v44, 0, vcc_lo
	s_delay_alu instid0(VALU_DEP_1) | instskip(SKIP_1) | instid1(VALU_DEP_2)
	v_add_nc_u32_e32 v34, v34, v44
	v_cndmask_b32_e64 v37, v37, 0, vcc_lo
	v_cmp_eq_u32_e32 vcc_lo, 0, v34
	s_delay_alu instid0(VALU_DEP_2)
	v_add_nc_u32_e32 v35, v35, v37
	ds_bpermute_b32 v44, v56, v34
	ds_bpermute_b32 v37, v56, v35
	s_wait_dscnt 0x0
	v_cndmask_b32_e32 v37, 0, v37, vcc_lo
	v_cmp_gt_u32_e32 vcc_lo, v57, v45
	s_delay_alu instid0(VALU_DEP_2) | instskip(NEXT) | instid1(VALU_DEP_1)
	v_cndmask_b32_e64 v37, v37, 0, vcc_lo
	v_add_nc_u32_e32 v35, v37, v35
	v_cndmask_b32_e64 v37, v44, 0, vcc_lo
	v_cmp_eq_u32_e32 vcc_lo, 0, v32
	s_delay_alu instid0(VALU_DEP_2) | instskip(NEXT) | instid1(VALU_DEP_4)
	v_add3_u32 v34, v34, v32, v37
	v_cndmask_b32_e32 v35, 0, v35, vcc_lo
	s_delay_alu instid0(VALU_DEP_1)
	v_add_nc_u32_e32 v35, v35, v33
.LBB745_78:                             ;   in Loop: Header=BB745_79 Depth=1
	s_and_b32 vcc_lo, exec_lo, s15
	s_cbranch_vccnz .LBB745_84
.LBB745_79:                             ; =>This Loop Header: Depth=1
                                        ;     Child Loop BB745_82 Depth 2
	v_and_b32_e32 v32, 0xff, v36
	s_delay_alu instid0(VALU_DEP_2) | instskip(SKIP_1) | instid1(VALU_DEP_2)
	v_mov_b32_e32 v33, v35
	s_mov_b32 s15, -1
                                        ; implicit-def: $vgpr35
                                        ; implicit-def: $vgpr36
	v_cmp_ne_u16_e32 vcc_lo, 2, v32
	v_mov_b32_e32 v32, v34
                                        ; implicit-def: $vgpr34
	s_cmp_lg_u32 vcc_lo, exec_lo
	s_cbranch_scc1 .LBB745_78
; %bb.80:                               ;   in Loop: Header=BB745_79 Depth=1
	v_lshl_add_u64 v[44:45], v[40:41], 4, s[20:21]
	;;#ASMSTART
	global_load_b128 v[34:37], v[44:45] off scope:SCOPE_DEV	
s_wait_loadcnt 0x0
	;;#ASMEND
	v_and_b32_e32 v37, 0xff, v36
	s_mov_b32 s15, exec_lo
	s_delay_alu instid0(VALU_DEP_1)
	v_cmpx_eq_u16_e32 0, v37
	s_cbranch_execz .LBB745_77
; %bb.81:                               ;   in Loop: Header=BB745_79 Depth=1
	s_mov_b32 s16, 0
.LBB745_82:                             ;   Parent Loop BB745_79 Depth=1
                                        ; =>  This Inner Loop Header: Depth=2
	;;#ASMSTART
	global_load_b128 v[34:37], v[44:45] off scope:SCOPE_DEV	
s_wait_loadcnt 0x0
	;;#ASMEND
	v_and_b32_e32 v37, 0xff, v36
	s_delay_alu instid0(VALU_DEP_1) | instskip(SKIP_1) | instid1(SALU_CYCLE_1)
	v_cmp_ne_u16_e32 vcc_lo, 0, v37
	s_or_b32 s16, vcc_lo, s16
	s_and_not1_b32 exec_lo, exec_lo, s16
	s_cbranch_execnz .LBB745_82
	s_branch .LBB745_76
.LBB745_83:
                                        ; implicit-def: $vgpr30
                                        ; implicit-def: $vgpr34
                                        ; implicit-def: $vgpr36_vgpr37
                                        ; implicit-def: $vgpr44_vgpr45
                                        ; implicit-def: $vgpr50_vgpr51
                                        ; implicit-def: $vgpr46_vgpr47
                                        ; implicit-def: $vgpr62_vgpr63
                                        ; implicit-def: $vgpr66_vgpr67
                                        ; implicit-def: $vgpr64_vgpr65
                                        ; implicit-def: $vgpr60_vgpr61
                                        ; implicit-def: $vgpr56_vgpr57
                                        ; implicit-def: $vgpr52_vgpr53
                                        ; implicit-def: $vgpr48_vgpr49
                                        ; implicit-def: $vgpr54_vgpr55
                                        ; implicit-def: $vgpr58_vgpr59
                                        ; implicit-def: $vgpr38_vgpr39
                                        ; implicit-def: $vgpr40_vgpr41
	s_cbranch_execnz .LBB745_89
	s_branch .LBB745_100
.LBB745_84:
	s_and_saveexec_b32 s15, s14
	s_cbranch_execz .LBB745_86
; %bb.85:
	v_cmp_eq_u32_e32 vcc_lo, 0, v30
	s_mov_b32 s23, 0
	s_add_co_i32 s22, s24, 32
	v_mov_b32_e32 v37, 0
	s_lshl_b64 s[22:23], s[22:23], 4
	v_dual_cndmask_b32 v35, 0, v33 :: v_dual_add_nc_u32 v34, v32, v30
	s_add_nc_u64 s[22:23], s[20:21], s[22:23]
	v_mov_b32_e32 v36, 2
	v_mov_b64_e32 v[40:41], s[22:23]
	s_delay_alu instid0(VALU_DEP_3)
	v_add_nc_u32_e32 v35, v35, v31
	;;#ASMSTART
	global_store_b128 v[40:41], v[34:37] off scope:SCOPE_DEV	
s_wait_storecnt 0x0
	;;#ASMEND
	ds_store_b128 v37, v[30:33] offset:4096
.LBB745_86:
	s_or_b32 exec_lo, exec_lo, s15
	s_delay_alu instid0(SALU_CYCLE_1)
	s_and_b32 exec_lo, exec_lo, s2
; %bb.87:
	v_mov_b32_e32 v30, 0
	ds_store_b64 v30, v[32:33] offset:4168
.LBB745_88:
	s_or_b32 exec_lo, exec_lo, s18
	s_wait_dscnt 0x1
	v_dual_mov_b32 v32, 0 :: v_dual_cndmask_b32 v33, v46, v38, s14
	s_wait_dscnt 0x0
	s_barrier_signal -1
	s_barrier_wait -1
	ds_load_b64 v[30:31], v32 offset:4168
	v_cmp_eq_u32_e32 vcc_lo, 0, v33
	v_cndmask_b32_e64 v34, v47, v39, s14
	s_wait_dscnt 0x0
	s_barrier_signal -1
	s_barrier_wait -1
	v_cndmask_b32_e32 v35, 0, v31, vcc_lo
	v_cmp_eq_u32_e32 vcc_lo, 0, v95
	s_delay_alu instid0(VALU_DEP_2) | instskip(NEXT) | instid1(VALU_DEP_1)
	v_add_nc_u32_e32 v34, v35, v34
	v_cndmask_b32_e64 v63, v34, v31, s2
	s_delay_alu instid0(VALU_DEP_1) | instskip(NEXT) | instid1(VALU_DEP_1)
	v_cndmask_b32_e32 v31, 0, v63, vcc_lo
	v_add_nc_u32_e32 v67, v31, v75
	s_delay_alu instid0(VALU_DEP_1) | instskip(NEXT) | instid1(VALU_DEP_1)
	v_cndmask_b32_e64 v31, 0, v67, s13
	v_add_nc_u32_e32 v65, v31, v72
	s_delay_alu instid0(VALU_DEP_1) | instskip(NEXT) | instid1(VALU_DEP_1)
	v_cndmask_b32_e64 v31, 0, v65, s12
	;; [unrolled: 3-line block ×5, first 2 shown]
	v_add_nc_u32_e32 v49, v31, v90
	v_cndmask_b32_e64 v31, v33, 0, s2
	s_delay_alu instid0(VALU_DEP_1) | instskip(NEXT) | instid1(VALU_DEP_1)
	v_dual_cndmask_b32 v33, 0, v49, s8 :: v_dual_add_nc_u32 v62, v30, v31
	v_dual_add_nc_u32 v55, v33, v89 :: v_dual_add_nc_u32 v66, v62, v95
	s_delay_alu instid0(VALU_DEP_1) | instskip(NEXT) | instid1(VALU_DEP_1)
	v_dual_cndmask_b32 v30, 0, v55, s7 :: v_dual_add_nc_u32 v64, v66, v88
	v_dual_add_nc_u32 v59, v30, v93 :: v_dual_add_nc_u32 v60, v64, v87
	s_delay_alu instid0(VALU_DEP_1) | instskip(NEXT) | instid1(VALU_DEP_1)
	v_dual_cndmask_b32 v30, 0, v59, s6 :: v_dual_add_nc_u32 v56, v60, v85
	v_dual_add_nc_u32 v39, v30, v91 :: v_dual_add_nc_u32 v52, v56, v84
	s_delay_alu instid0(VALU_DEP_1) | instskip(NEXT) | instid1(VALU_DEP_1)
	v_dual_cndmask_b32 v30, 0, v39, s5 :: v_dual_add_nc_u32 v48, v52, v80
	v_dual_add_nc_u32 v41, v30, v73 :: v_dual_add_nc_u32 v54, v48, v83
	s_delay_alu instid0(VALU_DEP_1) | instskip(NEXT) | instid1(VALU_DEP_1)
	v_dual_cndmask_b32 v30, 0, v41, s4 :: v_dual_add_nc_u32 v58, v54, v79
	v_add_nc_u32_e32 v38, v58, v78
	s_delay_alu instid0(VALU_DEP_1) | instskip(NEXT) | instid1(VALU_DEP_3)
	v_add_nc_u32_e32 v40, v38, v77
	v_add_nc_u32_e32 v47, v30, v71
	ds_load_b128 v[30:33], v32 offset:4096
	v_dual_add_nc_u32 v46, v40, v76 :: v_dual_cndmask_b32 v34, 0, v47, s3
	s_delay_alu instid0(VALU_DEP_1) | instskip(NEXT) | instid1(VALU_DEP_1)
	v_add_nc_u32_e32 v51, v34, v70
	v_cndmask_b32_e64 v34, 0, v51, s1
	s_delay_alu instid0(VALU_DEP_1) | instskip(SKIP_2) | instid1(VALU_DEP_2)
	v_add_nc_u32_e32 v45, v34, v69
	s_wait_dscnt 0x0
	v_cmp_eq_u32_e32 vcc_lo, 0, v30
	v_cndmask_b32_e64 v34, 0, v45, s0
	v_cndmask_b32_e32 v33, 0, v33, vcc_lo
	s_delay_alu instid0(VALU_DEP_2) | instskip(NEXT) | instid1(VALU_DEP_2)
	v_add_nc_u32_e32 v37, v34, v68
	v_dual_add_nc_u32 v50, v46, v1 :: v_dual_add_nc_u32 v34, v33, v31
	s_delay_alu instid0(VALU_DEP_1) | instskip(NEXT) | instid1(VALU_DEP_1)
	v_add_nc_u32_e32 v44, v50, v82
	v_add_nc_u32_e32 v36, v44, v81
	s_branch .LBB745_100
.LBB745_89:
	s_cmp_eq_u64 s[40:41], 0
	v_mov_b32_e32 v34, v75
	s_cselect_b32 s0, -1, 0
	s_delay_alu instid0(SALU_CYCLE_1) | instskip(NEXT) | instid1(SALU_CYCLE_1)
	s_or_b32 s0, s17, s0
	s_and_b32 vcc_lo, exec_lo, s0
	s_cbranch_vccnz .LBB745_91
; %bb.90:
	v_mov_b32_e32 v30, 0
	global_load_b32 v34, v30, s[40:41]
.LBB745_91:
	v_add3_u32 v31, v100, v80, v83
	v_cmp_eq_u32_e64 s7, 0, v88
	v_cmp_eq_u32_e64 s8, 0, v87
	;; [unrolled: 1-line block ×4, first 2 shown]
	v_add3_u32 v31, v31, v79, v78
	s_wait_xcnt 0x0
	v_dual_cndmask_b32 v30, 0, v75, s7 :: v_dual_bitop2_b32 v33, 15, v97 bitop3:0x40
	v_cmp_eq_u32_e64 s11, 0, v80
	v_cmp_eq_u32_e64 s12, 0, v83
	v_add3_u32 v31, v31, v77, v76
	v_cmp_eq_u32_e64 s6, 0, v79
	v_cmp_eq_u32_e64 s5, 0, v78
	;; [unrolled: 1-line block ×4, first 2 shown]
	v_add3_u32 v31, v31, v1, v82
	v_cmp_eq_u32_e64 s1, 0, v1
	v_cmp_eq_u32_e32 vcc_lo, 0, v82
	v_cmp_eq_u32_e64 s0, 0, v81
	v_cmp_eq_u32_e64 s13, 0, v86
	v_add3_u32 v31, v31, v81, v86
	v_add_nc_u32_e32 v30, v30, v72
	s_delay_alu instid0(VALU_DEP_2) | instskip(NEXT) | instid1(VALU_DEP_2)
	v_mov_b32_dpp v35, v31 row_shr:1 row_mask:0xf bank_mask:0xf
	v_cndmask_b32_e64 v30, 0, v30, s8
	s_delay_alu instid0(VALU_DEP_1) | instskip(NEXT) | instid1(VALU_DEP_1)
	v_add_nc_u32_e32 v30, v30, v74
	v_cndmask_b32_e64 v30, 0, v30, s9
	s_delay_alu instid0(VALU_DEP_1) | instskip(NEXT) | instid1(VALU_DEP_1)
	v_add_nc_u32_e32 v30, v30, v92
	;; [unrolled: 3-line block ×10, first 2 shown]
	v_cndmask_b32_e32 v30, 0, v30, vcc_lo
	s_delay_alu instid0(VALU_DEP_1) | instskip(NEXT) | instid1(VALU_DEP_1)
	v_add_nc_u32_e32 v30, v30, v69
	v_cndmask_b32_e64 v30, 0, v30, s0
	s_delay_alu instid0(VALU_DEP_1) | instskip(NEXT) | instid1(VALU_DEP_1)
	v_add_nc_u32_e32 v30, v30, v68
	v_cndmask_b32_e64 v30, 0, v30, s13
	v_cmp_eq_u32_e64 s13, 0, v31
	s_delay_alu instid0(VALU_DEP_2) | instskip(NEXT) | instid1(VALU_DEP_1)
	v_add_nc_u32_e32 v30, v30, v96
	v_mov_b32_dpp v32, v30 row_shr:1 row_mask:0xf bank_mask:0xf
	s_delay_alu instid0(VALU_DEP_1) | instskip(SKIP_1) | instid1(VALU_DEP_1)
	v_cndmask_b32_e64 v32, 0, v32, s13
	v_cmp_eq_u32_e64 s13, 0, v33
	v_cndmask_b32_e64 v35, v35, 0, s13
	s_delay_alu instid0(VALU_DEP_3) | instskip(SKIP_1) | instid1(VALU_DEP_2)
	v_cndmask_b32_e64 v32, v32, 0, s13
	v_cmp_lt_u32_e64 s13, 1, v33
	v_dual_add_nc_u32 v31, v35, v31 :: v_dual_add_nc_u32 v30, v32, v30
	s_delay_alu instid0(VALU_DEP_1) | instskip(SKIP_1) | instid1(VALU_DEP_3)
	v_mov_b32_dpp v32, v31 row_shr:2 row_mask:0xf bank_mask:0xf
	v_cmp_eq_u32_e64 s14, 0, v31
	v_mov_b32_dpp v35, v30 row_shr:2 row_mask:0xf bank_mask:0xf
	s_delay_alu instid0(VALU_DEP_3)
	v_cndmask_b32_e64 v32, 0, v32, s13
	s_and_b32 s13, s13, s14
	s_delay_alu instid0(VALU_DEP_2) | instid1(SALU_CYCLE_1)
	v_cndmask_b32_e64 v35, 0, v35, s13
	v_cmp_lt_u32_e64 s13, 3, v33
	s_delay_alu instid0(VALU_DEP_3) | instskip(NEXT) | instid1(VALU_DEP_3)
	v_add_nc_u32_e32 v31, v31, v32
	v_add_nc_u32_e32 v30, v35, v30
	s_delay_alu instid0(VALU_DEP_2) | instskip(SKIP_1) | instid1(VALU_DEP_3)
	v_mov_b32_dpp v32, v31 row_shr:4 row_mask:0xf bank_mask:0xf
	v_cmp_eq_u32_e64 s14, 0, v31
	v_mov_b32_dpp v35, v30 row_shr:4 row_mask:0xf bank_mask:0xf
	s_delay_alu instid0(VALU_DEP_3)
	v_cndmask_b32_e64 v32, 0, v32, s13
	s_and_b32 s13, s13, s14
	s_delay_alu instid0(VALU_DEP_2) | instid1(SALU_CYCLE_1)
	v_cndmask_b32_e64 v35, 0, v35, s13
	v_cmp_lt_u32_e64 s13, 7, v33
	s_delay_alu instid0(VALU_DEP_3) | instskip(NEXT) | instid1(VALU_DEP_3)
	v_add_nc_u32_e32 v31, v32, v31
	v_add_nc_u32_e32 v30, v30, v35
	v_bfe_i32 v35, v97, 4, 1
	s_delay_alu instid0(VALU_DEP_3) | instskip(SKIP_1) | instid1(VALU_DEP_4)
	v_mov_b32_dpp v32, v31 row_shr:8 row_mask:0xf bank_mask:0xf
	v_cmp_eq_u32_e64 s14, 0, v31
	v_mov_b32_dpp v33, v30 row_shr:8 row_mask:0xf bank_mask:0xf
	s_delay_alu instid0(VALU_DEP_3) | instskip(SKIP_2) | instid1(VALU_DEP_2)
	v_cndmask_b32_e64 v32, 0, v32, s13
	s_and_b32 s13, s13, s14
	s_mov_b32 s14, exec_lo
	v_cndmask_b32_e64 v33, 0, v33, s13
	s_delay_alu instid0(VALU_DEP_1) | instskip(SKIP_4) | instid1(VALU_DEP_1)
	v_dual_add_nc_u32 v33, v33, v30 :: v_dual_add_nc_u32 v30, v32, v31
	ds_swizzle_b32 v31, v33 offset:swizzle(BROADCAST,32,15)
	ds_swizzle_b32 v32, v30 offset:swizzle(BROADCAST,32,15)
	v_cmp_eq_u32_e64 s13, 0, v30
	s_wait_dscnt 0x0
	v_dual_cndmask_b32 v31, 0, v31, s13 :: v_dual_bitop2_b32 v32, v35, v32 bitop3:0x40
	s_delay_alu instid0(VALU_DEP_1) | instskip(NEXT) | instid1(VALU_DEP_1)
	v_dual_add_nc_u32 v30, v32, v30 :: v_dual_bitop2_b32 v31, v35, v31 bitop3:0x40
	v_dual_add_nc_u32 v31, v31, v33 :: v_dual_lshlrev_b32 v33, 3, v98
	v_cmpx_eq_u32_e64 v0, v99
; %bb.92:
	ds_store_b64 v33, v[30:31] offset:4112
; %bb.93:
	s_or_b32 exec_lo, exec_lo, s14
	s_delay_alu instid0(SALU_CYCLE_1)
	s_mov_b32 s15, exec_lo
	s_wait_loadcnt_dscnt 0x0
	s_barrier_signal -1
	s_barrier_wait -1
	v_cmpx_gt_u32_e32 8, v0
	s_cbranch_execz .LBB745_95
; %bb.94:
	v_dual_lshlrev_b32 v32, 3, v0 :: v_dual_bitop2_b32 v38, 7, v97 bitop3:0x40
	ds_load_b64 v[36:37], v32 offset:4112
	s_wait_dscnt 0x0
	v_mov_b32_dpp v35, v37 row_shr:1 row_mask:0xf bank_mask:0xf
	v_cmp_eq_u32_e64 s13, 0, v36
	v_mov_b32_dpp v39, v36 row_shr:1 row_mask:0xf bank_mask:0xf
	s_delay_alu instid0(VALU_DEP_2) | instskip(SKIP_1) | instid1(VALU_DEP_1)
	v_cndmask_b32_e64 v35, 0, v35, s13
	v_cmp_eq_u32_e64 s13, 0, v38
	v_cndmask_b32_e64 v39, v39, 0, s13
	s_delay_alu instid0(VALU_DEP_1) | instskip(NEXT) | instid1(VALU_DEP_4)
	v_add_nc_u32_e32 v36, v39, v36
	v_cndmask_b32_e64 v35, v35, 0, s13
	v_cmp_lt_u32_e64 s13, 1, v38
	s_delay_alu instid0(VALU_DEP_3) | instskip(NEXT) | instid1(VALU_DEP_3)
	v_cmp_eq_u32_e64 s14, 0, v36
	v_add_nc_u32_e32 v35, v35, v37
	v_mov_b32_dpp v37, v36 row_shr:2 row_mask:0xf bank_mask:0xf
	s_delay_alu instid0(VALU_DEP_1) | instskip(NEXT) | instid1(VALU_DEP_3)
	v_cndmask_b32_e64 v37, 0, v37, s13
	v_mov_b32_dpp v39, v35 row_shr:2 row_mask:0xf bank_mask:0xf
	s_and_b32 s13, s13, s14
	s_delay_alu instid0(VALU_DEP_1) | instid1(SALU_CYCLE_1)
	v_dual_add_nc_u32 v36, v37, v36 :: v_dual_cndmask_b32 v39, 0, v39, s13
	v_cmp_lt_u32_e64 s13, 3, v38
	s_delay_alu instid0(VALU_DEP_2) | instskip(NEXT) | instid1(VALU_DEP_3)
	v_mov_b32_dpp v37, v36 row_shr:4 row_mask:0xf bank_mask:0xf
	v_add_nc_u32_e32 v35, v39, v35
	v_cmp_eq_u32_e64 s14, 0, v36
	s_delay_alu instid0(VALU_DEP_3) | instskip(NEXT) | instid1(VALU_DEP_3)
	v_cndmask_b32_e64 v37, 0, v37, s13
	v_mov_b32_dpp v38, v35 row_shr:4 row_mask:0xf bank_mask:0xf
	s_and_b32 s13, s13, s14
	s_delay_alu instid0(VALU_DEP_1) | instid1(SALU_CYCLE_1)
	v_dual_add_nc_u32 v36, v37, v36 :: v_dual_cndmask_b32 v38, 0, v38, s13
	s_delay_alu instid0(VALU_DEP_1)
	v_add_nc_u32_e32 v37, v38, v35
	ds_store_b64 v32, v[36:37] offset:4112
.LBB745_95:
	s_or_b32 exec_lo, exec_lo, s15
	v_dual_mov_b32 v35, 0 :: v_dual_mov_b32 v32, 0
	v_mov_b32_e32 v36, v34
	s_mov_b32 s14, exec_lo
	s_wait_dscnt 0x0
	s_barrier_signal -1
	s_barrier_wait -1
	v_cmpx_lt_u32_e32 31, v0
	s_cbranch_execz .LBB745_97
; %bb.96:
	ds_load_b64 v[32:33], v33 offset:4104
	s_wait_dscnt 0x0
	v_cmp_eq_u32_e64 s13, 0, v32
	s_delay_alu instid0(VALU_DEP_1) | instskip(NEXT) | instid1(VALU_DEP_1)
	v_cndmask_b32_e64 v36, 0, v34, s13
	v_add_nc_u32_e32 v36, v36, v33
.LBB745_97:
	s_or_b32 exec_lo, exec_lo, s14
	v_sub_co_u32 v33, s13, v97, 1
	s_delay_alu instid0(VALU_DEP_1) | instskip(NEXT) | instid1(VALU_DEP_1)
	v_cmp_gt_i32_e64 s14, 0, v33
	v_cndmask_b32_e64 v33, v33, v97, s14
	v_cmp_eq_u32_e64 s14, 0, v30
	s_delay_alu instid0(VALU_DEP_1) | instskip(NEXT) | instid1(VALU_DEP_3)
	v_dual_cndmask_b32 v37, 0, v36, s14 :: v_dual_add_nc_u32 v30, v32, v30
	v_lshlrev_b32_e32 v33, 2, v33
	ds_bpermute_b32 v30, v33, v30
	s_wait_dscnt 0x0
	v_dual_add_nc_u32 v31, v37, v31 :: v_dual_cndmask_b32 v30, v30, v32, s13
	ds_bpermute_b32 v31, v33, v31
	v_cndmask_b32_e64 v62, v30, 0, s2
	s_delay_alu instid0(VALU_DEP_1) | instskip(NEXT) | instid1(VALU_DEP_1)
	v_add_nc_u32_e32 v66, v62, v95
	v_add_nc_u32_e32 v64, v66, v88
	s_wait_dscnt 0x0
	s_delay_alu instid0(VALU_DEP_1) | instskip(SKIP_1) | instid1(VALU_DEP_2)
	v_dual_add_nc_u32 v60, v64, v87 :: v_dual_cndmask_b32 v31, v31, v36, s13
	v_cmp_eq_u32_e64 s13, 0, v95
	v_dual_add_nc_u32 v56, v60, v85 :: v_dual_cndmask_b32 v63, v31, v34, s2
	s_delay_alu instid0(VALU_DEP_1) | instskip(NEXT) | instid1(VALU_DEP_1)
	v_dual_add_nc_u32 v52, v56, v84 :: v_dual_cndmask_b32 v31, 0, v63, s13
	v_add_nc_u32_e32 v67, v31, v75
	s_delay_alu instid0(VALU_DEP_1) | instskip(NEXT) | instid1(VALU_DEP_1)
	v_cndmask_b32_e64 v31, 0, v67, s7
	v_add_nc_u32_e32 v65, v31, v72
	s_delay_alu instid0(VALU_DEP_1) | instskip(NEXT) | instid1(VALU_DEP_1)
	v_cndmask_b32_e64 v31, 0, v65, s8
	;; [unrolled: 3-line block ×8, first 2 shown]
	v_add_nc_u32_e32 v39, v30, v91
	s_delay_alu instid0(VALU_DEP_1) | instskip(NEXT) | instid1(VALU_DEP_1)
	v_dual_cndmask_b32 v30, 0, v39, s4 :: v_dual_add_nc_u32 v48, v52, v80
	v_dual_add_nc_u32 v41, v30, v73 :: v_dual_add_nc_u32 v54, v48, v83
	s_delay_alu instid0(VALU_DEP_1) | instskip(NEXT) | instid1(VALU_DEP_1)
	v_cndmask_b32_e64 v30, 0, v41, s3
	v_add_nc_u32_e32 v47, v30, v71
	ds_load_b64 v[30:31], v35 offset:4168
	v_cndmask_b32_e64 v32, 0, v47, s1
	s_delay_alu instid0(VALU_DEP_1) | instskip(NEXT) | instid1(VALU_DEP_1)
	v_dual_add_nc_u32 v58, v54, v79 :: v_dual_add_nc_u32 v51, v32, v70
	v_dual_add_nc_u32 v38, v58, v78 :: v_dual_cndmask_b32 v32, 0, v51, vcc_lo
	s_delay_alu instid0(VALU_DEP_1) | instskip(NEXT) | instid1(VALU_DEP_1)
	v_add_nc_u32_e32 v40, v38, v77
	v_add_nc_u32_e32 v46, v40, v76
	s_wait_dscnt 0x0
	v_cmp_eq_u32_e32 vcc_lo, 0, v30
	s_delay_alu instid0(VALU_DEP_2) | instskip(NEXT) | instid1(VALU_DEP_1)
	v_dual_cndmask_b32 v33, 0, v34 :: v_dual_add_nc_u32 v50, v46, v1
	v_dual_add_nc_u32 v45, v32, v69 :: v_dual_add_nc_u32 v44, v50, v82
	s_delay_alu instid0(VALU_DEP_1) | instskip(NEXT) | instid1(VALU_DEP_2)
	v_dual_add_nc_u32 v34, v33, v31 :: v_dual_cndmask_b32 v32, 0, v45, s0
	v_add_nc_u32_e32 v36, v44, v81
	s_delay_alu instid0(VALU_DEP_2)
	v_add_nc_u32_e32 v37, v32, v68
	s_and_saveexec_b32 s0, s2
	s_cbranch_execz .LBB745_99
; %bb.98:
	s_add_nc_u64 s[4:5], s[20:21], 0x200
	v_dual_mov_b32 v32, 2 :: v_dual_mov_b32 v33, 0
	v_mov_b32_e32 v31, v34
	v_mov_b64_e32 v[68:69], s[4:5]
	;;#ASMSTART
	global_store_b128 v[68:69], v[30:33] off scope:SCOPE_DEV	
s_wait_storecnt 0x0
	;;#ASMEND
.LBB745_99:
	s_or_b32 exec_lo, exec_lo, s0
	v_mov_b32_e32 v32, 0
.LBB745_100:
	s_cmp_eq_u64 s[38:39], 0
	v_mov_b64_e32 v[68:69], 0
	s_cselect_b32 s0, -1, 0
	s_delay_alu instid0(SALU_CYCLE_1)
	s_or_b32 s0, s17, s0
	s_barrier_signal -1
	s_and_b32 vcc_lo, exec_lo, s0
	s_barrier_wait -1
	s_cbranch_vccnz .LBB745_102
; %bb.101:
	v_mov_b32_e32 v31, 0
	global_load_b64 v[68:69], v31, s[38:39]
.LBB745_102:
	v_cmp_eq_u32_e32 vcc_lo, 0, v95
	s_wait_loadcnt 0x0
	v_lshlrev_b64_e32 v[70:71], 3, v[68:69]
	v_cmp_ne_u32_e64 s15, 0, v95
	v_cmp_ne_u32_e64 s14, 0, v88
	;; [unrolled: 1-line block ×3, first 2 shown]
	v_cndmask_b32_e64 v31, 1, 2, vcc_lo
	v_cmp_eq_u32_e32 vcc_lo, 0, v88
	v_cmp_ne_u32_e64 s12, 0, v85
	v_add_nc_u64_e32 v[74:75], s[28:29], v[70:71]
	v_cmp_ne_u32_e64 s11, 0, v84
	v_cmp_ne_u32_e64 s10, 0, v80
	v_cndmask_b32_e64 v33, 1, 2, vcc_lo
	v_cmp_eq_u32_e32 vcc_lo, 0, v87
	v_cmp_ne_u32_e64 s9, 0, v83
	v_cmp_ne_u32_e64 s8, 0, v79
	v_cmp_ne_u32_e64 s7, 0, v78
	v_cmp_ne_u32_e64 s6, 0, v77
	v_cndmask_b32_e64 v35, 1, 2, vcc_lo
	v_cmp_eq_u32_e32 vcc_lo, 0, v85
	v_cmp_ne_u32_e64 s5, 0, v76
	v_cmp_ne_u32_e64 s4, 0, v1
	;; [unrolled: 1-line block ×3, first 2 shown]
	v_bitop3_b16 v31, v33, v35, v31 bitop3:0x80
	v_cndmask_b32_e64 v35, 1, 2, vcc_lo
	v_cmp_eq_u32_e32 vcc_lo, 0, v84
	v_mov_b32_e32 v33, 0
	v_cmp_ne_u32_e64 s1, 0, v81
	v_cmp_ne_u32_e64 s0, 0, v86
	s_mov_b32 s17, -1
	v_cndmask_b32_e64 v72, 1, 2, vcc_lo
	v_cmp_eq_u32_e32 vcc_lo, 0, v80
	s_delay_alu instid0(VALU_DEP_2)
	v_bitop3_b16 v31, v31, v72, v35 bitop3:0x80
	v_cndmask_b32_e64 v35, 1, 2, vcc_lo
	v_cmp_eq_u32_e32 vcc_lo, 0, v83
	v_lshlrev_b64_e32 v[72:73], 3, v[32:33]
	v_cndmask_b32_e64 v89, 1, 2, vcc_lo
	v_cmp_eq_u32_e32 vcc_lo, 0, v79
	s_delay_alu instid0(VALU_DEP_3) | instskip(NEXT) | instid1(VALU_DEP_3)
	v_add_nc_u64_e32 v[74:75], v[74:75], v[72:73]
	v_bitop3_b16 v31, v31, v89, v35 bitop3:0x80
	v_cndmask_b32_e64 v35, 1, 2, vcc_lo
	v_cmp_eq_u32_e32 vcc_lo, 0, v78
	v_cndmask_b32_e64 v89, 1, 2, vcc_lo
	v_cmp_eq_u32_e32 vcc_lo, 0, v77
	s_delay_alu instid0(VALU_DEP_2) | instskip(SKIP_4) | instid1(VALU_DEP_2)
	v_bitop3_b16 v31, v31, v89, v35 bitop3:0x80
	v_cndmask_b32_e64 v35, 1, 2, vcc_lo
	v_cmp_eq_u32_e32 vcc_lo, 0, v76
	v_cndmask_b32_e64 v89, 1, 2, vcc_lo
	v_cmp_eq_u32_e32 vcc_lo, 0, v1
	v_bitop3_b16 v31, v31, v89, v35 bitop3:0x80
	v_cndmask_b32_e64 v35, 1, 2, vcc_lo
	v_cmp_eq_u32_e32 vcc_lo, 0, v82
	v_cndmask_b32_e64 v89, 1, 2, vcc_lo
	v_cmp_eq_u32_e32 vcc_lo, 0, v81
	s_delay_alu instid0(VALU_DEP_2) | instskip(SKIP_4) | instid1(VALU_DEP_2)
	v_bitop3_b16 v31, v31, v89, v35 bitop3:0x80
	v_cndmask_b32_e64 v35, 1, 2, vcc_lo
	v_cmp_eq_u32_e32 vcc_lo, 0, v86
	v_cndmask_b32_e64 v89, 1, 2, vcc_lo
	v_cmp_gt_u32_e32 vcc_lo, 0x100, v30
	v_bitop3_b16 v31, v31, v89, v35 bitop3:0x80
	s_delay_alu instid0(VALU_DEP_1)
	v_cmp_gt_i16_e64 s16, 2, v31
	s_cbranch_vccz .LBB745_109
; %bb.103:
	s_and_saveexec_b32 s17, s16
	s_cbranch_execz .LBB745_108
; %bb.104:
	s_mov_b32 s18, 0
	s_mov_b32 s16, exec_lo
	v_cmpx_ne_u16_e32 1, v31
	s_xor_b32 s16, exec_lo, s16
	s_cbranch_execnz .LBB745_140
; %bb.105:
	s_and_not1_saveexec_b32 s16, s16
	s_cbranch_execnz .LBB745_156
.LBB745_106:
	s_or_b32 exec_lo, exec_lo, s16
	s_delay_alu instid0(SALU_CYCLE_1)
	s_and_b32 exec_lo, exec_lo, s18
	s_cbranch_execz .LBB745_108
.LBB745_107:
	v_sub_nc_u32_e32 v35, v36, v32
	v_readfirstlane_b32 s20, v74
	v_readfirstlane_b32 s21, v75
	global_store_b64 v35, v[42:43], s[20:21] scale_offset
.LBB745_108:
	s_wait_xcnt 0x0
	s_or_b32 exec_lo, exec_lo, s17
	s_mov_b32 s17, 0
.LBB745_109:
	s_delay_alu instid0(SALU_CYCLE_1)
	s_and_b32 vcc_lo, exec_lo, s17
	s_cbranch_vccz .LBB745_119
; %bb.110:
	s_mov_b32 s16, exec_lo
	v_cmpx_gt_i16_e32 2, v31
	s_cbranch_execz .LBB745_115
; %bb.111:
	s_mov_b32 s18, 0
	s_mov_b32 s17, exec_lo
	v_cmpx_ne_u16_e32 1, v31
	s_xor_b32 s17, exec_lo, s17
	s_cbranch_execnz .LBB745_157
; %bb.112:
	s_and_not1_saveexec_b32 s0, s17
	s_cbranch_execnz .LBB745_173
.LBB745_113:
	s_or_b32 exec_lo, exec_lo, s0
	s_delay_alu instid0(SALU_CYCLE_1)
	s_and_b32 exec_lo, exec_lo, s18
.LBB745_114:
	v_sub_nc_u32_e32 v2, v36, v32
	s_delay_alu instid0(VALU_DEP_1)
	v_lshlrev_b32_e32 v2, 3, v2
	ds_store_b64 v2, v[42:43]
.LBB745_115:
	s_or_b32 exec_lo, exec_lo, s16
	s_delay_alu instid0(SALU_CYCLE_1)
	s_mov_b32 s0, exec_lo
	s_wait_storecnt_dscnt 0x0
	s_barrier_signal -1
	s_barrier_wait -1
	v_cmpx_lt_u32_e64 v0, v30
	s_cbranch_execz .LBB745_118
; %bb.116:
	v_dual_mov_b32 v3, v0 :: v_dual_lshlrev_b32 v2, 3, v0
	s_mov_b32 s1, 0
.LBB745_117:                            ; =>This Inner Loop Header: Depth=1
	ds_load_b64 v[4:5], v2
	v_readfirstlane_b32 s4, v74
	v_readfirstlane_b32 s5, v75
	v_add_nc_u32_e32 v2, 0x800, v2
	s_wait_dscnt 0x0
	global_store_b64 v3, v[4:5], s[4:5] scale_offset
	s_wait_xcnt 0x0
	v_add_nc_u32_e32 v3, 0x100, v3
	s_delay_alu instid0(VALU_DEP_1) | instskip(SKIP_1) | instid1(SALU_CYCLE_1)
	v_cmp_ge_u32_e32 vcc_lo, v3, v30
	s_or_b32 s1, vcc_lo, s1
	s_and_not1_b32 exec_lo, exec_lo, s1
	s_cbranch_execnz .LBB745_117
.LBB745_118:
	s_or_b32 exec_lo, exec_lo, s0
.LBB745_119:
	s_cmp_lg_u32 s33, 0xf00
	v_cndmask_b32_e64 v6, 0, 1, s25
	s_cselect_b32 s0, -1, 0
	v_mad_i32_i24 v4, v0, -15, s33
	s_and_b32 s0, s0, s19
	s_and_b32 s1, s2, s25
	v_cndmask_b32_e64 v3, 0, 1, s0
	s_mul_hi_u32 s0, s33, 0x88888889
	v_sub_nc_u32_e32 v2, v30, v6
	s_lshr_b32 s0, s0, 3
	v_cndmask_b32_e64 v5, v95, 0, s1
	v_cmp_eq_u32_e32 vcc_lo, s0, v0
	v_cmp_ne_u32_e64 s0, 0, v4
	v_add_nc_u32_e32 v8, v2, v3
	s_mov_b32 s16, -1
	s_wait_storecnt 0x0
	s_and_b32 vcc_lo, vcc_lo, s19
	v_cndmask_b32_e64 v2, 1, v5, s0
	v_cmp_ne_u32_e64 s0, 1, v4
	s_barrier_signal -1
	s_barrier_wait -1
	s_delay_alu instid0(VALU_DEP_1) | instskip(SKIP_1) | instid1(VALU_DEP_2)
	v_cndmask_b32_e64 v3, 1, v88, s0
	v_cmp_ne_u32_e64 s0, 2, v4
	v_cndmask_b32_e32 v21, v88, v3, vcc_lo
	s_delay_alu instid0(VALU_DEP_2) | instskip(SKIP_1) | instid1(VALU_DEP_3)
	v_cndmask_b32_e64 v7, 1, v87, s0
	v_cmp_ne_u32_e64 s0, 3, v4
	v_cmp_ne_u32_e64 s13, 0, v21
	s_delay_alu instid0(VALU_DEP_2) | instskip(SKIP_1) | instid1(VALU_DEP_2)
	v_cndmask_b32_e64 v9, 1, v85, s0
	v_cmp_ne_u32_e64 s0, 4, v4
	v_dual_cndmask_b32 v7, v87, v7, vcc_lo :: v_dual_cndmask_b32 v9, v85, v9, vcc_lo
	s_delay_alu instid0(VALU_DEP_2) | instskip(SKIP_1) | instid1(VALU_DEP_3)
	v_cndmask_b32_e64 v10, 1, v84, s0
	v_cmp_ne_u32_e64 s0, 5, v4
	v_cmp_ne_u32_e64 s12, 0, v7
	s_delay_alu instid0(VALU_DEP_4) | instskip(NEXT) | instid1(VALU_DEP_3)
	v_cmp_ne_u32_e64 s11, 0, v9
	v_cndmask_b32_e64 v11, 1, v80, s0
	v_cmp_ne_u32_e64 s0, 6, v4
	s_delay_alu instid0(VALU_DEP_1) | instskip(SKIP_1) | instid1(VALU_DEP_2)
	v_cndmask_b32_e64 v12, 1, v83, s0
	v_cmp_ne_u32_e64 s0, 7, v4
	v_dual_cndmask_b32 v10, v84, v10, vcc_lo :: v_dual_cndmask_b32 v12, v83, v12, vcc_lo
	s_delay_alu instid0(VALU_DEP_2) | instskip(SKIP_2) | instid1(VALU_DEP_4)
	v_cndmask_b32_e64 v13, 1, v79, s0
	v_cmp_ne_u32_e64 s0, 8, v4
	v_cndmask_b32_e32 v11, v80, v11, vcc_lo
	v_cmp_ne_u32_e64 s10, 0, v10
	v_cmp_ne_u32_e64 s8, 0, v12
	s_delay_alu instid0(VALU_DEP_4) | instskip(SKIP_1) | instid1(VALU_DEP_2)
	v_dual_cndmask_b32 v13, v79, v13, vcc_lo :: v_dual_cndmask_b32 v14, 1, v78, s0
	v_cmp_ne_u32_e64 s0, 9, v4
	v_cmp_ne_u32_e64 s7, 0, v13
	s_delay_alu instid0(VALU_DEP_2) | instskip(SKIP_1) | instid1(VALU_DEP_1)
	v_cndmask_b32_e64 v15, 1, v77, s0
	v_cmp_ne_u32_e64 s0, 10, v4
	v_dual_cndmask_b32 v14, v78, v14, vcc_lo :: v_dual_cndmask_b32 v16, 1, v76, s0
	v_cmp_ne_u32_e64 s0, 11, v4
	s_delay_alu instid0(VALU_DEP_2) | instskip(NEXT) | instid1(VALU_DEP_2)
	v_cmp_ne_u32_e64 s6, 0, v14
	v_cndmask_b32_e64 v17, 1, v1, s0
	v_cmp_ne_u32_e64 s0, 14, v4
	v_dual_cndmask_b32 v15, v77, v15 :: v_dual_cndmask_b32 v16, v76, v16
	s_delay_alu instid0(VALU_DEP_2) | instskip(SKIP_2) | instid1(VALU_DEP_4)
	v_dual_cndmask_b32 v17, v1, v17, vcc_lo :: v_dual_cndmask_b32 v18, 1, v86, s0
	v_cmp_ne_u32_e64 s0, 13, v4
	v_add_nc_u32_e32 v1, v32, v6
	v_cmp_ne_u32_e64 s5, 0, v15
	v_cmp_ne_u32_e64 s4, 0, v16
	v_cmp_ne_u32_e64 s3, 0, v17
	v_cndmask_b32_e64 v19, 1, v81, s0
	v_cmp_ne_u32_e64 s0, 12, v4
	s_delay_alu instid0(VALU_DEP_2) | instskip(NEXT) | instid1(VALU_DEP_2)
	v_dual_cndmask_b32 v18, v86, v18 :: v_dual_cndmask_b32 v19, v81, v19
	v_cndmask_b32_e64 v4, 1, v82, s0
	v_cndmask_b32_e32 v20, v5, v2, vcc_lo
	v_add_nc_u64_e32 v[2:3], s[30:31], v[70:71]
	s_delay_alu instid0(VALU_DEP_4) | instskip(NEXT) | instid1(VALU_DEP_4)
	v_cmp_ne_u32_e64 s1, 0, v19
	v_cndmask_b32_e32 v22, v82, v4, vcc_lo
	s_delay_alu instid0(VALU_DEP_4)
	v_cmp_eq_u32_e64 s0, 0, v20
	v_cmp_eq_u32_e32 vcc_lo, 0, v15
	v_cmp_ne_u32_e64 s14, 0, v20
	v_add_nc_u64_e32 v[2:3], v[2:3], v[72:73]
	v_cmp_ne_u32_e64 s2, 0, v22
	v_cndmask_b32_e64 v4, 1, 2, s0
	v_cmp_eq_u32_e64 s0, 0, v21
	s_delay_alu instid0(VALU_DEP_1) | instskip(SKIP_1) | instid1(VALU_DEP_1)
	v_cndmask_b32_e64 v5, 1, 2, s0
	v_cmp_eq_u32_e64 s0, 0, v7
	v_cndmask_b32_e64 v23, 1, 2, s0
	v_cmp_eq_u32_e64 s0, 0, v9
	s_delay_alu instid0(VALU_DEP_2) | instskip(NEXT) | instid1(VALU_DEP_2)
	v_bitop3_b16 v23, v5, v23, v4 bitop3:0x80
	v_cndmask_b32_e64 v24, 1, 2, s0
	v_cmp_eq_u32_e64 s0, 0, v10
	v_dual_mov_b32 v5, 0 :: v_dual_lshlrev_b32 v4, 3, v6
	v_cmp_ne_u32_e64 s9, 0, v11
	s_delay_alu instid0(VALU_DEP_3) | instskip(SKIP_1) | instid1(VALU_DEP_4)
	v_cndmask_b32_e64 v25, 1, 2, s0
	v_cmp_eq_u32_e64 s0, 0, v11
	v_add_nc_u64_e32 v[4:5], v[2:3], v[4:5]
	s_delay_alu instid0(VALU_DEP_3) | instskip(NEXT) | instid1(VALU_DEP_3)
	v_bitop3_b16 v23, v23, v25, v24 bitop3:0x80
	v_cndmask_b32_e64 v24, 1, 2, s0
	v_cmp_eq_u32_e64 s0, 0, v12
	s_delay_alu instid0(VALU_DEP_4) | instskip(NEXT) | instid1(VALU_DEP_2)
	v_add_nc_u64_e32 v[4:5], -8, v[4:5]
	v_cndmask_b32_e64 v25, 1, 2, s0
	v_cmp_eq_u32_e64 s0, 0, v13
	s_delay_alu instid0(VALU_DEP_2) | instskip(NEXT) | instid1(VALU_DEP_2)
	v_bitop3_b16 v23, v23, v25, v24 bitop3:0x80
	v_cndmask_b32_e64 v24, 1, 2, s0
	v_cmp_eq_u32_e64 s0, 0, v14
	s_delay_alu instid0(VALU_DEP_1) | instskip(SKIP_1) | instid1(VALU_DEP_2)
	v_cndmask_b32_e64 v25, 1, 2, s0
	v_cmp_ne_u32_e64 s0, 0, v18
	v_bitop3_b16 v6, v23, v25, v24 bitop3:0x80
	v_cndmask_b32_e64 v23, 1, 2, vcc_lo
	v_cmp_eq_u32_e32 vcc_lo, 0, v16
	v_cndmask_b32_e64 v24, 1, 2, vcc_lo
	v_cmp_eq_u32_e32 vcc_lo, 0, v17
	s_delay_alu instid0(VALU_DEP_2) | instskip(SKIP_4) | instid1(VALU_DEP_2)
	v_bitop3_b16 v6, v6, v24, v23 bitop3:0x80
	v_cndmask_b32_e64 v7, 1, 2, vcc_lo
	v_cmp_eq_u32_e32 vcc_lo, 0, v22
	v_cndmask_b32_e64 v9, 1, 2, vcc_lo
	v_cmp_eq_u32_e32 vcc_lo, 0, v19
	v_bitop3_b16 v6, v6, v9, v7 bitop3:0x80
	v_cndmask_b32_e64 v7, 1, 2, vcc_lo
	v_cmp_eq_u32_e32 vcc_lo, 0, v18
	v_cndmask_b32_e64 v9, 1, 2, vcc_lo
	v_cmp_gt_u32_e32 vcc_lo, 0x100, v8
	s_delay_alu instid0(VALU_DEP_2) | instskip(NEXT) | instid1(VALU_DEP_1)
	v_bitop3_b16 v6, v6, v9, v7 bitop3:0x80
	v_cmp_gt_i16_e64 s15, 2, v6
	s_cbranch_vccnz .LBB745_123
; %bb.120:
	s_and_b32 vcc_lo, exec_lo, s16
	s_cbranch_vccnz .LBB745_129
.LBB745_121:
	v_cmp_eq_u32_e32 vcc_lo, 0xff, v0
	s_and_b32 s0, vcc_lo, s19
	s_delay_alu instid0(SALU_CYCLE_1)
	s_and_saveexec_b32 s1, s0
	s_cbranch_execnz .LBB745_138
.LBB745_122:
	s_sendmsg sendmsg(MSG_DEALLOC_VGPRS)
	s_endpgm
.LBB745_123:
	s_and_saveexec_b32 s16, s15
	s_cbranch_execz .LBB745_128
; %bb.124:
	s_mov_b32 s17, 0
	s_mov_b32 s15, exec_lo
	v_cmpx_ne_u16_e32 1, v6
	s_xor_b32 s15, exec_lo, s15
	s_cbranch_execnz .LBB745_174
; %bb.125:
	s_and_not1_saveexec_b32 s15, s15
	s_cbranch_execnz .LBB745_190
.LBB745_126:
	s_or_b32 exec_lo, exec_lo, s15
	s_delay_alu instid0(SALU_CYCLE_1)
	s_and_b32 exec_lo, exec_lo, s17
	s_cbranch_execz .LBB745_128
.LBB745_127:
	v_dual_mov_b32 v11, 0 :: v_dual_mov_b32 v10, v37
	v_sub_nc_u32_e32 v7, v36, v1
	v_readfirstlane_b32 s20, v4
	v_readfirstlane_b32 s21, v5
	global_store_b64 v7, v[10:11], s[20:21] scale_offset
.LBB745_128:
	s_wait_xcnt 0x0
	s_or_b32 exec_lo, exec_lo, s16
	s_branch .LBB745_121
.LBB745_129:
	s_mov_b32 s15, exec_lo
	v_cmpx_gt_i16_e32 2, v6
	s_cbranch_execz .LBB745_134
; %bb.130:
	s_mov_b32 s17, 0
	s_mov_b32 s16, exec_lo
	v_cmpx_ne_u16_e32 1, v6
	s_xor_b32 s16, exec_lo, s16
	s_cbranch_execnz .LBB745_191
; %bb.131:
	s_and_not1_saveexec_b32 s0, s16
	s_cbranch_execnz .LBB745_207
.LBB745_132:
	s_or_b32 exec_lo, exec_lo, s0
	s_delay_alu instid0(SALU_CYCLE_1)
	s_and_b32 exec_lo, exec_lo, s17
.LBB745_133:
	v_sub_nc_u32_e32 v1, v36, v1
	s_delay_alu instid0(VALU_DEP_1)
	v_lshlrev_b32_e32 v1, 2, v1
	ds_store_b32 v1, v37
.LBB745_134:
	s_or_b32 exec_lo, exec_lo, s15
	s_delay_alu instid0(SALU_CYCLE_1)
	s_mov_b32 s0, exec_lo
	s_wait_storecnt_dscnt 0x0
	s_barrier_signal -1
	s_barrier_wait -1
	v_cmpx_lt_u32_e64 v0, v8
	s_cbranch_execz .LBB745_137
; %bb.135:
	v_dual_lshlrev_b32 v1, 2, v0 :: v_dual_mov_b32 v7, 0
	v_mov_b32_e32 v9, v0
	s_mov_b32 s1, 0
.LBB745_136:                            ; =>This Inner Loop Header: Depth=1
	ds_load_b32 v6, v1
	v_readfirstlane_b32 s2, v4
	v_readfirstlane_b32 s3, v5
	v_add_nc_u32_e32 v1, 0x400, v1
	s_wait_dscnt 0x0
	global_store_b64 v9, v[6:7], s[2:3] scale_offset
	s_wait_xcnt 0x0
	v_add_nc_u32_e32 v9, 0x100, v9
	s_delay_alu instid0(VALU_DEP_1) | instskip(SKIP_1) | instid1(SALU_CYCLE_1)
	v_cmp_ge_u32_e32 vcc_lo, v9, v8
	s_or_b32 s1, vcc_lo, s1
	s_and_not1_b32 exec_lo, exec_lo, s1
	s_cbranch_execnz .LBB745_136
.LBB745_137:
	s_or_b32 exec_lo, exec_lo, s0
	v_cmp_eq_u32_e32 vcc_lo, 0xff, v0
	s_and_b32 s0, vcc_lo, s19
	s_delay_alu instid0(SALU_CYCLE_1)
	s_and_saveexec_b32 s1, s0
	s_cbranch_execz .LBB745_122
.LBB745_138:
	v_mov_b32_e32 v31, 0
	s_cmp_lg_u32 s33, 0xf00
	s_delay_alu instid0(VALU_DEP_1) | instskip(NEXT) | instid1(VALU_DEP_1)
	v_add_nc_u64_e32 v[0:1], v[30:31], v[32:33]
	v_add_nc_u64_e32 v[0:1], v[0:1], v[68:69]
	global_store_b64 v31, v[0:1], s[34:35]
	s_cbranch_scc1 .LBB745_122
; %bb.139:
	s_wait_xcnt 0x0
	v_lshlrev_b64_e32 v[0:1], 3, v[30:31]
	v_mov_b32_e32 v35, v31
	s_delay_alu instid0(VALU_DEP_2)
	v_add_nc_u64_e32 v[0:1], v[2:3], v[0:1]
	global_store_b64 v[0:1], v[34:35], off offset:-8
	s_sendmsg sendmsg(MSG_DEALLOC_VGPRS)
	s_endpgm
.LBB745_140:
	s_and_saveexec_b32 s18, s15
	s_cbranch_execnz .LBB745_208
; %bb.141:
	s_or_b32 exec_lo, exec_lo, s18
	s_and_saveexec_b32 s18, s14
	s_cbranch_execnz .LBB745_209
.LBB745_142:
	s_or_b32 exec_lo, exec_lo, s18
	s_and_saveexec_b32 s18, s13
	s_cbranch_execnz .LBB745_210
.LBB745_143:
	s_or_b32 exec_lo, exec_lo, s18
	s_and_saveexec_b32 s18, s12
	s_cbranch_execnz .LBB745_211
.LBB745_144:
	s_or_b32 exec_lo, exec_lo, s18
	s_and_saveexec_b32 s18, s11
	s_cbranch_execnz .LBB745_212
.LBB745_145:
	s_or_b32 exec_lo, exec_lo, s18
	s_and_saveexec_b32 s18, s10
	s_cbranch_execnz .LBB745_213
.LBB745_146:
	s_or_b32 exec_lo, exec_lo, s18
	s_and_saveexec_b32 s18, s9
	s_cbranch_execnz .LBB745_214
.LBB745_147:
	s_or_b32 exec_lo, exec_lo, s18
	s_and_saveexec_b32 s18, s8
	s_cbranch_execnz .LBB745_215
.LBB745_148:
	s_or_b32 exec_lo, exec_lo, s18
	s_and_saveexec_b32 s18, s7
	s_cbranch_execnz .LBB745_216
.LBB745_149:
	s_or_b32 exec_lo, exec_lo, s18
	s_and_saveexec_b32 s18, s6
	s_cbranch_execnz .LBB745_217
.LBB745_150:
	s_or_b32 exec_lo, exec_lo, s18
	s_and_saveexec_b32 s18, s5
	s_cbranch_execnz .LBB745_218
.LBB745_151:
	s_or_b32 exec_lo, exec_lo, s18
	s_and_saveexec_b32 s18, s4
	s_cbranch_execnz .LBB745_219
.LBB745_152:
	s_or_b32 exec_lo, exec_lo, s18
	s_and_saveexec_b32 s18, s3
	s_cbranch_execnz .LBB745_220
.LBB745_153:
	s_or_b32 exec_lo, exec_lo, s18
	s_and_saveexec_b32 s18, s1
	s_cbranch_execz .LBB745_155
.LBB745_154:
	v_sub_nc_u32_e32 v35, v44, v32
	v_readfirstlane_b32 s20, v74
	v_readfirstlane_b32 s21, v75
	global_store_b64 v35, v[4:5], s[20:21] scale_offset
.LBB745_155:
	s_wait_xcnt 0x0
	s_or_b32 exec_lo, exec_lo, s18
	s_delay_alu instid0(SALU_CYCLE_1)
	s_and_b32 s18, s0, exec_lo
	s_and_not1_saveexec_b32 s16, s16
	s_cbranch_execz .LBB745_106
.LBB745_156:
	v_dual_sub_nc_u32 v35, v62, v32 :: v_dual_sub_nc_u32 v90, v64, v32
	v_readfirstlane_b32 s20, v74
	v_readfirstlane_b32 s21, v75
	v_dual_sub_nc_u32 v89, v66, v32 :: v_dual_sub_nc_u32 v91, v60, v32
	s_clause 0x2
	global_store_b64 v35, v[26:27], s[20:21] scale_offset
	global_store_b64 v89, v[28:29], s[20:21] scale_offset
	;; [unrolled: 1-line block ×3, first 2 shown]
	s_wait_xcnt 0x2
	v_sub_nc_u32_e32 v35, v56, v32
	s_wait_xcnt 0x1
	v_sub_nc_u32_e32 v89, v52, v32
	s_wait_xcnt 0x0
	v_sub_nc_u32_e32 v90, v48, v32
	global_store_b64 v91, v[24:25], s[20:21] scale_offset
	s_wait_xcnt 0x0
	v_sub_nc_u32_e32 v91, v54, v32
	global_store_b64 v35, v[18:19], s[20:21] scale_offset
	s_wait_xcnt 0x0
	v_sub_nc_u32_e32 v35, v58, v32
	s_clause 0x2
	global_store_b64 v89, v[20:21], s[20:21] scale_offset
	global_store_b64 v90, v[14:15], s[20:21] scale_offset
	;; [unrolled: 1-line block ×3, first 2 shown]
	s_wait_xcnt 0x2
	v_sub_nc_u32_e32 v89, v38, v32
	s_wait_xcnt 0x0
	v_sub_nc_u32_e32 v91, v50, v32
	v_sub_nc_u32_e32 v90, v46, v32
	global_store_b64 v35, v[10:11], s[20:21] scale_offset
	s_wait_xcnt 0x0
	v_sub_nc_u32_e32 v35, v40, v32
	global_store_b64 v89, v[12:13], s[20:21] scale_offset
	s_wait_xcnt 0x0
	v_sub_nc_u32_e32 v89, v44, v32
	s_or_b32 s18, s18, exec_lo
	s_clause 0x3
	global_store_b64 v35, v[6:7], s[20:21] scale_offset
	global_store_b64 v90, v[8:9], s[20:21] scale_offset
	;; [unrolled: 1-line block ×4, first 2 shown]
	s_wait_xcnt 0x0
	s_or_b32 exec_lo, exec_lo, s16
	s_delay_alu instid0(SALU_CYCLE_1)
	s_and_b32 exec_lo, exec_lo, s18
	s_cbranch_execnz .LBB745_107
	s_branch .LBB745_108
.LBB745_157:
	s_and_saveexec_b32 s18, s15
	s_cbranch_execnz .LBB745_221
; %bb.158:
	s_or_b32 exec_lo, exec_lo, s18
	s_and_saveexec_b32 s15, s14
	s_cbranch_execnz .LBB745_222
.LBB745_159:
	s_or_b32 exec_lo, exec_lo, s15
	s_and_saveexec_b32 s14, s13
	s_cbranch_execnz .LBB745_223
.LBB745_160:
	s_or_b32 exec_lo, exec_lo, s14
	s_and_saveexec_b32 s13, s12
	s_cbranch_execnz .LBB745_224
.LBB745_161:
	s_or_b32 exec_lo, exec_lo, s13
	s_and_saveexec_b32 s12, s11
	s_cbranch_execnz .LBB745_225
.LBB745_162:
	s_or_b32 exec_lo, exec_lo, s12
	s_and_saveexec_b32 s11, s10
	s_cbranch_execnz .LBB745_226
.LBB745_163:
	s_or_b32 exec_lo, exec_lo, s11
	s_and_saveexec_b32 s10, s9
	s_cbranch_execnz .LBB745_227
.LBB745_164:
	s_or_b32 exec_lo, exec_lo, s10
	s_and_saveexec_b32 s9, s8
	s_cbranch_execnz .LBB745_228
.LBB745_165:
	s_or_b32 exec_lo, exec_lo, s9
	s_and_saveexec_b32 s8, s7
	s_cbranch_execnz .LBB745_229
.LBB745_166:
	s_or_b32 exec_lo, exec_lo, s8
	s_and_saveexec_b32 s7, s6
	s_cbranch_execnz .LBB745_230
.LBB745_167:
	s_or_b32 exec_lo, exec_lo, s7
	s_and_saveexec_b32 s6, s5
	s_cbranch_execnz .LBB745_231
.LBB745_168:
	s_or_b32 exec_lo, exec_lo, s6
	s_and_saveexec_b32 s5, s4
	s_cbranch_execnz .LBB745_232
.LBB745_169:
	s_or_b32 exec_lo, exec_lo, s5
	s_and_saveexec_b32 s4, s3
	s_cbranch_execnz .LBB745_233
.LBB745_170:
	s_or_b32 exec_lo, exec_lo, s4
	s_and_saveexec_b32 s3, s1
.LBB745_171:
	v_sub_nc_u32_e32 v2, v44, v32
	s_delay_alu instid0(VALU_DEP_1)
	v_lshlrev_b32_e32 v2, 3, v2
	ds_store_b64 v2, v[4:5]
.LBB745_172:
	s_or_b32 exec_lo, exec_lo, s3
	s_delay_alu instid0(SALU_CYCLE_1)
	s_and_b32 s18, s0, exec_lo
                                        ; implicit-def: $vgpr2_vgpr3
                                        ; implicit-def: $vgpr6_vgpr7
                                        ; implicit-def: $vgpr10_vgpr11
                                        ; implicit-def: $vgpr14_vgpr15
                                        ; implicit-def: $vgpr18_vgpr19
                                        ; implicit-def: $vgpr22_vgpr23
                                        ; implicit-def: $vgpr26_vgpr27
	s_and_not1_saveexec_b32 s0, s17
	s_cbranch_execz .LBB745_113
.LBB745_173:
	v_dual_sub_nc_u32 v31, v62, v32 :: v_dual_sub_nc_u32 v89, v64, v32
	v_dual_sub_nc_u32 v35, v66, v32 :: v_dual_sub_nc_u32 v90, v60, v32
	s_or_b32 s18, s18, exec_lo
	s_delay_alu instid0(VALU_DEP_2) | instskip(NEXT) | instid1(VALU_DEP_2)
	v_dual_lshlrev_b32 v31, 3, v31 :: v_dual_lshlrev_b32 v89, 3, v89
	v_dual_lshlrev_b32 v35, 3, v35 :: v_dual_lshlrev_b32 v90, 3, v90
	ds_store_b64 v31, v[26:27]
	ds_store_b64 v35, v[28:29]
	;; [unrolled: 1-line block ×3, first 2 shown]
	v_sub_nc_u32_e32 v22, v56, v32
	ds_store_b64 v90, v[24:25]
	v_dual_sub_nc_u32 v25, v54, v32 :: v_dual_sub_nc_u32 v23, v52, v32
	v_dual_sub_nc_u32 v24, v48, v32 :: v_dual_sub_nc_u32 v26, v58, v32
	s_delay_alu instid0(VALU_DEP_2) | instskip(NEXT) | instid1(VALU_DEP_2)
	v_dual_lshlrev_b32 v22, 3, v22 :: v_dual_lshlrev_b32 v25, 3, v25
	v_dual_lshlrev_b32 v23, 3, v23 :: v_dual_lshlrev_b32 v24, 3, v24
	ds_store_b64 v22, v[18:19]
	v_lshlrev_b32_e32 v18, 3, v26
	ds_store_b64 v23, v[20:21]
	ds_store_b64 v24, v[14:15]
	;; [unrolled: 1-line block ×3, first 2 shown]
	v_sub_nc_u32_e32 v14, v38, v32
	v_dual_sub_nc_u32 v15, v50, v32 :: v_dual_sub_nc_u32 v16, v44, v32
	ds_store_b64 v18, v[10:11]
	v_dual_sub_nc_u32 v10, v40, v32 :: v_dual_sub_nc_u32 v11, v46, v32
	v_dual_lshlrev_b32 v14, 3, v14 :: v_dual_lshlrev_b32 v15, 3, v15
	s_delay_alu instid0(VALU_DEP_2)
	v_dual_lshlrev_b32 v10, 3, v10 :: v_dual_lshlrev_b32 v11, 3, v11
	ds_store_b64 v14, v[12:13]
	v_lshlrev_b32_e32 v12, 3, v16
	ds_store_b64 v10, v[6:7]
	ds_store_b64 v11, v[8:9]
	;; [unrolled: 1-line block ×4, first 2 shown]
	s_or_b32 exec_lo, exec_lo, s0
	s_delay_alu instid0(SALU_CYCLE_1)
	s_and_b32 exec_lo, exec_lo, s18
	s_cbranch_execnz .LBB745_114
	s_branch .LBB745_115
.LBB745_174:
	s_and_saveexec_b32 s17, s14
	s_cbranch_execnz .LBB745_234
; %bb.175:
	s_or_b32 exec_lo, exec_lo, s17
	s_and_saveexec_b32 s17, s13
	s_cbranch_execnz .LBB745_235
.LBB745_176:
	s_or_b32 exec_lo, exec_lo, s17
	s_and_saveexec_b32 s17, s12
	s_cbranch_execnz .LBB745_236
.LBB745_177:
	s_or_b32 exec_lo, exec_lo, s17
	s_and_saveexec_b32 s17, s11
	s_cbranch_execnz .LBB745_237
.LBB745_178:
	s_or_b32 exec_lo, exec_lo, s17
	s_and_saveexec_b32 s17, s10
	s_cbranch_execnz .LBB745_238
.LBB745_179:
	s_or_b32 exec_lo, exec_lo, s17
	s_and_saveexec_b32 s17, s9
	s_cbranch_execnz .LBB745_239
.LBB745_180:
	s_or_b32 exec_lo, exec_lo, s17
	s_and_saveexec_b32 s17, s8
	s_cbranch_execnz .LBB745_240
.LBB745_181:
	s_or_b32 exec_lo, exec_lo, s17
	s_and_saveexec_b32 s17, s7
	s_cbranch_execnz .LBB745_241
.LBB745_182:
	s_or_b32 exec_lo, exec_lo, s17
	s_and_saveexec_b32 s17, s6
	s_cbranch_execnz .LBB745_242
.LBB745_183:
	s_or_b32 exec_lo, exec_lo, s17
	s_and_saveexec_b32 s17, s5
	s_cbranch_execnz .LBB745_243
.LBB745_184:
	s_or_b32 exec_lo, exec_lo, s17
	s_and_saveexec_b32 s17, s4
	s_cbranch_execnz .LBB745_244
.LBB745_185:
	s_or_b32 exec_lo, exec_lo, s17
	s_and_saveexec_b32 s17, s3
	s_cbranch_execnz .LBB745_245
.LBB745_186:
	s_or_b32 exec_lo, exec_lo, s17
	s_and_saveexec_b32 s17, s2
	s_cbranch_execnz .LBB745_246
.LBB745_187:
	s_or_b32 exec_lo, exec_lo, s17
	s_and_saveexec_b32 s17, s1
	s_cbranch_execz .LBB745_189
.LBB745_188:
	v_dual_sub_nc_u32 v7, v44, v1 :: v_dual_mov_b32 v11, 0
	v_mov_b32_e32 v10, v45
	v_readfirstlane_b32 s20, v4
	v_readfirstlane_b32 s21, v5
	global_store_b64 v7, v[10:11], s[20:21] scale_offset
.LBB745_189:
	s_wait_xcnt 0x0
	s_or_b32 exec_lo, exec_lo, s17
	s_delay_alu instid0(SALU_CYCLE_1)
	s_and_b32 s17, s0, exec_lo
	s_and_not1_saveexec_b32 s15, s15
	s_cbranch_execz .LBB745_126
.LBB745_190:
	v_dual_mov_b32 v11, 0 :: v_dual_mov_b32 v10, v63
	v_sub_nc_u32_e32 v7, v62, v1
	v_readfirstlane_b32 s20, v4
	v_readfirstlane_b32 s21, v5
	v_sub_nc_u32_e32 v9, v64, v1
	s_or_b32 s17, s17, exec_lo
	global_store_b64 v7, v[10:11], s[20:21] scale_offset
	s_wait_xcnt 0x0
	v_dual_mov_b32 v10, v67 :: v_dual_sub_nc_u32 v7, v66, v1
	global_store_b64 v7, v[10:11], s[20:21] scale_offset
	s_wait_xcnt 0x0
	v_dual_mov_b32 v10, v65 :: v_dual_sub_nc_u32 v7, v60, v1
	;; [unrolled: 3-line block ×12, first 2 shown]
	global_store_b64 v9, v[10:11], s[20:21] scale_offset
	s_wait_xcnt 0x0
	v_mov_b32_e32 v10, v45
	global_store_b64 v7, v[10:11], s[20:21] scale_offset
	s_wait_xcnt 0x0
	s_or_b32 exec_lo, exec_lo, s15
	s_delay_alu instid0(SALU_CYCLE_1)
	s_and_b32 exec_lo, exec_lo, s17
	s_cbranch_execnz .LBB745_127
	s_branch .LBB745_128
.LBB745_191:
	s_and_saveexec_b32 s17, s14
	s_cbranch_execnz .LBB745_247
; %bb.192:
	s_or_b32 exec_lo, exec_lo, s17
	s_and_saveexec_b32 s14, s13
	s_cbranch_execnz .LBB745_248
.LBB745_193:
	s_or_b32 exec_lo, exec_lo, s14
	s_and_saveexec_b32 s13, s12
	s_cbranch_execnz .LBB745_249
.LBB745_194:
	s_or_b32 exec_lo, exec_lo, s13
	s_and_saveexec_b32 s12, s11
	s_cbranch_execnz .LBB745_250
.LBB745_195:
	s_or_b32 exec_lo, exec_lo, s12
	s_and_saveexec_b32 s11, s10
	s_cbranch_execnz .LBB745_251
.LBB745_196:
	s_or_b32 exec_lo, exec_lo, s11
	s_and_saveexec_b32 s10, s9
	s_cbranch_execnz .LBB745_252
.LBB745_197:
	s_or_b32 exec_lo, exec_lo, s10
	s_and_saveexec_b32 s9, s8
	s_cbranch_execnz .LBB745_253
.LBB745_198:
	s_or_b32 exec_lo, exec_lo, s9
	s_and_saveexec_b32 s8, s7
	s_cbranch_execnz .LBB745_254
.LBB745_199:
	s_or_b32 exec_lo, exec_lo, s8
	s_and_saveexec_b32 s7, s6
	s_cbranch_execnz .LBB745_255
.LBB745_200:
	s_or_b32 exec_lo, exec_lo, s7
	s_and_saveexec_b32 s6, s5
	s_cbranch_execnz .LBB745_256
.LBB745_201:
	s_or_b32 exec_lo, exec_lo, s6
	s_and_saveexec_b32 s5, s4
	s_cbranch_execnz .LBB745_257
.LBB745_202:
	s_or_b32 exec_lo, exec_lo, s5
	s_and_saveexec_b32 s4, s3
	s_cbranch_execnz .LBB745_258
.LBB745_203:
	s_or_b32 exec_lo, exec_lo, s4
	s_and_saveexec_b32 s3, s2
	s_cbranch_execnz .LBB745_259
.LBB745_204:
	s_or_b32 exec_lo, exec_lo, s3
	s_and_saveexec_b32 s2, s1
.LBB745_205:
	v_sub_nc_u32_e32 v6, v44, v1
	s_delay_alu instid0(VALU_DEP_1)
	v_lshlrev_b32_e32 v6, 2, v6
	ds_store_b32 v6, v45
.LBB745_206:
	s_or_b32 exec_lo, exec_lo, s2
	s_delay_alu instid0(SALU_CYCLE_1)
	s_and_b32 s17, s0, exec_lo
                                        ; implicit-def: $vgpr44_vgpr45
                                        ; implicit-def: $vgpr50_vgpr51
                                        ; implicit-def: $vgpr46_vgpr47
                                        ; implicit-def: $vgpr62_vgpr63
                                        ; implicit-def: $vgpr66_vgpr67
                                        ; implicit-def: $vgpr64_vgpr65
                                        ; implicit-def: $vgpr60_vgpr61
                                        ; implicit-def: $vgpr56_vgpr57
                                        ; implicit-def: $vgpr52_vgpr53
                                        ; implicit-def: $vgpr48_vgpr49
                                        ; implicit-def: $vgpr54_vgpr55
                                        ; implicit-def: $vgpr58_vgpr59
                                        ; implicit-def: $vgpr38_vgpr39
                                        ; implicit-def: $vgpr40_vgpr41
	s_and_not1_saveexec_b32 s0, s16
	s_cbranch_execz .LBB745_132
.LBB745_207:
	v_dual_sub_nc_u32 v6, v62, v1 :: v_dual_sub_nc_u32 v9, v64, v1
	v_dual_sub_nc_u32 v7, v66, v1 :: v_dual_sub_nc_u32 v10, v60, v1
	s_or_b32 s17, s17, exec_lo
	s_delay_alu instid0(VALU_DEP_2) | instskip(NEXT) | instid1(VALU_DEP_2)
	v_dual_lshlrev_b32 v6, 2, v6 :: v_dual_lshlrev_b32 v9, 2, v9
	v_dual_lshlrev_b32 v7, 2, v7 :: v_dual_lshlrev_b32 v10, 2, v10
	ds_store_b32 v6, v63
	ds_store_b32 v7, v67
	;; [unrolled: 1-line block ×3, first 2 shown]
	v_sub_nc_u32_e32 v6, v56, v1
	ds_store_b32 v10, v61
	v_dual_sub_nc_u32 v10, v54, v1 :: v_dual_sub_nc_u32 v7, v52, v1
	v_dual_sub_nc_u32 v9, v48, v1 :: v_dual_sub_nc_u32 v11, v58, v1
	v_lshlrev_b32_e32 v6, 2, v6
	s_delay_alu instid0(VALU_DEP_3) | instskip(NEXT) | instid1(VALU_DEP_3)
	v_dual_lshlrev_b32 v10, 2, v10 :: v_dual_lshlrev_b32 v7, 2, v7
	v_lshlrev_b32_e32 v9, 2, v9
	ds_store_b32 v6, v57
	v_lshlrev_b32_e32 v6, 2, v11
	ds_store_b32 v7, v53
	ds_store_b32 v9, v49
	;; [unrolled: 1-line block ×3, first 2 shown]
	v_sub_nc_u32_e32 v7, v38, v1
	v_dual_sub_nc_u32 v10, v50, v1 :: v_dual_sub_nc_u32 v11, v44, v1
	ds_store_b32 v6, v59
	v_dual_sub_nc_u32 v6, v40, v1 :: v_dual_sub_nc_u32 v9, v46, v1
	v_dual_lshlrev_b32 v7, 2, v7 :: v_dual_lshlrev_b32 v10, 2, v10
	s_delay_alu instid0(VALU_DEP_2)
	v_dual_lshlrev_b32 v6, 2, v6 :: v_dual_lshlrev_b32 v9, 2, v9
	ds_store_b32 v7, v39
	v_lshlrev_b32_e32 v7, 2, v11
	ds_store_b32 v6, v41
	ds_store_b32 v9, v47
	;; [unrolled: 1-line block ×4, first 2 shown]
	s_or_b32 exec_lo, exec_lo, s0
	s_delay_alu instid0(SALU_CYCLE_1)
	s_and_b32 exec_lo, exec_lo, s17
	s_cbranch_execnz .LBB745_133
	s_branch .LBB745_134
.LBB745_208:
	v_sub_nc_u32_e32 v35, v62, v32
	v_readfirstlane_b32 s20, v74
	v_readfirstlane_b32 s21, v75
	global_store_b64 v35, v[26:27], s[20:21] scale_offset
	s_wait_xcnt 0x0
	s_or_b32 exec_lo, exec_lo, s18
	s_and_saveexec_b32 s18, s14
	s_cbranch_execz .LBB745_142
.LBB745_209:
	v_sub_nc_u32_e32 v35, v66, v32
	v_readfirstlane_b32 s20, v74
	v_readfirstlane_b32 s21, v75
	global_store_b64 v35, v[28:29], s[20:21] scale_offset
	s_wait_xcnt 0x0
	s_or_b32 exec_lo, exec_lo, s18
	s_and_saveexec_b32 s18, s13
	s_cbranch_execz .LBB745_143
.LBB745_210:
	v_sub_nc_u32_e32 v35, v64, v32
	v_readfirstlane_b32 s20, v74
	v_readfirstlane_b32 s21, v75
	global_store_b64 v35, v[22:23], s[20:21] scale_offset
	s_wait_xcnt 0x0
	s_or_b32 exec_lo, exec_lo, s18
	s_and_saveexec_b32 s18, s12
	s_cbranch_execz .LBB745_144
.LBB745_211:
	v_sub_nc_u32_e32 v35, v60, v32
	v_readfirstlane_b32 s20, v74
	v_readfirstlane_b32 s21, v75
	global_store_b64 v35, v[24:25], s[20:21] scale_offset
	s_wait_xcnt 0x0
	s_or_b32 exec_lo, exec_lo, s18
	s_and_saveexec_b32 s18, s11
	s_cbranch_execz .LBB745_145
.LBB745_212:
	v_sub_nc_u32_e32 v35, v56, v32
	v_readfirstlane_b32 s20, v74
	v_readfirstlane_b32 s21, v75
	global_store_b64 v35, v[18:19], s[20:21] scale_offset
	s_wait_xcnt 0x0
	s_or_b32 exec_lo, exec_lo, s18
	s_and_saveexec_b32 s18, s10
	s_cbranch_execz .LBB745_146
.LBB745_213:
	v_sub_nc_u32_e32 v35, v52, v32
	v_readfirstlane_b32 s20, v74
	v_readfirstlane_b32 s21, v75
	global_store_b64 v35, v[20:21], s[20:21] scale_offset
	s_wait_xcnt 0x0
	s_or_b32 exec_lo, exec_lo, s18
	s_and_saveexec_b32 s18, s9
	s_cbranch_execz .LBB745_147
.LBB745_214:
	v_sub_nc_u32_e32 v35, v48, v32
	v_readfirstlane_b32 s20, v74
	v_readfirstlane_b32 s21, v75
	global_store_b64 v35, v[14:15], s[20:21] scale_offset
	s_wait_xcnt 0x0
	s_or_b32 exec_lo, exec_lo, s18
	s_and_saveexec_b32 s18, s8
	s_cbranch_execz .LBB745_148
.LBB745_215:
	v_sub_nc_u32_e32 v35, v54, v32
	v_readfirstlane_b32 s20, v74
	v_readfirstlane_b32 s21, v75
	global_store_b64 v35, v[16:17], s[20:21] scale_offset
	s_wait_xcnt 0x0
	s_or_b32 exec_lo, exec_lo, s18
	s_and_saveexec_b32 s18, s7
	s_cbranch_execz .LBB745_149
.LBB745_216:
	v_sub_nc_u32_e32 v35, v58, v32
	v_readfirstlane_b32 s20, v74
	v_readfirstlane_b32 s21, v75
	global_store_b64 v35, v[10:11], s[20:21] scale_offset
	s_wait_xcnt 0x0
	s_or_b32 exec_lo, exec_lo, s18
	s_and_saveexec_b32 s18, s6
	s_cbranch_execz .LBB745_150
.LBB745_217:
	v_sub_nc_u32_e32 v35, v38, v32
	v_readfirstlane_b32 s20, v74
	v_readfirstlane_b32 s21, v75
	global_store_b64 v35, v[12:13], s[20:21] scale_offset
	s_wait_xcnt 0x0
	s_or_b32 exec_lo, exec_lo, s18
	s_and_saveexec_b32 s18, s5
	s_cbranch_execz .LBB745_151
.LBB745_218:
	v_sub_nc_u32_e32 v35, v40, v32
	v_readfirstlane_b32 s20, v74
	v_readfirstlane_b32 s21, v75
	global_store_b64 v35, v[6:7], s[20:21] scale_offset
	s_wait_xcnt 0x0
	s_or_b32 exec_lo, exec_lo, s18
	s_and_saveexec_b32 s18, s4
	s_cbranch_execz .LBB745_152
.LBB745_219:
	v_sub_nc_u32_e32 v35, v46, v32
	v_readfirstlane_b32 s20, v74
	v_readfirstlane_b32 s21, v75
	global_store_b64 v35, v[8:9], s[20:21] scale_offset
	s_wait_xcnt 0x0
	s_or_b32 exec_lo, exec_lo, s18
	s_and_saveexec_b32 s18, s3
	s_cbranch_execz .LBB745_153
.LBB745_220:
	v_sub_nc_u32_e32 v35, v50, v32
	v_readfirstlane_b32 s20, v74
	v_readfirstlane_b32 s21, v75
	global_store_b64 v35, v[2:3], s[20:21] scale_offset
	s_wait_xcnt 0x0
	s_or_b32 exec_lo, exec_lo, s18
	s_and_saveexec_b32 s18, s1
	s_cbranch_execnz .LBB745_154
	s_branch .LBB745_155
.LBB745_221:
	v_sub_nc_u32_e32 v31, v62, v32
	s_delay_alu instid0(VALU_DEP_1)
	v_lshlrev_b32_e32 v31, 3, v31
	ds_store_b64 v31, v[26:27]
	s_or_b32 exec_lo, exec_lo, s18
	s_and_saveexec_b32 s15, s14
	s_cbranch_execz .LBB745_159
.LBB745_222:
	v_sub_nc_u32_e32 v26, v66, v32
	s_delay_alu instid0(VALU_DEP_1)
	v_lshlrev_b32_e32 v26, 3, v26
	ds_store_b64 v26, v[28:29]
	s_or_b32 exec_lo, exec_lo, s15
	s_and_saveexec_b32 s14, s13
	s_cbranch_execz .LBB745_160
.LBB745_223:
	v_sub_nc_u32_e32 v26, v64, v32
	s_delay_alu instid0(VALU_DEP_1)
	v_lshlrev_b32_e32 v26, 3, v26
	ds_store_b64 v26, v[22:23]
	s_or_b32 exec_lo, exec_lo, s14
	s_and_saveexec_b32 s13, s12
	s_cbranch_execz .LBB745_161
.LBB745_224:
	v_sub_nc_u32_e32 v22, v60, v32
	s_delay_alu instid0(VALU_DEP_1)
	v_lshlrev_b32_e32 v22, 3, v22
	ds_store_b64 v22, v[24:25]
	s_or_b32 exec_lo, exec_lo, s13
	s_and_saveexec_b32 s12, s11
	s_cbranch_execz .LBB745_162
.LBB745_225:
	v_sub_nc_u32_e32 v22, v56, v32
	s_delay_alu instid0(VALU_DEP_1)
	v_lshlrev_b32_e32 v22, 3, v22
	ds_store_b64 v22, v[18:19]
	s_or_b32 exec_lo, exec_lo, s12
	s_and_saveexec_b32 s11, s10
	s_cbranch_execz .LBB745_163
.LBB745_226:
	v_sub_nc_u32_e32 v18, v52, v32
	s_delay_alu instid0(VALU_DEP_1)
	v_lshlrev_b32_e32 v18, 3, v18
	ds_store_b64 v18, v[20:21]
	s_or_b32 exec_lo, exec_lo, s11
	s_and_saveexec_b32 s10, s9
	s_cbranch_execz .LBB745_164
.LBB745_227:
	v_sub_nc_u32_e32 v18, v48, v32
	s_delay_alu instid0(VALU_DEP_1)
	v_lshlrev_b32_e32 v18, 3, v18
	ds_store_b64 v18, v[14:15]
	s_or_b32 exec_lo, exec_lo, s10
	s_and_saveexec_b32 s9, s8
	s_cbranch_execz .LBB745_165
.LBB745_228:
	v_sub_nc_u32_e32 v14, v54, v32
	s_delay_alu instid0(VALU_DEP_1)
	v_lshlrev_b32_e32 v14, 3, v14
	ds_store_b64 v14, v[16:17]
	s_or_b32 exec_lo, exec_lo, s9
	s_and_saveexec_b32 s8, s7
	s_cbranch_execz .LBB745_166
.LBB745_229:
	v_sub_nc_u32_e32 v14, v58, v32
	s_delay_alu instid0(VALU_DEP_1)
	v_lshlrev_b32_e32 v14, 3, v14
	ds_store_b64 v14, v[10:11]
	s_or_b32 exec_lo, exec_lo, s8
	s_and_saveexec_b32 s7, s6
	s_cbranch_execz .LBB745_167
.LBB745_230:
	v_sub_nc_u32_e32 v10, v38, v32
	s_delay_alu instid0(VALU_DEP_1)
	v_lshlrev_b32_e32 v10, 3, v10
	ds_store_b64 v10, v[12:13]
	s_or_b32 exec_lo, exec_lo, s7
	s_and_saveexec_b32 s6, s5
	s_cbranch_execz .LBB745_168
.LBB745_231:
	v_sub_nc_u32_e32 v10, v40, v32
	s_delay_alu instid0(VALU_DEP_1)
	v_lshlrev_b32_e32 v10, 3, v10
	ds_store_b64 v10, v[6:7]
	s_or_b32 exec_lo, exec_lo, s6
	s_and_saveexec_b32 s5, s4
	s_cbranch_execz .LBB745_169
.LBB745_232:
	v_sub_nc_u32_e32 v6, v46, v32
	s_delay_alu instid0(VALU_DEP_1)
	v_lshlrev_b32_e32 v6, 3, v6
	ds_store_b64 v6, v[8:9]
	s_or_b32 exec_lo, exec_lo, s5
	s_and_saveexec_b32 s4, s3
	s_cbranch_execz .LBB745_170
.LBB745_233:
	v_sub_nc_u32_e32 v6, v50, v32
	s_delay_alu instid0(VALU_DEP_1)
	v_lshlrev_b32_e32 v6, 3, v6
	ds_store_b64 v6, v[2:3]
	s_or_b32 exec_lo, exec_lo, s4
	s_and_saveexec_b32 s3, s1
	s_cbranch_execnz .LBB745_171
	s_branch .LBB745_172
.LBB745_234:
	v_dual_sub_nc_u32 v7, v62, v1 :: v_dual_mov_b32 v11, 0
	v_mov_b32_e32 v10, v63
	v_readfirstlane_b32 s20, v4
	v_readfirstlane_b32 s21, v5
	global_store_b64 v7, v[10:11], s[20:21] scale_offset
	s_wait_xcnt 0x0
	s_or_b32 exec_lo, exec_lo, s17
	s_and_saveexec_b32 s17, s13
	s_cbranch_execz .LBB745_176
.LBB745_235:
	v_dual_sub_nc_u32 v7, v66, v1 :: v_dual_mov_b32 v11, 0
	v_mov_b32_e32 v10, v67
	v_readfirstlane_b32 s20, v4
	v_readfirstlane_b32 s21, v5
	global_store_b64 v7, v[10:11], s[20:21] scale_offset
	s_wait_xcnt 0x0
	s_or_b32 exec_lo, exec_lo, s17
	s_and_saveexec_b32 s17, s12
	s_cbranch_execz .LBB745_177
.LBB745_236:
	v_dual_sub_nc_u32 v7, v64, v1 :: v_dual_mov_b32 v11, 0
	v_mov_b32_e32 v10, v65
	v_readfirstlane_b32 s20, v4
	v_readfirstlane_b32 s21, v5
	global_store_b64 v7, v[10:11], s[20:21] scale_offset
	s_wait_xcnt 0x0
	s_or_b32 exec_lo, exec_lo, s17
	s_and_saveexec_b32 s17, s11
	s_cbranch_execz .LBB745_178
.LBB745_237:
	v_dual_sub_nc_u32 v7, v60, v1 :: v_dual_mov_b32 v11, 0
	v_mov_b32_e32 v10, v61
	v_readfirstlane_b32 s20, v4
	v_readfirstlane_b32 s21, v5
	global_store_b64 v7, v[10:11], s[20:21] scale_offset
	s_wait_xcnt 0x0
	s_or_b32 exec_lo, exec_lo, s17
	s_and_saveexec_b32 s17, s10
	s_cbranch_execz .LBB745_179
.LBB745_238:
	v_dual_sub_nc_u32 v7, v56, v1 :: v_dual_mov_b32 v11, 0
	v_mov_b32_e32 v10, v57
	v_readfirstlane_b32 s20, v4
	v_readfirstlane_b32 s21, v5
	global_store_b64 v7, v[10:11], s[20:21] scale_offset
	s_wait_xcnt 0x0
	s_or_b32 exec_lo, exec_lo, s17
	s_and_saveexec_b32 s17, s9
	s_cbranch_execz .LBB745_180
.LBB745_239:
	v_dual_sub_nc_u32 v7, v52, v1 :: v_dual_mov_b32 v11, 0
	v_mov_b32_e32 v10, v53
	v_readfirstlane_b32 s20, v4
	v_readfirstlane_b32 s21, v5
	global_store_b64 v7, v[10:11], s[20:21] scale_offset
	s_wait_xcnt 0x0
	s_or_b32 exec_lo, exec_lo, s17
	s_and_saveexec_b32 s17, s8
	s_cbranch_execz .LBB745_181
.LBB745_240:
	v_dual_sub_nc_u32 v7, v48, v1 :: v_dual_mov_b32 v11, 0
	v_mov_b32_e32 v10, v49
	v_readfirstlane_b32 s20, v4
	v_readfirstlane_b32 s21, v5
	global_store_b64 v7, v[10:11], s[20:21] scale_offset
	s_wait_xcnt 0x0
	s_or_b32 exec_lo, exec_lo, s17
	s_and_saveexec_b32 s17, s7
	s_cbranch_execz .LBB745_182
.LBB745_241:
	v_dual_sub_nc_u32 v7, v54, v1 :: v_dual_mov_b32 v11, 0
	v_mov_b32_e32 v10, v55
	v_readfirstlane_b32 s20, v4
	v_readfirstlane_b32 s21, v5
	global_store_b64 v7, v[10:11], s[20:21] scale_offset
	s_wait_xcnt 0x0
	s_or_b32 exec_lo, exec_lo, s17
	s_and_saveexec_b32 s17, s6
	s_cbranch_execz .LBB745_183
.LBB745_242:
	v_dual_sub_nc_u32 v7, v58, v1 :: v_dual_mov_b32 v11, 0
	v_mov_b32_e32 v10, v59
	v_readfirstlane_b32 s20, v4
	v_readfirstlane_b32 s21, v5
	global_store_b64 v7, v[10:11], s[20:21] scale_offset
	s_wait_xcnt 0x0
	s_or_b32 exec_lo, exec_lo, s17
	s_and_saveexec_b32 s17, s5
	s_cbranch_execz .LBB745_184
.LBB745_243:
	v_dual_sub_nc_u32 v7, v38, v1 :: v_dual_mov_b32 v11, 0
	v_mov_b32_e32 v10, v39
	v_readfirstlane_b32 s20, v4
	v_readfirstlane_b32 s21, v5
	global_store_b64 v7, v[10:11], s[20:21] scale_offset
	s_wait_xcnt 0x0
	s_or_b32 exec_lo, exec_lo, s17
	s_and_saveexec_b32 s17, s4
	s_cbranch_execz .LBB745_185
.LBB745_244:
	v_dual_sub_nc_u32 v7, v40, v1 :: v_dual_mov_b32 v11, 0
	v_mov_b32_e32 v10, v41
	v_readfirstlane_b32 s20, v4
	v_readfirstlane_b32 s21, v5
	global_store_b64 v7, v[10:11], s[20:21] scale_offset
	s_wait_xcnt 0x0
	s_or_b32 exec_lo, exec_lo, s17
	s_and_saveexec_b32 s17, s3
	s_cbranch_execz .LBB745_186
.LBB745_245:
	v_dual_sub_nc_u32 v7, v46, v1 :: v_dual_mov_b32 v11, 0
	v_mov_b32_e32 v10, v47
	v_readfirstlane_b32 s20, v4
	v_readfirstlane_b32 s21, v5
	global_store_b64 v7, v[10:11], s[20:21] scale_offset
	s_wait_xcnt 0x0
	s_or_b32 exec_lo, exec_lo, s17
	s_and_saveexec_b32 s17, s2
	s_cbranch_execz .LBB745_187
.LBB745_246:
	v_dual_sub_nc_u32 v7, v50, v1 :: v_dual_mov_b32 v11, 0
	v_mov_b32_e32 v10, v51
	v_readfirstlane_b32 s20, v4
	v_readfirstlane_b32 s21, v5
	global_store_b64 v7, v[10:11], s[20:21] scale_offset
	s_wait_xcnt 0x0
	s_or_b32 exec_lo, exec_lo, s17
	s_and_saveexec_b32 s17, s1
	s_cbranch_execnz .LBB745_188
	s_branch .LBB745_189
.LBB745_247:
	v_sub_nc_u32_e32 v6, v62, v1
	s_delay_alu instid0(VALU_DEP_1)
	v_lshlrev_b32_e32 v6, 2, v6
	ds_store_b32 v6, v63
	s_or_b32 exec_lo, exec_lo, s17
	s_and_saveexec_b32 s14, s13
	s_cbranch_execz .LBB745_193
.LBB745_248:
	v_sub_nc_u32_e32 v6, v66, v1
	s_delay_alu instid0(VALU_DEP_1)
	v_lshlrev_b32_e32 v6, 2, v6
	ds_store_b32 v6, v67
	s_or_b32 exec_lo, exec_lo, s14
	s_and_saveexec_b32 s13, s12
	s_cbranch_execz .LBB745_194
.LBB745_249:
	v_sub_nc_u32_e32 v6, v64, v1
	s_delay_alu instid0(VALU_DEP_1)
	v_lshlrev_b32_e32 v6, 2, v6
	ds_store_b32 v6, v65
	s_or_b32 exec_lo, exec_lo, s13
	s_and_saveexec_b32 s12, s11
	s_cbranch_execz .LBB745_195
.LBB745_250:
	v_sub_nc_u32_e32 v6, v60, v1
	s_delay_alu instid0(VALU_DEP_1)
	v_lshlrev_b32_e32 v6, 2, v6
	ds_store_b32 v6, v61
	s_or_b32 exec_lo, exec_lo, s12
	s_and_saveexec_b32 s11, s10
	s_cbranch_execz .LBB745_196
.LBB745_251:
	v_sub_nc_u32_e32 v6, v56, v1
	s_delay_alu instid0(VALU_DEP_1)
	v_lshlrev_b32_e32 v6, 2, v6
	ds_store_b32 v6, v57
	s_or_b32 exec_lo, exec_lo, s11
	s_and_saveexec_b32 s10, s9
	s_cbranch_execz .LBB745_197
.LBB745_252:
	v_sub_nc_u32_e32 v6, v52, v1
	s_delay_alu instid0(VALU_DEP_1)
	v_lshlrev_b32_e32 v6, 2, v6
	ds_store_b32 v6, v53
	s_or_b32 exec_lo, exec_lo, s10
	s_and_saveexec_b32 s9, s8
	s_cbranch_execz .LBB745_198
.LBB745_253:
	v_sub_nc_u32_e32 v6, v48, v1
	s_delay_alu instid0(VALU_DEP_1)
	v_lshlrev_b32_e32 v6, 2, v6
	ds_store_b32 v6, v49
	s_or_b32 exec_lo, exec_lo, s9
	s_and_saveexec_b32 s8, s7
	s_cbranch_execz .LBB745_199
.LBB745_254:
	v_sub_nc_u32_e32 v6, v54, v1
	s_delay_alu instid0(VALU_DEP_1)
	v_lshlrev_b32_e32 v6, 2, v6
	ds_store_b32 v6, v55
	s_or_b32 exec_lo, exec_lo, s8
	s_and_saveexec_b32 s7, s6
	s_cbranch_execz .LBB745_200
.LBB745_255:
	v_sub_nc_u32_e32 v6, v58, v1
	s_delay_alu instid0(VALU_DEP_1)
	v_lshlrev_b32_e32 v6, 2, v6
	ds_store_b32 v6, v59
	s_or_b32 exec_lo, exec_lo, s7
	s_and_saveexec_b32 s6, s5
	s_cbranch_execz .LBB745_201
.LBB745_256:
	v_sub_nc_u32_e32 v6, v38, v1
	s_delay_alu instid0(VALU_DEP_1)
	v_lshlrev_b32_e32 v6, 2, v6
	ds_store_b32 v6, v39
	s_or_b32 exec_lo, exec_lo, s6
	s_and_saveexec_b32 s5, s4
	s_cbranch_execz .LBB745_202
.LBB745_257:
	v_sub_nc_u32_e32 v6, v40, v1
	s_delay_alu instid0(VALU_DEP_1)
	v_lshlrev_b32_e32 v6, 2, v6
	ds_store_b32 v6, v41
	s_or_b32 exec_lo, exec_lo, s5
	s_and_saveexec_b32 s4, s3
	s_cbranch_execz .LBB745_203
.LBB745_258:
	v_sub_nc_u32_e32 v6, v46, v1
	s_delay_alu instid0(VALU_DEP_1)
	v_lshlrev_b32_e32 v6, 2, v6
	ds_store_b32 v6, v47
	s_or_b32 exec_lo, exec_lo, s4
	s_and_saveexec_b32 s3, s2
	s_cbranch_execz .LBB745_204
.LBB745_259:
	v_sub_nc_u32_e32 v6, v50, v1
	s_delay_alu instid0(VALU_DEP_1)
	v_lshlrev_b32_e32 v6, 2, v6
	ds_store_b32 v6, v51
	s_or_b32 exec_lo, exec_lo, s3
	s_and_saveexec_b32 s2, s1
	s_cbranch_execnz .LBB745_205
	s_branch .LBB745_206
	.section	.rodata,"a",@progbits
	.p2align	6, 0x0
	.amdhsa_kernel _ZN7rocprim17ROCPRIM_400000_NS6detail17trampoline_kernelINS0_14default_configENS1_33run_length_encode_config_selectorImjNS0_4plusIjEEEEZZNS1_33reduce_by_key_impl_wrapped_configILNS1_25lookback_scan_determinismE0ES3_S7_PKmNS0_17constant_iteratorIjlEEPmPlSF_S6_NS0_8equal_toImEEEE10hipError_tPvRmT2_T3_mT4_T5_T6_T7_T8_P12ihipStream_tbENKUlT_T0_E_clISt17integral_constantIbLb0EESY_IbLb1EEEEDaSU_SV_EUlSU_E_NS1_11comp_targetILNS1_3genE0ELNS1_11target_archE4294967295ELNS1_3gpuE0ELNS1_3repE0EEENS1_30default_config_static_selectorELNS0_4arch9wavefront6targetE0EEEvT1_
		.amdhsa_group_segment_fixed_size 30720
		.amdhsa_private_segment_fixed_size 0
		.amdhsa_kernarg_size 128
		.amdhsa_user_sgpr_count 2
		.amdhsa_user_sgpr_dispatch_ptr 0
		.amdhsa_user_sgpr_queue_ptr 0
		.amdhsa_user_sgpr_kernarg_segment_ptr 1
		.amdhsa_user_sgpr_dispatch_id 0
		.amdhsa_user_sgpr_kernarg_preload_length 0
		.amdhsa_user_sgpr_kernarg_preload_offset 0
		.amdhsa_user_sgpr_private_segment_size 0
		.amdhsa_wavefront_size32 1
		.amdhsa_uses_dynamic_stack 0
		.amdhsa_enable_private_segment 0
		.amdhsa_system_sgpr_workgroup_id_x 1
		.amdhsa_system_sgpr_workgroup_id_y 0
		.amdhsa_system_sgpr_workgroup_id_z 0
		.amdhsa_system_sgpr_workgroup_info 0
		.amdhsa_system_vgpr_workitem_id 0
		.amdhsa_next_free_vgpr 101
		.amdhsa_next_free_sgpr 46
		.amdhsa_named_barrier_count 0
		.amdhsa_reserve_vcc 1
		.amdhsa_float_round_mode_32 0
		.amdhsa_float_round_mode_16_64 0
		.amdhsa_float_denorm_mode_32 3
		.amdhsa_float_denorm_mode_16_64 3
		.amdhsa_fp16_overflow 0
		.amdhsa_memory_ordered 1
		.amdhsa_forward_progress 1
		.amdhsa_inst_pref_size 118
		.amdhsa_round_robin_scheduling 0
		.amdhsa_exception_fp_ieee_invalid_op 0
		.amdhsa_exception_fp_denorm_src 0
		.amdhsa_exception_fp_ieee_div_zero 0
		.amdhsa_exception_fp_ieee_overflow 0
		.amdhsa_exception_fp_ieee_underflow 0
		.amdhsa_exception_fp_ieee_inexact 0
		.amdhsa_exception_int_div_zero 0
	.end_amdhsa_kernel
	.section	.text._ZN7rocprim17ROCPRIM_400000_NS6detail17trampoline_kernelINS0_14default_configENS1_33run_length_encode_config_selectorImjNS0_4plusIjEEEEZZNS1_33reduce_by_key_impl_wrapped_configILNS1_25lookback_scan_determinismE0ES3_S7_PKmNS0_17constant_iteratorIjlEEPmPlSF_S6_NS0_8equal_toImEEEE10hipError_tPvRmT2_T3_mT4_T5_T6_T7_T8_P12ihipStream_tbENKUlT_T0_E_clISt17integral_constantIbLb0EESY_IbLb1EEEEDaSU_SV_EUlSU_E_NS1_11comp_targetILNS1_3genE0ELNS1_11target_archE4294967295ELNS1_3gpuE0ELNS1_3repE0EEENS1_30default_config_static_selectorELNS0_4arch9wavefront6targetE0EEEvT1_,"axG",@progbits,_ZN7rocprim17ROCPRIM_400000_NS6detail17trampoline_kernelINS0_14default_configENS1_33run_length_encode_config_selectorImjNS0_4plusIjEEEEZZNS1_33reduce_by_key_impl_wrapped_configILNS1_25lookback_scan_determinismE0ES3_S7_PKmNS0_17constant_iteratorIjlEEPmPlSF_S6_NS0_8equal_toImEEEE10hipError_tPvRmT2_T3_mT4_T5_T6_T7_T8_P12ihipStream_tbENKUlT_T0_E_clISt17integral_constantIbLb0EESY_IbLb1EEEEDaSU_SV_EUlSU_E_NS1_11comp_targetILNS1_3genE0ELNS1_11target_archE4294967295ELNS1_3gpuE0ELNS1_3repE0EEENS1_30default_config_static_selectorELNS0_4arch9wavefront6targetE0EEEvT1_,comdat
.Lfunc_end745:
	.size	_ZN7rocprim17ROCPRIM_400000_NS6detail17trampoline_kernelINS0_14default_configENS1_33run_length_encode_config_selectorImjNS0_4plusIjEEEEZZNS1_33reduce_by_key_impl_wrapped_configILNS1_25lookback_scan_determinismE0ES3_S7_PKmNS0_17constant_iteratorIjlEEPmPlSF_S6_NS0_8equal_toImEEEE10hipError_tPvRmT2_T3_mT4_T5_T6_T7_T8_P12ihipStream_tbENKUlT_T0_E_clISt17integral_constantIbLb0EESY_IbLb1EEEEDaSU_SV_EUlSU_E_NS1_11comp_targetILNS1_3genE0ELNS1_11target_archE4294967295ELNS1_3gpuE0ELNS1_3repE0EEENS1_30default_config_static_selectorELNS0_4arch9wavefront6targetE0EEEvT1_, .Lfunc_end745-_ZN7rocprim17ROCPRIM_400000_NS6detail17trampoline_kernelINS0_14default_configENS1_33run_length_encode_config_selectorImjNS0_4plusIjEEEEZZNS1_33reduce_by_key_impl_wrapped_configILNS1_25lookback_scan_determinismE0ES3_S7_PKmNS0_17constant_iteratorIjlEEPmPlSF_S6_NS0_8equal_toImEEEE10hipError_tPvRmT2_T3_mT4_T5_T6_T7_T8_P12ihipStream_tbENKUlT_T0_E_clISt17integral_constantIbLb0EESY_IbLb1EEEEDaSU_SV_EUlSU_E_NS1_11comp_targetILNS1_3genE0ELNS1_11target_archE4294967295ELNS1_3gpuE0ELNS1_3repE0EEENS1_30default_config_static_selectorELNS0_4arch9wavefront6targetE0EEEvT1_
                                        ; -- End function
	.set _ZN7rocprim17ROCPRIM_400000_NS6detail17trampoline_kernelINS0_14default_configENS1_33run_length_encode_config_selectorImjNS0_4plusIjEEEEZZNS1_33reduce_by_key_impl_wrapped_configILNS1_25lookback_scan_determinismE0ES3_S7_PKmNS0_17constant_iteratorIjlEEPmPlSF_S6_NS0_8equal_toImEEEE10hipError_tPvRmT2_T3_mT4_T5_T6_T7_T8_P12ihipStream_tbENKUlT_T0_E_clISt17integral_constantIbLb0EESY_IbLb1EEEEDaSU_SV_EUlSU_E_NS1_11comp_targetILNS1_3genE0ELNS1_11target_archE4294967295ELNS1_3gpuE0ELNS1_3repE0EEENS1_30default_config_static_selectorELNS0_4arch9wavefront6targetE0EEEvT1_.num_vgpr, 101
	.set _ZN7rocprim17ROCPRIM_400000_NS6detail17trampoline_kernelINS0_14default_configENS1_33run_length_encode_config_selectorImjNS0_4plusIjEEEEZZNS1_33reduce_by_key_impl_wrapped_configILNS1_25lookback_scan_determinismE0ES3_S7_PKmNS0_17constant_iteratorIjlEEPmPlSF_S6_NS0_8equal_toImEEEE10hipError_tPvRmT2_T3_mT4_T5_T6_T7_T8_P12ihipStream_tbENKUlT_T0_E_clISt17integral_constantIbLb0EESY_IbLb1EEEEDaSU_SV_EUlSU_E_NS1_11comp_targetILNS1_3genE0ELNS1_11target_archE4294967295ELNS1_3gpuE0ELNS1_3repE0EEENS1_30default_config_static_selectorELNS0_4arch9wavefront6targetE0EEEvT1_.num_agpr, 0
	.set _ZN7rocprim17ROCPRIM_400000_NS6detail17trampoline_kernelINS0_14default_configENS1_33run_length_encode_config_selectorImjNS0_4plusIjEEEEZZNS1_33reduce_by_key_impl_wrapped_configILNS1_25lookback_scan_determinismE0ES3_S7_PKmNS0_17constant_iteratorIjlEEPmPlSF_S6_NS0_8equal_toImEEEE10hipError_tPvRmT2_T3_mT4_T5_T6_T7_T8_P12ihipStream_tbENKUlT_T0_E_clISt17integral_constantIbLb0EESY_IbLb1EEEEDaSU_SV_EUlSU_E_NS1_11comp_targetILNS1_3genE0ELNS1_11target_archE4294967295ELNS1_3gpuE0ELNS1_3repE0EEENS1_30default_config_static_selectorELNS0_4arch9wavefront6targetE0EEEvT1_.numbered_sgpr, 46
	.set _ZN7rocprim17ROCPRIM_400000_NS6detail17trampoline_kernelINS0_14default_configENS1_33run_length_encode_config_selectorImjNS0_4plusIjEEEEZZNS1_33reduce_by_key_impl_wrapped_configILNS1_25lookback_scan_determinismE0ES3_S7_PKmNS0_17constant_iteratorIjlEEPmPlSF_S6_NS0_8equal_toImEEEE10hipError_tPvRmT2_T3_mT4_T5_T6_T7_T8_P12ihipStream_tbENKUlT_T0_E_clISt17integral_constantIbLb0EESY_IbLb1EEEEDaSU_SV_EUlSU_E_NS1_11comp_targetILNS1_3genE0ELNS1_11target_archE4294967295ELNS1_3gpuE0ELNS1_3repE0EEENS1_30default_config_static_selectorELNS0_4arch9wavefront6targetE0EEEvT1_.num_named_barrier, 0
	.set _ZN7rocprim17ROCPRIM_400000_NS6detail17trampoline_kernelINS0_14default_configENS1_33run_length_encode_config_selectorImjNS0_4plusIjEEEEZZNS1_33reduce_by_key_impl_wrapped_configILNS1_25lookback_scan_determinismE0ES3_S7_PKmNS0_17constant_iteratorIjlEEPmPlSF_S6_NS0_8equal_toImEEEE10hipError_tPvRmT2_T3_mT4_T5_T6_T7_T8_P12ihipStream_tbENKUlT_T0_E_clISt17integral_constantIbLb0EESY_IbLb1EEEEDaSU_SV_EUlSU_E_NS1_11comp_targetILNS1_3genE0ELNS1_11target_archE4294967295ELNS1_3gpuE0ELNS1_3repE0EEENS1_30default_config_static_selectorELNS0_4arch9wavefront6targetE0EEEvT1_.private_seg_size, 0
	.set _ZN7rocprim17ROCPRIM_400000_NS6detail17trampoline_kernelINS0_14default_configENS1_33run_length_encode_config_selectorImjNS0_4plusIjEEEEZZNS1_33reduce_by_key_impl_wrapped_configILNS1_25lookback_scan_determinismE0ES3_S7_PKmNS0_17constant_iteratorIjlEEPmPlSF_S6_NS0_8equal_toImEEEE10hipError_tPvRmT2_T3_mT4_T5_T6_T7_T8_P12ihipStream_tbENKUlT_T0_E_clISt17integral_constantIbLb0EESY_IbLb1EEEEDaSU_SV_EUlSU_E_NS1_11comp_targetILNS1_3genE0ELNS1_11target_archE4294967295ELNS1_3gpuE0ELNS1_3repE0EEENS1_30default_config_static_selectorELNS0_4arch9wavefront6targetE0EEEvT1_.uses_vcc, 1
	.set _ZN7rocprim17ROCPRIM_400000_NS6detail17trampoline_kernelINS0_14default_configENS1_33run_length_encode_config_selectorImjNS0_4plusIjEEEEZZNS1_33reduce_by_key_impl_wrapped_configILNS1_25lookback_scan_determinismE0ES3_S7_PKmNS0_17constant_iteratorIjlEEPmPlSF_S6_NS0_8equal_toImEEEE10hipError_tPvRmT2_T3_mT4_T5_T6_T7_T8_P12ihipStream_tbENKUlT_T0_E_clISt17integral_constantIbLb0EESY_IbLb1EEEEDaSU_SV_EUlSU_E_NS1_11comp_targetILNS1_3genE0ELNS1_11target_archE4294967295ELNS1_3gpuE0ELNS1_3repE0EEENS1_30default_config_static_selectorELNS0_4arch9wavefront6targetE0EEEvT1_.uses_flat_scratch, 0
	.set _ZN7rocprim17ROCPRIM_400000_NS6detail17trampoline_kernelINS0_14default_configENS1_33run_length_encode_config_selectorImjNS0_4plusIjEEEEZZNS1_33reduce_by_key_impl_wrapped_configILNS1_25lookback_scan_determinismE0ES3_S7_PKmNS0_17constant_iteratorIjlEEPmPlSF_S6_NS0_8equal_toImEEEE10hipError_tPvRmT2_T3_mT4_T5_T6_T7_T8_P12ihipStream_tbENKUlT_T0_E_clISt17integral_constantIbLb0EESY_IbLb1EEEEDaSU_SV_EUlSU_E_NS1_11comp_targetILNS1_3genE0ELNS1_11target_archE4294967295ELNS1_3gpuE0ELNS1_3repE0EEENS1_30default_config_static_selectorELNS0_4arch9wavefront6targetE0EEEvT1_.has_dyn_sized_stack, 0
	.set _ZN7rocprim17ROCPRIM_400000_NS6detail17trampoline_kernelINS0_14default_configENS1_33run_length_encode_config_selectorImjNS0_4plusIjEEEEZZNS1_33reduce_by_key_impl_wrapped_configILNS1_25lookback_scan_determinismE0ES3_S7_PKmNS0_17constant_iteratorIjlEEPmPlSF_S6_NS0_8equal_toImEEEE10hipError_tPvRmT2_T3_mT4_T5_T6_T7_T8_P12ihipStream_tbENKUlT_T0_E_clISt17integral_constantIbLb0EESY_IbLb1EEEEDaSU_SV_EUlSU_E_NS1_11comp_targetILNS1_3genE0ELNS1_11target_archE4294967295ELNS1_3gpuE0ELNS1_3repE0EEENS1_30default_config_static_selectorELNS0_4arch9wavefront6targetE0EEEvT1_.has_recursion, 0
	.set _ZN7rocprim17ROCPRIM_400000_NS6detail17trampoline_kernelINS0_14default_configENS1_33run_length_encode_config_selectorImjNS0_4plusIjEEEEZZNS1_33reduce_by_key_impl_wrapped_configILNS1_25lookback_scan_determinismE0ES3_S7_PKmNS0_17constant_iteratorIjlEEPmPlSF_S6_NS0_8equal_toImEEEE10hipError_tPvRmT2_T3_mT4_T5_T6_T7_T8_P12ihipStream_tbENKUlT_T0_E_clISt17integral_constantIbLb0EESY_IbLb1EEEEDaSU_SV_EUlSU_E_NS1_11comp_targetILNS1_3genE0ELNS1_11target_archE4294967295ELNS1_3gpuE0ELNS1_3repE0EEENS1_30default_config_static_selectorELNS0_4arch9wavefront6targetE0EEEvT1_.has_indirect_call, 0
	.section	.AMDGPU.csdata,"",@progbits
; Kernel info:
; codeLenInByte = 14988
; TotalNumSgprs: 48
; NumVgprs: 101
; ScratchSize: 0
; MemoryBound: 0
; FloatMode: 240
; IeeeMode: 1
; LDSByteSize: 30720 bytes/workgroup (compile time only)
; SGPRBlocks: 0
; VGPRBlocks: 6
; NumSGPRsForWavesPerEU: 48
; NumVGPRsForWavesPerEU: 101
; NamedBarCnt: 0
; Occupancy: 9
; WaveLimiterHint : 1
; COMPUTE_PGM_RSRC2:SCRATCH_EN: 0
; COMPUTE_PGM_RSRC2:USER_SGPR: 2
; COMPUTE_PGM_RSRC2:TRAP_HANDLER: 0
; COMPUTE_PGM_RSRC2:TGID_X_EN: 1
; COMPUTE_PGM_RSRC2:TGID_Y_EN: 0
; COMPUTE_PGM_RSRC2:TGID_Z_EN: 0
; COMPUTE_PGM_RSRC2:TIDIG_COMP_CNT: 0
	.section	.text._ZN7rocprim17ROCPRIM_400000_NS6detail17trampoline_kernelINS0_14default_configENS1_33run_length_encode_config_selectorImjNS0_4plusIjEEEEZZNS1_33reduce_by_key_impl_wrapped_configILNS1_25lookback_scan_determinismE0ES3_S7_PKmNS0_17constant_iteratorIjlEEPmPlSF_S6_NS0_8equal_toImEEEE10hipError_tPvRmT2_T3_mT4_T5_T6_T7_T8_P12ihipStream_tbENKUlT_T0_E_clISt17integral_constantIbLb0EESY_IbLb1EEEEDaSU_SV_EUlSU_E_NS1_11comp_targetILNS1_3genE5ELNS1_11target_archE942ELNS1_3gpuE9ELNS1_3repE0EEENS1_30default_config_static_selectorELNS0_4arch9wavefront6targetE0EEEvT1_,"axG",@progbits,_ZN7rocprim17ROCPRIM_400000_NS6detail17trampoline_kernelINS0_14default_configENS1_33run_length_encode_config_selectorImjNS0_4plusIjEEEEZZNS1_33reduce_by_key_impl_wrapped_configILNS1_25lookback_scan_determinismE0ES3_S7_PKmNS0_17constant_iteratorIjlEEPmPlSF_S6_NS0_8equal_toImEEEE10hipError_tPvRmT2_T3_mT4_T5_T6_T7_T8_P12ihipStream_tbENKUlT_T0_E_clISt17integral_constantIbLb0EESY_IbLb1EEEEDaSU_SV_EUlSU_E_NS1_11comp_targetILNS1_3genE5ELNS1_11target_archE942ELNS1_3gpuE9ELNS1_3repE0EEENS1_30default_config_static_selectorELNS0_4arch9wavefront6targetE0EEEvT1_,comdat
	.protected	_ZN7rocprim17ROCPRIM_400000_NS6detail17trampoline_kernelINS0_14default_configENS1_33run_length_encode_config_selectorImjNS0_4plusIjEEEEZZNS1_33reduce_by_key_impl_wrapped_configILNS1_25lookback_scan_determinismE0ES3_S7_PKmNS0_17constant_iteratorIjlEEPmPlSF_S6_NS0_8equal_toImEEEE10hipError_tPvRmT2_T3_mT4_T5_T6_T7_T8_P12ihipStream_tbENKUlT_T0_E_clISt17integral_constantIbLb0EESY_IbLb1EEEEDaSU_SV_EUlSU_E_NS1_11comp_targetILNS1_3genE5ELNS1_11target_archE942ELNS1_3gpuE9ELNS1_3repE0EEENS1_30default_config_static_selectorELNS0_4arch9wavefront6targetE0EEEvT1_ ; -- Begin function _ZN7rocprim17ROCPRIM_400000_NS6detail17trampoline_kernelINS0_14default_configENS1_33run_length_encode_config_selectorImjNS0_4plusIjEEEEZZNS1_33reduce_by_key_impl_wrapped_configILNS1_25lookback_scan_determinismE0ES3_S7_PKmNS0_17constant_iteratorIjlEEPmPlSF_S6_NS0_8equal_toImEEEE10hipError_tPvRmT2_T3_mT4_T5_T6_T7_T8_P12ihipStream_tbENKUlT_T0_E_clISt17integral_constantIbLb0EESY_IbLb1EEEEDaSU_SV_EUlSU_E_NS1_11comp_targetILNS1_3genE5ELNS1_11target_archE942ELNS1_3gpuE9ELNS1_3repE0EEENS1_30default_config_static_selectorELNS0_4arch9wavefront6targetE0EEEvT1_
	.globl	_ZN7rocprim17ROCPRIM_400000_NS6detail17trampoline_kernelINS0_14default_configENS1_33run_length_encode_config_selectorImjNS0_4plusIjEEEEZZNS1_33reduce_by_key_impl_wrapped_configILNS1_25lookback_scan_determinismE0ES3_S7_PKmNS0_17constant_iteratorIjlEEPmPlSF_S6_NS0_8equal_toImEEEE10hipError_tPvRmT2_T3_mT4_T5_T6_T7_T8_P12ihipStream_tbENKUlT_T0_E_clISt17integral_constantIbLb0EESY_IbLb1EEEEDaSU_SV_EUlSU_E_NS1_11comp_targetILNS1_3genE5ELNS1_11target_archE942ELNS1_3gpuE9ELNS1_3repE0EEENS1_30default_config_static_selectorELNS0_4arch9wavefront6targetE0EEEvT1_
	.p2align	8
	.type	_ZN7rocprim17ROCPRIM_400000_NS6detail17trampoline_kernelINS0_14default_configENS1_33run_length_encode_config_selectorImjNS0_4plusIjEEEEZZNS1_33reduce_by_key_impl_wrapped_configILNS1_25lookback_scan_determinismE0ES3_S7_PKmNS0_17constant_iteratorIjlEEPmPlSF_S6_NS0_8equal_toImEEEE10hipError_tPvRmT2_T3_mT4_T5_T6_T7_T8_P12ihipStream_tbENKUlT_T0_E_clISt17integral_constantIbLb0EESY_IbLb1EEEEDaSU_SV_EUlSU_E_NS1_11comp_targetILNS1_3genE5ELNS1_11target_archE942ELNS1_3gpuE9ELNS1_3repE0EEENS1_30default_config_static_selectorELNS0_4arch9wavefront6targetE0EEEvT1_,@function
_ZN7rocprim17ROCPRIM_400000_NS6detail17trampoline_kernelINS0_14default_configENS1_33run_length_encode_config_selectorImjNS0_4plusIjEEEEZZNS1_33reduce_by_key_impl_wrapped_configILNS1_25lookback_scan_determinismE0ES3_S7_PKmNS0_17constant_iteratorIjlEEPmPlSF_S6_NS0_8equal_toImEEEE10hipError_tPvRmT2_T3_mT4_T5_T6_T7_T8_P12ihipStream_tbENKUlT_T0_E_clISt17integral_constantIbLb0EESY_IbLb1EEEEDaSU_SV_EUlSU_E_NS1_11comp_targetILNS1_3genE5ELNS1_11target_archE942ELNS1_3gpuE9ELNS1_3repE0EEENS1_30default_config_static_selectorELNS0_4arch9wavefront6targetE0EEEvT1_: ; @_ZN7rocprim17ROCPRIM_400000_NS6detail17trampoline_kernelINS0_14default_configENS1_33run_length_encode_config_selectorImjNS0_4plusIjEEEEZZNS1_33reduce_by_key_impl_wrapped_configILNS1_25lookback_scan_determinismE0ES3_S7_PKmNS0_17constant_iteratorIjlEEPmPlSF_S6_NS0_8equal_toImEEEE10hipError_tPvRmT2_T3_mT4_T5_T6_T7_T8_P12ihipStream_tbENKUlT_T0_E_clISt17integral_constantIbLb0EESY_IbLb1EEEEDaSU_SV_EUlSU_E_NS1_11comp_targetILNS1_3genE5ELNS1_11target_archE942ELNS1_3gpuE9ELNS1_3repE0EEENS1_30default_config_static_selectorELNS0_4arch9wavefront6targetE0EEEvT1_
; %bb.0:
	.section	.rodata,"a",@progbits
	.p2align	6, 0x0
	.amdhsa_kernel _ZN7rocprim17ROCPRIM_400000_NS6detail17trampoline_kernelINS0_14default_configENS1_33run_length_encode_config_selectorImjNS0_4plusIjEEEEZZNS1_33reduce_by_key_impl_wrapped_configILNS1_25lookback_scan_determinismE0ES3_S7_PKmNS0_17constant_iteratorIjlEEPmPlSF_S6_NS0_8equal_toImEEEE10hipError_tPvRmT2_T3_mT4_T5_T6_T7_T8_P12ihipStream_tbENKUlT_T0_E_clISt17integral_constantIbLb0EESY_IbLb1EEEEDaSU_SV_EUlSU_E_NS1_11comp_targetILNS1_3genE5ELNS1_11target_archE942ELNS1_3gpuE9ELNS1_3repE0EEENS1_30default_config_static_selectorELNS0_4arch9wavefront6targetE0EEEvT1_
		.amdhsa_group_segment_fixed_size 0
		.amdhsa_private_segment_fixed_size 0
		.amdhsa_kernarg_size 128
		.amdhsa_user_sgpr_count 2
		.amdhsa_user_sgpr_dispatch_ptr 0
		.amdhsa_user_sgpr_queue_ptr 0
		.amdhsa_user_sgpr_kernarg_segment_ptr 1
		.amdhsa_user_sgpr_dispatch_id 0
		.amdhsa_user_sgpr_kernarg_preload_length 0
		.amdhsa_user_sgpr_kernarg_preload_offset 0
		.amdhsa_user_sgpr_private_segment_size 0
		.amdhsa_wavefront_size32 1
		.amdhsa_uses_dynamic_stack 0
		.amdhsa_enable_private_segment 0
		.amdhsa_system_sgpr_workgroup_id_x 1
		.amdhsa_system_sgpr_workgroup_id_y 0
		.amdhsa_system_sgpr_workgroup_id_z 0
		.amdhsa_system_sgpr_workgroup_info 0
		.amdhsa_system_vgpr_workitem_id 0
		.amdhsa_next_free_vgpr 1
		.amdhsa_next_free_sgpr 1
		.amdhsa_named_barrier_count 0
		.amdhsa_reserve_vcc 0
		.amdhsa_float_round_mode_32 0
		.amdhsa_float_round_mode_16_64 0
		.amdhsa_float_denorm_mode_32 3
		.amdhsa_float_denorm_mode_16_64 3
		.amdhsa_fp16_overflow 0
		.amdhsa_memory_ordered 1
		.amdhsa_forward_progress 1
		.amdhsa_inst_pref_size 0
		.amdhsa_round_robin_scheduling 0
		.amdhsa_exception_fp_ieee_invalid_op 0
		.amdhsa_exception_fp_denorm_src 0
		.amdhsa_exception_fp_ieee_div_zero 0
		.amdhsa_exception_fp_ieee_overflow 0
		.amdhsa_exception_fp_ieee_underflow 0
		.amdhsa_exception_fp_ieee_inexact 0
		.amdhsa_exception_int_div_zero 0
	.end_amdhsa_kernel
	.section	.text._ZN7rocprim17ROCPRIM_400000_NS6detail17trampoline_kernelINS0_14default_configENS1_33run_length_encode_config_selectorImjNS0_4plusIjEEEEZZNS1_33reduce_by_key_impl_wrapped_configILNS1_25lookback_scan_determinismE0ES3_S7_PKmNS0_17constant_iteratorIjlEEPmPlSF_S6_NS0_8equal_toImEEEE10hipError_tPvRmT2_T3_mT4_T5_T6_T7_T8_P12ihipStream_tbENKUlT_T0_E_clISt17integral_constantIbLb0EESY_IbLb1EEEEDaSU_SV_EUlSU_E_NS1_11comp_targetILNS1_3genE5ELNS1_11target_archE942ELNS1_3gpuE9ELNS1_3repE0EEENS1_30default_config_static_selectorELNS0_4arch9wavefront6targetE0EEEvT1_,"axG",@progbits,_ZN7rocprim17ROCPRIM_400000_NS6detail17trampoline_kernelINS0_14default_configENS1_33run_length_encode_config_selectorImjNS0_4plusIjEEEEZZNS1_33reduce_by_key_impl_wrapped_configILNS1_25lookback_scan_determinismE0ES3_S7_PKmNS0_17constant_iteratorIjlEEPmPlSF_S6_NS0_8equal_toImEEEE10hipError_tPvRmT2_T3_mT4_T5_T6_T7_T8_P12ihipStream_tbENKUlT_T0_E_clISt17integral_constantIbLb0EESY_IbLb1EEEEDaSU_SV_EUlSU_E_NS1_11comp_targetILNS1_3genE5ELNS1_11target_archE942ELNS1_3gpuE9ELNS1_3repE0EEENS1_30default_config_static_selectorELNS0_4arch9wavefront6targetE0EEEvT1_,comdat
.Lfunc_end746:
	.size	_ZN7rocprim17ROCPRIM_400000_NS6detail17trampoline_kernelINS0_14default_configENS1_33run_length_encode_config_selectorImjNS0_4plusIjEEEEZZNS1_33reduce_by_key_impl_wrapped_configILNS1_25lookback_scan_determinismE0ES3_S7_PKmNS0_17constant_iteratorIjlEEPmPlSF_S6_NS0_8equal_toImEEEE10hipError_tPvRmT2_T3_mT4_T5_T6_T7_T8_P12ihipStream_tbENKUlT_T0_E_clISt17integral_constantIbLb0EESY_IbLb1EEEEDaSU_SV_EUlSU_E_NS1_11comp_targetILNS1_3genE5ELNS1_11target_archE942ELNS1_3gpuE9ELNS1_3repE0EEENS1_30default_config_static_selectorELNS0_4arch9wavefront6targetE0EEEvT1_, .Lfunc_end746-_ZN7rocprim17ROCPRIM_400000_NS6detail17trampoline_kernelINS0_14default_configENS1_33run_length_encode_config_selectorImjNS0_4plusIjEEEEZZNS1_33reduce_by_key_impl_wrapped_configILNS1_25lookback_scan_determinismE0ES3_S7_PKmNS0_17constant_iteratorIjlEEPmPlSF_S6_NS0_8equal_toImEEEE10hipError_tPvRmT2_T3_mT4_T5_T6_T7_T8_P12ihipStream_tbENKUlT_T0_E_clISt17integral_constantIbLb0EESY_IbLb1EEEEDaSU_SV_EUlSU_E_NS1_11comp_targetILNS1_3genE5ELNS1_11target_archE942ELNS1_3gpuE9ELNS1_3repE0EEENS1_30default_config_static_selectorELNS0_4arch9wavefront6targetE0EEEvT1_
                                        ; -- End function
	.set _ZN7rocprim17ROCPRIM_400000_NS6detail17trampoline_kernelINS0_14default_configENS1_33run_length_encode_config_selectorImjNS0_4plusIjEEEEZZNS1_33reduce_by_key_impl_wrapped_configILNS1_25lookback_scan_determinismE0ES3_S7_PKmNS0_17constant_iteratorIjlEEPmPlSF_S6_NS0_8equal_toImEEEE10hipError_tPvRmT2_T3_mT4_T5_T6_T7_T8_P12ihipStream_tbENKUlT_T0_E_clISt17integral_constantIbLb0EESY_IbLb1EEEEDaSU_SV_EUlSU_E_NS1_11comp_targetILNS1_3genE5ELNS1_11target_archE942ELNS1_3gpuE9ELNS1_3repE0EEENS1_30default_config_static_selectorELNS0_4arch9wavefront6targetE0EEEvT1_.num_vgpr, 0
	.set _ZN7rocprim17ROCPRIM_400000_NS6detail17trampoline_kernelINS0_14default_configENS1_33run_length_encode_config_selectorImjNS0_4plusIjEEEEZZNS1_33reduce_by_key_impl_wrapped_configILNS1_25lookback_scan_determinismE0ES3_S7_PKmNS0_17constant_iteratorIjlEEPmPlSF_S6_NS0_8equal_toImEEEE10hipError_tPvRmT2_T3_mT4_T5_T6_T7_T8_P12ihipStream_tbENKUlT_T0_E_clISt17integral_constantIbLb0EESY_IbLb1EEEEDaSU_SV_EUlSU_E_NS1_11comp_targetILNS1_3genE5ELNS1_11target_archE942ELNS1_3gpuE9ELNS1_3repE0EEENS1_30default_config_static_selectorELNS0_4arch9wavefront6targetE0EEEvT1_.num_agpr, 0
	.set _ZN7rocprim17ROCPRIM_400000_NS6detail17trampoline_kernelINS0_14default_configENS1_33run_length_encode_config_selectorImjNS0_4plusIjEEEEZZNS1_33reduce_by_key_impl_wrapped_configILNS1_25lookback_scan_determinismE0ES3_S7_PKmNS0_17constant_iteratorIjlEEPmPlSF_S6_NS0_8equal_toImEEEE10hipError_tPvRmT2_T3_mT4_T5_T6_T7_T8_P12ihipStream_tbENKUlT_T0_E_clISt17integral_constantIbLb0EESY_IbLb1EEEEDaSU_SV_EUlSU_E_NS1_11comp_targetILNS1_3genE5ELNS1_11target_archE942ELNS1_3gpuE9ELNS1_3repE0EEENS1_30default_config_static_selectorELNS0_4arch9wavefront6targetE0EEEvT1_.numbered_sgpr, 0
	.set _ZN7rocprim17ROCPRIM_400000_NS6detail17trampoline_kernelINS0_14default_configENS1_33run_length_encode_config_selectorImjNS0_4plusIjEEEEZZNS1_33reduce_by_key_impl_wrapped_configILNS1_25lookback_scan_determinismE0ES3_S7_PKmNS0_17constant_iteratorIjlEEPmPlSF_S6_NS0_8equal_toImEEEE10hipError_tPvRmT2_T3_mT4_T5_T6_T7_T8_P12ihipStream_tbENKUlT_T0_E_clISt17integral_constantIbLb0EESY_IbLb1EEEEDaSU_SV_EUlSU_E_NS1_11comp_targetILNS1_3genE5ELNS1_11target_archE942ELNS1_3gpuE9ELNS1_3repE0EEENS1_30default_config_static_selectorELNS0_4arch9wavefront6targetE0EEEvT1_.num_named_barrier, 0
	.set _ZN7rocprim17ROCPRIM_400000_NS6detail17trampoline_kernelINS0_14default_configENS1_33run_length_encode_config_selectorImjNS0_4plusIjEEEEZZNS1_33reduce_by_key_impl_wrapped_configILNS1_25lookback_scan_determinismE0ES3_S7_PKmNS0_17constant_iteratorIjlEEPmPlSF_S6_NS0_8equal_toImEEEE10hipError_tPvRmT2_T3_mT4_T5_T6_T7_T8_P12ihipStream_tbENKUlT_T0_E_clISt17integral_constantIbLb0EESY_IbLb1EEEEDaSU_SV_EUlSU_E_NS1_11comp_targetILNS1_3genE5ELNS1_11target_archE942ELNS1_3gpuE9ELNS1_3repE0EEENS1_30default_config_static_selectorELNS0_4arch9wavefront6targetE0EEEvT1_.private_seg_size, 0
	.set _ZN7rocprim17ROCPRIM_400000_NS6detail17trampoline_kernelINS0_14default_configENS1_33run_length_encode_config_selectorImjNS0_4plusIjEEEEZZNS1_33reduce_by_key_impl_wrapped_configILNS1_25lookback_scan_determinismE0ES3_S7_PKmNS0_17constant_iteratorIjlEEPmPlSF_S6_NS0_8equal_toImEEEE10hipError_tPvRmT2_T3_mT4_T5_T6_T7_T8_P12ihipStream_tbENKUlT_T0_E_clISt17integral_constantIbLb0EESY_IbLb1EEEEDaSU_SV_EUlSU_E_NS1_11comp_targetILNS1_3genE5ELNS1_11target_archE942ELNS1_3gpuE9ELNS1_3repE0EEENS1_30default_config_static_selectorELNS0_4arch9wavefront6targetE0EEEvT1_.uses_vcc, 0
	.set _ZN7rocprim17ROCPRIM_400000_NS6detail17trampoline_kernelINS0_14default_configENS1_33run_length_encode_config_selectorImjNS0_4plusIjEEEEZZNS1_33reduce_by_key_impl_wrapped_configILNS1_25lookback_scan_determinismE0ES3_S7_PKmNS0_17constant_iteratorIjlEEPmPlSF_S6_NS0_8equal_toImEEEE10hipError_tPvRmT2_T3_mT4_T5_T6_T7_T8_P12ihipStream_tbENKUlT_T0_E_clISt17integral_constantIbLb0EESY_IbLb1EEEEDaSU_SV_EUlSU_E_NS1_11comp_targetILNS1_3genE5ELNS1_11target_archE942ELNS1_3gpuE9ELNS1_3repE0EEENS1_30default_config_static_selectorELNS0_4arch9wavefront6targetE0EEEvT1_.uses_flat_scratch, 0
	.set _ZN7rocprim17ROCPRIM_400000_NS6detail17trampoline_kernelINS0_14default_configENS1_33run_length_encode_config_selectorImjNS0_4plusIjEEEEZZNS1_33reduce_by_key_impl_wrapped_configILNS1_25lookback_scan_determinismE0ES3_S7_PKmNS0_17constant_iteratorIjlEEPmPlSF_S6_NS0_8equal_toImEEEE10hipError_tPvRmT2_T3_mT4_T5_T6_T7_T8_P12ihipStream_tbENKUlT_T0_E_clISt17integral_constantIbLb0EESY_IbLb1EEEEDaSU_SV_EUlSU_E_NS1_11comp_targetILNS1_3genE5ELNS1_11target_archE942ELNS1_3gpuE9ELNS1_3repE0EEENS1_30default_config_static_selectorELNS0_4arch9wavefront6targetE0EEEvT1_.has_dyn_sized_stack, 0
	.set _ZN7rocprim17ROCPRIM_400000_NS6detail17trampoline_kernelINS0_14default_configENS1_33run_length_encode_config_selectorImjNS0_4plusIjEEEEZZNS1_33reduce_by_key_impl_wrapped_configILNS1_25lookback_scan_determinismE0ES3_S7_PKmNS0_17constant_iteratorIjlEEPmPlSF_S6_NS0_8equal_toImEEEE10hipError_tPvRmT2_T3_mT4_T5_T6_T7_T8_P12ihipStream_tbENKUlT_T0_E_clISt17integral_constantIbLb0EESY_IbLb1EEEEDaSU_SV_EUlSU_E_NS1_11comp_targetILNS1_3genE5ELNS1_11target_archE942ELNS1_3gpuE9ELNS1_3repE0EEENS1_30default_config_static_selectorELNS0_4arch9wavefront6targetE0EEEvT1_.has_recursion, 0
	.set _ZN7rocprim17ROCPRIM_400000_NS6detail17trampoline_kernelINS0_14default_configENS1_33run_length_encode_config_selectorImjNS0_4plusIjEEEEZZNS1_33reduce_by_key_impl_wrapped_configILNS1_25lookback_scan_determinismE0ES3_S7_PKmNS0_17constant_iteratorIjlEEPmPlSF_S6_NS0_8equal_toImEEEE10hipError_tPvRmT2_T3_mT4_T5_T6_T7_T8_P12ihipStream_tbENKUlT_T0_E_clISt17integral_constantIbLb0EESY_IbLb1EEEEDaSU_SV_EUlSU_E_NS1_11comp_targetILNS1_3genE5ELNS1_11target_archE942ELNS1_3gpuE9ELNS1_3repE0EEENS1_30default_config_static_selectorELNS0_4arch9wavefront6targetE0EEEvT1_.has_indirect_call, 0
	.section	.AMDGPU.csdata,"",@progbits
; Kernel info:
; codeLenInByte = 0
; TotalNumSgprs: 0
; NumVgprs: 0
; ScratchSize: 0
; MemoryBound: 0
; FloatMode: 240
; IeeeMode: 1
; LDSByteSize: 0 bytes/workgroup (compile time only)
; SGPRBlocks: 0
; VGPRBlocks: 0
; NumSGPRsForWavesPerEU: 1
; NumVGPRsForWavesPerEU: 1
; NamedBarCnt: 0
; Occupancy: 16
; WaveLimiterHint : 0
; COMPUTE_PGM_RSRC2:SCRATCH_EN: 0
; COMPUTE_PGM_RSRC2:USER_SGPR: 2
; COMPUTE_PGM_RSRC2:TRAP_HANDLER: 0
; COMPUTE_PGM_RSRC2:TGID_X_EN: 1
; COMPUTE_PGM_RSRC2:TGID_Y_EN: 0
; COMPUTE_PGM_RSRC2:TGID_Z_EN: 0
; COMPUTE_PGM_RSRC2:TIDIG_COMP_CNT: 0
	.section	.text._ZN7rocprim17ROCPRIM_400000_NS6detail17trampoline_kernelINS0_14default_configENS1_33run_length_encode_config_selectorImjNS0_4plusIjEEEEZZNS1_33reduce_by_key_impl_wrapped_configILNS1_25lookback_scan_determinismE0ES3_S7_PKmNS0_17constant_iteratorIjlEEPmPlSF_S6_NS0_8equal_toImEEEE10hipError_tPvRmT2_T3_mT4_T5_T6_T7_T8_P12ihipStream_tbENKUlT_T0_E_clISt17integral_constantIbLb0EESY_IbLb1EEEEDaSU_SV_EUlSU_E_NS1_11comp_targetILNS1_3genE4ELNS1_11target_archE910ELNS1_3gpuE8ELNS1_3repE0EEENS1_30default_config_static_selectorELNS0_4arch9wavefront6targetE0EEEvT1_,"axG",@progbits,_ZN7rocprim17ROCPRIM_400000_NS6detail17trampoline_kernelINS0_14default_configENS1_33run_length_encode_config_selectorImjNS0_4plusIjEEEEZZNS1_33reduce_by_key_impl_wrapped_configILNS1_25lookback_scan_determinismE0ES3_S7_PKmNS0_17constant_iteratorIjlEEPmPlSF_S6_NS0_8equal_toImEEEE10hipError_tPvRmT2_T3_mT4_T5_T6_T7_T8_P12ihipStream_tbENKUlT_T0_E_clISt17integral_constantIbLb0EESY_IbLb1EEEEDaSU_SV_EUlSU_E_NS1_11comp_targetILNS1_3genE4ELNS1_11target_archE910ELNS1_3gpuE8ELNS1_3repE0EEENS1_30default_config_static_selectorELNS0_4arch9wavefront6targetE0EEEvT1_,comdat
	.protected	_ZN7rocprim17ROCPRIM_400000_NS6detail17trampoline_kernelINS0_14default_configENS1_33run_length_encode_config_selectorImjNS0_4plusIjEEEEZZNS1_33reduce_by_key_impl_wrapped_configILNS1_25lookback_scan_determinismE0ES3_S7_PKmNS0_17constant_iteratorIjlEEPmPlSF_S6_NS0_8equal_toImEEEE10hipError_tPvRmT2_T3_mT4_T5_T6_T7_T8_P12ihipStream_tbENKUlT_T0_E_clISt17integral_constantIbLb0EESY_IbLb1EEEEDaSU_SV_EUlSU_E_NS1_11comp_targetILNS1_3genE4ELNS1_11target_archE910ELNS1_3gpuE8ELNS1_3repE0EEENS1_30default_config_static_selectorELNS0_4arch9wavefront6targetE0EEEvT1_ ; -- Begin function _ZN7rocprim17ROCPRIM_400000_NS6detail17trampoline_kernelINS0_14default_configENS1_33run_length_encode_config_selectorImjNS0_4plusIjEEEEZZNS1_33reduce_by_key_impl_wrapped_configILNS1_25lookback_scan_determinismE0ES3_S7_PKmNS0_17constant_iteratorIjlEEPmPlSF_S6_NS0_8equal_toImEEEE10hipError_tPvRmT2_T3_mT4_T5_T6_T7_T8_P12ihipStream_tbENKUlT_T0_E_clISt17integral_constantIbLb0EESY_IbLb1EEEEDaSU_SV_EUlSU_E_NS1_11comp_targetILNS1_3genE4ELNS1_11target_archE910ELNS1_3gpuE8ELNS1_3repE0EEENS1_30default_config_static_selectorELNS0_4arch9wavefront6targetE0EEEvT1_
	.globl	_ZN7rocprim17ROCPRIM_400000_NS6detail17trampoline_kernelINS0_14default_configENS1_33run_length_encode_config_selectorImjNS0_4plusIjEEEEZZNS1_33reduce_by_key_impl_wrapped_configILNS1_25lookback_scan_determinismE0ES3_S7_PKmNS0_17constant_iteratorIjlEEPmPlSF_S6_NS0_8equal_toImEEEE10hipError_tPvRmT2_T3_mT4_T5_T6_T7_T8_P12ihipStream_tbENKUlT_T0_E_clISt17integral_constantIbLb0EESY_IbLb1EEEEDaSU_SV_EUlSU_E_NS1_11comp_targetILNS1_3genE4ELNS1_11target_archE910ELNS1_3gpuE8ELNS1_3repE0EEENS1_30default_config_static_selectorELNS0_4arch9wavefront6targetE0EEEvT1_
	.p2align	8
	.type	_ZN7rocprim17ROCPRIM_400000_NS6detail17trampoline_kernelINS0_14default_configENS1_33run_length_encode_config_selectorImjNS0_4plusIjEEEEZZNS1_33reduce_by_key_impl_wrapped_configILNS1_25lookback_scan_determinismE0ES3_S7_PKmNS0_17constant_iteratorIjlEEPmPlSF_S6_NS0_8equal_toImEEEE10hipError_tPvRmT2_T3_mT4_T5_T6_T7_T8_P12ihipStream_tbENKUlT_T0_E_clISt17integral_constantIbLb0EESY_IbLb1EEEEDaSU_SV_EUlSU_E_NS1_11comp_targetILNS1_3genE4ELNS1_11target_archE910ELNS1_3gpuE8ELNS1_3repE0EEENS1_30default_config_static_selectorELNS0_4arch9wavefront6targetE0EEEvT1_,@function
_ZN7rocprim17ROCPRIM_400000_NS6detail17trampoline_kernelINS0_14default_configENS1_33run_length_encode_config_selectorImjNS0_4plusIjEEEEZZNS1_33reduce_by_key_impl_wrapped_configILNS1_25lookback_scan_determinismE0ES3_S7_PKmNS0_17constant_iteratorIjlEEPmPlSF_S6_NS0_8equal_toImEEEE10hipError_tPvRmT2_T3_mT4_T5_T6_T7_T8_P12ihipStream_tbENKUlT_T0_E_clISt17integral_constantIbLb0EESY_IbLb1EEEEDaSU_SV_EUlSU_E_NS1_11comp_targetILNS1_3genE4ELNS1_11target_archE910ELNS1_3gpuE8ELNS1_3repE0EEENS1_30default_config_static_selectorELNS0_4arch9wavefront6targetE0EEEvT1_: ; @_ZN7rocprim17ROCPRIM_400000_NS6detail17trampoline_kernelINS0_14default_configENS1_33run_length_encode_config_selectorImjNS0_4plusIjEEEEZZNS1_33reduce_by_key_impl_wrapped_configILNS1_25lookback_scan_determinismE0ES3_S7_PKmNS0_17constant_iteratorIjlEEPmPlSF_S6_NS0_8equal_toImEEEE10hipError_tPvRmT2_T3_mT4_T5_T6_T7_T8_P12ihipStream_tbENKUlT_T0_E_clISt17integral_constantIbLb0EESY_IbLb1EEEEDaSU_SV_EUlSU_E_NS1_11comp_targetILNS1_3genE4ELNS1_11target_archE910ELNS1_3gpuE8ELNS1_3repE0EEENS1_30default_config_static_selectorELNS0_4arch9wavefront6targetE0EEEvT1_
; %bb.0:
	.section	.rodata,"a",@progbits
	.p2align	6, 0x0
	.amdhsa_kernel _ZN7rocprim17ROCPRIM_400000_NS6detail17trampoline_kernelINS0_14default_configENS1_33run_length_encode_config_selectorImjNS0_4plusIjEEEEZZNS1_33reduce_by_key_impl_wrapped_configILNS1_25lookback_scan_determinismE0ES3_S7_PKmNS0_17constant_iteratorIjlEEPmPlSF_S6_NS0_8equal_toImEEEE10hipError_tPvRmT2_T3_mT4_T5_T6_T7_T8_P12ihipStream_tbENKUlT_T0_E_clISt17integral_constantIbLb0EESY_IbLb1EEEEDaSU_SV_EUlSU_E_NS1_11comp_targetILNS1_3genE4ELNS1_11target_archE910ELNS1_3gpuE8ELNS1_3repE0EEENS1_30default_config_static_selectorELNS0_4arch9wavefront6targetE0EEEvT1_
		.amdhsa_group_segment_fixed_size 0
		.amdhsa_private_segment_fixed_size 0
		.amdhsa_kernarg_size 128
		.amdhsa_user_sgpr_count 2
		.amdhsa_user_sgpr_dispatch_ptr 0
		.amdhsa_user_sgpr_queue_ptr 0
		.amdhsa_user_sgpr_kernarg_segment_ptr 1
		.amdhsa_user_sgpr_dispatch_id 0
		.amdhsa_user_sgpr_kernarg_preload_length 0
		.amdhsa_user_sgpr_kernarg_preload_offset 0
		.amdhsa_user_sgpr_private_segment_size 0
		.amdhsa_wavefront_size32 1
		.amdhsa_uses_dynamic_stack 0
		.amdhsa_enable_private_segment 0
		.amdhsa_system_sgpr_workgroup_id_x 1
		.amdhsa_system_sgpr_workgroup_id_y 0
		.amdhsa_system_sgpr_workgroup_id_z 0
		.amdhsa_system_sgpr_workgroup_info 0
		.amdhsa_system_vgpr_workitem_id 0
		.amdhsa_next_free_vgpr 1
		.amdhsa_next_free_sgpr 1
		.amdhsa_named_barrier_count 0
		.amdhsa_reserve_vcc 0
		.amdhsa_float_round_mode_32 0
		.amdhsa_float_round_mode_16_64 0
		.amdhsa_float_denorm_mode_32 3
		.amdhsa_float_denorm_mode_16_64 3
		.amdhsa_fp16_overflow 0
		.amdhsa_memory_ordered 1
		.amdhsa_forward_progress 1
		.amdhsa_inst_pref_size 0
		.amdhsa_round_robin_scheduling 0
		.amdhsa_exception_fp_ieee_invalid_op 0
		.amdhsa_exception_fp_denorm_src 0
		.amdhsa_exception_fp_ieee_div_zero 0
		.amdhsa_exception_fp_ieee_overflow 0
		.amdhsa_exception_fp_ieee_underflow 0
		.amdhsa_exception_fp_ieee_inexact 0
		.amdhsa_exception_int_div_zero 0
	.end_amdhsa_kernel
	.section	.text._ZN7rocprim17ROCPRIM_400000_NS6detail17trampoline_kernelINS0_14default_configENS1_33run_length_encode_config_selectorImjNS0_4plusIjEEEEZZNS1_33reduce_by_key_impl_wrapped_configILNS1_25lookback_scan_determinismE0ES3_S7_PKmNS0_17constant_iteratorIjlEEPmPlSF_S6_NS0_8equal_toImEEEE10hipError_tPvRmT2_T3_mT4_T5_T6_T7_T8_P12ihipStream_tbENKUlT_T0_E_clISt17integral_constantIbLb0EESY_IbLb1EEEEDaSU_SV_EUlSU_E_NS1_11comp_targetILNS1_3genE4ELNS1_11target_archE910ELNS1_3gpuE8ELNS1_3repE0EEENS1_30default_config_static_selectorELNS0_4arch9wavefront6targetE0EEEvT1_,"axG",@progbits,_ZN7rocprim17ROCPRIM_400000_NS6detail17trampoline_kernelINS0_14default_configENS1_33run_length_encode_config_selectorImjNS0_4plusIjEEEEZZNS1_33reduce_by_key_impl_wrapped_configILNS1_25lookback_scan_determinismE0ES3_S7_PKmNS0_17constant_iteratorIjlEEPmPlSF_S6_NS0_8equal_toImEEEE10hipError_tPvRmT2_T3_mT4_T5_T6_T7_T8_P12ihipStream_tbENKUlT_T0_E_clISt17integral_constantIbLb0EESY_IbLb1EEEEDaSU_SV_EUlSU_E_NS1_11comp_targetILNS1_3genE4ELNS1_11target_archE910ELNS1_3gpuE8ELNS1_3repE0EEENS1_30default_config_static_selectorELNS0_4arch9wavefront6targetE0EEEvT1_,comdat
.Lfunc_end747:
	.size	_ZN7rocprim17ROCPRIM_400000_NS6detail17trampoline_kernelINS0_14default_configENS1_33run_length_encode_config_selectorImjNS0_4plusIjEEEEZZNS1_33reduce_by_key_impl_wrapped_configILNS1_25lookback_scan_determinismE0ES3_S7_PKmNS0_17constant_iteratorIjlEEPmPlSF_S6_NS0_8equal_toImEEEE10hipError_tPvRmT2_T3_mT4_T5_T6_T7_T8_P12ihipStream_tbENKUlT_T0_E_clISt17integral_constantIbLb0EESY_IbLb1EEEEDaSU_SV_EUlSU_E_NS1_11comp_targetILNS1_3genE4ELNS1_11target_archE910ELNS1_3gpuE8ELNS1_3repE0EEENS1_30default_config_static_selectorELNS0_4arch9wavefront6targetE0EEEvT1_, .Lfunc_end747-_ZN7rocprim17ROCPRIM_400000_NS6detail17trampoline_kernelINS0_14default_configENS1_33run_length_encode_config_selectorImjNS0_4plusIjEEEEZZNS1_33reduce_by_key_impl_wrapped_configILNS1_25lookback_scan_determinismE0ES3_S7_PKmNS0_17constant_iteratorIjlEEPmPlSF_S6_NS0_8equal_toImEEEE10hipError_tPvRmT2_T3_mT4_T5_T6_T7_T8_P12ihipStream_tbENKUlT_T0_E_clISt17integral_constantIbLb0EESY_IbLb1EEEEDaSU_SV_EUlSU_E_NS1_11comp_targetILNS1_3genE4ELNS1_11target_archE910ELNS1_3gpuE8ELNS1_3repE0EEENS1_30default_config_static_selectorELNS0_4arch9wavefront6targetE0EEEvT1_
                                        ; -- End function
	.set _ZN7rocprim17ROCPRIM_400000_NS6detail17trampoline_kernelINS0_14default_configENS1_33run_length_encode_config_selectorImjNS0_4plusIjEEEEZZNS1_33reduce_by_key_impl_wrapped_configILNS1_25lookback_scan_determinismE0ES3_S7_PKmNS0_17constant_iteratorIjlEEPmPlSF_S6_NS0_8equal_toImEEEE10hipError_tPvRmT2_T3_mT4_T5_T6_T7_T8_P12ihipStream_tbENKUlT_T0_E_clISt17integral_constantIbLb0EESY_IbLb1EEEEDaSU_SV_EUlSU_E_NS1_11comp_targetILNS1_3genE4ELNS1_11target_archE910ELNS1_3gpuE8ELNS1_3repE0EEENS1_30default_config_static_selectorELNS0_4arch9wavefront6targetE0EEEvT1_.num_vgpr, 0
	.set _ZN7rocprim17ROCPRIM_400000_NS6detail17trampoline_kernelINS0_14default_configENS1_33run_length_encode_config_selectorImjNS0_4plusIjEEEEZZNS1_33reduce_by_key_impl_wrapped_configILNS1_25lookback_scan_determinismE0ES3_S7_PKmNS0_17constant_iteratorIjlEEPmPlSF_S6_NS0_8equal_toImEEEE10hipError_tPvRmT2_T3_mT4_T5_T6_T7_T8_P12ihipStream_tbENKUlT_T0_E_clISt17integral_constantIbLb0EESY_IbLb1EEEEDaSU_SV_EUlSU_E_NS1_11comp_targetILNS1_3genE4ELNS1_11target_archE910ELNS1_3gpuE8ELNS1_3repE0EEENS1_30default_config_static_selectorELNS0_4arch9wavefront6targetE0EEEvT1_.num_agpr, 0
	.set _ZN7rocprim17ROCPRIM_400000_NS6detail17trampoline_kernelINS0_14default_configENS1_33run_length_encode_config_selectorImjNS0_4plusIjEEEEZZNS1_33reduce_by_key_impl_wrapped_configILNS1_25lookback_scan_determinismE0ES3_S7_PKmNS0_17constant_iteratorIjlEEPmPlSF_S6_NS0_8equal_toImEEEE10hipError_tPvRmT2_T3_mT4_T5_T6_T7_T8_P12ihipStream_tbENKUlT_T0_E_clISt17integral_constantIbLb0EESY_IbLb1EEEEDaSU_SV_EUlSU_E_NS1_11comp_targetILNS1_3genE4ELNS1_11target_archE910ELNS1_3gpuE8ELNS1_3repE0EEENS1_30default_config_static_selectorELNS0_4arch9wavefront6targetE0EEEvT1_.numbered_sgpr, 0
	.set _ZN7rocprim17ROCPRIM_400000_NS6detail17trampoline_kernelINS0_14default_configENS1_33run_length_encode_config_selectorImjNS0_4plusIjEEEEZZNS1_33reduce_by_key_impl_wrapped_configILNS1_25lookback_scan_determinismE0ES3_S7_PKmNS0_17constant_iteratorIjlEEPmPlSF_S6_NS0_8equal_toImEEEE10hipError_tPvRmT2_T3_mT4_T5_T6_T7_T8_P12ihipStream_tbENKUlT_T0_E_clISt17integral_constantIbLb0EESY_IbLb1EEEEDaSU_SV_EUlSU_E_NS1_11comp_targetILNS1_3genE4ELNS1_11target_archE910ELNS1_3gpuE8ELNS1_3repE0EEENS1_30default_config_static_selectorELNS0_4arch9wavefront6targetE0EEEvT1_.num_named_barrier, 0
	.set _ZN7rocprim17ROCPRIM_400000_NS6detail17trampoline_kernelINS0_14default_configENS1_33run_length_encode_config_selectorImjNS0_4plusIjEEEEZZNS1_33reduce_by_key_impl_wrapped_configILNS1_25lookback_scan_determinismE0ES3_S7_PKmNS0_17constant_iteratorIjlEEPmPlSF_S6_NS0_8equal_toImEEEE10hipError_tPvRmT2_T3_mT4_T5_T6_T7_T8_P12ihipStream_tbENKUlT_T0_E_clISt17integral_constantIbLb0EESY_IbLb1EEEEDaSU_SV_EUlSU_E_NS1_11comp_targetILNS1_3genE4ELNS1_11target_archE910ELNS1_3gpuE8ELNS1_3repE0EEENS1_30default_config_static_selectorELNS0_4arch9wavefront6targetE0EEEvT1_.private_seg_size, 0
	.set _ZN7rocprim17ROCPRIM_400000_NS6detail17trampoline_kernelINS0_14default_configENS1_33run_length_encode_config_selectorImjNS0_4plusIjEEEEZZNS1_33reduce_by_key_impl_wrapped_configILNS1_25lookback_scan_determinismE0ES3_S7_PKmNS0_17constant_iteratorIjlEEPmPlSF_S6_NS0_8equal_toImEEEE10hipError_tPvRmT2_T3_mT4_T5_T6_T7_T8_P12ihipStream_tbENKUlT_T0_E_clISt17integral_constantIbLb0EESY_IbLb1EEEEDaSU_SV_EUlSU_E_NS1_11comp_targetILNS1_3genE4ELNS1_11target_archE910ELNS1_3gpuE8ELNS1_3repE0EEENS1_30default_config_static_selectorELNS0_4arch9wavefront6targetE0EEEvT1_.uses_vcc, 0
	.set _ZN7rocprim17ROCPRIM_400000_NS6detail17trampoline_kernelINS0_14default_configENS1_33run_length_encode_config_selectorImjNS0_4plusIjEEEEZZNS1_33reduce_by_key_impl_wrapped_configILNS1_25lookback_scan_determinismE0ES3_S7_PKmNS0_17constant_iteratorIjlEEPmPlSF_S6_NS0_8equal_toImEEEE10hipError_tPvRmT2_T3_mT4_T5_T6_T7_T8_P12ihipStream_tbENKUlT_T0_E_clISt17integral_constantIbLb0EESY_IbLb1EEEEDaSU_SV_EUlSU_E_NS1_11comp_targetILNS1_3genE4ELNS1_11target_archE910ELNS1_3gpuE8ELNS1_3repE0EEENS1_30default_config_static_selectorELNS0_4arch9wavefront6targetE0EEEvT1_.uses_flat_scratch, 0
	.set _ZN7rocprim17ROCPRIM_400000_NS6detail17trampoline_kernelINS0_14default_configENS1_33run_length_encode_config_selectorImjNS0_4plusIjEEEEZZNS1_33reduce_by_key_impl_wrapped_configILNS1_25lookback_scan_determinismE0ES3_S7_PKmNS0_17constant_iteratorIjlEEPmPlSF_S6_NS0_8equal_toImEEEE10hipError_tPvRmT2_T3_mT4_T5_T6_T7_T8_P12ihipStream_tbENKUlT_T0_E_clISt17integral_constantIbLb0EESY_IbLb1EEEEDaSU_SV_EUlSU_E_NS1_11comp_targetILNS1_3genE4ELNS1_11target_archE910ELNS1_3gpuE8ELNS1_3repE0EEENS1_30default_config_static_selectorELNS0_4arch9wavefront6targetE0EEEvT1_.has_dyn_sized_stack, 0
	.set _ZN7rocprim17ROCPRIM_400000_NS6detail17trampoline_kernelINS0_14default_configENS1_33run_length_encode_config_selectorImjNS0_4plusIjEEEEZZNS1_33reduce_by_key_impl_wrapped_configILNS1_25lookback_scan_determinismE0ES3_S7_PKmNS0_17constant_iteratorIjlEEPmPlSF_S6_NS0_8equal_toImEEEE10hipError_tPvRmT2_T3_mT4_T5_T6_T7_T8_P12ihipStream_tbENKUlT_T0_E_clISt17integral_constantIbLb0EESY_IbLb1EEEEDaSU_SV_EUlSU_E_NS1_11comp_targetILNS1_3genE4ELNS1_11target_archE910ELNS1_3gpuE8ELNS1_3repE0EEENS1_30default_config_static_selectorELNS0_4arch9wavefront6targetE0EEEvT1_.has_recursion, 0
	.set _ZN7rocprim17ROCPRIM_400000_NS6detail17trampoline_kernelINS0_14default_configENS1_33run_length_encode_config_selectorImjNS0_4plusIjEEEEZZNS1_33reduce_by_key_impl_wrapped_configILNS1_25lookback_scan_determinismE0ES3_S7_PKmNS0_17constant_iteratorIjlEEPmPlSF_S6_NS0_8equal_toImEEEE10hipError_tPvRmT2_T3_mT4_T5_T6_T7_T8_P12ihipStream_tbENKUlT_T0_E_clISt17integral_constantIbLb0EESY_IbLb1EEEEDaSU_SV_EUlSU_E_NS1_11comp_targetILNS1_3genE4ELNS1_11target_archE910ELNS1_3gpuE8ELNS1_3repE0EEENS1_30default_config_static_selectorELNS0_4arch9wavefront6targetE0EEEvT1_.has_indirect_call, 0
	.section	.AMDGPU.csdata,"",@progbits
; Kernel info:
; codeLenInByte = 0
; TotalNumSgprs: 0
; NumVgprs: 0
; ScratchSize: 0
; MemoryBound: 0
; FloatMode: 240
; IeeeMode: 1
; LDSByteSize: 0 bytes/workgroup (compile time only)
; SGPRBlocks: 0
; VGPRBlocks: 0
; NumSGPRsForWavesPerEU: 1
; NumVGPRsForWavesPerEU: 1
; NamedBarCnt: 0
; Occupancy: 16
; WaveLimiterHint : 0
; COMPUTE_PGM_RSRC2:SCRATCH_EN: 0
; COMPUTE_PGM_RSRC2:USER_SGPR: 2
; COMPUTE_PGM_RSRC2:TRAP_HANDLER: 0
; COMPUTE_PGM_RSRC2:TGID_X_EN: 1
; COMPUTE_PGM_RSRC2:TGID_Y_EN: 0
; COMPUTE_PGM_RSRC2:TGID_Z_EN: 0
; COMPUTE_PGM_RSRC2:TIDIG_COMP_CNT: 0
	.section	.text._ZN7rocprim17ROCPRIM_400000_NS6detail17trampoline_kernelINS0_14default_configENS1_33run_length_encode_config_selectorImjNS0_4plusIjEEEEZZNS1_33reduce_by_key_impl_wrapped_configILNS1_25lookback_scan_determinismE0ES3_S7_PKmNS0_17constant_iteratorIjlEEPmPlSF_S6_NS0_8equal_toImEEEE10hipError_tPvRmT2_T3_mT4_T5_T6_T7_T8_P12ihipStream_tbENKUlT_T0_E_clISt17integral_constantIbLb0EESY_IbLb1EEEEDaSU_SV_EUlSU_E_NS1_11comp_targetILNS1_3genE3ELNS1_11target_archE908ELNS1_3gpuE7ELNS1_3repE0EEENS1_30default_config_static_selectorELNS0_4arch9wavefront6targetE0EEEvT1_,"axG",@progbits,_ZN7rocprim17ROCPRIM_400000_NS6detail17trampoline_kernelINS0_14default_configENS1_33run_length_encode_config_selectorImjNS0_4plusIjEEEEZZNS1_33reduce_by_key_impl_wrapped_configILNS1_25lookback_scan_determinismE0ES3_S7_PKmNS0_17constant_iteratorIjlEEPmPlSF_S6_NS0_8equal_toImEEEE10hipError_tPvRmT2_T3_mT4_T5_T6_T7_T8_P12ihipStream_tbENKUlT_T0_E_clISt17integral_constantIbLb0EESY_IbLb1EEEEDaSU_SV_EUlSU_E_NS1_11comp_targetILNS1_3genE3ELNS1_11target_archE908ELNS1_3gpuE7ELNS1_3repE0EEENS1_30default_config_static_selectorELNS0_4arch9wavefront6targetE0EEEvT1_,comdat
	.protected	_ZN7rocprim17ROCPRIM_400000_NS6detail17trampoline_kernelINS0_14default_configENS1_33run_length_encode_config_selectorImjNS0_4plusIjEEEEZZNS1_33reduce_by_key_impl_wrapped_configILNS1_25lookback_scan_determinismE0ES3_S7_PKmNS0_17constant_iteratorIjlEEPmPlSF_S6_NS0_8equal_toImEEEE10hipError_tPvRmT2_T3_mT4_T5_T6_T7_T8_P12ihipStream_tbENKUlT_T0_E_clISt17integral_constantIbLb0EESY_IbLb1EEEEDaSU_SV_EUlSU_E_NS1_11comp_targetILNS1_3genE3ELNS1_11target_archE908ELNS1_3gpuE7ELNS1_3repE0EEENS1_30default_config_static_selectorELNS0_4arch9wavefront6targetE0EEEvT1_ ; -- Begin function _ZN7rocprim17ROCPRIM_400000_NS6detail17trampoline_kernelINS0_14default_configENS1_33run_length_encode_config_selectorImjNS0_4plusIjEEEEZZNS1_33reduce_by_key_impl_wrapped_configILNS1_25lookback_scan_determinismE0ES3_S7_PKmNS0_17constant_iteratorIjlEEPmPlSF_S6_NS0_8equal_toImEEEE10hipError_tPvRmT2_T3_mT4_T5_T6_T7_T8_P12ihipStream_tbENKUlT_T0_E_clISt17integral_constantIbLb0EESY_IbLb1EEEEDaSU_SV_EUlSU_E_NS1_11comp_targetILNS1_3genE3ELNS1_11target_archE908ELNS1_3gpuE7ELNS1_3repE0EEENS1_30default_config_static_selectorELNS0_4arch9wavefront6targetE0EEEvT1_
	.globl	_ZN7rocprim17ROCPRIM_400000_NS6detail17trampoline_kernelINS0_14default_configENS1_33run_length_encode_config_selectorImjNS0_4plusIjEEEEZZNS1_33reduce_by_key_impl_wrapped_configILNS1_25lookback_scan_determinismE0ES3_S7_PKmNS0_17constant_iteratorIjlEEPmPlSF_S6_NS0_8equal_toImEEEE10hipError_tPvRmT2_T3_mT4_T5_T6_T7_T8_P12ihipStream_tbENKUlT_T0_E_clISt17integral_constantIbLb0EESY_IbLb1EEEEDaSU_SV_EUlSU_E_NS1_11comp_targetILNS1_3genE3ELNS1_11target_archE908ELNS1_3gpuE7ELNS1_3repE0EEENS1_30default_config_static_selectorELNS0_4arch9wavefront6targetE0EEEvT1_
	.p2align	8
	.type	_ZN7rocprim17ROCPRIM_400000_NS6detail17trampoline_kernelINS0_14default_configENS1_33run_length_encode_config_selectorImjNS0_4plusIjEEEEZZNS1_33reduce_by_key_impl_wrapped_configILNS1_25lookback_scan_determinismE0ES3_S7_PKmNS0_17constant_iteratorIjlEEPmPlSF_S6_NS0_8equal_toImEEEE10hipError_tPvRmT2_T3_mT4_T5_T6_T7_T8_P12ihipStream_tbENKUlT_T0_E_clISt17integral_constantIbLb0EESY_IbLb1EEEEDaSU_SV_EUlSU_E_NS1_11comp_targetILNS1_3genE3ELNS1_11target_archE908ELNS1_3gpuE7ELNS1_3repE0EEENS1_30default_config_static_selectorELNS0_4arch9wavefront6targetE0EEEvT1_,@function
_ZN7rocprim17ROCPRIM_400000_NS6detail17trampoline_kernelINS0_14default_configENS1_33run_length_encode_config_selectorImjNS0_4plusIjEEEEZZNS1_33reduce_by_key_impl_wrapped_configILNS1_25lookback_scan_determinismE0ES3_S7_PKmNS0_17constant_iteratorIjlEEPmPlSF_S6_NS0_8equal_toImEEEE10hipError_tPvRmT2_T3_mT4_T5_T6_T7_T8_P12ihipStream_tbENKUlT_T0_E_clISt17integral_constantIbLb0EESY_IbLb1EEEEDaSU_SV_EUlSU_E_NS1_11comp_targetILNS1_3genE3ELNS1_11target_archE908ELNS1_3gpuE7ELNS1_3repE0EEENS1_30default_config_static_selectorELNS0_4arch9wavefront6targetE0EEEvT1_: ; @_ZN7rocprim17ROCPRIM_400000_NS6detail17trampoline_kernelINS0_14default_configENS1_33run_length_encode_config_selectorImjNS0_4plusIjEEEEZZNS1_33reduce_by_key_impl_wrapped_configILNS1_25lookback_scan_determinismE0ES3_S7_PKmNS0_17constant_iteratorIjlEEPmPlSF_S6_NS0_8equal_toImEEEE10hipError_tPvRmT2_T3_mT4_T5_T6_T7_T8_P12ihipStream_tbENKUlT_T0_E_clISt17integral_constantIbLb0EESY_IbLb1EEEEDaSU_SV_EUlSU_E_NS1_11comp_targetILNS1_3genE3ELNS1_11target_archE908ELNS1_3gpuE7ELNS1_3repE0EEENS1_30default_config_static_selectorELNS0_4arch9wavefront6targetE0EEEvT1_
; %bb.0:
	.section	.rodata,"a",@progbits
	.p2align	6, 0x0
	.amdhsa_kernel _ZN7rocprim17ROCPRIM_400000_NS6detail17trampoline_kernelINS0_14default_configENS1_33run_length_encode_config_selectorImjNS0_4plusIjEEEEZZNS1_33reduce_by_key_impl_wrapped_configILNS1_25lookback_scan_determinismE0ES3_S7_PKmNS0_17constant_iteratorIjlEEPmPlSF_S6_NS0_8equal_toImEEEE10hipError_tPvRmT2_T3_mT4_T5_T6_T7_T8_P12ihipStream_tbENKUlT_T0_E_clISt17integral_constantIbLb0EESY_IbLb1EEEEDaSU_SV_EUlSU_E_NS1_11comp_targetILNS1_3genE3ELNS1_11target_archE908ELNS1_3gpuE7ELNS1_3repE0EEENS1_30default_config_static_selectorELNS0_4arch9wavefront6targetE0EEEvT1_
		.amdhsa_group_segment_fixed_size 0
		.amdhsa_private_segment_fixed_size 0
		.amdhsa_kernarg_size 128
		.amdhsa_user_sgpr_count 2
		.amdhsa_user_sgpr_dispatch_ptr 0
		.amdhsa_user_sgpr_queue_ptr 0
		.amdhsa_user_sgpr_kernarg_segment_ptr 1
		.amdhsa_user_sgpr_dispatch_id 0
		.amdhsa_user_sgpr_kernarg_preload_length 0
		.amdhsa_user_sgpr_kernarg_preload_offset 0
		.amdhsa_user_sgpr_private_segment_size 0
		.amdhsa_wavefront_size32 1
		.amdhsa_uses_dynamic_stack 0
		.amdhsa_enable_private_segment 0
		.amdhsa_system_sgpr_workgroup_id_x 1
		.amdhsa_system_sgpr_workgroup_id_y 0
		.amdhsa_system_sgpr_workgroup_id_z 0
		.amdhsa_system_sgpr_workgroup_info 0
		.amdhsa_system_vgpr_workitem_id 0
		.amdhsa_next_free_vgpr 1
		.amdhsa_next_free_sgpr 1
		.amdhsa_named_barrier_count 0
		.amdhsa_reserve_vcc 0
		.amdhsa_float_round_mode_32 0
		.amdhsa_float_round_mode_16_64 0
		.amdhsa_float_denorm_mode_32 3
		.amdhsa_float_denorm_mode_16_64 3
		.amdhsa_fp16_overflow 0
		.amdhsa_memory_ordered 1
		.amdhsa_forward_progress 1
		.amdhsa_inst_pref_size 0
		.amdhsa_round_robin_scheduling 0
		.amdhsa_exception_fp_ieee_invalid_op 0
		.amdhsa_exception_fp_denorm_src 0
		.amdhsa_exception_fp_ieee_div_zero 0
		.amdhsa_exception_fp_ieee_overflow 0
		.amdhsa_exception_fp_ieee_underflow 0
		.amdhsa_exception_fp_ieee_inexact 0
		.amdhsa_exception_int_div_zero 0
	.end_amdhsa_kernel
	.section	.text._ZN7rocprim17ROCPRIM_400000_NS6detail17trampoline_kernelINS0_14default_configENS1_33run_length_encode_config_selectorImjNS0_4plusIjEEEEZZNS1_33reduce_by_key_impl_wrapped_configILNS1_25lookback_scan_determinismE0ES3_S7_PKmNS0_17constant_iteratorIjlEEPmPlSF_S6_NS0_8equal_toImEEEE10hipError_tPvRmT2_T3_mT4_T5_T6_T7_T8_P12ihipStream_tbENKUlT_T0_E_clISt17integral_constantIbLb0EESY_IbLb1EEEEDaSU_SV_EUlSU_E_NS1_11comp_targetILNS1_3genE3ELNS1_11target_archE908ELNS1_3gpuE7ELNS1_3repE0EEENS1_30default_config_static_selectorELNS0_4arch9wavefront6targetE0EEEvT1_,"axG",@progbits,_ZN7rocprim17ROCPRIM_400000_NS6detail17trampoline_kernelINS0_14default_configENS1_33run_length_encode_config_selectorImjNS0_4plusIjEEEEZZNS1_33reduce_by_key_impl_wrapped_configILNS1_25lookback_scan_determinismE0ES3_S7_PKmNS0_17constant_iteratorIjlEEPmPlSF_S6_NS0_8equal_toImEEEE10hipError_tPvRmT2_T3_mT4_T5_T6_T7_T8_P12ihipStream_tbENKUlT_T0_E_clISt17integral_constantIbLb0EESY_IbLb1EEEEDaSU_SV_EUlSU_E_NS1_11comp_targetILNS1_3genE3ELNS1_11target_archE908ELNS1_3gpuE7ELNS1_3repE0EEENS1_30default_config_static_selectorELNS0_4arch9wavefront6targetE0EEEvT1_,comdat
.Lfunc_end748:
	.size	_ZN7rocprim17ROCPRIM_400000_NS6detail17trampoline_kernelINS0_14default_configENS1_33run_length_encode_config_selectorImjNS0_4plusIjEEEEZZNS1_33reduce_by_key_impl_wrapped_configILNS1_25lookback_scan_determinismE0ES3_S7_PKmNS0_17constant_iteratorIjlEEPmPlSF_S6_NS0_8equal_toImEEEE10hipError_tPvRmT2_T3_mT4_T5_T6_T7_T8_P12ihipStream_tbENKUlT_T0_E_clISt17integral_constantIbLb0EESY_IbLb1EEEEDaSU_SV_EUlSU_E_NS1_11comp_targetILNS1_3genE3ELNS1_11target_archE908ELNS1_3gpuE7ELNS1_3repE0EEENS1_30default_config_static_selectorELNS0_4arch9wavefront6targetE0EEEvT1_, .Lfunc_end748-_ZN7rocprim17ROCPRIM_400000_NS6detail17trampoline_kernelINS0_14default_configENS1_33run_length_encode_config_selectorImjNS0_4plusIjEEEEZZNS1_33reduce_by_key_impl_wrapped_configILNS1_25lookback_scan_determinismE0ES3_S7_PKmNS0_17constant_iteratorIjlEEPmPlSF_S6_NS0_8equal_toImEEEE10hipError_tPvRmT2_T3_mT4_T5_T6_T7_T8_P12ihipStream_tbENKUlT_T0_E_clISt17integral_constantIbLb0EESY_IbLb1EEEEDaSU_SV_EUlSU_E_NS1_11comp_targetILNS1_3genE3ELNS1_11target_archE908ELNS1_3gpuE7ELNS1_3repE0EEENS1_30default_config_static_selectorELNS0_4arch9wavefront6targetE0EEEvT1_
                                        ; -- End function
	.set _ZN7rocprim17ROCPRIM_400000_NS6detail17trampoline_kernelINS0_14default_configENS1_33run_length_encode_config_selectorImjNS0_4plusIjEEEEZZNS1_33reduce_by_key_impl_wrapped_configILNS1_25lookback_scan_determinismE0ES3_S7_PKmNS0_17constant_iteratorIjlEEPmPlSF_S6_NS0_8equal_toImEEEE10hipError_tPvRmT2_T3_mT4_T5_T6_T7_T8_P12ihipStream_tbENKUlT_T0_E_clISt17integral_constantIbLb0EESY_IbLb1EEEEDaSU_SV_EUlSU_E_NS1_11comp_targetILNS1_3genE3ELNS1_11target_archE908ELNS1_3gpuE7ELNS1_3repE0EEENS1_30default_config_static_selectorELNS0_4arch9wavefront6targetE0EEEvT1_.num_vgpr, 0
	.set _ZN7rocprim17ROCPRIM_400000_NS6detail17trampoline_kernelINS0_14default_configENS1_33run_length_encode_config_selectorImjNS0_4plusIjEEEEZZNS1_33reduce_by_key_impl_wrapped_configILNS1_25lookback_scan_determinismE0ES3_S7_PKmNS0_17constant_iteratorIjlEEPmPlSF_S6_NS0_8equal_toImEEEE10hipError_tPvRmT2_T3_mT4_T5_T6_T7_T8_P12ihipStream_tbENKUlT_T0_E_clISt17integral_constantIbLb0EESY_IbLb1EEEEDaSU_SV_EUlSU_E_NS1_11comp_targetILNS1_3genE3ELNS1_11target_archE908ELNS1_3gpuE7ELNS1_3repE0EEENS1_30default_config_static_selectorELNS0_4arch9wavefront6targetE0EEEvT1_.num_agpr, 0
	.set _ZN7rocprim17ROCPRIM_400000_NS6detail17trampoline_kernelINS0_14default_configENS1_33run_length_encode_config_selectorImjNS0_4plusIjEEEEZZNS1_33reduce_by_key_impl_wrapped_configILNS1_25lookback_scan_determinismE0ES3_S7_PKmNS0_17constant_iteratorIjlEEPmPlSF_S6_NS0_8equal_toImEEEE10hipError_tPvRmT2_T3_mT4_T5_T6_T7_T8_P12ihipStream_tbENKUlT_T0_E_clISt17integral_constantIbLb0EESY_IbLb1EEEEDaSU_SV_EUlSU_E_NS1_11comp_targetILNS1_3genE3ELNS1_11target_archE908ELNS1_3gpuE7ELNS1_3repE0EEENS1_30default_config_static_selectorELNS0_4arch9wavefront6targetE0EEEvT1_.numbered_sgpr, 0
	.set _ZN7rocprim17ROCPRIM_400000_NS6detail17trampoline_kernelINS0_14default_configENS1_33run_length_encode_config_selectorImjNS0_4plusIjEEEEZZNS1_33reduce_by_key_impl_wrapped_configILNS1_25lookback_scan_determinismE0ES3_S7_PKmNS0_17constant_iteratorIjlEEPmPlSF_S6_NS0_8equal_toImEEEE10hipError_tPvRmT2_T3_mT4_T5_T6_T7_T8_P12ihipStream_tbENKUlT_T0_E_clISt17integral_constantIbLb0EESY_IbLb1EEEEDaSU_SV_EUlSU_E_NS1_11comp_targetILNS1_3genE3ELNS1_11target_archE908ELNS1_3gpuE7ELNS1_3repE0EEENS1_30default_config_static_selectorELNS0_4arch9wavefront6targetE0EEEvT1_.num_named_barrier, 0
	.set _ZN7rocprim17ROCPRIM_400000_NS6detail17trampoline_kernelINS0_14default_configENS1_33run_length_encode_config_selectorImjNS0_4plusIjEEEEZZNS1_33reduce_by_key_impl_wrapped_configILNS1_25lookback_scan_determinismE0ES3_S7_PKmNS0_17constant_iteratorIjlEEPmPlSF_S6_NS0_8equal_toImEEEE10hipError_tPvRmT2_T3_mT4_T5_T6_T7_T8_P12ihipStream_tbENKUlT_T0_E_clISt17integral_constantIbLb0EESY_IbLb1EEEEDaSU_SV_EUlSU_E_NS1_11comp_targetILNS1_3genE3ELNS1_11target_archE908ELNS1_3gpuE7ELNS1_3repE0EEENS1_30default_config_static_selectorELNS0_4arch9wavefront6targetE0EEEvT1_.private_seg_size, 0
	.set _ZN7rocprim17ROCPRIM_400000_NS6detail17trampoline_kernelINS0_14default_configENS1_33run_length_encode_config_selectorImjNS0_4plusIjEEEEZZNS1_33reduce_by_key_impl_wrapped_configILNS1_25lookback_scan_determinismE0ES3_S7_PKmNS0_17constant_iteratorIjlEEPmPlSF_S6_NS0_8equal_toImEEEE10hipError_tPvRmT2_T3_mT4_T5_T6_T7_T8_P12ihipStream_tbENKUlT_T0_E_clISt17integral_constantIbLb0EESY_IbLb1EEEEDaSU_SV_EUlSU_E_NS1_11comp_targetILNS1_3genE3ELNS1_11target_archE908ELNS1_3gpuE7ELNS1_3repE0EEENS1_30default_config_static_selectorELNS0_4arch9wavefront6targetE0EEEvT1_.uses_vcc, 0
	.set _ZN7rocprim17ROCPRIM_400000_NS6detail17trampoline_kernelINS0_14default_configENS1_33run_length_encode_config_selectorImjNS0_4plusIjEEEEZZNS1_33reduce_by_key_impl_wrapped_configILNS1_25lookback_scan_determinismE0ES3_S7_PKmNS0_17constant_iteratorIjlEEPmPlSF_S6_NS0_8equal_toImEEEE10hipError_tPvRmT2_T3_mT4_T5_T6_T7_T8_P12ihipStream_tbENKUlT_T0_E_clISt17integral_constantIbLb0EESY_IbLb1EEEEDaSU_SV_EUlSU_E_NS1_11comp_targetILNS1_3genE3ELNS1_11target_archE908ELNS1_3gpuE7ELNS1_3repE0EEENS1_30default_config_static_selectorELNS0_4arch9wavefront6targetE0EEEvT1_.uses_flat_scratch, 0
	.set _ZN7rocprim17ROCPRIM_400000_NS6detail17trampoline_kernelINS0_14default_configENS1_33run_length_encode_config_selectorImjNS0_4plusIjEEEEZZNS1_33reduce_by_key_impl_wrapped_configILNS1_25lookback_scan_determinismE0ES3_S7_PKmNS0_17constant_iteratorIjlEEPmPlSF_S6_NS0_8equal_toImEEEE10hipError_tPvRmT2_T3_mT4_T5_T6_T7_T8_P12ihipStream_tbENKUlT_T0_E_clISt17integral_constantIbLb0EESY_IbLb1EEEEDaSU_SV_EUlSU_E_NS1_11comp_targetILNS1_3genE3ELNS1_11target_archE908ELNS1_3gpuE7ELNS1_3repE0EEENS1_30default_config_static_selectorELNS0_4arch9wavefront6targetE0EEEvT1_.has_dyn_sized_stack, 0
	.set _ZN7rocprim17ROCPRIM_400000_NS6detail17trampoline_kernelINS0_14default_configENS1_33run_length_encode_config_selectorImjNS0_4plusIjEEEEZZNS1_33reduce_by_key_impl_wrapped_configILNS1_25lookback_scan_determinismE0ES3_S7_PKmNS0_17constant_iteratorIjlEEPmPlSF_S6_NS0_8equal_toImEEEE10hipError_tPvRmT2_T3_mT4_T5_T6_T7_T8_P12ihipStream_tbENKUlT_T0_E_clISt17integral_constantIbLb0EESY_IbLb1EEEEDaSU_SV_EUlSU_E_NS1_11comp_targetILNS1_3genE3ELNS1_11target_archE908ELNS1_3gpuE7ELNS1_3repE0EEENS1_30default_config_static_selectorELNS0_4arch9wavefront6targetE0EEEvT1_.has_recursion, 0
	.set _ZN7rocprim17ROCPRIM_400000_NS6detail17trampoline_kernelINS0_14default_configENS1_33run_length_encode_config_selectorImjNS0_4plusIjEEEEZZNS1_33reduce_by_key_impl_wrapped_configILNS1_25lookback_scan_determinismE0ES3_S7_PKmNS0_17constant_iteratorIjlEEPmPlSF_S6_NS0_8equal_toImEEEE10hipError_tPvRmT2_T3_mT4_T5_T6_T7_T8_P12ihipStream_tbENKUlT_T0_E_clISt17integral_constantIbLb0EESY_IbLb1EEEEDaSU_SV_EUlSU_E_NS1_11comp_targetILNS1_3genE3ELNS1_11target_archE908ELNS1_3gpuE7ELNS1_3repE0EEENS1_30default_config_static_selectorELNS0_4arch9wavefront6targetE0EEEvT1_.has_indirect_call, 0
	.section	.AMDGPU.csdata,"",@progbits
; Kernel info:
; codeLenInByte = 0
; TotalNumSgprs: 0
; NumVgprs: 0
; ScratchSize: 0
; MemoryBound: 0
; FloatMode: 240
; IeeeMode: 1
; LDSByteSize: 0 bytes/workgroup (compile time only)
; SGPRBlocks: 0
; VGPRBlocks: 0
; NumSGPRsForWavesPerEU: 1
; NumVGPRsForWavesPerEU: 1
; NamedBarCnt: 0
; Occupancy: 16
; WaveLimiterHint : 0
; COMPUTE_PGM_RSRC2:SCRATCH_EN: 0
; COMPUTE_PGM_RSRC2:USER_SGPR: 2
; COMPUTE_PGM_RSRC2:TRAP_HANDLER: 0
; COMPUTE_PGM_RSRC2:TGID_X_EN: 1
; COMPUTE_PGM_RSRC2:TGID_Y_EN: 0
; COMPUTE_PGM_RSRC2:TGID_Z_EN: 0
; COMPUTE_PGM_RSRC2:TIDIG_COMP_CNT: 0
	.section	.text._ZN7rocprim17ROCPRIM_400000_NS6detail17trampoline_kernelINS0_14default_configENS1_33run_length_encode_config_selectorImjNS0_4plusIjEEEEZZNS1_33reduce_by_key_impl_wrapped_configILNS1_25lookback_scan_determinismE0ES3_S7_PKmNS0_17constant_iteratorIjlEEPmPlSF_S6_NS0_8equal_toImEEEE10hipError_tPvRmT2_T3_mT4_T5_T6_T7_T8_P12ihipStream_tbENKUlT_T0_E_clISt17integral_constantIbLb0EESY_IbLb1EEEEDaSU_SV_EUlSU_E_NS1_11comp_targetILNS1_3genE2ELNS1_11target_archE906ELNS1_3gpuE6ELNS1_3repE0EEENS1_30default_config_static_selectorELNS0_4arch9wavefront6targetE0EEEvT1_,"axG",@progbits,_ZN7rocprim17ROCPRIM_400000_NS6detail17trampoline_kernelINS0_14default_configENS1_33run_length_encode_config_selectorImjNS0_4plusIjEEEEZZNS1_33reduce_by_key_impl_wrapped_configILNS1_25lookback_scan_determinismE0ES3_S7_PKmNS0_17constant_iteratorIjlEEPmPlSF_S6_NS0_8equal_toImEEEE10hipError_tPvRmT2_T3_mT4_T5_T6_T7_T8_P12ihipStream_tbENKUlT_T0_E_clISt17integral_constantIbLb0EESY_IbLb1EEEEDaSU_SV_EUlSU_E_NS1_11comp_targetILNS1_3genE2ELNS1_11target_archE906ELNS1_3gpuE6ELNS1_3repE0EEENS1_30default_config_static_selectorELNS0_4arch9wavefront6targetE0EEEvT1_,comdat
	.protected	_ZN7rocprim17ROCPRIM_400000_NS6detail17trampoline_kernelINS0_14default_configENS1_33run_length_encode_config_selectorImjNS0_4plusIjEEEEZZNS1_33reduce_by_key_impl_wrapped_configILNS1_25lookback_scan_determinismE0ES3_S7_PKmNS0_17constant_iteratorIjlEEPmPlSF_S6_NS0_8equal_toImEEEE10hipError_tPvRmT2_T3_mT4_T5_T6_T7_T8_P12ihipStream_tbENKUlT_T0_E_clISt17integral_constantIbLb0EESY_IbLb1EEEEDaSU_SV_EUlSU_E_NS1_11comp_targetILNS1_3genE2ELNS1_11target_archE906ELNS1_3gpuE6ELNS1_3repE0EEENS1_30default_config_static_selectorELNS0_4arch9wavefront6targetE0EEEvT1_ ; -- Begin function _ZN7rocprim17ROCPRIM_400000_NS6detail17trampoline_kernelINS0_14default_configENS1_33run_length_encode_config_selectorImjNS0_4plusIjEEEEZZNS1_33reduce_by_key_impl_wrapped_configILNS1_25lookback_scan_determinismE0ES3_S7_PKmNS0_17constant_iteratorIjlEEPmPlSF_S6_NS0_8equal_toImEEEE10hipError_tPvRmT2_T3_mT4_T5_T6_T7_T8_P12ihipStream_tbENKUlT_T0_E_clISt17integral_constantIbLb0EESY_IbLb1EEEEDaSU_SV_EUlSU_E_NS1_11comp_targetILNS1_3genE2ELNS1_11target_archE906ELNS1_3gpuE6ELNS1_3repE0EEENS1_30default_config_static_selectorELNS0_4arch9wavefront6targetE0EEEvT1_
	.globl	_ZN7rocprim17ROCPRIM_400000_NS6detail17trampoline_kernelINS0_14default_configENS1_33run_length_encode_config_selectorImjNS0_4plusIjEEEEZZNS1_33reduce_by_key_impl_wrapped_configILNS1_25lookback_scan_determinismE0ES3_S7_PKmNS0_17constant_iteratorIjlEEPmPlSF_S6_NS0_8equal_toImEEEE10hipError_tPvRmT2_T3_mT4_T5_T6_T7_T8_P12ihipStream_tbENKUlT_T0_E_clISt17integral_constantIbLb0EESY_IbLb1EEEEDaSU_SV_EUlSU_E_NS1_11comp_targetILNS1_3genE2ELNS1_11target_archE906ELNS1_3gpuE6ELNS1_3repE0EEENS1_30default_config_static_selectorELNS0_4arch9wavefront6targetE0EEEvT1_
	.p2align	8
	.type	_ZN7rocprim17ROCPRIM_400000_NS6detail17trampoline_kernelINS0_14default_configENS1_33run_length_encode_config_selectorImjNS0_4plusIjEEEEZZNS1_33reduce_by_key_impl_wrapped_configILNS1_25lookback_scan_determinismE0ES3_S7_PKmNS0_17constant_iteratorIjlEEPmPlSF_S6_NS0_8equal_toImEEEE10hipError_tPvRmT2_T3_mT4_T5_T6_T7_T8_P12ihipStream_tbENKUlT_T0_E_clISt17integral_constantIbLb0EESY_IbLb1EEEEDaSU_SV_EUlSU_E_NS1_11comp_targetILNS1_3genE2ELNS1_11target_archE906ELNS1_3gpuE6ELNS1_3repE0EEENS1_30default_config_static_selectorELNS0_4arch9wavefront6targetE0EEEvT1_,@function
_ZN7rocprim17ROCPRIM_400000_NS6detail17trampoline_kernelINS0_14default_configENS1_33run_length_encode_config_selectorImjNS0_4plusIjEEEEZZNS1_33reduce_by_key_impl_wrapped_configILNS1_25lookback_scan_determinismE0ES3_S7_PKmNS0_17constant_iteratorIjlEEPmPlSF_S6_NS0_8equal_toImEEEE10hipError_tPvRmT2_T3_mT4_T5_T6_T7_T8_P12ihipStream_tbENKUlT_T0_E_clISt17integral_constantIbLb0EESY_IbLb1EEEEDaSU_SV_EUlSU_E_NS1_11comp_targetILNS1_3genE2ELNS1_11target_archE906ELNS1_3gpuE6ELNS1_3repE0EEENS1_30default_config_static_selectorELNS0_4arch9wavefront6targetE0EEEvT1_: ; @_ZN7rocprim17ROCPRIM_400000_NS6detail17trampoline_kernelINS0_14default_configENS1_33run_length_encode_config_selectorImjNS0_4plusIjEEEEZZNS1_33reduce_by_key_impl_wrapped_configILNS1_25lookback_scan_determinismE0ES3_S7_PKmNS0_17constant_iteratorIjlEEPmPlSF_S6_NS0_8equal_toImEEEE10hipError_tPvRmT2_T3_mT4_T5_T6_T7_T8_P12ihipStream_tbENKUlT_T0_E_clISt17integral_constantIbLb0EESY_IbLb1EEEEDaSU_SV_EUlSU_E_NS1_11comp_targetILNS1_3genE2ELNS1_11target_archE906ELNS1_3gpuE6ELNS1_3repE0EEENS1_30default_config_static_selectorELNS0_4arch9wavefront6targetE0EEEvT1_
; %bb.0:
	.section	.rodata,"a",@progbits
	.p2align	6, 0x0
	.amdhsa_kernel _ZN7rocprim17ROCPRIM_400000_NS6detail17trampoline_kernelINS0_14default_configENS1_33run_length_encode_config_selectorImjNS0_4plusIjEEEEZZNS1_33reduce_by_key_impl_wrapped_configILNS1_25lookback_scan_determinismE0ES3_S7_PKmNS0_17constant_iteratorIjlEEPmPlSF_S6_NS0_8equal_toImEEEE10hipError_tPvRmT2_T3_mT4_T5_T6_T7_T8_P12ihipStream_tbENKUlT_T0_E_clISt17integral_constantIbLb0EESY_IbLb1EEEEDaSU_SV_EUlSU_E_NS1_11comp_targetILNS1_3genE2ELNS1_11target_archE906ELNS1_3gpuE6ELNS1_3repE0EEENS1_30default_config_static_selectorELNS0_4arch9wavefront6targetE0EEEvT1_
		.amdhsa_group_segment_fixed_size 0
		.amdhsa_private_segment_fixed_size 0
		.amdhsa_kernarg_size 128
		.amdhsa_user_sgpr_count 2
		.amdhsa_user_sgpr_dispatch_ptr 0
		.amdhsa_user_sgpr_queue_ptr 0
		.amdhsa_user_sgpr_kernarg_segment_ptr 1
		.amdhsa_user_sgpr_dispatch_id 0
		.amdhsa_user_sgpr_kernarg_preload_length 0
		.amdhsa_user_sgpr_kernarg_preload_offset 0
		.amdhsa_user_sgpr_private_segment_size 0
		.amdhsa_wavefront_size32 1
		.amdhsa_uses_dynamic_stack 0
		.amdhsa_enable_private_segment 0
		.amdhsa_system_sgpr_workgroup_id_x 1
		.amdhsa_system_sgpr_workgroup_id_y 0
		.amdhsa_system_sgpr_workgroup_id_z 0
		.amdhsa_system_sgpr_workgroup_info 0
		.amdhsa_system_vgpr_workitem_id 0
		.amdhsa_next_free_vgpr 1
		.amdhsa_next_free_sgpr 1
		.amdhsa_named_barrier_count 0
		.amdhsa_reserve_vcc 0
		.amdhsa_float_round_mode_32 0
		.amdhsa_float_round_mode_16_64 0
		.amdhsa_float_denorm_mode_32 3
		.amdhsa_float_denorm_mode_16_64 3
		.amdhsa_fp16_overflow 0
		.amdhsa_memory_ordered 1
		.amdhsa_forward_progress 1
		.amdhsa_inst_pref_size 0
		.amdhsa_round_robin_scheduling 0
		.amdhsa_exception_fp_ieee_invalid_op 0
		.amdhsa_exception_fp_denorm_src 0
		.amdhsa_exception_fp_ieee_div_zero 0
		.amdhsa_exception_fp_ieee_overflow 0
		.amdhsa_exception_fp_ieee_underflow 0
		.amdhsa_exception_fp_ieee_inexact 0
		.amdhsa_exception_int_div_zero 0
	.end_amdhsa_kernel
	.section	.text._ZN7rocprim17ROCPRIM_400000_NS6detail17trampoline_kernelINS0_14default_configENS1_33run_length_encode_config_selectorImjNS0_4plusIjEEEEZZNS1_33reduce_by_key_impl_wrapped_configILNS1_25lookback_scan_determinismE0ES3_S7_PKmNS0_17constant_iteratorIjlEEPmPlSF_S6_NS0_8equal_toImEEEE10hipError_tPvRmT2_T3_mT4_T5_T6_T7_T8_P12ihipStream_tbENKUlT_T0_E_clISt17integral_constantIbLb0EESY_IbLb1EEEEDaSU_SV_EUlSU_E_NS1_11comp_targetILNS1_3genE2ELNS1_11target_archE906ELNS1_3gpuE6ELNS1_3repE0EEENS1_30default_config_static_selectorELNS0_4arch9wavefront6targetE0EEEvT1_,"axG",@progbits,_ZN7rocprim17ROCPRIM_400000_NS6detail17trampoline_kernelINS0_14default_configENS1_33run_length_encode_config_selectorImjNS0_4plusIjEEEEZZNS1_33reduce_by_key_impl_wrapped_configILNS1_25lookback_scan_determinismE0ES3_S7_PKmNS0_17constant_iteratorIjlEEPmPlSF_S6_NS0_8equal_toImEEEE10hipError_tPvRmT2_T3_mT4_T5_T6_T7_T8_P12ihipStream_tbENKUlT_T0_E_clISt17integral_constantIbLb0EESY_IbLb1EEEEDaSU_SV_EUlSU_E_NS1_11comp_targetILNS1_3genE2ELNS1_11target_archE906ELNS1_3gpuE6ELNS1_3repE0EEENS1_30default_config_static_selectorELNS0_4arch9wavefront6targetE0EEEvT1_,comdat
.Lfunc_end749:
	.size	_ZN7rocprim17ROCPRIM_400000_NS6detail17trampoline_kernelINS0_14default_configENS1_33run_length_encode_config_selectorImjNS0_4plusIjEEEEZZNS1_33reduce_by_key_impl_wrapped_configILNS1_25lookback_scan_determinismE0ES3_S7_PKmNS0_17constant_iteratorIjlEEPmPlSF_S6_NS0_8equal_toImEEEE10hipError_tPvRmT2_T3_mT4_T5_T6_T7_T8_P12ihipStream_tbENKUlT_T0_E_clISt17integral_constantIbLb0EESY_IbLb1EEEEDaSU_SV_EUlSU_E_NS1_11comp_targetILNS1_3genE2ELNS1_11target_archE906ELNS1_3gpuE6ELNS1_3repE0EEENS1_30default_config_static_selectorELNS0_4arch9wavefront6targetE0EEEvT1_, .Lfunc_end749-_ZN7rocprim17ROCPRIM_400000_NS6detail17trampoline_kernelINS0_14default_configENS1_33run_length_encode_config_selectorImjNS0_4plusIjEEEEZZNS1_33reduce_by_key_impl_wrapped_configILNS1_25lookback_scan_determinismE0ES3_S7_PKmNS0_17constant_iteratorIjlEEPmPlSF_S6_NS0_8equal_toImEEEE10hipError_tPvRmT2_T3_mT4_T5_T6_T7_T8_P12ihipStream_tbENKUlT_T0_E_clISt17integral_constantIbLb0EESY_IbLb1EEEEDaSU_SV_EUlSU_E_NS1_11comp_targetILNS1_3genE2ELNS1_11target_archE906ELNS1_3gpuE6ELNS1_3repE0EEENS1_30default_config_static_selectorELNS0_4arch9wavefront6targetE0EEEvT1_
                                        ; -- End function
	.set _ZN7rocprim17ROCPRIM_400000_NS6detail17trampoline_kernelINS0_14default_configENS1_33run_length_encode_config_selectorImjNS0_4plusIjEEEEZZNS1_33reduce_by_key_impl_wrapped_configILNS1_25lookback_scan_determinismE0ES3_S7_PKmNS0_17constant_iteratorIjlEEPmPlSF_S6_NS0_8equal_toImEEEE10hipError_tPvRmT2_T3_mT4_T5_T6_T7_T8_P12ihipStream_tbENKUlT_T0_E_clISt17integral_constantIbLb0EESY_IbLb1EEEEDaSU_SV_EUlSU_E_NS1_11comp_targetILNS1_3genE2ELNS1_11target_archE906ELNS1_3gpuE6ELNS1_3repE0EEENS1_30default_config_static_selectorELNS0_4arch9wavefront6targetE0EEEvT1_.num_vgpr, 0
	.set _ZN7rocprim17ROCPRIM_400000_NS6detail17trampoline_kernelINS0_14default_configENS1_33run_length_encode_config_selectorImjNS0_4plusIjEEEEZZNS1_33reduce_by_key_impl_wrapped_configILNS1_25lookback_scan_determinismE0ES3_S7_PKmNS0_17constant_iteratorIjlEEPmPlSF_S6_NS0_8equal_toImEEEE10hipError_tPvRmT2_T3_mT4_T5_T6_T7_T8_P12ihipStream_tbENKUlT_T0_E_clISt17integral_constantIbLb0EESY_IbLb1EEEEDaSU_SV_EUlSU_E_NS1_11comp_targetILNS1_3genE2ELNS1_11target_archE906ELNS1_3gpuE6ELNS1_3repE0EEENS1_30default_config_static_selectorELNS0_4arch9wavefront6targetE0EEEvT1_.num_agpr, 0
	.set _ZN7rocprim17ROCPRIM_400000_NS6detail17trampoline_kernelINS0_14default_configENS1_33run_length_encode_config_selectorImjNS0_4plusIjEEEEZZNS1_33reduce_by_key_impl_wrapped_configILNS1_25lookback_scan_determinismE0ES3_S7_PKmNS0_17constant_iteratorIjlEEPmPlSF_S6_NS0_8equal_toImEEEE10hipError_tPvRmT2_T3_mT4_T5_T6_T7_T8_P12ihipStream_tbENKUlT_T0_E_clISt17integral_constantIbLb0EESY_IbLb1EEEEDaSU_SV_EUlSU_E_NS1_11comp_targetILNS1_3genE2ELNS1_11target_archE906ELNS1_3gpuE6ELNS1_3repE0EEENS1_30default_config_static_selectorELNS0_4arch9wavefront6targetE0EEEvT1_.numbered_sgpr, 0
	.set _ZN7rocprim17ROCPRIM_400000_NS6detail17trampoline_kernelINS0_14default_configENS1_33run_length_encode_config_selectorImjNS0_4plusIjEEEEZZNS1_33reduce_by_key_impl_wrapped_configILNS1_25lookback_scan_determinismE0ES3_S7_PKmNS0_17constant_iteratorIjlEEPmPlSF_S6_NS0_8equal_toImEEEE10hipError_tPvRmT2_T3_mT4_T5_T6_T7_T8_P12ihipStream_tbENKUlT_T0_E_clISt17integral_constantIbLb0EESY_IbLb1EEEEDaSU_SV_EUlSU_E_NS1_11comp_targetILNS1_3genE2ELNS1_11target_archE906ELNS1_3gpuE6ELNS1_3repE0EEENS1_30default_config_static_selectorELNS0_4arch9wavefront6targetE0EEEvT1_.num_named_barrier, 0
	.set _ZN7rocprim17ROCPRIM_400000_NS6detail17trampoline_kernelINS0_14default_configENS1_33run_length_encode_config_selectorImjNS0_4plusIjEEEEZZNS1_33reduce_by_key_impl_wrapped_configILNS1_25lookback_scan_determinismE0ES3_S7_PKmNS0_17constant_iteratorIjlEEPmPlSF_S6_NS0_8equal_toImEEEE10hipError_tPvRmT2_T3_mT4_T5_T6_T7_T8_P12ihipStream_tbENKUlT_T0_E_clISt17integral_constantIbLb0EESY_IbLb1EEEEDaSU_SV_EUlSU_E_NS1_11comp_targetILNS1_3genE2ELNS1_11target_archE906ELNS1_3gpuE6ELNS1_3repE0EEENS1_30default_config_static_selectorELNS0_4arch9wavefront6targetE0EEEvT1_.private_seg_size, 0
	.set _ZN7rocprim17ROCPRIM_400000_NS6detail17trampoline_kernelINS0_14default_configENS1_33run_length_encode_config_selectorImjNS0_4plusIjEEEEZZNS1_33reduce_by_key_impl_wrapped_configILNS1_25lookback_scan_determinismE0ES3_S7_PKmNS0_17constant_iteratorIjlEEPmPlSF_S6_NS0_8equal_toImEEEE10hipError_tPvRmT2_T3_mT4_T5_T6_T7_T8_P12ihipStream_tbENKUlT_T0_E_clISt17integral_constantIbLb0EESY_IbLb1EEEEDaSU_SV_EUlSU_E_NS1_11comp_targetILNS1_3genE2ELNS1_11target_archE906ELNS1_3gpuE6ELNS1_3repE0EEENS1_30default_config_static_selectorELNS0_4arch9wavefront6targetE0EEEvT1_.uses_vcc, 0
	.set _ZN7rocprim17ROCPRIM_400000_NS6detail17trampoline_kernelINS0_14default_configENS1_33run_length_encode_config_selectorImjNS0_4plusIjEEEEZZNS1_33reduce_by_key_impl_wrapped_configILNS1_25lookback_scan_determinismE0ES3_S7_PKmNS0_17constant_iteratorIjlEEPmPlSF_S6_NS0_8equal_toImEEEE10hipError_tPvRmT2_T3_mT4_T5_T6_T7_T8_P12ihipStream_tbENKUlT_T0_E_clISt17integral_constantIbLb0EESY_IbLb1EEEEDaSU_SV_EUlSU_E_NS1_11comp_targetILNS1_3genE2ELNS1_11target_archE906ELNS1_3gpuE6ELNS1_3repE0EEENS1_30default_config_static_selectorELNS0_4arch9wavefront6targetE0EEEvT1_.uses_flat_scratch, 0
	.set _ZN7rocprim17ROCPRIM_400000_NS6detail17trampoline_kernelINS0_14default_configENS1_33run_length_encode_config_selectorImjNS0_4plusIjEEEEZZNS1_33reduce_by_key_impl_wrapped_configILNS1_25lookback_scan_determinismE0ES3_S7_PKmNS0_17constant_iteratorIjlEEPmPlSF_S6_NS0_8equal_toImEEEE10hipError_tPvRmT2_T3_mT4_T5_T6_T7_T8_P12ihipStream_tbENKUlT_T0_E_clISt17integral_constantIbLb0EESY_IbLb1EEEEDaSU_SV_EUlSU_E_NS1_11comp_targetILNS1_3genE2ELNS1_11target_archE906ELNS1_3gpuE6ELNS1_3repE0EEENS1_30default_config_static_selectorELNS0_4arch9wavefront6targetE0EEEvT1_.has_dyn_sized_stack, 0
	.set _ZN7rocprim17ROCPRIM_400000_NS6detail17trampoline_kernelINS0_14default_configENS1_33run_length_encode_config_selectorImjNS0_4plusIjEEEEZZNS1_33reduce_by_key_impl_wrapped_configILNS1_25lookback_scan_determinismE0ES3_S7_PKmNS0_17constant_iteratorIjlEEPmPlSF_S6_NS0_8equal_toImEEEE10hipError_tPvRmT2_T3_mT4_T5_T6_T7_T8_P12ihipStream_tbENKUlT_T0_E_clISt17integral_constantIbLb0EESY_IbLb1EEEEDaSU_SV_EUlSU_E_NS1_11comp_targetILNS1_3genE2ELNS1_11target_archE906ELNS1_3gpuE6ELNS1_3repE0EEENS1_30default_config_static_selectorELNS0_4arch9wavefront6targetE0EEEvT1_.has_recursion, 0
	.set _ZN7rocprim17ROCPRIM_400000_NS6detail17trampoline_kernelINS0_14default_configENS1_33run_length_encode_config_selectorImjNS0_4plusIjEEEEZZNS1_33reduce_by_key_impl_wrapped_configILNS1_25lookback_scan_determinismE0ES3_S7_PKmNS0_17constant_iteratorIjlEEPmPlSF_S6_NS0_8equal_toImEEEE10hipError_tPvRmT2_T3_mT4_T5_T6_T7_T8_P12ihipStream_tbENKUlT_T0_E_clISt17integral_constantIbLb0EESY_IbLb1EEEEDaSU_SV_EUlSU_E_NS1_11comp_targetILNS1_3genE2ELNS1_11target_archE906ELNS1_3gpuE6ELNS1_3repE0EEENS1_30default_config_static_selectorELNS0_4arch9wavefront6targetE0EEEvT1_.has_indirect_call, 0
	.section	.AMDGPU.csdata,"",@progbits
; Kernel info:
; codeLenInByte = 0
; TotalNumSgprs: 0
; NumVgprs: 0
; ScratchSize: 0
; MemoryBound: 0
; FloatMode: 240
; IeeeMode: 1
; LDSByteSize: 0 bytes/workgroup (compile time only)
; SGPRBlocks: 0
; VGPRBlocks: 0
; NumSGPRsForWavesPerEU: 1
; NumVGPRsForWavesPerEU: 1
; NamedBarCnt: 0
; Occupancy: 16
; WaveLimiterHint : 0
; COMPUTE_PGM_RSRC2:SCRATCH_EN: 0
; COMPUTE_PGM_RSRC2:USER_SGPR: 2
; COMPUTE_PGM_RSRC2:TRAP_HANDLER: 0
; COMPUTE_PGM_RSRC2:TGID_X_EN: 1
; COMPUTE_PGM_RSRC2:TGID_Y_EN: 0
; COMPUTE_PGM_RSRC2:TGID_Z_EN: 0
; COMPUTE_PGM_RSRC2:TIDIG_COMP_CNT: 0
	.section	.text._ZN7rocprim17ROCPRIM_400000_NS6detail17trampoline_kernelINS0_14default_configENS1_33run_length_encode_config_selectorImjNS0_4plusIjEEEEZZNS1_33reduce_by_key_impl_wrapped_configILNS1_25lookback_scan_determinismE0ES3_S7_PKmNS0_17constant_iteratorIjlEEPmPlSF_S6_NS0_8equal_toImEEEE10hipError_tPvRmT2_T3_mT4_T5_T6_T7_T8_P12ihipStream_tbENKUlT_T0_E_clISt17integral_constantIbLb0EESY_IbLb1EEEEDaSU_SV_EUlSU_E_NS1_11comp_targetILNS1_3genE10ELNS1_11target_archE1201ELNS1_3gpuE5ELNS1_3repE0EEENS1_30default_config_static_selectorELNS0_4arch9wavefront6targetE0EEEvT1_,"axG",@progbits,_ZN7rocprim17ROCPRIM_400000_NS6detail17trampoline_kernelINS0_14default_configENS1_33run_length_encode_config_selectorImjNS0_4plusIjEEEEZZNS1_33reduce_by_key_impl_wrapped_configILNS1_25lookback_scan_determinismE0ES3_S7_PKmNS0_17constant_iteratorIjlEEPmPlSF_S6_NS0_8equal_toImEEEE10hipError_tPvRmT2_T3_mT4_T5_T6_T7_T8_P12ihipStream_tbENKUlT_T0_E_clISt17integral_constantIbLb0EESY_IbLb1EEEEDaSU_SV_EUlSU_E_NS1_11comp_targetILNS1_3genE10ELNS1_11target_archE1201ELNS1_3gpuE5ELNS1_3repE0EEENS1_30default_config_static_selectorELNS0_4arch9wavefront6targetE0EEEvT1_,comdat
	.protected	_ZN7rocprim17ROCPRIM_400000_NS6detail17trampoline_kernelINS0_14default_configENS1_33run_length_encode_config_selectorImjNS0_4plusIjEEEEZZNS1_33reduce_by_key_impl_wrapped_configILNS1_25lookback_scan_determinismE0ES3_S7_PKmNS0_17constant_iteratorIjlEEPmPlSF_S6_NS0_8equal_toImEEEE10hipError_tPvRmT2_T3_mT4_T5_T6_T7_T8_P12ihipStream_tbENKUlT_T0_E_clISt17integral_constantIbLb0EESY_IbLb1EEEEDaSU_SV_EUlSU_E_NS1_11comp_targetILNS1_3genE10ELNS1_11target_archE1201ELNS1_3gpuE5ELNS1_3repE0EEENS1_30default_config_static_selectorELNS0_4arch9wavefront6targetE0EEEvT1_ ; -- Begin function _ZN7rocprim17ROCPRIM_400000_NS6detail17trampoline_kernelINS0_14default_configENS1_33run_length_encode_config_selectorImjNS0_4plusIjEEEEZZNS1_33reduce_by_key_impl_wrapped_configILNS1_25lookback_scan_determinismE0ES3_S7_PKmNS0_17constant_iteratorIjlEEPmPlSF_S6_NS0_8equal_toImEEEE10hipError_tPvRmT2_T3_mT4_T5_T6_T7_T8_P12ihipStream_tbENKUlT_T0_E_clISt17integral_constantIbLb0EESY_IbLb1EEEEDaSU_SV_EUlSU_E_NS1_11comp_targetILNS1_3genE10ELNS1_11target_archE1201ELNS1_3gpuE5ELNS1_3repE0EEENS1_30default_config_static_selectorELNS0_4arch9wavefront6targetE0EEEvT1_
	.globl	_ZN7rocprim17ROCPRIM_400000_NS6detail17trampoline_kernelINS0_14default_configENS1_33run_length_encode_config_selectorImjNS0_4plusIjEEEEZZNS1_33reduce_by_key_impl_wrapped_configILNS1_25lookback_scan_determinismE0ES3_S7_PKmNS0_17constant_iteratorIjlEEPmPlSF_S6_NS0_8equal_toImEEEE10hipError_tPvRmT2_T3_mT4_T5_T6_T7_T8_P12ihipStream_tbENKUlT_T0_E_clISt17integral_constantIbLb0EESY_IbLb1EEEEDaSU_SV_EUlSU_E_NS1_11comp_targetILNS1_3genE10ELNS1_11target_archE1201ELNS1_3gpuE5ELNS1_3repE0EEENS1_30default_config_static_selectorELNS0_4arch9wavefront6targetE0EEEvT1_
	.p2align	8
	.type	_ZN7rocprim17ROCPRIM_400000_NS6detail17trampoline_kernelINS0_14default_configENS1_33run_length_encode_config_selectorImjNS0_4plusIjEEEEZZNS1_33reduce_by_key_impl_wrapped_configILNS1_25lookback_scan_determinismE0ES3_S7_PKmNS0_17constant_iteratorIjlEEPmPlSF_S6_NS0_8equal_toImEEEE10hipError_tPvRmT2_T3_mT4_T5_T6_T7_T8_P12ihipStream_tbENKUlT_T0_E_clISt17integral_constantIbLb0EESY_IbLb1EEEEDaSU_SV_EUlSU_E_NS1_11comp_targetILNS1_3genE10ELNS1_11target_archE1201ELNS1_3gpuE5ELNS1_3repE0EEENS1_30default_config_static_selectorELNS0_4arch9wavefront6targetE0EEEvT1_,@function
_ZN7rocprim17ROCPRIM_400000_NS6detail17trampoline_kernelINS0_14default_configENS1_33run_length_encode_config_selectorImjNS0_4plusIjEEEEZZNS1_33reduce_by_key_impl_wrapped_configILNS1_25lookback_scan_determinismE0ES3_S7_PKmNS0_17constant_iteratorIjlEEPmPlSF_S6_NS0_8equal_toImEEEE10hipError_tPvRmT2_T3_mT4_T5_T6_T7_T8_P12ihipStream_tbENKUlT_T0_E_clISt17integral_constantIbLb0EESY_IbLb1EEEEDaSU_SV_EUlSU_E_NS1_11comp_targetILNS1_3genE10ELNS1_11target_archE1201ELNS1_3gpuE5ELNS1_3repE0EEENS1_30default_config_static_selectorELNS0_4arch9wavefront6targetE0EEEvT1_: ; @_ZN7rocprim17ROCPRIM_400000_NS6detail17trampoline_kernelINS0_14default_configENS1_33run_length_encode_config_selectorImjNS0_4plusIjEEEEZZNS1_33reduce_by_key_impl_wrapped_configILNS1_25lookback_scan_determinismE0ES3_S7_PKmNS0_17constant_iteratorIjlEEPmPlSF_S6_NS0_8equal_toImEEEE10hipError_tPvRmT2_T3_mT4_T5_T6_T7_T8_P12ihipStream_tbENKUlT_T0_E_clISt17integral_constantIbLb0EESY_IbLb1EEEEDaSU_SV_EUlSU_E_NS1_11comp_targetILNS1_3genE10ELNS1_11target_archE1201ELNS1_3gpuE5ELNS1_3repE0EEENS1_30default_config_static_selectorELNS0_4arch9wavefront6targetE0EEEvT1_
; %bb.0:
	.section	.rodata,"a",@progbits
	.p2align	6, 0x0
	.amdhsa_kernel _ZN7rocprim17ROCPRIM_400000_NS6detail17trampoline_kernelINS0_14default_configENS1_33run_length_encode_config_selectorImjNS0_4plusIjEEEEZZNS1_33reduce_by_key_impl_wrapped_configILNS1_25lookback_scan_determinismE0ES3_S7_PKmNS0_17constant_iteratorIjlEEPmPlSF_S6_NS0_8equal_toImEEEE10hipError_tPvRmT2_T3_mT4_T5_T6_T7_T8_P12ihipStream_tbENKUlT_T0_E_clISt17integral_constantIbLb0EESY_IbLb1EEEEDaSU_SV_EUlSU_E_NS1_11comp_targetILNS1_3genE10ELNS1_11target_archE1201ELNS1_3gpuE5ELNS1_3repE0EEENS1_30default_config_static_selectorELNS0_4arch9wavefront6targetE0EEEvT1_
		.amdhsa_group_segment_fixed_size 0
		.amdhsa_private_segment_fixed_size 0
		.amdhsa_kernarg_size 128
		.amdhsa_user_sgpr_count 2
		.amdhsa_user_sgpr_dispatch_ptr 0
		.amdhsa_user_sgpr_queue_ptr 0
		.amdhsa_user_sgpr_kernarg_segment_ptr 1
		.amdhsa_user_sgpr_dispatch_id 0
		.amdhsa_user_sgpr_kernarg_preload_length 0
		.amdhsa_user_sgpr_kernarg_preload_offset 0
		.amdhsa_user_sgpr_private_segment_size 0
		.amdhsa_wavefront_size32 1
		.amdhsa_uses_dynamic_stack 0
		.amdhsa_enable_private_segment 0
		.amdhsa_system_sgpr_workgroup_id_x 1
		.amdhsa_system_sgpr_workgroup_id_y 0
		.amdhsa_system_sgpr_workgroup_id_z 0
		.amdhsa_system_sgpr_workgroup_info 0
		.amdhsa_system_vgpr_workitem_id 0
		.amdhsa_next_free_vgpr 1
		.amdhsa_next_free_sgpr 1
		.amdhsa_named_barrier_count 0
		.amdhsa_reserve_vcc 0
		.amdhsa_float_round_mode_32 0
		.amdhsa_float_round_mode_16_64 0
		.amdhsa_float_denorm_mode_32 3
		.amdhsa_float_denorm_mode_16_64 3
		.amdhsa_fp16_overflow 0
		.amdhsa_memory_ordered 1
		.amdhsa_forward_progress 1
		.amdhsa_inst_pref_size 0
		.amdhsa_round_robin_scheduling 0
		.amdhsa_exception_fp_ieee_invalid_op 0
		.amdhsa_exception_fp_denorm_src 0
		.amdhsa_exception_fp_ieee_div_zero 0
		.amdhsa_exception_fp_ieee_overflow 0
		.amdhsa_exception_fp_ieee_underflow 0
		.amdhsa_exception_fp_ieee_inexact 0
		.amdhsa_exception_int_div_zero 0
	.end_amdhsa_kernel
	.section	.text._ZN7rocprim17ROCPRIM_400000_NS6detail17trampoline_kernelINS0_14default_configENS1_33run_length_encode_config_selectorImjNS0_4plusIjEEEEZZNS1_33reduce_by_key_impl_wrapped_configILNS1_25lookback_scan_determinismE0ES3_S7_PKmNS0_17constant_iteratorIjlEEPmPlSF_S6_NS0_8equal_toImEEEE10hipError_tPvRmT2_T3_mT4_T5_T6_T7_T8_P12ihipStream_tbENKUlT_T0_E_clISt17integral_constantIbLb0EESY_IbLb1EEEEDaSU_SV_EUlSU_E_NS1_11comp_targetILNS1_3genE10ELNS1_11target_archE1201ELNS1_3gpuE5ELNS1_3repE0EEENS1_30default_config_static_selectorELNS0_4arch9wavefront6targetE0EEEvT1_,"axG",@progbits,_ZN7rocprim17ROCPRIM_400000_NS6detail17trampoline_kernelINS0_14default_configENS1_33run_length_encode_config_selectorImjNS0_4plusIjEEEEZZNS1_33reduce_by_key_impl_wrapped_configILNS1_25lookback_scan_determinismE0ES3_S7_PKmNS0_17constant_iteratorIjlEEPmPlSF_S6_NS0_8equal_toImEEEE10hipError_tPvRmT2_T3_mT4_T5_T6_T7_T8_P12ihipStream_tbENKUlT_T0_E_clISt17integral_constantIbLb0EESY_IbLb1EEEEDaSU_SV_EUlSU_E_NS1_11comp_targetILNS1_3genE10ELNS1_11target_archE1201ELNS1_3gpuE5ELNS1_3repE0EEENS1_30default_config_static_selectorELNS0_4arch9wavefront6targetE0EEEvT1_,comdat
.Lfunc_end750:
	.size	_ZN7rocprim17ROCPRIM_400000_NS6detail17trampoline_kernelINS0_14default_configENS1_33run_length_encode_config_selectorImjNS0_4plusIjEEEEZZNS1_33reduce_by_key_impl_wrapped_configILNS1_25lookback_scan_determinismE0ES3_S7_PKmNS0_17constant_iteratorIjlEEPmPlSF_S6_NS0_8equal_toImEEEE10hipError_tPvRmT2_T3_mT4_T5_T6_T7_T8_P12ihipStream_tbENKUlT_T0_E_clISt17integral_constantIbLb0EESY_IbLb1EEEEDaSU_SV_EUlSU_E_NS1_11comp_targetILNS1_3genE10ELNS1_11target_archE1201ELNS1_3gpuE5ELNS1_3repE0EEENS1_30default_config_static_selectorELNS0_4arch9wavefront6targetE0EEEvT1_, .Lfunc_end750-_ZN7rocprim17ROCPRIM_400000_NS6detail17trampoline_kernelINS0_14default_configENS1_33run_length_encode_config_selectorImjNS0_4plusIjEEEEZZNS1_33reduce_by_key_impl_wrapped_configILNS1_25lookback_scan_determinismE0ES3_S7_PKmNS0_17constant_iteratorIjlEEPmPlSF_S6_NS0_8equal_toImEEEE10hipError_tPvRmT2_T3_mT4_T5_T6_T7_T8_P12ihipStream_tbENKUlT_T0_E_clISt17integral_constantIbLb0EESY_IbLb1EEEEDaSU_SV_EUlSU_E_NS1_11comp_targetILNS1_3genE10ELNS1_11target_archE1201ELNS1_3gpuE5ELNS1_3repE0EEENS1_30default_config_static_selectorELNS0_4arch9wavefront6targetE0EEEvT1_
                                        ; -- End function
	.set _ZN7rocprim17ROCPRIM_400000_NS6detail17trampoline_kernelINS0_14default_configENS1_33run_length_encode_config_selectorImjNS0_4plusIjEEEEZZNS1_33reduce_by_key_impl_wrapped_configILNS1_25lookback_scan_determinismE0ES3_S7_PKmNS0_17constant_iteratorIjlEEPmPlSF_S6_NS0_8equal_toImEEEE10hipError_tPvRmT2_T3_mT4_T5_T6_T7_T8_P12ihipStream_tbENKUlT_T0_E_clISt17integral_constantIbLb0EESY_IbLb1EEEEDaSU_SV_EUlSU_E_NS1_11comp_targetILNS1_3genE10ELNS1_11target_archE1201ELNS1_3gpuE5ELNS1_3repE0EEENS1_30default_config_static_selectorELNS0_4arch9wavefront6targetE0EEEvT1_.num_vgpr, 0
	.set _ZN7rocprim17ROCPRIM_400000_NS6detail17trampoline_kernelINS0_14default_configENS1_33run_length_encode_config_selectorImjNS0_4plusIjEEEEZZNS1_33reduce_by_key_impl_wrapped_configILNS1_25lookback_scan_determinismE0ES3_S7_PKmNS0_17constant_iteratorIjlEEPmPlSF_S6_NS0_8equal_toImEEEE10hipError_tPvRmT2_T3_mT4_T5_T6_T7_T8_P12ihipStream_tbENKUlT_T0_E_clISt17integral_constantIbLb0EESY_IbLb1EEEEDaSU_SV_EUlSU_E_NS1_11comp_targetILNS1_3genE10ELNS1_11target_archE1201ELNS1_3gpuE5ELNS1_3repE0EEENS1_30default_config_static_selectorELNS0_4arch9wavefront6targetE0EEEvT1_.num_agpr, 0
	.set _ZN7rocprim17ROCPRIM_400000_NS6detail17trampoline_kernelINS0_14default_configENS1_33run_length_encode_config_selectorImjNS0_4plusIjEEEEZZNS1_33reduce_by_key_impl_wrapped_configILNS1_25lookback_scan_determinismE0ES3_S7_PKmNS0_17constant_iteratorIjlEEPmPlSF_S6_NS0_8equal_toImEEEE10hipError_tPvRmT2_T3_mT4_T5_T6_T7_T8_P12ihipStream_tbENKUlT_T0_E_clISt17integral_constantIbLb0EESY_IbLb1EEEEDaSU_SV_EUlSU_E_NS1_11comp_targetILNS1_3genE10ELNS1_11target_archE1201ELNS1_3gpuE5ELNS1_3repE0EEENS1_30default_config_static_selectorELNS0_4arch9wavefront6targetE0EEEvT1_.numbered_sgpr, 0
	.set _ZN7rocprim17ROCPRIM_400000_NS6detail17trampoline_kernelINS0_14default_configENS1_33run_length_encode_config_selectorImjNS0_4plusIjEEEEZZNS1_33reduce_by_key_impl_wrapped_configILNS1_25lookback_scan_determinismE0ES3_S7_PKmNS0_17constant_iteratorIjlEEPmPlSF_S6_NS0_8equal_toImEEEE10hipError_tPvRmT2_T3_mT4_T5_T6_T7_T8_P12ihipStream_tbENKUlT_T0_E_clISt17integral_constantIbLb0EESY_IbLb1EEEEDaSU_SV_EUlSU_E_NS1_11comp_targetILNS1_3genE10ELNS1_11target_archE1201ELNS1_3gpuE5ELNS1_3repE0EEENS1_30default_config_static_selectorELNS0_4arch9wavefront6targetE0EEEvT1_.num_named_barrier, 0
	.set _ZN7rocprim17ROCPRIM_400000_NS6detail17trampoline_kernelINS0_14default_configENS1_33run_length_encode_config_selectorImjNS0_4plusIjEEEEZZNS1_33reduce_by_key_impl_wrapped_configILNS1_25lookback_scan_determinismE0ES3_S7_PKmNS0_17constant_iteratorIjlEEPmPlSF_S6_NS0_8equal_toImEEEE10hipError_tPvRmT2_T3_mT4_T5_T6_T7_T8_P12ihipStream_tbENKUlT_T0_E_clISt17integral_constantIbLb0EESY_IbLb1EEEEDaSU_SV_EUlSU_E_NS1_11comp_targetILNS1_3genE10ELNS1_11target_archE1201ELNS1_3gpuE5ELNS1_3repE0EEENS1_30default_config_static_selectorELNS0_4arch9wavefront6targetE0EEEvT1_.private_seg_size, 0
	.set _ZN7rocprim17ROCPRIM_400000_NS6detail17trampoline_kernelINS0_14default_configENS1_33run_length_encode_config_selectorImjNS0_4plusIjEEEEZZNS1_33reduce_by_key_impl_wrapped_configILNS1_25lookback_scan_determinismE0ES3_S7_PKmNS0_17constant_iteratorIjlEEPmPlSF_S6_NS0_8equal_toImEEEE10hipError_tPvRmT2_T3_mT4_T5_T6_T7_T8_P12ihipStream_tbENKUlT_T0_E_clISt17integral_constantIbLb0EESY_IbLb1EEEEDaSU_SV_EUlSU_E_NS1_11comp_targetILNS1_3genE10ELNS1_11target_archE1201ELNS1_3gpuE5ELNS1_3repE0EEENS1_30default_config_static_selectorELNS0_4arch9wavefront6targetE0EEEvT1_.uses_vcc, 0
	.set _ZN7rocprim17ROCPRIM_400000_NS6detail17trampoline_kernelINS0_14default_configENS1_33run_length_encode_config_selectorImjNS0_4plusIjEEEEZZNS1_33reduce_by_key_impl_wrapped_configILNS1_25lookback_scan_determinismE0ES3_S7_PKmNS0_17constant_iteratorIjlEEPmPlSF_S6_NS0_8equal_toImEEEE10hipError_tPvRmT2_T3_mT4_T5_T6_T7_T8_P12ihipStream_tbENKUlT_T0_E_clISt17integral_constantIbLb0EESY_IbLb1EEEEDaSU_SV_EUlSU_E_NS1_11comp_targetILNS1_3genE10ELNS1_11target_archE1201ELNS1_3gpuE5ELNS1_3repE0EEENS1_30default_config_static_selectorELNS0_4arch9wavefront6targetE0EEEvT1_.uses_flat_scratch, 0
	.set _ZN7rocprim17ROCPRIM_400000_NS6detail17trampoline_kernelINS0_14default_configENS1_33run_length_encode_config_selectorImjNS0_4plusIjEEEEZZNS1_33reduce_by_key_impl_wrapped_configILNS1_25lookback_scan_determinismE0ES3_S7_PKmNS0_17constant_iteratorIjlEEPmPlSF_S6_NS0_8equal_toImEEEE10hipError_tPvRmT2_T3_mT4_T5_T6_T7_T8_P12ihipStream_tbENKUlT_T0_E_clISt17integral_constantIbLb0EESY_IbLb1EEEEDaSU_SV_EUlSU_E_NS1_11comp_targetILNS1_3genE10ELNS1_11target_archE1201ELNS1_3gpuE5ELNS1_3repE0EEENS1_30default_config_static_selectorELNS0_4arch9wavefront6targetE0EEEvT1_.has_dyn_sized_stack, 0
	.set _ZN7rocprim17ROCPRIM_400000_NS6detail17trampoline_kernelINS0_14default_configENS1_33run_length_encode_config_selectorImjNS0_4plusIjEEEEZZNS1_33reduce_by_key_impl_wrapped_configILNS1_25lookback_scan_determinismE0ES3_S7_PKmNS0_17constant_iteratorIjlEEPmPlSF_S6_NS0_8equal_toImEEEE10hipError_tPvRmT2_T3_mT4_T5_T6_T7_T8_P12ihipStream_tbENKUlT_T0_E_clISt17integral_constantIbLb0EESY_IbLb1EEEEDaSU_SV_EUlSU_E_NS1_11comp_targetILNS1_3genE10ELNS1_11target_archE1201ELNS1_3gpuE5ELNS1_3repE0EEENS1_30default_config_static_selectorELNS0_4arch9wavefront6targetE0EEEvT1_.has_recursion, 0
	.set _ZN7rocprim17ROCPRIM_400000_NS6detail17trampoline_kernelINS0_14default_configENS1_33run_length_encode_config_selectorImjNS0_4plusIjEEEEZZNS1_33reduce_by_key_impl_wrapped_configILNS1_25lookback_scan_determinismE0ES3_S7_PKmNS0_17constant_iteratorIjlEEPmPlSF_S6_NS0_8equal_toImEEEE10hipError_tPvRmT2_T3_mT4_T5_T6_T7_T8_P12ihipStream_tbENKUlT_T0_E_clISt17integral_constantIbLb0EESY_IbLb1EEEEDaSU_SV_EUlSU_E_NS1_11comp_targetILNS1_3genE10ELNS1_11target_archE1201ELNS1_3gpuE5ELNS1_3repE0EEENS1_30default_config_static_selectorELNS0_4arch9wavefront6targetE0EEEvT1_.has_indirect_call, 0
	.section	.AMDGPU.csdata,"",@progbits
; Kernel info:
; codeLenInByte = 0
; TotalNumSgprs: 0
; NumVgprs: 0
; ScratchSize: 0
; MemoryBound: 0
; FloatMode: 240
; IeeeMode: 1
; LDSByteSize: 0 bytes/workgroup (compile time only)
; SGPRBlocks: 0
; VGPRBlocks: 0
; NumSGPRsForWavesPerEU: 1
; NumVGPRsForWavesPerEU: 1
; NamedBarCnt: 0
; Occupancy: 16
; WaveLimiterHint : 0
; COMPUTE_PGM_RSRC2:SCRATCH_EN: 0
; COMPUTE_PGM_RSRC2:USER_SGPR: 2
; COMPUTE_PGM_RSRC2:TRAP_HANDLER: 0
; COMPUTE_PGM_RSRC2:TGID_X_EN: 1
; COMPUTE_PGM_RSRC2:TGID_Y_EN: 0
; COMPUTE_PGM_RSRC2:TGID_Z_EN: 0
; COMPUTE_PGM_RSRC2:TIDIG_COMP_CNT: 0
	.section	.text._ZN7rocprim17ROCPRIM_400000_NS6detail17trampoline_kernelINS0_14default_configENS1_33run_length_encode_config_selectorImjNS0_4plusIjEEEEZZNS1_33reduce_by_key_impl_wrapped_configILNS1_25lookback_scan_determinismE0ES3_S7_PKmNS0_17constant_iteratorIjlEEPmPlSF_S6_NS0_8equal_toImEEEE10hipError_tPvRmT2_T3_mT4_T5_T6_T7_T8_P12ihipStream_tbENKUlT_T0_E_clISt17integral_constantIbLb0EESY_IbLb1EEEEDaSU_SV_EUlSU_E_NS1_11comp_targetILNS1_3genE10ELNS1_11target_archE1200ELNS1_3gpuE4ELNS1_3repE0EEENS1_30default_config_static_selectorELNS0_4arch9wavefront6targetE0EEEvT1_,"axG",@progbits,_ZN7rocprim17ROCPRIM_400000_NS6detail17trampoline_kernelINS0_14default_configENS1_33run_length_encode_config_selectorImjNS0_4plusIjEEEEZZNS1_33reduce_by_key_impl_wrapped_configILNS1_25lookback_scan_determinismE0ES3_S7_PKmNS0_17constant_iteratorIjlEEPmPlSF_S6_NS0_8equal_toImEEEE10hipError_tPvRmT2_T3_mT4_T5_T6_T7_T8_P12ihipStream_tbENKUlT_T0_E_clISt17integral_constantIbLb0EESY_IbLb1EEEEDaSU_SV_EUlSU_E_NS1_11comp_targetILNS1_3genE10ELNS1_11target_archE1200ELNS1_3gpuE4ELNS1_3repE0EEENS1_30default_config_static_selectorELNS0_4arch9wavefront6targetE0EEEvT1_,comdat
	.protected	_ZN7rocprim17ROCPRIM_400000_NS6detail17trampoline_kernelINS0_14default_configENS1_33run_length_encode_config_selectorImjNS0_4plusIjEEEEZZNS1_33reduce_by_key_impl_wrapped_configILNS1_25lookback_scan_determinismE0ES3_S7_PKmNS0_17constant_iteratorIjlEEPmPlSF_S6_NS0_8equal_toImEEEE10hipError_tPvRmT2_T3_mT4_T5_T6_T7_T8_P12ihipStream_tbENKUlT_T0_E_clISt17integral_constantIbLb0EESY_IbLb1EEEEDaSU_SV_EUlSU_E_NS1_11comp_targetILNS1_3genE10ELNS1_11target_archE1200ELNS1_3gpuE4ELNS1_3repE0EEENS1_30default_config_static_selectorELNS0_4arch9wavefront6targetE0EEEvT1_ ; -- Begin function _ZN7rocprim17ROCPRIM_400000_NS6detail17trampoline_kernelINS0_14default_configENS1_33run_length_encode_config_selectorImjNS0_4plusIjEEEEZZNS1_33reduce_by_key_impl_wrapped_configILNS1_25lookback_scan_determinismE0ES3_S7_PKmNS0_17constant_iteratorIjlEEPmPlSF_S6_NS0_8equal_toImEEEE10hipError_tPvRmT2_T3_mT4_T5_T6_T7_T8_P12ihipStream_tbENKUlT_T0_E_clISt17integral_constantIbLb0EESY_IbLb1EEEEDaSU_SV_EUlSU_E_NS1_11comp_targetILNS1_3genE10ELNS1_11target_archE1200ELNS1_3gpuE4ELNS1_3repE0EEENS1_30default_config_static_selectorELNS0_4arch9wavefront6targetE0EEEvT1_
	.globl	_ZN7rocprim17ROCPRIM_400000_NS6detail17trampoline_kernelINS0_14default_configENS1_33run_length_encode_config_selectorImjNS0_4plusIjEEEEZZNS1_33reduce_by_key_impl_wrapped_configILNS1_25lookback_scan_determinismE0ES3_S7_PKmNS0_17constant_iteratorIjlEEPmPlSF_S6_NS0_8equal_toImEEEE10hipError_tPvRmT2_T3_mT4_T5_T6_T7_T8_P12ihipStream_tbENKUlT_T0_E_clISt17integral_constantIbLb0EESY_IbLb1EEEEDaSU_SV_EUlSU_E_NS1_11comp_targetILNS1_3genE10ELNS1_11target_archE1200ELNS1_3gpuE4ELNS1_3repE0EEENS1_30default_config_static_selectorELNS0_4arch9wavefront6targetE0EEEvT1_
	.p2align	8
	.type	_ZN7rocprim17ROCPRIM_400000_NS6detail17trampoline_kernelINS0_14default_configENS1_33run_length_encode_config_selectorImjNS0_4plusIjEEEEZZNS1_33reduce_by_key_impl_wrapped_configILNS1_25lookback_scan_determinismE0ES3_S7_PKmNS0_17constant_iteratorIjlEEPmPlSF_S6_NS0_8equal_toImEEEE10hipError_tPvRmT2_T3_mT4_T5_T6_T7_T8_P12ihipStream_tbENKUlT_T0_E_clISt17integral_constantIbLb0EESY_IbLb1EEEEDaSU_SV_EUlSU_E_NS1_11comp_targetILNS1_3genE10ELNS1_11target_archE1200ELNS1_3gpuE4ELNS1_3repE0EEENS1_30default_config_static_selectorELNS0_4arch9wavefront6targetE0EEEvT1_,@function
_ZN7rocprim17ROCPRIM_400000_NS6detail17trampoline_kernelINS0_14default_configENS1_33run_length_encode_config_selectorImjNS0_4plusIjEEEEZZNS1_33reduce_by_key_impl_wrapped_configILNS1_25lookback_scan_determinismE0ES3_S7_PKmNS0_17constant_iteratorIjlEEPmPlSF_S6_NS0_8equal_toImEEEE10hipError_tPvRmT2_T3_mT4_T5_T6_T7_T8_P12ihipStream_tbENKUlT_T0_E_clISt17integral_constantIbLb0EESY_IbLb1EEEEDaSU_SV_EUlSU_E_NS1_11comp_targetILNS1_3genE10ELNS1_11target_archE1200ELNS1_3gpuE4ELNS1_3repE0EEENS1_30default_config_static_selectorELNS0_4arch9wavefront6targetE0EEEvT1_: ; @_ZN7rocprim17ROCPRIM_400000_NS6detail17trampoline_kernelINS0_14default_configENS1_33run_length_encode_config_selectorImjNS0_4plusIjEEEEZZNS1_33reduce_by_key_impl_wrapped_configILNS1_25lookback_scan_determinismE0ES3_S7_PKmNS0_17constant_iteratorIjlEEPmPlSF_S6_NS0_8equal_toImEEEE10hipError_tPvRmT2_T3_mT4_T5_T6_T7_T8_P12ihipStream_tbENKUlT_T0_E_clISt17integral_constantIbLb0EESY_IbLb1EEEEDaSU_SV_EUlSU_E_NS1_11comp_targetILNS1_3genE10ELNS1_11target_archE1200ELNS1_3gpuE4ELNS1_3repE0EEENS1_30default_config_static_selectorELNS0_4arch9wavefront6targetE0EEEvT1_
; %bb.0:
	.section	.rodata,"a",@progbits
	.p2align	6, 0x0
	.amdhsa_kernel _ZN7rocprim17ROCPRIM_400000_NS6detail17trampoline_kernelINS0_14default_configENS1_33run_length_encode_config_selectorImjNS0_4plusIjEEEEZZNS1_33reduce_by_key_impl_wrapped_configILNS1_25lookback_scan_determinismE0ES3_S7_PKmNS0_17constant_iteratorIjlEEPmPlSF_S6_NS0_8equal_toImEEEE10hipError_tPvRmT2_T3_mT4_T5_T6_T7_T8_P12ihipStream_tbENKUlT_T0_E_clISt17integral_constantIbLb0EESY_IbLb1EEEEDaSU_SV_EUlSU_E_NS1_11comp_targetILNS1_3genE10ELNS1_11target_archE1200ELNS1_3gpuE4ELNS1_3repE0EEENS1_30default_config_static_selectorELNS0_4arch9wavefront6targetE0EEEvT1_
		.amdhsa_group_segment_fixed_size 0
		.amdhsa_private_segment_fixed_size 0
		.amdhsa_kernarg_size 128
		.amdhsa_user_sgpr_count 2
		.amdhsa_user_sgpr_dispatch_ptr 0
		.amdhsa_user_sgpr_queue_ptr 0
		.amdhsa_user_sgpr_kernarg_segment_ptr 1
		.amdhsa_user_sgpr_dispatch_id 0
		.amdhsa_user_sgpr_kernarg_preload_length 0
		.amdhsa_user_sgpr_kernarg_preload_offset 0
		.amdhsa_user_sgpr_private_segment_size 0
		.amdhsa_wavefront_size32 1
		.amdhsa_uses_dynamic_stack 0
		.amdhsa_enable_private_segment 0
		.amdhsa_system_sgpr_workgroup_id_x 1
		.amdhsa_system_sgpr_workgroup_id_y 0
		.amdhsa_system_sgpr_workgroup_id_z 0
		.amdhsa_system_sgpr_workgroup_info 0
		.amdhsa_system_vgpr_workitem_id 0
		.amdhsa_next_free_vgpr 1
		.amdhsa_next_free_sgpr 1
		.amdhsa_named_barrier_count 0
		.amdhsa_reserve_vcc 0
		.amdhsa_float_round_mode_32 0
		.amdhsa_float_round_mode_16_64 0
		.amdhsa_float_denorm_mode_32 3
		.amdhsa_float_denorm_mode_16_64 3
		.amdhsa_fp16_overflow 0
		.amdhsa_memory_ordered 1
		.amdhsa_forward_progress 1
		.amdhsa_inst_pref_size 0
		.amdhsa_round_robin_scheduling 0
		.amdhsa_exception_fp_ieee_invalid_op 0
		.amdhsa_exception_fp_denorm_src 0
		.amdhsa_exception_fp_ieee_div_zero 0
		.amdhsa_exception_fp_ieee_overflow 0
		.amdhsa_exception_fp_ieee_underflow 0
		.amdhsa_exception_fp_ieee_inexact 0
		.amdhsa_exception_int_div_zero 0
	.end_amdhsa_kernel
	.section	.text._ZN7rocprim17ROCPRIM_400000_NS6detail17trampoline_kernelINS0_14default_configENS1_33run_length_encode_config_selectorImjNS0_4plusIjEEEEZZNS1_33reduce_by_key_impl_wrapped_configILNS1_25lookback_scan_determinismE0ES3_S7_PKmNS0_17constant_iteratorIjlEEPmPlSF_S6_NS0_8equal_toImEEEE10hipError_tPvRmT2_T3_mT4_T5_T6_T7_T8_P12ihipStream_tbENKUlT_T0_E_clISt17integral_constantIbLb0EESY_IbLb1EEEEDaSU_SV_EUlSU_E_NS1_11comp_targetILNS1_3genE10ELNS1_11target_archE1200ELNS1_3gpuE4ELNS1_3repE0EEENS1_30default_config_static_selectorELNS0_4arch9wavefront6targetE0EEEvT1_,"axG",@progbits,_ZN7rocprim17ROCPRIM_400000_NS6detail17trampoline_kernelINS0_14default_configENS1_33run_length_encode_config_selectorImjNS0_4plusIjEEEEZZNS1_33reduce_by_key_impl_wrapped_configILNS1_25lookback_scan_determinismE0ES3_S7_PKmNS0_17constant_iteratorIjlEEPmPlSF_S6_NS0_8equal_toImEEEE10hipError_tPvRmT2_T3_mT4_T5_T6_T7_T8_P12ihipStream_tbENKUlT_T0_E_clISt17integral_constantIbLb0EESY_IbLb1EEEEDaSU_SV_EUlSU_E_NS1_11comp_targetILNS1_3genE10ELNS1_11target_archE1200ELNS1_3gpuE4ELNS1_3repE0EEENS1_30default_config_static_selectorELNS0_4arch9wavefront6targetE0EEEvT1_,comdat
.Lfunc_end751:
	.size	_ZN7rocprim17ROCPRIM_400000_NS6detail17trampoline_kernelINS0_14default_configENS1_33run_length_encode_config_selectorImjNS0_4plusIjEEEEZZNS1_33reduce_by_key_impl_wrapped_configILNS1_25lookback_scan_determinismE0ES3_S7_PKmNS0_17constant_iteratorIjlEEPmPlSF_S6_NS0_8equal_toImEEEE10hipError_tPvRmT2_T3_mT4_T5_T6_T7_T8_P12ihipStream_tbENKUlT_T0_E_clISt17integral_constantIbLb0EESY_IbLb1EEEEDaSU_SV_EUlSU_E_NS1_11comp_targetILNS1_3genE10ELNS1_11target_archE1200ELNS1_3gpuE4ELNS1_3repE0EEENS1_30default_config_static_selectorELNS0_4arch9wavefront6targetE0EEEvT1_, .Lfunc_end751-_ZN7rocprim17ROCPRIM_400000_NS6detail17trampoline_kernelINS0_14default_configENS1_33run_length_encode_config_selectorImjNS0_4plusIjEEEEZZNS1_33reduce_by_key_impl_wrapped_configILNS1_25lookback_scan_determinismE0ES3_S7_PKmNS0_17constant_iteratorIjlEEPmPlSF_S6_NS0_8equal_toImEEEE10hipError_tPvRmT2_T3_mT4_T5_T6_T7_T8_P12ihipStream_tbENKUlT_T0_E_clISt17integral_constantIbLb0EESY_IbLb1EEEEDaSU_SV_EUlSU_E_NS1_11comp_targetILNS1_3genE10ELNS1_11target_archE1200ELNS1_3gpuE4ELNS1_3repE0EEENS1_30default_config_static_selectorELNS0_4arch9wavefront6targetE0EEEvT1_
                                        ; -- End function
	.set _ZN7rocprim17ROCPRIM_400000_NS6detail17trampoline_kernelINS0_14default_configENS1_33run_length_encode_config_selectorImjNS0_4plusIjEEEEZZNS1_33reduce_by_key_impl_wrapped_configILNS1_25lookback_scan_determinismE0ES3_S7_PKmNS0_17constant_iteratorIjlEEPmPlSF_S6_NS0_8equal_toImEEEE10hipError_tPvRmT2_T3_mT4_T5_T6_T7_T8_P12ihipStream_tbENKUlT_T0_E_clISt17integral_constantIbLb0EESY_IbLb1EEEEDaSU_SV_EUlSU_E_NS1_11comp_targetILNS1_3genE10ELNS1_11target_archE1200ELNS1_3gpuE4ELNS1_3repE0EEENS1_30default_config_static_selectorELNS0_4arch9wavefront6targetE0EEEvT1_.num_vgpr, 0
	.set _ZN7rocprim17ROCPRIM_400000_NS6detail17trampoline_kernelINS0_14default_configENS1_33run_length_encode_config_selectorImjNS0_4plusIjEEEEZZNS1_33reduce_by_key_impl_wrapped_configILNS1_25lookback_scan_determinismE0ES3_S7_PKmNS0_17constant_iteratorIjlEEPmPlSF_S6_NS0_8equal_toImEEEE10hipError_tPvRmT2_T3_mT4_T5_T6_T7_T8_P12ihipStream_tbENKUlT_T0_E_clISt17integral_constantIbLb0EESY_IbLb1EEEEDaSU_SV_EUlSU_E_NS1_11comp_targetILNS1_3genE10ELNS1_11target_archE1200ELNS1_3gpuE4ELNS1_3repE0EEENS1_30default_config_static_selectorELNS0_4arch9wavefront6targetE0EEEvT1_.num_agpr, 0
	.set _ZN7rocprim17ROCPRIM_400000_NS6detail17trampoline_kernelINS0_14default_configENS1_33run_length_encode_config_selectorImjNS0_4plusIjEEEEZZNS1_33reduce_by_key_impl_wrapped_configILNS1_25lookback_scan_determinismE0ES3_S7_PKmNS0_17constant_iteratorIjlEEPmPlSF_S6_NS0_8equal_toImEEEE10hipError_tPvRmT2_T3_mT4_T5_T6_T7_T8_P12ihipStream_tbENKUlT_T0_E_clISt17integral_constantIbLb0EESY_IbLb1EEEEDaSU_SV_EUlSU_E_NS1_11comp_targetILNS1_3genE10ELNS1_11target_archE1200ELNS1_3gpuE4ELNS1_3repE0EEENS1_30default_config_static_selectorELNS0_4arch9wavefront6targetE0EEEvT1_.numbered_sgpr, 0
	.set _ZN7rocprim17ROCPRIM_400000_NS6detail17trampoline_kernelINS0_14default_configENS1_33run_length_encode_config_selectorImjNS0_4plusIjEEEEZZNS1_33reduce_by_key_impl_wrapped_configILNS1_25lookback_scan_determinismE0ES3_S7_PKmNS0_17constant_iteratorIjlEEPmPlSF_S6_NS0_8equal_toImEEEE10hipError_tPvRmT2_T3_mT4_T5_T6_T7_T8_P12ihipStream_tbENKUlT_T0_E_clISt17integral_constantIbLb0EESY_IbLb1EEEEDaSU_SV_EUlSU_E_NS1_11comp_targetILNS1_3genE10ELNS1_11target_archE1200ELNS1_3gpuE4ELNS1_3repE0EEENS1_30default_config_static_selectorELNS0_4arch9wavefront6targetE0EEEvT1_.num_named_barrier, 0
	.set _ZN7rocprim17ROCPRIM_400000_NS6detail17trampoline_kernelINS0_14default_configENS1_33run_length_encode_config_selectorImjNS0_4plusIjEEEEZZNS1_33reduce_by_key_impl_wrapped_configILNS1_25lookback_scan_determinismE0ES3_S7_PKmNS0_17constant_iteratorIjlEEPmPlSF_S6_NS0_8equal_toImEEEE10hipError_tPvRmT2_T3_mT4_T5_T6_T7_T8_P12ihipStream_tbENKUlT_T0_E_clISt17integral_constantIbLb0EESY_IbLb1EEEEDaSU_SV_EUlSU_E_NS1_11comp_targetILNS1_3genE10ELNS1_11target_archE1200ELNS1_3gpuE4ELNS1_3repE0EEENS1_30default_config_static_selectorELNS0_4arch9wavefront6targetE0EEEvT1_.private_seg_size, 0
	.set _ZN7rocprim17ROCPRIM_400000_NS6detail17trampoline_kernelINS0_14default_configENS1_33run_length_encode_config_selectorImjNS0_4plusIjEEEEZZNS1_33reduce_by_key_impl_wrapped_configILNS1_25lookback_scan_determinismE0ES3_S7_PKmNS0_17constant_iteratorIjlEEPmPlSF_S6_NS0_8equal_toImEEEE10hipError_tPvRmT2_T3_mT4_T5_T6_T7_T8_P12ihipStream_tbENKUlT_T0_E_clISt17integral_constantIbLb0EESY_IbLb1EEEEDaSU_SV_EUlSU_E_NS1_11comp_targetILNS1_3genE10ELNS1_11target_archE1200ELNS1_3gpuE4ELNS1_3repE0EEENS1_30default_config_static_selectorELNS0_4arch9wavefront6targetE0EEEvT1_.uses_vcc, 0
	.set _ZN7rocprim17ROCPRIM_400000_NS6detail17trampoline_kernelINS0_14default_configENS1_33run_length_encode_config_selectorImjNS0_4plusIjEEEEZZNS1_33reduce_by_key_impl_wrapped_configILNS1_25lookback_scan_determinismE0ES3_S7_PKmNS0_17constant_iteratorIjlEEPmPlSF_S6_NS0_8equal_toImEEEE10hipError_tPvRmT2_T3_mT4_T5_T6_T7_T8_P12ihipStream_tbENKUlT_T0_E_clISt17integral_constantIbLb0EESY_IbLb1EEEEDaSU_SV_EUlSU_E_NS1_11comp_targetILNS1_3genE10ELNS1_11target_archE1200ELNS1_3gpuE4ELNS1_3repE0EEENS1_30default_config_static_selectorELNS0_4arch9wavefront6targetE0EEEvT1_.uses_flat_scratch, 0
	.set _ZN7rocprim17ROCPRIM_400000_NS6detail17trampoline_kernelINS0_14default_configENS1_33run_length_encode_config_selectorImjNS0_4plusIjEEEEZZNS1_33reduce_by_key_impl_wrapped_configILNS1_25lookback_scan_determinismE0ES3_S7_PKmNS0_17constant_iteratorIjlEEPmPlSF_S6_NS0_8equal_toImEEEE10hipError_tPvRmT2_T3_mT4_T5_T6_T7_T8_P12ihipStream_tbENKUlT_T0_E_clISt17integral_constantIbLb0EESY_IbLb1EEEEDaSU_SV_EUlSU_E_NS1_11comp_targetILNS1_3genE10ELNS1_11target_archE1200ELNS1_3gpuE4ELNS1_3repE0EEENS1_30default_config_static_selectorELNS0_4arch9wavefront6targetE0EEEvT1_.has_dyn_sized_stack, 0
	.set _ZN7rocprim17ROCPRIM_400000_NS6detail17trampoline_kernelINS0_14default_configENS1_33run_length_encode_config_selectorImjNS0_4plusIjEEEEZZNS1_33reduce_by_key_impl_wrapped_configILNS1_25lookback_scan_determinismE0ES3_S7_PKmNS0_17constant_iteratorIjlEEPmPlSF_S6_NS0_8equal_toImEEEE10hipError_tPvRmT2_T3_mT4_T5_T6_T7_T8_P12ihipStream_tbENKUlT_T0_E_clISt17integral_constantIbLb0EESY_IbLb1EEEEDaSU_SV_EUlSU_E_NS1_11comp_targetILNS1_3genE10ELNS1_11target_archE1200ELNS1_3gpuE4ELNS1_3repE0EEENS1_30default_config_static_selectorELNS0_4arch9wavefront6targetE0EEEvT1_.has_recursion, 0
	.set _ZN7rocprim17ROCPRIM_400000_NS6detail17trampoline_kernelINS0_14default_configENS1_33run_length_encode_config_selectorImjNS0_4plusIjEEEEZZNS1_33reduce_by_key_impl_wrapped_configILNS1_25lookback_scan_determinismE0ES3_S7_PKmNS0_17constant_iteratorIjlEEPmPlSF_S6_NS0_8equal_toImEEEE10hipError_tPvRmT2_T3_mT4_T5_T6_T7_T8_P12ihipStream_tbENKUlT_T0_E_clISt17integral_constantIbLb0EESY_IbLb1EEEEDaSU_SV_EUlSU_E_NS1_11comp_targetILNS1_3genE10ELNS1_11target_archE1200ELNS1_3gpuE4ELNS1_3repE0EEENS1_30default_config_static_selectorELNS0_4arch9wavefront6targetE0EEEvT1_.has_indirect_call, 0
	.section	.AMDGPU.csdata,"",@progbits
; Kernel info:
; codeLenInByte = 0
; TotalNumSgprs: 0
; NumVgprs: 0
; ScratchSize: 0
; MemoryBound: 0
; FloatMode: 240
; IeeeMode: 1
; LDSByteSize: 0 bytes/workgroup (compile time only)
; SGPRBlocks: 0
; VGPRBlocks: 0
; NumSGPRsForWavesPerEU: 1
; NumVGPRsForWavesPerEU: 1
; NamedBarCnt: 0
; Occupancy: 16
; WaveLimiterHint : 0
; COMPUTE_PGM_RSRC2:SCRATCH_EN: 0
; COMPUTE_PGM_RSRC2:USER_SGPR: 2
; COMPUTE_PGM_RSRC2:TRAP_HANDLER: 0
; COMPUTE_PGM_RSRC2:TGID_X_EN: 1
; COMPUTE_PGM_RSRC2:TGID_Y_EN: 0
; COMPUTE_PGM_RSRC2:TGID_Z_EN: 0
; COMPUTE_PGM_RSRC2:TIDIG_COMP_CNT: 0
	.section	.text._ZN7rocprim17ROCPRIM_400000_NS6detail17trampoline_kernelINS0_14default_configENS1_33run_length_encode_config_selectorImjNS0_4plusIjEEEEZZNS1_33reduce_by_key_impl_wrapped_configILNS1_25lookback_scan_determinismE0ES3_S7_PKmNS0_17constant_iteratorIjlEEPmPlSF_S6_NS0_8equal_toImEEEE10hipError_tPvRmT2_T3_mT4_T5_T6_T7_T8_P12ihipStream_tbENKUlT_T0_E_clISt17integral_constantIbLb0EESY_IbLb1EEEEDaSU_SV_EUlSU_E_NS1_11comp_targetILNS1_3genE9ELNS1_11target_archE1100ELNS1_3gpuE3ELNS1_3repE0EEENS1_30default_config_static_selectorELNS0_4arch9wavefront6targetE0EEEvT1_,"axG",@progbits,_ZN7rocprim17ROCPRIM_400000_NS6detail17trampoline_kernelINS0_14default_configENS1_33run_length_encode_config_selectorImjNS0_4plusIjEEEEZZNS1_33reduce_by_key_impl_wrapped_configILNS1_25lookback_scan_determinismE0ES3_S7_PKmNS0_17constant_iteratorIjlEEPmPlSF_S6_NS0_8equal_toImEEEE10hipError_tPvRmT2_T3_mT4_T5_T6_T7_T8_P12ihipStream_tbENKUlT_T0_E_clISt17integral_constantIbLb0EESY_IbLb1EEEEDaSU_SV_EUlSU_E_NS1_11comp_targetILNS1_3genE9ELNS1_11target_archE1100ELNS1_3gpuE3ELNS1_3repE0EEENS1_30default_config_static_selectorELNS0_4arch9wavefront6targetE0EEEvT1_,comdat
	.protected	_ZN7rocprim17ROCPRIM_400000_NS6detail17trampoline_kernelINS0_14default_configENS1_33run_length_encode_config_selectorImjNS0_4plusIjEEEEZZNS1_33reduce_by_key_impl_wrapped_configILNS1_25lookback_scan_determinismE0ES3_S7_PKmNS0_17constant_iteratorIjlEEPmPlSF_S6_NS0_8equal_toImEEEE10hipError_tPvRmT2_T3_mT4_T5_T6_T7_T8_P12ihipStream_tbENKUlT_T0_E_clISt17integral_constantIbLb0EESY_IbLb1EEEEDaSU_SV_EUlSU_E_NS1_11comp_targetILNS1_3genE9ELNS1_11target_archE1100ELNS1_3gpuE3ELNS1_3repE0EEENS1_30default_config_static_selectorELNS0_4arch9wavefront6targetE0EEEvT1_ ; -- Begin function _ZN7rocprim17ROCPRIM_400000_NS6detail17trampoline_kernelINS0_14default_configENS1_33run_length_encode_config_selectorImjNS0_4plusIjEEEEZZNS1_33reduce_by_key_impl_wrapped_configILNS1_25lookback_scan_determinismE0ES3_S7_PKmNS0_17constant_iteratorIjlEEPmPlSF_S6_NS0_8equal_toImEEEE10hipError_tPvRmT2_T3_mT4_T5_T6_T7_T8_P12ihipStream_tbENKUlT_T0_E_clISt17integral_constantIbLb0EESY_IbLb1EEEEDaSU_SV_EUlSU_E_NS1_11comp_targetILNS1_3genE9ELNS1_11target_archE1100ELNS1_3gpuE3ELNS1_3repE0EEENS1_30default_config_static_selectorELNS0_4arch9wavefront6targetE0EEEvT1_
	.globl	_ZN7rocprim17ROCPRIM_400000_NS6detail17trampoline_kernelINS0_14default_configENS1_33run_length_encode_config_selectorImjNS0_4plusIjEEEEZZNS1_33reduce_by_key_impl_wrapped_configILNS1_25lookback_scan_determinismE0ES3_S7_PKmNS0_17constant_iteratorIjlEEPmPlSF_S6_NS0_8equal_toImEEEE10hipError_tPvRmT2_T3_mT4_T5_T6_T7_T8_P12ihipStream_tbENKUlT_T0_E_clISt17integral_constantIbLb0EESY_IbLb1EEEEDaSU_SV_EUlSU_E_NS1_11comp_targetILNS1_3genE9ELNS1_11target_archE1100ELNS1_3gpuE3ELNS1_3repE0EEENS1_30default_config_static_selectorELNS0_4arch9wavefront6targetE0EEEvT1_
	.p2align	8
	.type	_ZN7rocprim17ROCPRIM_400000_NS6detail17trampoline_kernelINS0_14default_configENS1_33run_length_encode_config_selectorImjNS0_4plusIjEEEEZZNS1_33reduce_by_key_impl_wrapped_configILNS1_25lookback_scan_determinismE0ES3_S7_PKmNS0_17constant_iteratorIjlEEPmPlSF_S6_NS0_8equal_toImEEEE10hipError_tPvRmT2_T3_mT4_T5_T6_T7_T8_P12ihipStream_tbENKUlT_T0_E_clISt17integral_constantIbLb0EESY_IbLb1EEEEDaSU_SV_EUlSU_E_NS1_11comp_targetILNS1_3genE9ELNS1_11target_archE1100ELNS1_3gpuE3ELNS1_3repE0EEENS1_30default_config_static_selectorELNS0_4arch9wavefront6targetE0EEEvT1_,@function
_ZN7rocprim17ROCPRIM_400000_NS6detail17trampoline_kernelINS0_14default_configENS1_33run_length_encode_config_selectorImjNS0_4plusIjEEEEZZNS1_33reduce_by_key_impl_wrapped_configILNS1_25lookback_scan_determinismE0ES3_S7_PKmNS0_17constant_iteratorIjlEEPmPlSF_S6_NS0_8equal_toImEEEE10hipError_tPvRmT2_T3_mT4_T5_T6_T7_T8_P12ihipStream_tbENKUlT_T0_E_clISt17integral_constantIbLb0EESY_IbLb1EEEEDaSU_SV_EUlSU_E_NS1_11comp_targetILNS1_3genE9ELNS1_11target_archE1100ELNS1_3gpuE3ELNS1_3repE0EEENS1_30default_config_static_selectorELNS0_4arch9wavefront6targetE0EEEvT1_: ; @_ZN7rocprim17ROCPRIM_400000_NS6detail17trampoline_kernelINS0_14default_configENS1_33run_length_encode_config_selectorImjNS0_4plusIjEEEEZZNS1_33reduce_by_key_impl_wrapped_configILNS1_25lookback_scan_determinismE0ES3_S7_PKmNS0_17constant_iteratorIjlEEPmPlSF_S6_NS0_8equal_toImEEEE10hipError_tPvRmT2_T3_mT4_T5_T6_T7_T8_P12ihipStream_tbENKUlT_T0_E_clISt17integral_constantIbLb0EESY_IbLb1EEEEDaSU_SV_EUlSU_E_NS1_11comp_targetILNS1_3genE9ELNS1_11target_archE1100ELNS1_3gpuE3ELNS1_3repE0EEENS1_30default_config_static_selectorELNS0_4arch9wavefront6targetE0EEEvT1_
; %bb.0:
	.section	.rodata,"a",@progbits
	.p2align	6, 0x0
	.amdhsa_kernel _ZN7rocprim17ROCPRIM_400000_NS6detail17trampoline_kernelINS0_14default_configENS1_33run_length_encode_config_selectorImjNS0_4plusIjEEEEZZNS1_33reduce_by_key_impl_wrapped_configILNS1_25lookback_scan_determinismE0ES3_S7_PKmNS0_17constant_iteratorIjlEEPmPlSF_S6_NS0_8equal_toImEEEE10hipError_tPvRmT2_T3_mT4_T5_T6_T7_T8_P12ihipStream_tbENKUlT_T0_E_clISt17integral_constantIbLb0EESY_IbLb1EEEEDaSU_SV_EUlSU_E_NS1_11comp_targetILNS1_3genE9ELNS1_11target_archE1100ELNS1_3gpuE3ELNS1_3repE0EEENS1_30default_config_static_selectorELNS0_4arch9wavefront6targetE0EEEvT1_
		.amdhsa_group_segment_fixed_size 0
		.amdhsa_private_segment_fixed_size 0
		.amdhsa_kernarg_size 128
		.amdhsa_user_sgpr_count 2
		.amdhsa_user_sgpr_dispatch_ptr 0
		.amdhsa_user_sgpr_queue_ptr 0
		.amdhsa_user_sgpr_kernarg_segment_ptr 1
		.amdhsa_user_sgpr_dispatch_id 0
		.amdhsa_user_sgpr_kernarg_preload_length 0
		.amdhsa_user_sgpr_kernarg_preload_offset 0
		.amdhsa_user_sgpr_private_segment_size 0
		.amdhsa_wavefront_size32 1
		.amdhsa_uses_dynamic_stack 0
		.amdhsa_enable_private_segment 0
		.amdhsa_system_sgpr_workgroup_id_x 1
		.amdhsa_system_sgpr_workgroup_id_y 0
		.amdhsa_system_sgpr_workgroup_id_z 0
		.amdhsa_system_sgpr_workgroup_info 0
		.amdhsa_system_vgpr_workitem_id 0
		.amdhsa_next_free_vgpr 1
		.amdhsa_next_free_sgpr 1
		.amdhsa_named_barrier_count 0
		.amdhsa_reserve_vcc 0
		.amdhsa_float_round_mode_32 0
		.amdhsa_float_round_mode_16_64 0
		.amdhsa_float_denorm_mode_32 3
		.amdhsa_float_denorm_mode_16_64 3
		.amdhsa_fp16_overflow 0
		.amdhsa_memory_ordered 1
		.amdhsa_forward_progress 1
		.amdhsa_inst_pref_size 0
		.amdhsa_round_robin_scheduling 0
		.amdhsa_exception_fp_ieee_invalid_op 0
		.amdhsa_exception_fp_denorm_src 0
		.amdhsa_exception_fp_ieee_div_zero 0
		.amdhsa_exception_fp_ieee_overflow 0
		.amdhsa_exception_fp_ieee_underflow 0
		.amdhsa_exception_fp_ieee_inexact 0
		.amdhsa_exception_int_div_zero 0
	.end_amdhsa_kernel
	.section	.text._ZN7rocprim17ROCPRIM_400000_NS6detail17trampoline_kernelINS0_14default_configENS1_33run_length_encode_config_selectorImjNS0_4plusIjEEEEZZNS1_33reduce_by_key_impl_wrapped_configILNS1_25lookback_scan_determinismE0ES3_S7_PKmNS0_17constant_iteratorIjlEEPmPlSF_S6_NS0_8equal_toImEEEE10hipError_tPvRmT2_T3_mT4_T5_T6_T7_T8_P12ihipStream_tbENKUlT_T0_E_clISt17integral_constantIbLb0EESY_IbLb1EEEEDaSU_SV_EUlSU_E_NS1_11comp_targetILNS1_3genE9ELNS1_11target_archE1100ELNS1_3gpuE3ELNS1_3repE0EEENS1_30default_config_static_selectorELNS0_4arch9wavefront6targetE0EEEvT1_,"axG",@progbits,_ZN7rocprim17ROCPRIM_400000_NS6detail17trampoline_kernelINS0_14default_configENS1_33run_length_encode_config_selectorImjNS0_4plusIjEEEEZZNS1_33reduce_by_key_impl_wrapped_configILNS1_25lookback_scan_determinismE0ES3_S7_PKmNS0_17constant_iteratorIjlEEPmPlSF_S6_NS0_8equal_toImEEEE10hipError_tPvRmT2_T3_mT4_T5_T6_T7_T8_P12ihipStream_tbENKUlT_T0_E_clISt17integral_constantIbLb0EESY_IbLb1EEEEDaSU_SV_EUlSU_E_NS1_11comp_targetILNS1_3genE9ELNS1_11target_archE1100ELNS1_3gpuE3ELNS1_3repE0EEENS1_30default_config_static_selectorELNS0_4arch9wavefront6targetE0EEEvT1_,comdat
.Lfunc_end752:
	.size	_ZN7rocprim17ROCPRIM_400000_NS6detail17trampoline_kernelINS0_14default_configENS1_33run_length_encode_config_selectorImjNS0_4plusIjEEEEZZNS1_33reduce_by_key_impl_wrapped_configILNS1_25lookback_scan_determinismE0ES3_S7_PKmNS0_17constant_iteratorIjlEEPmPlSF_S6_NS0_8equal_toImEEEE10hipError_tPvRmT2_T3_mT4_T5_T6_T7_T8_P12ihipStream_tbENKUlT_T0_E_clISt17integral_constantIbLb0EESY_IbLb1EEEEDaSU_SV_EUlSU_E_NS1_11comp_targetILNS1_3genE9ELNS1_11target_archE1100ELNS1_3gpuE3ELNS1_3repE0EEENS1_30default_config_static_selectorELNS0_4arch9wavefront6targetE0EEEvT1_, .Lfunc_end752-_ZN7rocprim17ROCPRIM_400000_NS6detail17trampoline_kernelINS0_14default_configENS1_33run_length_encode_config_selectorImjNS0_4plusIjEEEEZZNS1_33reduce_by_key_impl_wrapped_configILNS1_25lookback_scan_determinismE0ES3_S7_PKmNS0_17constant_iteratorIjlEEPmPlSF_S6_NS0_8equal_toImEEEE10hipError_tPvRmT2_T3_mT4_T5_T6_T7_T8_P12ihipStream_tbENKUlT_T0_E_clISt17integral_constantIbLb0EESY_IbLb1EEEEDaSU_SV_EUlSU_E_NS1_11comp_targetILNS1_3genE9ELNS1_11target_archE1100ELNS1_3gpuE3ELNS1_3repE0EEENS1_30default_config_static_selectorELNS0_4arch9wavefront6targetE0EEEvT1_
                                        ; -- End function
	.set _ZN7rocprim17ROCPRIM_400000_NS6detail17trampoline_kernelINS0_14default_configENS1_33run_length_encode_config_selectorImjNS0_4plusIjEEEEZZNS1_33reduce_by_key_impl_wrapped_configILNS1_25lookback_scan_determinismE0ES3_S7_PKmNS0_17constant_iteratorIjlEEPmPlSF_S6_NS0_8equal_toImEEEE10hipError_tPvRmT2_T3_mT4_T5_T6_T7_T8_P12ihipStream_tbENKUlT_T0_E_clISt17integral_constantIbLb0EESY_IbLb1EEEEDaSU_SV_EUlSU_E_NS1_11comp_targetILNS1_3genE9ELNS1_11target_archE1100ELNS1_3gpuE3ELNS1_3repE0EEENS1_30default_config_static_selectorELNS0_4arch9wavefront6targetE0EEEvT1_.num_vgpr, 0
	.set _ZN7rocprim17ROCPRIM_400000_NS6detail17trampoline_kernelINS0_14default_configENS1_33run_length_encode_config_selectorImjNS0_4plusIjEEEEZZNS1_33reduce_by_key_impl_wrapped_configILNS1_25lookback_scan_determinismE0ES3_S7_PKmNS0_17constant_iteratorIjlEEPmPlSF_S6_NS0_8equal_toImEEEE10hipError_tPvRmT2_T3_mT4_T5_T6_T7_T8_P12ihipStream_tbENKUlT_T0_E_clISt17integral_constantIbLb0EESY_IbLb1EEEEDaSU_SV_EUlSU_E_NS1_11comp_targetILNS1_3genE9ELNS1_11target_archE1100ELNS1_3gpuE3ELNS1_3repE0EEENS1_30default_config_static_selectorELNS0_4arch9wavefront6targetE0EEEvT1_.num_agpr, 0
	.set _ZN7rocprim17ROCPRIM_400000_NS6detail17trampoline_kernelINS0_14default_configENS1_33run_length_encode_config_selectorImjNS0_4plusIjEEEEZZNS1_33reduce_by_key_impl_wrapped_configILNS1_25lookback_scan_determinismE0ES3_S7_PKmNS0_17constant_iteratorIjlEEPmPlSF_S6_NS0_8equal_toImEEEE10hipError_tPvRmT2_T3_mT4_T5_T6_T7_T8_P12ihipStream_tbENKUlT_T0_E_clISt17integral_constantIbLb0EESY_IbLb1EEEEDaSU_SV_EUlSU_E_NS1_11comp_targetILNS1_3genE9ELNS1_11target_archE1100ELNS1_3gpuE3ELNS1_3repE0EEENS1_30default_config_static_selectorELNS0_4arch9wavefront6targetE0EEEvT1_.numbered_sgpr, 0
	.set _ZN7rocprim17ROCPRIM_400000_NS6detail17trampoline_kernelINS0_14default_configENS1_33run_length_encode_config_selectorImjNS0_4plusIjEEEEZZNS1_33reduce_by_key_impl_wrapped_configILNS1_25lookback_scan_determinismE0ES3_S7_PKmNS0_17constant_iteratorIjlEEPmPlSF_S6_NS0_8equal_toImEEEE10hipError_tPvRmT2_T3_mT4_T5_T6_T7_T8_P12ihipStream_tbENKUlT_T0_E_clISt17integral_constantIbLb0EESY_IbLb1EEEEDaSU_SV_EUlSU_E_NS1_11comp_targetILNS1_3genE9ELNS1_11target_archE1100ELNS1_3gpuE3ELNS1_3repE0EEENS1_30default_config_static_selectorELNS0_4arch9wavefront6targetE0EEEvT1_.num_named_barrier, 0
	.set _ZN7rocprim17ROCPRIM_400000_NS6detail17trampoline_kernelINS0_14default_configENS1_33run_length_encode_config_selectorImjNS0_4plusIjEEEEZZNS1_33reduce_by_key_impl_wrapped_configILNS1_25lookback_scan_determinismE0ES3_S7_PKmNS0_17constant_iteratorIjlEEPmPlSF_S6_NS0_8equal_toImEEEE10hipError_tPvRmT2_T3_mT4_T5_T6_T7_T8_P12ihipStream_tbENKUlT_T0_E_clISt17integral_constantIbLb0EESY_IbLb1EEEEDaSU_SV_EUlSU_E_NS1_11comp_targetILNS1_3genE9ELNS1_11target_archE1100ELNS1_3gpuE3ELNS1_3repE0EEENS1_30default_config_static_selectorELNS0_4arch9wavefront6targetE0EEEvT1_.private_seg_size, 0
	.set _ZN7rocprim17ROCPRIM_400000_NS6detail17trampoline_kernelINS0_14default_configENS1_33run_length_encode_config_selectorImjNS0_4plusIjEEEEZZNS1_33reduce_by_key_impl_wrapped_configILNS1_25lookback_scan_determinismE0ES3_S7_PKmNS0_17constant_iteratorIjlEEPmPlSF_S6_NS0_8equal_toImEEEE10hipError_tPvRmT2_T3_mT4_T5_T6_T7_T8_P12ihipStream_tbENKUlT_T0_E_clISt17integral_constantIbLb0EESY_IbLb1EEEEDaSU_SV_EUlSU_E_NS1_11comp_targetILNS1_3genE9ELNS1_11target_archE1100ELNS1_3gpuE3ELNS1_3repE0EEENS1_30default_config_static_selectorELNS0_4arch9wavefront6targetE0EEEvT1_.uses_vcc, 0
	.set _ZN7rocprim17ROCPRIM_400000_NS6detail17trampoline_kernelINS0_14default_configENS1_33run_length_encode_config_selectorImjNS0_4plusIjEEEEZZNS1_33reduce_by_key_impl_wrapped_configILNS1_25lookback_scan_determinismE0ES3_S7_PKmNS0_17constant_iteratorIjlEEPmPlSF_S6_NS0_8equal_toImEEEE10hipError_tPvRmT2_T3_mT4_T5_T6_T7_T8_P12ihipStream_tbENKUlT_T0_E_clISt17integral_constantIbLb0EESY_IbLb1EEEEDaSU_SV_EUlSU_E_NS1_11comp_targetILNS1_3genE9ELNS1_11target_archE1100ELNS1_3gpuE3ELNS1_3repE0EEENS1_30default_config_static_selectorELNS0_4arch9wavefront6targetE0EEEvT1_.uses_flat_scratch, 0
	.set _ZN7rocprim17ROCPRIM_400000_NS6detail17trampoline_kernelINS0_14default_configENS1_33run_length_encode_config_selectorImjNS0_4plusIjEEEEZZNS1_33reduce_by_key_impl_wrapped_configILNS1_25lookback_scan_determinismE0ES3_S7_PKmNS0_17constant_iteratorIjlEEPmPlSF_S6_NS0_8equal_toImEEEE10hipError_tPvRmT2_T3_mT4_T5_T6_T7_T8_P12ihipStream_tbENKUlT_T0_E_clISt17integral_constantIbLb0EESY_IbLb1EEEEDaSU_SV_EUlSU_E_NS1_11comp_targetILNS1_3genE9ELNS1_11target_archE1100ELNS1_3gpuE3ELNS1_3repE0EEENS1_30default_config_static_selectorELNS0_4arch9wavefront6targetE0EEEvT1_.has_dyn_sized_stack, 0
	.set _ZN7rocprim17ROCPRIM_400000_NS6detail17trampoline_kernelINS0_14default_configENS1_33run_length_encode_config_selectorImjNS0_4plusIjEEEEZZNS1_33reduce_by_key_impl_wrapped_configILNS1_25lookback_scan_determinismE0ES3_S7_PKmNS0_17constant_iteratorIjlEEPmPlSF_S6_NS0_8equal_toImEEEE10hipError_tPvRmT2_T3_mT4_T5_T6_T7_T8_P12ihipStream_tbENKUlT_T0_E_clISt17integral_constantIbLb0EESY_IbLb1EEEEDaSU_SV_EUlSU_E_NS1_11comp_targetILNS1_3genE9ELNS1_11target_archE1100ELNS1_3gpuE3ELNS1_3repE0EEENS1_30default_config_static_selectorELNS0_4arch9wavefront6targetE0EEEvT1_.has_recursion, 0
	.set _ZN7rocprim17ROCPRIM_400000_NS6detail17trampoline_kernelINS0_14default_configENS1_33run_length_encode_config_selectorImjNS0_4plusIjEEEEZZNS1_33reduce_by_key_impl_wrapped_configILNS1_25lookback_scan_determinismE0ES3_S7_PKmNS0_17constant_iteratorIjlEEPmPlSF_S6_NS0_8equal_toImEEEE10hipError_tPvRmT2_T3_mT4_T5_T6_T7_T8_P12ihipStream_tbENKUlT_T0_E_clISt17integral_constantIbLb0EESY_IbLb1EEEEDaSU_SV_EUlSU_E_NS1_11comp_targetILNS1_3genE9ELNS1_11target_archE1100ELNS1_3gpuE3ELNS1_3repE0EEENS1_30default_config_static_selectorELNS0_4arch9wavefront6targetE0EEEvT1_.has_indirect_call, 0
	.section	.AMDGPU.csdata,"",@progbits
; Kernel info:
; codeLenInByte = 0
; TotalNumSgprs: 0
; NumVgprs: 0
; ScratchSize: 0
; MemoryBound: 0
; FloatMode: 240
; IeeeMode: 1
; LDSByteSize: 0 bytes/workgroup (compile time only)
; SGPRBlocks: 0
; VGPRBlocks: 0
; NumSGPRsForWavesPerEU: 1
; NumVGPRsForWavesPerEU: 1
; NamedBarCnt: 0
; Occupancy: 16
; WaveLimiterHint : 0
; COMPUTE_PGM_RSRC2:SCRATCH_EN: 0
; COMPUTE_PGM_RSRC2:USER_SGPR: 2
; COMPUTE_PGM_RSRC2:TRAP_HANDLER: 0
; COMPUTE_PGM_RSRC2:TGID_X_EN: 1
; COMPUTE_PGM_RSRC2:TGID_Y_EN: 0
; COMPUTE_PGM_RSRC2:TGID_Z_EN: 0
; COMPUTE_PGM_RSRC2:TIDIG_COMP_CNT: 0
	.section	.text._ZN7rocprim17ROCPRIM_400000_NS6detail17trampoline_kernelINS0_14default_configENS1_33run_length_encode_config_selectorImjNS0_4plusIjEEEEZZNS1_33reduce_by_key_impl_wrapped_configILNS1_25lookback_scan_determinismE0ES3_S7_PKmNS0_17constant_iteratorIjlEEPmPlSF_S6_NS0_8equal_toImEEEE10hipError_tPvRmT2_T3_mT4_T5_T6_T7_T8_P12ihipStream_tbENKUlT_T0_E_clISt17integral_constantIbLb0EESY_IbLb1EEEEDaSU_SV_EUlSU_E_NS1_11comp_targetILNS1_3genE8ELNS1_11target_archE1030ELNS1_3gpuE2ELNS1_3repE0EEENS1_30default_config_static_selectorELNS0_4arch9wavefront6targetE0EEEvT1_,"axG",@progbits,_ZN7rocprim17ROCPRIM_400000_NS6detail17trampoline_kernelINS0_14default_configENS1_33run_length_encode_config_selectorImjNS0_4plusIjEEEEZZNS1_33reduce_by_key_impl_wrapped_configILNS1_25lookback_scan_determinismE0ES3_S7_PKmNS0_17constant_iteratorIjlEEPmPlSF_S6_NS0_8equal_toImEEEE10hipError_tPvRmT2_T3_mT4_T5_T6_T7_T8_P12ihipStream_tbENKUlT_T0_E_clISt17integral_constantIbLb0EESY_IbLb1EEEEDaSU_SV_EUlSU_E_NS1_11comp_targetILNS1_3genE8ELNS1_11target_archE1030ELNS1_3gpuE2ELNS1_3repE0EEENS1_30default_config_static_selectorELNS0_4arch9wavefront6targetE0EEEvT1_,comdat
	.protected	_ZN7rocprim17ROCPRIM_400000_NS6detail17trampoline_kernelINS0_14default_configENS1_33run_length_encode_config_selectorImjNS0_4plusIjEEEEZZNS1_33reduce_by_key_impl_wrapped_configILNS1_25lookback_scan_determinismE0ES3_S7_PKmNS0_17constant_iteratorIjlEEPmPlSF_S6_NS0_8equal_toImEEEE10hipError_tPvRmT2_T3_mT4_T5_T6_T7_T8_P12ihipStream_tbENKUlT_T0_E_clISt17integral_constantIbLb0EESY_IbLb1EEEEDaSU_SV_EUlSU_E_NS1_11comp_targetILNS1_3genE8ELNS1_11target_archE1030ELNS1_3gpuE2ELNS1_3repE0EEENS1_30default_config_static_selectorELNS0_4arch9wavefront6targetE0EEEvT1_ ; -- Begin function _ZN7rocprim17ROCPRIM_400000_NS6detail17trampoline_kernelINS0_14default_configENS1_33run_length_encode_config_selectorImjNS0_4plusIjEEEEZZNS1_33reduce_by_key_impl_wrapped_configILNS1_25lookback_scan_determinismE0ES3_S7_PKmNS0_17constant_iteratorIjlEEPmPlSF_S6_NS0_8equal_toImEEEE10hipError_tPvRmT2_T3_mT4_T5_T6_T7_T8_P12ihipStream_tbENKUlT_T0_E_clISt17integral_constantIbLb0EESY_IbLb1EEEEDaSU_SV_EUlSU_E_NS1_11comp_targetILNS1_3genE8ELNS1_11target_archE1030ELNS1_3gpuE2ELNS1_3repE0EEENS1_30default_config_static_selectorELNS0_4arch9wavefront6targetE0EEEvT1_
	.globl	_ZN7rocprim17ROCPRIM_400000_NS6detail17trampoline_kernelINS0_14default_configENS1_33run_length_encode_config_selectorImjNS0_4plusIjEEEEZZNS1_33reduce_by_key_impl_wrapped_configILNS1_25lookback_scan_determinismE0ES3_S7_PKmNS0_17constant_iteratorIjlEEPmPlSF_S6_NS0_8equal_toImEEEE10hipError_tPvRmT2_T3_mT4_T5_T6_T7_T8_P12ihipStream_tbENKUlT_T0_E_clISt17integral_constantIbLb0EESY_IbLb1EEEEDaSU_SV_EUlSU_E_NS1_11comp_targetILNS1_3genE8ELNS1_11target_archE1030ELNS1_3gpuE2ELNS1_3repE0EEENS1_30default_config_static_selectorELNS0_4arch9wavefront6targetE0EEEvT1_
	.p2align	8
	.type	_ZN7rocprim17ROCPRIM_400000_NS6detail17trampoline_kernelINS0_14default_configENS1_33run_length_encode_config_selectorImjNS0_4plusIjEEEEZZNS1_33reduce_by_key_impl_wrapped_configILNS1_25lookback_scan_determinismE0ES3_S7_PKmNS0_17constant_iteratorIjlEEPmPlSF_S6_NS0_8equal_toImEEEE10hipError_tPvRmT2_T3_mT4_T5_T6_T7_T8_P12ihipStream_tbENKUlT_T0_E_clISt17integral_constantIbLb0EESY_IbLb1EEEEDaSU_SV_EUlSU_E_NS1_11comp_targetILNS1_3genE8ELNS1_11target_archE1030ELNS1_3gpuE2ELNS1_3repE0EEENS1_30default_config_static_selectorELNS0_4arch9wavefront6targetE0EEEvT1_,@function
_ZN7rocprim17ROCPRIM_400000_NS6detail17trampoline_kernelINS0_14default_configENS1_33run_length_encode_config_selectorImjNS0_4plusIjEEEEZZNS1_33reduce_by_key_impl_wrapped_configILNS1_25lookback_scan_determinismE0ES3_S7_PKmNS0_17constant_iteratorIjlEEPmPlSF_S6_NS0_8equal_toImEEEE10hipError_tPvRmT2_T3_mT4_T5_T6_T7_T8_P12ihipStream_tbENKUlT_T0_E_clISt17integral_constantIbLb0EESY_IbLb1EEEEDaSU_SV_EUlSU_E_NS1_11comp_targetILNS1_3genE8ELNS1_11target_archE1030ELNS1_3gpuE2ELNS1_3repE0EEENS1_30default_config_static_selectorELNS0_4arch9wavefront6targetE0EEEvT1_: ; @_ZN7rocprim17ROCPRIM_400000_NS6detail17trampoline_kernelINS0_14default_configENS1_33run_length_encode_config_selectorImjNS0_4plusIjEEEEZZNS1_33reduce_by_key_impl_wrapped_configILNS1_25lookback_scan_determinismE0ES3_S7_PKmNS0_17constant_iteratorIjlEEPmPlSF_S6_NS0_8equal_toImEEEE10hipError_tPvRmT2_T3_mT4_T5_T6_T7_T8_P12ihipStream_tbENKUlT_T0_E_clISt17integral_constantIbLb0EESY_IbLb1EEEEDaSU_SV_EUlSU_E_NS1_11comp_targetILNS1_3genE8ELNS1_11target_archE1030ELNS1_3gpuE2ELNS1_3repE0EEENS1_30default_config_static_selectorELNS0_4arch9wavefront6targetE0EEEvT1_
; %bb.0:
	.section	.rodata,"a",@progbits
	.p2align	6, 0x0
	.amdhsa_kernel _ZN7rocprim17ROCPRIM_400000_NS6detail17trampoline_kernelINS0_14default_configENS1_33run_length_encode_config_selectorImjNS0_4plusIjEEEEZZNS1_33reduce_by_key_impl_wrapped_configILNS1_25lookback_scan_determinismE0ES3_S7_PKmNS0_17constant_iteratorIjlEEPmPlSF_S6_NS0_8equal_toImEEEE10hipError_tPvRmT2_T3_mT4_T5_T6_T7_T8_P12ihipStream_tbENKUlT_T0_E_clISt17integral_constantIbLb0EESY_IbLb1EEEEDaSU_SV_EUlSU_E_NS1_11comp_targetILNS1_3genE8ELNS1_11target_archE1030ELNS1_3gpuE2ELNS1_3repE0EEENS1_30default_config_static_selectorELNS0_4arch9wavefront6targetE0EEEvT1_
		.amdhsa_group_segment_fixed_size 0
		.amdhsa_private_segment_fixed_size 0
		.amdhsa_kernarg_size 128
		.amdhsa_user_sgpr_count 2
		.amdhsa_user_sgpr_dispatch_ptr 0
		.amdhsa_user_sgpr_queue_ptr 0
		.amdhsa_user_sgpr_kernarg_segment_ptr 1
		.amdhsa_user_sgpr_dispatch_id 0
		.amdhsa_user_sgpr_kernarg_preload_length 0
		.amdhsa_user_sgpr_kernarg_preload_offset 0
		.amdhsa_user_sgpr_private_segment_size 0
		.amdhsa_wavefront_size32 1
		.amdhsa_uses_dynamic_stack 0
		.amdhsa_enable_private_segment 0
		.amdhsa_system_sgpr_workgroup_id_x 1
		.amdhsa_system_sgpr_workgroup_id_y 0
		.amdhsa_system_sgpr_workgroup_id_z 0
		.amdhsa_system_sgpr_workgroup_info 0
		.amdhsa_system_vgpr_workitem_id 0
		.amdhsa_next_free_vgpr 1
		.amdhsa_next_free_sgpr 1
		.amdhsa_named_barrier_count 0
		.amdhsa_reserve_vcc 0
		.amdhsa_float_round_mode_32 0
		.amdhsa_float_round_mode_16_64 0
		.amdhsa_float_denorm_mode_32 3
		.amdhsa_float_denorm_mode_16_64 3
		.amdhsa_fp16_overflow 0
		.amdhsa_memory_ordered 1
		.amdhsa_forward_progress 1
		.amdhsa_inst_pref_size 0
		.amdhsa_round_robin_scheduling 0
		.amdhsa_exception_fp_ieee_invalid_op 0
		.amdhsa_exception_fp_denorm_src 0
		.amdhsa_exception_fp_ieee_div_zero 0
		.amdhsa_exception_fp_ieee_overflow 0
		.amdhsa_exception_fp_ieee_underflow 0
		.amdhsa_exception_fp_ieee_inexact 0
		.amdhsa_exception_int_div_zero 0
	.end_amdhsa_kernel
	.section	.text._ZN7rocprim17ROCPRIM_400000_NS6detail17trampoline_kernelINS0_14default_configENS1_33run_length_encode_config_selectorImjNS0_4plusIjEEEEZZNS1_33reduce_by_key_impl_wrapped_configILNS1_25lookback_scan_determinismE0ES3_S7_PKmNS0_17constant_iteratorIjlEEPmPlSF_S6_NS0_8equal_toImEEEE10hipError_tPvRmT2_T3_mT4_T5_T6_T7_T8_P12ihipStream_tbENKUlT_T0_E_clISt17integral_constantIbLb0EESY_IbLb1EEEEDaSU_SV_EUlSU_E_NS1_11comp_targetILNS1_3genE8ELNS1_11target_archE1030ELNS1_3gpuE2ELNS1_3repE0EEENS1_30default_config_static_selectorELNS0_4arch9wavefront6targetE0EEEvT1_,"axG",@progbits,_ZN7rocprim17ROCPRIM_400000_NS6detail17trampoline_kernelINS0_14default_configENS1_33run_length_encode_config_selectorImjNS0_4plusIjEEEEZZNS1_33reduce_by_key_impl_wrapped_configILNS1_25lookback_scan_determinismE0ES3_S7_PKmNS0_17constant_iteratorIjlEEPmPlSF_S6_NS0_8equal_toImEEEE10hipError_tPvRmT2_T3_mT4_T5_T6_T7_T8_P12ihipStream_tbENKUlT_T0_E_clISt17integral_constantIbLb0EESY_IbLb1EEEEDaSU_SV_EUlSU_E_NS1_11comp_targetILNS1_3genE8ELNS1_11target_archE1030ELNS1_3gpuE2ELNS1_3repE0EEENS1_30default_config_static_selectorELNS0_4arch9wavefront6targetE0EEEvT1_,comdat
.Lfunc_end753:
	.size	_ZN7rocprim17ROCPRIM_400000_NS6detail17trampoline_kernelINS0_14default_configENS1_33run_length_encode_config_selectorImjNS0_4plusIjEEEEZZNS1_33reduce_by_key_impl_wrapped_configILNS1_25lookback_scan_determinismE0ES3_S7_PKmNS0_17constant_iteratorIjlEEPmPlSF_S6_NS0_8equal_toImEEEE10hipError_tPvRmT2_T3_mT4_T5_T6_T7_T8_P12ihipStream_tbENKUlT_T0_E_clISt17integral_constantIbLb0EESY_IbLb1EEEEDaSU_SV_EUlSU_E_NS1_11comp_targetILNS1_3genE8ELNS1_11target_archE1030ELNS1_3gpuE2ELNS1_3repE0EEENS1_30default_config_static_selectorELNS0_4arch9wavefront6targetE0EEEvT1_, .Lfunc_end753-_ZN7rocprim17ROCPRIM_400000_NS6detail17trampoline_kernelINS0_14default_configENS1_33run_length_encode_config_selectorImjNS0_4plusIjEEEEZZNS1_33reduce_by_key_impl_wrapped_configILNS1_25lookback_scan_determinismE0ES3_S7_PKmNS0_17constant_iteratorIjlEEPmPlSF_S6_NS0_8equal_toImEEEE10hipError_tPvRmT2_T3_mT4_T5_T6_T7_T8_P12ihipStream_tbENKUlT_T0_E_clISt17integral_constantIbLb0EESY_IbLb1EEEEDaSU_SV_EUlSU_E_NS1_11comp_targetILNS1_3genE8ELNS1_11target_archE1030ELNS1_3gpuE2ELNS1_3repE0EEENS1_30default_config_static_selectorELNS0_4arch9wavefront6targetE0EEEvT1_
                                        ; -- End function
	.set _ZN7rocprim17ROCPRIM_400000_NS6detail17trampoline_kernelINS0_14default_configENS1_33run_length_encode_config_selectorImjNS0_4plusIjEEEEZZNS1_33reduce_by_key_impl_wrapped_configILNS1_25lookback_scan_determinismE0ES3_S7_PKmNS0_17constant_iteratorIjlEEPmPlSF_S6_NS0_8equal_toImEEEE10hipError_tPvRmT2_T3_mT4_T5_T6_T7_T8_P12ihipStream_tbENKUlT_T0_E_clISt17integral_constantIbLb0EESY_IbLb1EEEEDaSU_SV_EUlSU_E_NS1_11comp_targetILNS1_3genE8ELNS1_11target_archE1030ELNS1_3gpuE2ELNS1_3repE0EEENS1_30default_config_static_selectorELNS0_4arch9wavefront6targetE0EEEvT1_.num_vgpr, 0
	.set _ZN7rocprim17ROCPRIM_400000_NS6detail17trampoline_kernelINS0_14default_configENS1_33run_length_encode_config_selectorImjNS0_4plusIjEEEEZZNS1_33reduce_by_key_impl_wrapped_configILNS1_25lookback_scan_determinismE0ES3_S7_PKmNS0_17constant_iteratorIjlEEPmPlSF_S6_NS0_8equal_toImEEEE10hipError_tPvRmT2_T3_mT4_T5_T6_T7_T8_P12ihipStream_tbENKUlT_T0_E_clISt17integral_constantIbLb0EESY_IbLb1EEEEDaSU_SV_EUlSU_E_NS1_11comp_targetILNS1_3genE8ELNS1_11target_archE1030ELNS1_3gpuE2ELNS1_3repE0EEENS1_30default_config_static_selectorELNS0_4arch9wavefront6targetE0EEEvT1_.num_agpr, 0
	.set _ZN7rocprim17ROCPRIM_400000_NS6detail17trampoline_kernelINS0_14default_configENS1_33run_length_encode_config_selectorImjNS0_4plusIjEEEEZZNS1_33reduce_by_key_impl_wrapped_configILNS1_25lookback_scan_determinismE0ES3_S7_PKmNS0_17constant_iteratorIjlEEPmPlSF_S6_NS0_8equal_toImEEEE10hipError_tPvRmT2_T3_mT4_T5_T6_T7_T8_P12ihipStream_tbENKUlT_T0_E_clISt17integral_constantIbLb0EESY_IbLb1EEEEDaSU_SV_EUlSU_E_NS1_11comp_targetILNS1_3genE8ELNS1_11target_archE1030ELNS1_3gpuE2ELNS1_3repE0EEENS1_30default_config_static_selectorELNS0_4arch9wavefront6targetE0EEEvT1_.numbered_sgpr, 0
	.set _ZN7rocprim17ROCPRIM_400000_NS6detail17trampoline_kernelINS0_14default_configENS1_33run_length_encode_config_selectorImjNS0_4plusIjEEEEZZNS1_33reduce_by_key_impl_wrapped_configILNS1_25lookback_scan_determinismE0ES3_S7_PKmNS0_17constant_iteratorIjlEEPmPlSF_S6_NS0_8equal_toImEEEE10hipError_tPvRmT2_T3_mT4_T5_T6_T7_T8_P12ihipStream_tbENKUlT_T0_E_clISt17integral_constantIbLb0EESY_IbLb1EEEEDaSU_SV_EUlSU_E_NS1_11comp_targetILNS1_3genE8ELNS1_11target_archE1030ELNS1_3gpuE2ELNS1_3repE0EEENS1_30default_config_static_selectorELNS0_4arch9wavefront6targetE0EEEvT1_.num_named_barrier, 0
	.set _ZN7rocprim17ROCPRIM_400000_NS6detail17trampoline_kernelINS0_14default_configENS1_33run_length_encode_config_selectorImjNS0_4plusIjEEEEZZNS1_33reduce_by_key_impl_wrapped_configILNS1_25lookback_scan_determinismE0ES3_S7_PKmNS0_17constant_iteratorIjlEEPmPlSF_S6_NS0_8equal_toImEEEE10hipError_tPvRmT2_T3_mT4_T5_T6_T7_T8_P12ihipStream_tbENKUlT_T0_E_clISt17integral_constantIbLb0EESY_IbLb1EEEEDaSU_SV_EUlSU_E_NS1_11comp_targetILNS1_3genE8ELNS1_11target_archE1030ELNS1_3gpuE2ELNS1_3repE0EEENS1_30default_config_static_selectorELNS0_4arch9wavefront6targetE0EEEvT1_.private_seg_size, 0
	.set _ZN7rocprim17ROCPRIM_400000_NS6detail17trampoline_kernelINS0_14default_configENS1_33run_length_encode_config_selectorImjNS0_4plusIjEEEEZZNS1_33reduce_by_key_impl_wrapped_configILNS1_25lookback_scan_determinismE0ES3_S7_PKmNS0_17constant_iteratorIjlEEPmPlSF_S6_NS0_8equal_toImEEEE10hipError_tPvRmT2_T3_mT4_T5_T6_T7_T8_P12ihipStream_tbENKUlT_T0_E_clISt17integral_constantIbLb0EESY_IbLb1EEEEDaSU_SV_EUlSU_E_NS1_11comp_targetILNS1_3genE8ELNS1_11target_archE1030ELNS1_3gpuE2ELNS1_3repE0EEENS1_30default_config_static_selectorELNS0_4arch9wavefront6targetE0EEEvT1_.uses_vcc, 0
	.set _ZN7rocprim17ROCPRIM_400000_NS6detail17trampoline_kernelINS0_14default_configENS1_33run_length_encode_config_selectorImjNS0_4plusIjEEEEZZNS1_33reduce_by_key_impl_wrapped_configILNS1_25lookback_scan_determinismE0ES3_S7_PKmNS0_17constant_iteratorIjlEEPmPlSF_S6_NS0_8equal_toImEEEE10hipError_tPvRmT2_T3_mT4_T5_T6_T7_T8_P12ihipStream_tbENKUlT_T0_E_clISt17integral_constantIbLb0EESY_IbLb1EEEEDaSU_SV_EUlSU_E_NS1_11comp_targetILNS1_3genE8ELNS1_11target_archE1030ELNS1_3gpuE2ELNS1_3repE0EEENS1_30default_config_static_selectorELNS0_4arch9wavefront6targetE0EEEvT1_.uses_flat_scratch, 0
	.set _ZN7rocprim17ROCPRIM_400000_NS6detail17trampoline_kernelINS0_14default_configENS1_33run_length_encode_config_selectorImjNS0_4plusIjEEEEZZNS1_33reduce_by_key_impl_wrapped_configILNS1_25lookback_scan_determinismE0ES3_S7_PKmNS0_17constant_iteratorIjlEEPmPlSF_S6_NS0_8equal_toImEEEE10hipError_tPvRmT2_T3_mT4_T5_T6_T7_T8_P12ihipStream_tbENKUlT_T0_E_clISt17integral_constantIbLb0EESY_IbLb1EEEEDaSU_SV_EUlSU_E_NS1_11comp_targetILNS1_3genE8ELNS1_11target_archE1030ELNS1_3gpuE2ELNS1_3repE0EEENS1_30default_config_static_selectorELNS0_4arch9wavefront6targetE0EEEvT1_.has_dyn_sized_stack, 0
	.set _ZN7rocprim17ROCPRIM_400000_NS6detail17trampoline_kernelINS0_14default_configENS1_33run_length_encode_config_selectorImjNS0_4plusIjEEEEZZNS1_33reduce_by_key_impl_wrapped_configILNS1_25lookback_scan_determinismE0ES3_S7_PKmNS0_17constant_iteratorIjlEEPmPlSF_S6_NS0_8equal_toImEEEE10hipError_tPvRmT2_T3_mT4_T5_T6_T7_T8_P12ihipStream_tbENKUlT_T0_E_clISt17integral_constantIbLb0EESY_IbLb1EEEEDaSU_SV_EUlSU_E_NS1_11comp_targetILNS1_3genE8ELNS1_11target_archE1030ELNS1_3gpuE2ELNS1_3repE0EEENS1_30default_config_static_selectorELNS0_4arch9wavefront6targetE0EEEvT1_.has_recursion, 0
	.set _ZN7rocprim17ROCPRIM_400000_NS6detail17trampoline_kernelINS0_14default_configENS1_33run_length_encode_config_selectorImjNS0_4plusIjEEEEZZNS1_33reduce_by_key_impl_wrapped_configILNS1_25lookback_scan_determinismE0ES3_S7_PKmNS0_17constant_iteratorIjlEEPmPlSF_S6_NS0_8equal_toImEEEE10hipError_tPvRmT2_T3_mT4_T5_T6_T7_T8_P12ihipStream_tbENKUlT_T0_E_clISt17integral_constantIbLb0EESY_IbLb1EEEEDaSU_SV_EUlSU_E_NS1_11comp_targetILNS1_3genE8ELNS1_11target_archE1030ELNS1_3gpuE2ELNS1_3repE0EEENS1_30default_config_static_selectorELNS0_4arch9wavefront6targetE0EEEvT1_.has_indirect_call, 0
	.section	.AMDGPU.csdata,"",@progbits
; Kernel info:
; codeLenInByte = 0
; TotalNumSgprs: 0
; NumVgprs: 0
; ScratchSize: 0
; MemoryBound: 0
; FloatMode: 240
; IeeeMode: 1
; LDSByteSize: 0 bytes/workgroup (compile time only)
; SGPRBlocks: 0
; VGPRBlocks: 0
; NumSGPRsForWavesPerEU: 1
; NumVGPRsForWavesPerEU: 1
; NamedBarCnt: 0
; Occupancy: 16
; WaveLimiterHint : 0
; COMPUTE_PGM_RSRC2:SCRATCH_EN: 0
; COMPUTE_PGM_RSRC2:USER_SGPR: 2
; COMPUTE_PGM_RSRC2:TRAP_HANDLER: 0
; COMPUTE_PGM_RSRC2:TGID_X_EN: 1
; COMPUTE_PGM_RSRC2:TGID_Y_EN: 0
; COMPUTE_PGM_RSRC2:TGID_Z_EN: 0
; COMPUTE_PGM_RSRC2:TIDIG_COMP_CNT: 0
	.section	.text._ZN2at6native8internal12_GLOBAL__N_126adjacent_difference_kernelIPKtEEvlT_Pi,"axG",@progbits,_ZN2at6native8internal12_GLOBAL__N_126adjacent_difference_kernelIPKtEEvlT_Pi,comdat
	.globl	_ZN2at6native8internal12_GLOBAL__N_126adjacent_difference_kernelIPKtEEvlT_Pi ; -- Begin function _ZN2at6native8internal12_GLOBAL__N_126adjacent_difference_kernelIPKtEEvlT_Pi
	.p2align	8
	.type	_ZN2at6native8internal12_GLOBAL__N_126adjacent_difference_kernelIPKtEEvlT_Pi,@function
_ZN2at6native8internal12_GLOBAL__N_126adjacent_difference_kernelIPKtEEvlT_Pi: ; @_ZN2at6native8internal12_GLOBAL__N_126adjacent_difference_kernelIPKtEEvlT_Pi
; %bb.0:
	s_clause 0x1
	s_load_b32 s2, s[0:1], 0x24
	s_load_b128 s[4:7], s[0:1], 0x0
	s_bfe_u32 s9, ttmp6, 0x4000c
	s_and_b32 s8, ttmp6, 15
	s_add_co_i32 s9, s9, 1
	s_getreg_b32 s10, hwreg(HW_REG_IB_STS2, 6, 4)
	s_mul_i32 s9, ttmp9, s9
	s_mov_b32 s3, 0
	s_add_co_i32 s8, s8, s9
	s_cmp_eq_u32 s10, 0
	v_mov_b32_e32 v1, 0
	s_mov_b32 s15, s3
	s_cselect_b32 s14, ttmp9, s8
	s_mov_b32 s13, s3
	s_wait_kmcnt 0x0
	s_and_b32 s12, s2, 0xffff
	s_mov_b32 s2, exec_lo
	s_mul_u64 s[8:9], s[12:13], s[14:15]
	s_delay_alu instid0(SALU_CYCLE_1) | instskip(NEXT) | instid1(VALU_DEP_1)
	v_add_nc_u64_e32 v[4:5], s[8:9], v[0:1]
	v_cmpx_gt_i64_e64 s[4:5], v[4:5]
	s_cbranch_execz .LBB754_5
; %bb.1:
	s_add_nc_u64 s[16:17], s[0:1], 24
	v_dual_mov_b32 v2, v1 :: v_dual_mov_b32 v3, v4
	s_load_b32 s2, s[16:17], 0x0
	s_load_b64 s[10:11], s[0:1], 0x10
	s_mul_i32 s13, s14, s12
	s_wait_xcnt 0x0
	s_mov_b32 s0, s3
	s_wait_kmcnt 0x0
	s_mul_i32 s2, s2, s12
	s_mov_b32 s12, s3
	s_mov_b32 s1, s2
	s_branch .LBB754_3
.LBB754_2:                              ;   in Loop: Header=BB754_3 Depth=1
	s_wait_xcnt 0x0
	s_or_b32 exec_lo, exec_lo, s14
	v_add_nc_u64_e32 v[0:1], s[2:3], v[0:1]
	v_ashrrev_i64 v[8:9], 30, v[2:3]
	v_add_nc_u64_e32 v[2:3], s[0:1], v[2:3]
	s_delay_alu instid0(VALU_DEP_3) | instskip(NEXT) | instid1(VALU_DEP_1)
	v_add_nc_u64_e32 v[6:7], s[8:9], v[0:1]
	v_cmp_le_i64_e32 vcc_lo, s[4:5], v[6:7]
	s_delay_alu instid0(VALU_DEP_4)
	v_add_nc_u64_e32 v[6:7], s[10:11], v[8:9]
	s_or_b32 s12, vcc_lo, s12
	global_store_b32 v[6:7], v4, off
	s_wait_xcnt 0x0
	s_and_not1_b32 exec_lo, exec_lo, s12
	s_cbranch_execz .LBB754_5
.LBB754_3:                              ; =>This Inner Loop Header: Depth=1
	v_dual_mov_b32 v4, 0 :: v_dual_add_nc_u32 v5, s13, v0
	s_mov_b32 s14, exec_lo
	s_delay_alu instid0(VALU_DEP_1)
	v_cmpx_lt_i32_e32 0, v5
	s_cbranch_execz .LBB754_2
; %bb.4:                                ;   in Loop: Header=BB754_3 Depth=1
	v_add_nc_u32_e32 v4, s8, v0
	s_delay_alu instid0(VALU_DEP_1)
	v_add_nc_u32_e32 v5, -1, v4
	s_clause 0x1
	global_load_u16 v6, v4, s[6:7] scale_offset
	global_load_u16 v7, v5, s[6:7] scale_offset
	s_wait_loadcnt 0x0
	v_cmp_ne_u16_e32 vcc_lo, v6, v7
	s_wait_xcnt 0x1
	v_cndmask_b32_e64 v4, 0, 1, vcc_lo
	s_branch .LBB754_2
.LBB754_5:
	s_endpgm
	.section	.rodata,"a",@progbits
	.p2align	6, 0x0
	.amdhsa_kernel _ZN2at6native8internal12_GLOBAL__N_126adjacent_difference_kernelIPKtEEvlT_Pi
		.amdhsa_group_segment_fixed_size 0
		.amdhsa_private_segment_fixed_size 0
		.amdhsa_kernarg_size 280
		.amdhsa_user_sgpr_count 2
		.amdhsa_user_sgpr_dispatch_ptr 0
		.amdhsa_user_sgpr_queue_ptr 0
		.amdhsa_user_sgpr_kernarg_segment_ptr 1
		.amdhsa_user_sgpr_dispatch_id 0
		.amdhsa_user_sgpr_kernarg_preload_length 0
		.amdhsa_user_sgpr_kernarg_preload_offset 0
		.amdhsa_user_sgpr_private_segment_size 0
		.amdhsa_wavefront_size32 1
		.amdhsa_uses_dynamic_stack 0
		.amdhsa_enable_private_segment 0
		.amdhsa_system_sgpr_workgroup_id_x 1
		.amdhsa_system_sgpr_workgroup_id_y 0
		.amdhsa_system_sgpr_workgroup_id_z 0
		.amdhsa_system_sgpr_workgroup_info 0
		.amdhsa_system_vgpr_workitem_id 0
		.amdhsa_next_free_vgpr 10
		.amdhsa_next_free_sgpr 18
		.amdhsa_named_barrier_count 0
		.amdhsa_reserve_vcc 1
		.amdhsa_float_round_mode_32 0
		.amdhsa_float_round_mode_16_64 0
		.amdhsa_float_denorm_mode_32 3
		.amdhsa_float_denorm_mode_16_64 3
		.amdhsa_fp16_overflow 0
		.amdhsa_memory_ordered 1
		.amdhsa_forward_progress 1
		.amdhsa_inst_pref_size 3
		.amdhsa_round_robin_scheduling 0
		.amdhsa_exception_fp_ieee_invalid_op 0
		.amdhsa_exception_fp_denorm_src 0
		.amdhsa_exception_fp_ieee_div_zero 0
		.amdhsa_exception_fp_ieee_overflow 0
		.amdhsa_exception_fp_ieee_underflow 0
		.amdhsa_exception_fp_ieee_inexact 0
		.amdhsa_exception_int_div_zero 0
	.end_amdhsa_kernel
	.section	.text._ZN2at6native8internal12_GLOBAL__N_126adjacent_difference_kernelIPKtEEvlT_Pi,"axG",@progbits,_ZN2at6native8internal12_GLOBAL__N_126adjacent_difference_kernelIPKtEEvlT_Pi,comdat
.Lfunc_end754:
	.size	_ZN2at6native8internal12_GLOBAL__N_126adjacent_difference_kernelIPKtEEvlT_Pi, .Lfunc_end754-_ZN2at6native8internal12_GLOBAL__N_126adjacent_difference_kernelIPKtEEvlT_Pi
                                        ; -- End function
	.set _ZN2at6native8internal12_GLOBAL__N_126adjacent_difference_kernelIPKtEEvlT_Pi.num_vgpr, 10
	.set _ZN2at6native8internal12_GLOBAL__N_126adjacent_difference_kernelIPKtEEvlT_Pi.num_agpr, 0
	.set _ZN2at6native8internal12_GLOBAL__N_126adjacent_difference_kernelIPKtEEvlT_Pi.numbered_sgpr, 18
	.set _ZN2at6native8internal12_GLOBAL__N_126adjacent_difference_kernelIPKtEEvlT_Pi.num_named_barrier, 0
	.set _ZN2at6native8internal12_GLOBAL__N_126adjacent_difference_kernelIPKtEEvlT_Pi.private_seg_size, 0
	.set _ZN2at6native8internal12_GLOBAL__N_126adjacent_difference_kernelIPKtEEvlT_Pi.uses_vcc, 1
	.set _ZN2at6native8internal12_GLOBAL__N_126adjacent_difference_kernelIPKtEEvlT_Pi.uses_flat_scratch, 0
	.set _ZN2at6native8internal12_GLOBAL__N_126adjacent_difference_kernelIPKtEEvlT_Pi.has_dyn_sized_stack, 0
	.set _ZN2at6native8internal12_GLOBAL__N_126adjacent_difference_kernelIPKtEEvlT_Pi.has_recursion, 0
	.set _ZN2at6native8internal12_GLOBAL__N_126adjacent_difference_kernelIPKtEEvlT_Pi.has_indirect_call, 0
	.section	.AMDGPU.csdata,"",@progbits
; Kernel info:
; codeLenInByte = 336
; TotalNumSgprs: 20
; NumVgprs: 10
; ScratchSize: 0
; MemoryBound: 0
; FloatMode: 240
; IeeeMode: 1
; LDSByteSize: 0 bytes/workgroup (compile time only)
; SGPRBlocks: 0
; VGPRBlocks: 0
; NumSGPRsForWavesPerEU: 20
; NumVGPRsForWavesPerEU: 10
; NamedBarCnt: 0
; Occupancy: 16
; WaveLimiterHint : 0
; COMPUTE_PGM_RSRC2:SCRATCH_EN: 0
; COMPUTE_PGM_RSRC2:USER_SGPR: 2
; COMPUTE_PGM_RSRC2:TRAP_HANDLER: 0
; COMPUTE_PGM_RSRC2:TGID_X_EN: 1
; COMPUTE_PGM_RSRC2:TGID_Y_EN: 0
; COMPUTE_PGM_RSRC2:TGID_Z_EN: 0
; COMPUTE_PGM_RSRC2:TIDIG_COMP_CNT: 0
	.section	.text._ZN7rocprim17ROCPRIM_400000_NS6detail17trampoline_kernelINS0_14default_configENS1_25partition_config_selectorILNS1_17partition_subalgoE8EtNS0_10empty_typeEbEEZZNS1_14partition_implILS5_8ELb0ES3_jPKtPS6_PKS6_NS0_5tupleIJPtS6_EEENSE_IJSB_SB_EEENS0_18inequality_wrapperIN6hipcub16HIPCUB_304000_NS8EqualityEEEPlJS6_EEE10hipError_tPvRmT3_T4_T5_T6_T7_T9_mT8_P12ihipStream_tbDpT10_ENKUlT_T0_E_clISt17integral_constantIbLb0EES17_EEDaS12_S13_EUlS12_E_NS1_11comp_targetILNS1_3genE0ELNS1_11target_archE4294967295ELNS1_3gpuE0ELNS1_3repE0EEENS1_30default_config_static_selectorELNS0_4arch9wavefront6targetE0EEEvT1_,"axG",@progbits,_ZN7rocprim17ROCPRIM_400000_NS6detail17trampoline_kernelINS0_14default_configENS1_25partition_config_selectorILNS1_17partition_subalgoE8EtNS0_10empty_typeEbEEZZNS1_14partition_implILS5_8ELb0ES3_jPKtPS6_PKS6_NS0_5tupleIJPtS6_EEENSE_IJSB_SB_EEENS0_18inequality_wrapperIN6hipcub16HIPCUB_304000_NS8EqualityEEEPlJS6_EEE10hipError_tPvRmT3_T4_T5_T6_T7_T9_mT8_P12ihipStream_tbDpT10_ENKUlT_T0_E_clISt17integral_constantIbLb0EES17_EEDaS12_S13_EUlS12_E_NS1_11comp_targetILNS1_3genE0ELNS1_11target_archE4294967295ELNS1_3gpuE0ELNS1_3repE0EEENS1_30default_config_static_selectorELNS0_4arch9wavefront6targetE0EEEvT1_,comdat
	.protected	_ZN7rocprim17ROCPRIM_400000_NS6detail17trampoline_kernelINS0_14default_configENS1_25partition_config_selectorILNS1_17partition_subalgoE8EtNS0_10empty_typeEbEEZZNS1_14partition_implILS5_8ELb0ES3_jPKtPS6_PKS6_NS0_5tupleIJPtS6_EEENSE_IJSB_SB_EEENS0_18inequality_wrapperIN6hipcub16HIPCUB_304000_NS8EqualityEEEPlJS6_EEE10hipError_tPvRmT3_T4_T5_T6_T7_T9_mT8_P12ihipStream_tbDpT10_ENKUlT_T0_E_clISt17integral_constantIbLb0EES17_EEDaS12_S13_EUlS12_E_NS1_11comp_targetILNS1_3genE0ELNS1_11target_archE4294967295ELNS1_3gpuE0ELNS1_3repE0EEENS1_30default_config_static_selectorELNS0_4arch9wavefront6targetE0EEEvT1_ ; -- Begin function _ZN7rocprim17ROCPRIM_400000_NS6detail17trampoline_kernelINS0_14default_configENS1_25partition_config_selectorILNS1_17partition_subalgoE8EtNS0_10empty_typeEbEEZZNS1_14partition_implILS5_8ELb0ES3_jPKtPS6_PKS6_NS0_5tupleIJPtS6_EEENSE_IJSB_SB_EEENS0_18inequality_wrapperIN6hipcub16HIPCUB_304000_NS8EqualityEEEPlJS6_EEE10hipError_tPvRmT3_T4_T5_T6_T7_T9_mT8_P12ihipStream_tbDpT10_ENKUlT_T0_E_clISt17integral_constantIbLb0EES17_EEDaS12_S13_EUlS12_E_NS1_11comp_targetILNS1_3genE0ELNS1_11target_archE4294967295ELNS1_3gpuE0ELNS1_3repE0EEENS1_30default_config_static_selectorELNS0_4arch9wavefront6targetE0EEEvT1_
	.globl	_ZN7rocprim17ROCPRIM_400000_NS6detail17trampoline_kernelINS0_14default_configENS1_25partition_config_selectorILNS1_17partition_subalgoE8EtNS0_10empty_typeEbEEZZNS1_14partition_implILS5_8ELb0ES3_jPKtPS6_PKS6_NS0_5tupleIJPtS6_EEENSE_IJSB_SB_EEENS0_18inequality_wrapperIN6hipcub16HIPCUB_304000_NS8EqualityEEEPlJS6_EEE10hipError_tPvRmT3_T4_T5_T6_T7_T9_mT8_P12ihipStream_tbDpT10_ENKUlT_T0_E_clISt17integral_constantIbLb0EES17_EEDaS12_S13_EUlS12_E_NS1_11comp_targetILNS1_3genE0ELNS1_11target_archE4294967295ELNS1_3gpuE0ELNS1_3repE0EEENS1_30default_config_static_selectorELNS0_4arch9wavefront6targetE0EEEvT1_
	.p2align	8
	.type	_ZN7rocprim17ROCPRIM_400000_NS6detail17trampoline_kernelINS0_14default_configENS1_25partition_config_selectorILNS1_17partition_subalgoE8EtNS0_10empty_typeEbEEZZNS1_14partition_implILS5_8ELb0ES3_jPKtPS6_PKS6_NS0_5tupleIJPtS6_EEENSE_IJSB_SB_EEENS0_18inequality_wrapperIN6hipcub16HIPCUB_304000_NS8EqualityEEEPlJS6_EEE10hipError_tPvRmT3_T4_T5_T6_T7_T9_mT8_P12ihipStream_tbDpT10_ENKUlT_T0_E_clISt17integral_constantIbLb0EES17_EEDaS12_S13_EUlS12_E_NS1_11comp_targetILNS1_3genE0ELNS1_11target_archE4294967295ELNS1_3gpuE0ELNS1_3repE0EEENS1_30default_config_static_selectorELNS0_4arch9wavefront6targetE0EEEvT1_,@function
_ZN7rocprim17ROCPRIM_400000_NS6detail17trampoline_kernelINS0_14default_configENS1_25partition_config_selectorILNS1_17partition_subalgoE8EtNS0_10empty_typeEbEEZZNS1_14partition_implILS5_8ELb0ES3_jPKtPS6_PKS6_NS0_5tupleIJPtS6_EEENSE_IJSB_SB_EEENS0_18inequality_wrapperIN6hipcub16HIPCUB_304000_NS8EqualityEEEPlJS6_EEE10hipError_tPvRmT3_T4_T5_T6_T7_T9_mT8_P12ihipStream_tbDpT10_ENKUlT_T0_E_clISt17integral_constantIbLb0EES17_EEDaS12_S13_EUlS12_E_NS1_11comp_targetILNS1_3genE0ELNS1_11target_archE4294967295ELNS1_3gpuE0ELNS1_3repE0EEENS1_30default_config_static_selectorELNS0_4arch9wavefront6targetE0EEEvT1_: ; @_ZN7rocprim17ROCPRIM_400000_NS6detail17trampoline_kernelINS0_14default_configENS1_25partition_config_selectorILNS1_17partition_subalgoE8EtNS0_10empty_typeEbEEZZNS1_14partition_implILS5_8ELb0ES3_jPKtPS6_PKS6_NS0_5tupleIJPtS6_EEENSE_IJSB_SB_EEENS0_18inequality_wrapperIN6hipcub16HIPCUB_304000_NS8EqualityEEEPlJS6_EEE10hipError_tPvRmT3_T4_T5_T6_T7_T9_mT8_P12ihipStream_tbDpT10_ENKUlT_T0_E_clISt17integral_constantIbLb0EES17_EEDaS12_S13_EUlS12_E_NS1_11comp_targetILNS1_3genE0ELNS1_11target_archE4294967295ELNS1_3gpuE0ELNS1_3repE0EEENS1_30default_config_static_selectorELNS0_4arch9wavefront6targetE0EEEvT1_
; %bb.0:
	s_clause 0x3
	s_load_b128 s[4:7], s[0:1], 0x8
	s_load_b128 s[36:39], s[0:1], 0x40
	s_load_b32 s12, s[0:1], 0x68
	s_load_b64 s[2:3], s[0:1], 0x50
	s_bfe_u32 s10, ttmp6, 0x4000c
	s_and_b32 s8, ttmp6, 15
	s_add_co_i32 s10, s10, 1
	s_mov_b32 s9, 0
	s_mul_i32 s10, ttmp9, s10
	s_getreg_b32 s13, hwreg(HW_REG_IB_STS2, 6, 4)
	s_add_co_i32 s14, s8, s10
	v_mov_b32_e32 v24, v0
	s_wait_kmcnt 0x0
	s_lshl_b64 s[10:11], s[6:7], 1
	s_load_b64 s[34:35], s[38:39], 0x0
	s_mul_i32 s8, s12, 0x1e00
	s_cmp_eq_u32 s13, 0
	s_add_nc_u64 s[10:11], s[4:5], s[10:11]
	s_add_nc_u64 s[4:5], s[6:7], s[8:9]
	s_wait_xcnt 0x0
	s_cselect_b32 s38, ttmp9, s14
	s_add_co_i32 s8, s8, s6
	v_cmp_le_u64_e64 s3, s[2:3], s[4:5]
	s_add_co_i32 s12, s12, -1
	s_sub_co_i32 s39, s2, s8
	s_cmp_eq_u32 s38, s12
	s_mul_i32 s8, s38, 0x1e00
	s_cselect_b32 s31, -1, 0
	s_mov_b32 s4, -1
	s_and_b32 s40, s31, s3
	s_lshl_b64 s[2:3], s[8:9], 1
	s_xor_b32 s33, s40, -1
	s_add_nc_u64 s[2:3], s[10:11], s[2:3]
	s_and_b32 vcc_lo, exec_lo, s33
	s_cbranch_vccz .LBB755_2
; %bb.1:
	s_clause 0x1d
	global_load_u16 v1, v0, s[2:3] scale_offset
	global_load_u16 v2, v0, s[2:3] offset:512 scale_offset
	global_load_u16 v3, v0, s[2:3] offset:1024 scale_offset
	;; [unrolled: 1-line block ×29, first 2 shown]
	v_lshlrev_b32_e32 v32, 1, v0
	s_mov_b32 s4, 0
	s_wait_loadcnt 0x1d
	ds_store_b16 v32, v1
	s_wait_loadcnt 0x1c
	ds_store_b16 v32, v2 offset:512
	s_wait_loadcnt 0x1b
	ds_store_b16 v32, v3 offset:1024
	;; [unrolled: 2-line block ×29, first 2 shown]
	s_wait_dscnt 0x0
	s_barrier_signal -1
	s_barrier_wait -1
.LBB755_2:
	s_and_not1_b32 vcc_lo, exec_lo, s4
	s_addk_co_i32 s39, 0x1e00
	s_cbranch_vccnz .LBB755_64
; %bb.3:
	v_mov_b32_e32 v2, 0
	s_mov_b32 s4, exec_lo
	s_delay_alu instid0(VALU_DEP_1)
	v_dual_mov_b32 v3, v2 :: v_dual_mov_b32 v4, v2
	v_dual_mov_b32 v5, v2 :: v_dual_mov_b32 v6, v2
	;; [unrolled: 1-line block ×7, first 2 shown]
	v_cmpx_gt_u32_e64 s39, v0
	s_cbranch_execz .LBB755_5
; %bb.4:
	global_load_u16 v1, v0, s[2:3] scale_offset
	v_dual_mov_b32 v5, v2 :: v_dual_mov_b32 v6, v2
	v_dual_mov_b32 v17, v2 :: v_dual_mov_b32 v18, v2
	v_dual_mov_b32 v7, v2 :: v_dual_mov_b32 v8, v2
	v_dual_mov_b32 v9, v2 :: v_dual_mov_b32 v10, v2
	v_dual_mov_b32 v11, v2 :: v_dual_mov_b32 v12, v2
	v_dual_mov_b32 v13, v2 :: v_dual_mov_b32 v14, v2
	v_dual_mov_b32 v15, v2 :: v_dual_mov_b32 v16, v2
	s_wait_loadcnt 0x0
	v_and_b32_e32 v4, 0xffff, v1
	s_delay_alu instid0(VALU_DEP_1)
	v_mov_b64_e32 v[2:3], v[4:5]
	v_mov_b64_e32 v[4:5], v[6:7]
	;; [unrolled: 1-line block ×8, first 2 shown]
.LBB755_5:
	s_or_b32 exec_lo, exec_lo, s4
	v_or_b32_e32 v1, 0x100, v0
	s_mov_b32 s4, exec_lo
	s_delay_alu instid0(VALU_DEP_1)
	v_cmpx_gt_u32_e64 s39, v1
	s_cbranch_execz .LBB755_7
; %bb.6:
	global_load_u16 v1, v0, s[2:3] offset:512 scale_offset
	s_wait_loadcnt 0x0
	v_perm_b32 v2, v1, v2, 0x5040100
.LBB755_7:
	s_or_b32 exec_lo, exec_lo, s4
	v_or_b32_e32 v1, 0x200, v0
	s_mov_b32 s4, exec_lo
	s_delay_alu instid0(VALU_DEP_1)
	v_cmpx_gt_u32_e64 s39, v1
	s_cbranch_execz .LBB755_9
; %bb.8:
	global_load_u16 v1, v0, s[2:3] offset:1024 scale_offset
	s_wait_loadcnt 0x0
	v_bfi_b32 v3, 0xffff, v1, v3
.LBB755_9:
	s_or_b32 exec_lo, exec_lo, s4
	v_or_b32_e32 v1, 0x300, v0
	s_mov_b32 s4, exec_lo
	s_delay_alu instid0(VALU_DEP_1)
	v_cmpx_gt_u32_e64 s39, v1
	s_cbranch_execz .LBB755_11
; %bb.10:
	global_load_u16 v1, v0, s[2:3] offset:1536 scale_offset
	s_wait_loadcnt 0x0
	v_perm_b32 v3, v1, v3, 0x5040100
.LBB755_11:
	s_or_b32 exec_lo, exec_lo, s4
	v_or_b32_e32 v1, 0x400, v0
	s_mov_b32 s4, exec_lo
	s_delay_alu instid0(VALU_DEP_1)
	v_cmpx_gt_u32_e64 s39, v1
	s_cbranch_execz .LBB755_13
; %bb.12:
	global_load_u16 v1, v0, s[2:3] offset:2048 scale_offset
	s_wait_loadcnt 0x0
	v_bfi_b32 v4, 0xffff, v1, v4
.LBB755_13:
	;; [unrolled: 22-line block ×14, first 2 shown]
	s_or_b32 exec_lo, exec_lo, s4
	v_or_b32_e32 v1, 0x1d00, v0
	s_mov_b32 s4, exec_lo
	s_delay_alu instid0(VALU_DEP_1)
	v_cmpx_gt_u32_e64 s39, v1
	s_cbranch_execz .LBB755_63
; %bb.62:
	global_load_u16 v1, v0, s[2:3] offset:14848 scale_offset
	s_wait_loadcnt 0x0
	v_perm_b32 v16, v1, v16, 0x5040100
.LBB755_63:
	s_or_b32 exec_lo, exec_lo, s4
	v_lshlrev_b32_e32 v1, 1, v0
	ds_store_b16 v1, v2
	ds_store_b16_d16_hi v1, v2 offset:512
	ds_store_b16 v1, v3 offset:1024
	ds_store_b16_d16_hi v1, v3 offset:1536
	ds_store_b16 v1, v4 offset:2048
	;; [unrolled: 2-line block ×14, first 2 shown]
	ds_store_b16_d16_hi v1, v16 offset:14848
	s_wait_dscnt 0x0
	s_barrier_signal -1
	s_barrier_wait -1
.LBB755_64:
	v_mul_u32_u24_e32 v16, 30, v0
	s_cmp_lg_u32 s38, 0
	s_mov_b32 s42, 0
	s_cselect_b32 s41, -1, 0
	s_delay_alu instid0(VALU_DEP_1)
	v_lshlrev_b32_e32 v17, 1, v16
	s_cmp_lg_u64 s[6:7], 0
	ds_load_2addr_b32 v[14:15], v17 offset1:1
	ds_load_2addr_b32 v[12:13], v17 offset0:2 offset1:3
	ds_load_2addr_b32 v[10:11], v17 offset0:4 offset1:5
	;; [unrolled: 1-line block ×6, first 2 shown]
	s_cselect_b32 s4, -1, 0
	s_delay_alu instid0(SALU_CYCLE_1) | instskip(NEXT) | instid1(SALU_CYCLE_1)
	s_or_b32 s4, s41, s4
	s_and_b32 vcc_lo, exec_lo, s4
	s_wait_dscnt 0x6
	v_lshrrev_b32_e32 v39, 16, v14
	ds_load_b32 v1, v17 offset:56
	s_wait_dscnt 0x6
	v_dual_lshrrev_b32 v38, 16, v15 :: v_dual_lshrrev_b32 v37, 16, v12
	s_wait_dscnt 0x5
	v_dual_lshrrev_b32 v36, 16, v13 :: v_dual_lshrrev_b32 v35, 16, v10
	;; [unrolled: 2-line block ×6, first 2 shown]
	v_lshrrev_b32_e32 v26, 16, v3
	s_wait_dscnt 0x0
	s_barrier_signal -1
	s_barrier_wait -1
	v_lshrrev_b32_e32 v25, 16, v1
	s_cbranch_vccz .LBB755_69
; %bb.65:
	v_dual_mov_b32 v18, 0 :: v_dual_lshlrev_b32 v19, 1, v0
	s_and_b32 vcc_lo, exec_lo, s33
	global_load_u16 v18, v18, s[2:3] offset:-2
	ds_store_b16 v19, v25
	s_cbranch_vccz .LBB755_70
; %bb.66:
	s_wait_loadcnt 0x0
	v_mov_b32_e32 v20, v18
	s_mov_b32 s2, 0
	s_mov_b32 s3, exec_lo
	s_wait_dscnt 0x0
	s_barrier_signal -1
	s_barrier_wait -1
	v_cmpx_ne_u32_e32 0, v0
; %bb.67:
	v_add_nc_u32_e32 v20, -2, v19
	ds_load_u16 v20, v20
; %bb.68:
	s_or_b32 exec_lo, exec_lo, s3
	v_cmp_ne_u16_e32 vcc_lo, v1, v25
	s_wait_dscnt 0x0
	v_cmp_ne_u16_e64 s43, v20, v14
	v_cndmask_b32_e64 v40, 0, 1, vcc_lo
	v_cmp_ne_u16_e32 vcc_lo, v26, v1
	v_cndmask_b32_e64 v41, 0, 1, vcc_lo
	v_cmp_ne_u16_e32 vcc_lo, v3, v26
	;; [unrolled: 2-line block ×28, first 2 shown]
	v_cndmask_b32_e64 v68, 0, 1, vcc_lo
	s_and_b32 vcc_lo, exec_lo, s2
	s_cbranch_vccnz .LBB755_71
	s_branch .LBB755_74
.LBB755_69:
                                        ; implicit-def: $sgpr43
                                        ; implicit-def: $vgpr40
                                        ; implicit-def: $vgpr41
                                        ; implicit-def: $vgpr42
                                        ; implicit-def: $vgpr43
                                        ; implicit-def: $vgpr44
                                        ; implicit-def: $vgpr45
                                        ; implicit-def: $vgpr46
                                        ; implicit-def: $vgpr47
                                        ; implicit-def: $vgpr68
                                        ; implicit-def: $vgpr67
                                        ; implicit-def: $vgpr66
                                        ; implicit-def: $vgpr65
                                        ; implicit-def: $vgpr64
                                        ; implicit-def: $vgpr63
                                        ; implicit-def: $vgpr62
                                        ; implicit-def: $vgpr61
                                        ; implicit-def: $vgpr60
                                        ; implicit-def: $vgpr59
                                        ; implicit-def: $vgpr58
                                        ; implicit-def: $vgpr57
                                        ; implicit-def: $vgpr56
                                        ; implicit-def: $vgpr55
                                        ; implicit-def: $vgpr54
                                        ; implicit-def: $vgpr53
                                        ; implicit-def: $vgpr52
                                        ; implicit-def: $vgpr51
                                        ; implicit-def: $vgpr50
                                        ; implicit-def: $vgpr49
                                        ; implicit-def: $vgpr48
	s_branch .LBB755_75
.LBB755_70:
	s_wait_xcnt 0x0
                                        ; implicit-def: $sgpr43
                                        ; implicit-def: $vgpr40
                                        ; implicit-def: $vgpr41
                                        ; implicit-def: $vgpr42
                                        ; implicit-def: $vgpr43
                                        ; implicit-def: $vgpr44
                                        ; implicit-def: $vgpr45
                                        ; implicit-def: $vgpr46
                                        ; implicit-def: $vgpr47
                                        ; implicit-def: $vgpr68
                                        ; implicit-def: $vgpr67
                                        ; implicit-def: $vgpr66
                                        ; implicit-def: $vgpr65
                                        ; implicit-def: $vgpr64
                                        ; implicit-def: $vgpr63
                                        ; implicit-def: $vgpr62
                                        ; implicit-def: $vgpr61
                                        ; implicit-def: $vgpr60
                                        ; implicit-def: $vgpr59
                                        ; implicit-def: $vgpr58
                                        ; implicit-def: $vgpr57
                                        ; implicit-def: $vgpr56
                                        ; implicit-def: $vgpr55
                                        ; implicit-def: $vgpr54
                                        ; implicit-def: $vgpr53
                                        ; implicit-def: $vgpr52
                                        ; implicit-def: $vgpr51
                                        ; implicit-def: $vgpr50
                                        ; implicit-def: $vgpr49
                                        ; implicit-def: $vgpr48
	s_cbranch_execz .LBB755_74
.LBB755_71:
	s_mov_b32 s2, exec_lo
	s_wait_loadcnt_dscnt 0x0
	s_barrier_signal -1
	s_barrier_wait -1
	v_cmpx_ne_u32_e32 0, v0
; %bb.72:
	v_add_nc_u32_e32 v18, -2, v19
	ds_load_u16 v18, v18
; %bb.73:
	s_or_b32 exec_lo, exec_lo, s2
	v_dual_add_nc_u32 v19, 29, v16 :: v_dual_add_nc_u32 v20, 28, v16
	v_cmp_ne_u16_e32 vcc_lo, v1, v25
	v_add_nc_u32_e32 v21, 27, v16
	v_cmp_ne_u16_e64 s3, v26, v1
	s_delay_alu instid0(VALU_DEP_4)
	v_cmp_gt_u32_e64 s2, s39, v19
	v_cmp_gt_u32_e64 s4, s39, v20
	v_add_nc_u32_e32 v19, 26, v16
	v_cmp_gt_u32_e64 s5, s39, v21
	v_add_nc_u32_e32 v20, 25, v16
	s_and_b32 s2, s2, vcc_lo
	v_cmp_ne_u16_e32 vcc_lo, v3, v26
	v_cndmask_b32_e64 v40, 0, 1, s2
	s_and_b32 s2, s4, s3
	v_cmp_ne_u16_e64 s3, v27, v3
	v_cndmask_b32_e64 v41, 0, 1, s2
	v_cmp_gt_u32_e64 s2, s39, v19
	s_and_b32 s4, s5, vcc_lo
	v_add_nc_u32_e32 v19, 24, v16
	v_cndmask_b32_e64 v42, 0, 1, s4
	v_cmp_gt_u32_e32 vcc_lo, s39, v20
	v_cmp_ne_u16_e64 s4, v2, v27
	v_add_nc_u32_e32 v20, 23, v16
	s_and_b32 s2, s2, s3
	v_cmp_ne_u16_e64 s3, v28, v2
	v_cndmask_b32_e64 v43, 0, 1, s2
	v_cmp_gt_u32_e64 s2, s39, v19
	s_and_b32 s4, vcc_lo, s4
	v_add_nc_u32_e32 v19, 22, v16
	v_cndmask_b32_e64 v44, 0, 1, s4
	v_cmp_gt_u32_e32 vcc_lo, s39, v20
	v_cmp_ne_u16_e64 s4, v5, v28
	v_add_nc_u32_e32 v20, 21, v16
	s_and_b32 s2, s2, s3
	v_cmp_ne_u16_e64 s3, v29, v5
	v_cndmask_b32_e64 v45, 0, 1, s2
	v_cmp_gt_u32_e64 s2, s39, v19
	s_and_b32 s4, vcc_lo, s4
	;; [unrolled: 10-line block ×11, first 2 shown]
	v_add_nc_u32_e32 v19, 2, v16
	v_cndmask_b32_e64 v64, 0, 1, s4
	v_cmp_gt_u32_e32 vcc_lo, s39, v20
	v_cmp_ne_u16_e64 s4, v15, v38
	v_or_b32_e32 v20, 1, v16
	s_and_b32 s2, s2, s3
	v_cmp_ne_u16_e64 s3, v39, v15
	v_cndmask_b32_e64 v65, 0, 1, s2
	v_cmp_gt_u32_e64 s2, s39, v19
	s_and_b32 s4, vcc_lo, s4
	v_cmp_gt_u32_e32 vcc_lo, s39, v20
	v_cndmask_b32_e64 v66, 0, 1, s4
	v_cmp_ne_u16_e64 s4, v14, v39
	s_and_b32 s2, s2, s3
	s_wait_dscnt 0x0
	v_cmp_ne_u16_e64 s3, v18, v14
	v_cndmask_b32_e64 v67, 0, 1, s2
	v_cmp_gt_u32_e64 s2, s39, v16
	s_and_b32 s4, vcc_lo, s4
	s_delay_alu instid0(SALU_CYCLE_1)
	v_cndmask_b32_e64 v68, 0, 1, s4
	s_and_b32 s43, s2, s3
.LBB755_74:
	s_mov_b32 s42, -1
	s_cbranch_execnz .LBB755_83
.LBB755_75:
	v_mad_i32_i24 v17, 0xffffffc6, v0, v17
	s_delay_alu instid0(VALU_DEP_2)
	v_cmp_ne_u16_e64 s2, v1, v25
	v_cmp_ne_u16_e64 s3, v26, v1
	;; [unrolled: 1-line block ×29, first 2 shown]
	s_and_b32 vcc_lo, exec_lo, s33
	ds_store_b16 v17, v25
	s_cbranch_vccz .LBB755_79
; %bb.76:
	s_mov_b32 s44, 0
	s_mov_b32 s45, exec_lo
	s_wait_loadcnt_dscnt 0x0
	s_barrier_signal -1
	s_barrier_wait -1
                                        ; implicit-def: $sgpr43
	v_cmpx_ne_u32_e32 0, v0
	s_xor_b32 s45, exec_lo, s45
	s_cbranch_execz .LBB755_78
; %bb.77:
	v_add_nc_u32_e32 v18, -2, v17
	s_or_b32 s42, s42, exec_lo
	ds_load_u16 v18, v18
	s_wait_dscnt 0x0
	v_cmp_ne_u16_e64 s43, v18, v14
.LBB755_78:
	s_or_b32 exec_lo, exec_lo, s45
	v_cndmask_b32_e64 v40, 0, 1, s2
	v_cndmask_b32_e64 v41, 0, 1, s3
	;; [unrolled: 1-line block ×29, first 2 shown]
	s_and_b32 vcc_lo, exec_lo, s44
	s_cbranch_vccnz .LBB755_80
	s_branch .LBB755_83
.LBB755_79:
                                        ; implicit-def: $sgpr43
                                        ; implicit-def: $vgpr40
                                        ; implicit-def: $vgpr41
                                        ; implicit-def: $vgpr42
                                        ; implicit-def: $vgpr43
                                        ; implicit-def: $vgpr44
                                        ; implicit-def: $vgpr45
                                        ; implicit-def: $vgpr46
                                        ; implicit-def: $vgpr47
                                        ; implicit-def: $vgpr68
                                        ; implicit-def: $vgpr67
                                        ; implicit-def: $vgpr66
                                        ; implicit-def: $vgpr65
                                        ; implicit-def: $vgpr64
                                        ; implicit-def: $vgpr63
                                        ; implicit-def: $vgpr62
                                        ; implicit-def: $vgpr61
                                        ; implicit-def: $vgpr60
                                        ; implicit-def: $vgpr59
                                        ; implicit-def: $vgpr58
                                        ; implicit-def: $vgpr57
                                        ; implicit-def: $vgpr56
                                        ; implicit-def: $vgpr55
                                        ; implicit-def: $vgpr54
                                        ; implicit-def: $vgpr53
                                        ; implicit-def: $vgpr52
                                        ; implicit-def: $vgpr51
                                        ; implicit-def: $vgpr50
                                        ; implicit-def: $vgpr49
                                        ; implicit-def: $vgpr48
	s_cbranch_execz .LBB755_83
.LBB755_80:
	s_wait_loadcnt 0x0
	v_dual_add_nc_u32 v18, 29, v16 :: v_dual_add_nc_u32 v19, 28, v16
	v_cmp_ne_u16_e32 vcc_lo, v1, v25
	v_add_nc_u32_e32 v20, 27, v16
	v_cmp_ne_u16_e64 s2, v26, v1
	s_delay_alu instid0(VALU_DEP_4)
	v_cmp_gt_u32_e64 s3, s39, v18
	v_cmp_gt_u32_e64 s4, s39, v19
	v_dual_add_nc_u32 v18, 26, v16 :: v_dual_add_nc_u32 v19, 25, v16
	v_cmp_ne_u16_e64 s5, v3, v26
	v_cmp_gt_u32_e64 s6, s39, v20
	s_and_b32 s11, s3, vcc_lo
	s_and_b32 s12, s4, s2
	v_add_nc_u32_e32 v20, 24, v16
	v_cmp_gt_u32_e32 vcc_lo, s39, v18
	v_cmp_ne_u16_e64 s2, v27, v3
	v_cmp_gt_u32_e64 s3, s39, v19
	v_cmp_ne_u16_e64 s4, v2, v27
	v_dual_add_nc_u32 v18, 23, v16 :: v_dual_add_nc_u32 v19, 22, v16
	s_and_b32 s13, s6, s5
	v_cmp_gt_u32_e64 s5, s39, v20
	v_cmp_ne_u16_e64 s6, v28, v2
	s_and_b32 s14, vcc_lo, s2
	s_and_b32 s15, s3, s4
	v_add_nc_u32_e32 v20, 21, v16
	v_cmp_gt_u32_e32 vcc_lo, s39, v18
	v_cmp_ne_u16_e64 s2, v5, v28
	v_cmp_gt_u32_e64 s3, s39, v19
	v_cmp_ne_u16_e64 s4, v29, v5
	v_dual_add_nc_u32 v18, 20, v16 :: v_dual_add_nc_u32 v19, 19, v16
	s_and_b32 s16, s5, s6
	v_cmp_gt_u32_e64 s5, s39, v20
	v_cmp_ne_u16_e64 s6, v4, v29
	s_and_b32 s17, vcc_lo, s2
	s_and_b32 s18, s3, s4
	v_add_nc_u32_e32 v20, 18, v16
	v_cmp_gt_u32_e32 vcc_lo, s39, v18
	v_cmp_ne_u16_e64 s2, v30, v4
	v_cmp_gt_u32_e64 s3, s39, v19
	v_cmp_ne_u16_e64 s4, v7, v30
	v_dual_add_nc_u32 v18, 17, v16 :: v_dual_add_nc_u32 v19, 16, v16
	s_and_b32 s19, s5, s6
	v_cmp_gt_u32_e64 s5, s39, v20
	v_cmp_ne_u16_e64 s6, v31, v7
	s_and_b32 s20, vcc_lo, s2
	s_and_b32 s21, s3, s4
	v_add_nc_u32_e32 v20, 15, v16
	v_cmp_gt_u32_e32 vcc_lo, s39, v18
	v_cmp_ne_u16_e64 s2, v6, v31
	v_cmp_gt_u32_e64 s3, s39, v19
	v_cmp_ne_u16_e64 s4, v32, v6
	v_dual_add_nc_u32 v18, 14, v16 :: v_dual_add_nc_u32 v19, 13, v16
	s_and_b32 s22, s5, s6
	v_cmp_gt_u32_e64 s5, s39, v20
	v_cmp_ne_u16_e64 s6, v9, v32
	s_and_b32 s23, vcc_lo, s2
	s_and_b32 s24, s3, s4
	v_add_nc_u32_e32 v20, 12, v16
	v_cmp_gt_u32_e32 vcc_lo, s39, v18
	v_cmp_ne_u16_e64 s2, v33, v9
	v_cmp_gt_u32_e64 s3, s39, v19
	v_cmp_ne_u16_e64 s4, v8, v33
	v_dual_add_nc_u32 v18, 11, v16 :: v_dual_add_nc_u32 v19, 10, v16
	s_and_b32 s25, s5, s6
	v_cmp_gt_u32_e64 s5, s39, v20
	v_cmp_ne_u16_e64 s6, v34, v8
	s_and_b32 s26, vcc_lo, s2
	s_and_b32 s27, s3, s4
	v_add_nc_u32_e32 v20, 9, v16
	v_cmp_gt_u32_e32 vcc_lo, s39, v18
	v_cmp_ne_u16_e64 s2, v11, v34
	v_cmp_gt_u32_e64 s3, s39, v19
	v_cmp_ne_u16_e64 s4, v35, v11
	v_dual_add_nc_u32 v18, 8, v16 :: v_dual_add_nc_u32 v19, 7, v16
	s_and_b32 s28, s5, s6
	v_cmp_gt_u32_e64 s5, s39, v20
	v_cmp_ne_u16_e64 s6, v10, v35
	s_and_b32 s29, vcc_lo, s2
	s_and_b32 s30, s3, s4
	v_add_nc_u32_e32 v20, 6, v16
	v_cmp_gt_u32_e32 vcc_lo, s39, v18
	v_cmp_ne_u16_e64 s2, v36, v10
	v_cmp_gt_u32_e64 s3, s39, v19
	v_cmp_ne_u16_e64 s4, v13, v36
	v_dual_add_nc_u32 v18, 5, v16 :: v_dual_add_nc_u32 v19, 4, v16
	s_and_b32 s44, s5, s6
	v_cmp_gt_u32_e64 s5, s39, v20
	v_cmp_ne_u16_e64 s6, v37, v13
	s_and_b32 s45, vcc_lo, s2
	s_and_b32 s46, s3, s4
	v_cmp_gt_u32_e32 vcc_lo, s39, v18
	v_add_nc_u32_e32 v18, 3, v16
	v_cmp_gt_u32_e64 s3, s39, v19
	v_dual_add_nc_u32 v19, 2, v16 :: v_dual_bitop2_b32 v20, 1, v16 bitop3:0x54
	s_and_b32 s47, s5, s6
	v_cmp_ne_u16_e64 s2, v12, v37
	v_cmp_ne_u16_e64 s4, v38, v12
	v_cmp_gt_u32_e64 s5, s39, v18
	v_cmp_ne_u16_e64 s6, v15, v38
	v_cmp_gt_u32_e64 s7, s39, v19
	;; [unrolled: 2-line block ×3, first 2 shown]
	v_cmp_ne_u16_e64 s10, v14, v39
	s_and_b32 s48, vcc_lo, s2
	s_and_b32 s3, s3, s4
	s_and_b32 s4, s5, s6
	;; [unrolled: 1-line block ×4, first 2 shown]
	s_mov_b32 s7, exec_lo
	s_wait_dscnt 0x0
	s_barrier_signal -1
	s_barrier_wait -1
                                        ; implicit-def: $sgpr43
	v_cmpx_ne_u32_e32 0, v0
	s_cbranch_execz .LBB755_82
; %bb.81:
	v_add_nc_u32_e32 v17, -2, v17
	v_cmp_gt_u32_e32 vcc_lo, s39, v16
	s_or_b32 s42, s42, exec_lo
	ds_load_u16 v17, v17
	s_wait_dscnt 0x0
	v_cmp_ne_u16_e64 s2, v17, v14
	s_and_b32 s43, vcc_lo, s2
.LBB755_82:
	s_or_b32 exec_lo, exec_lo, s7
	v_cndmask_b32_e64 v40, 0, 1, s11
	v_cndmask_b32_e64 v41, 0, 1, s12
	;; [unrolled: 1-line block ×29, first 2 shown]
.LBB755_83:
	v_mov_b32_e32 v69, 1
	s_and_saveexec_b32 s2, s42
; %bb.84:
	v_cndmask_b32_e64 v69, 0, 1, s43
; %bb.85:
	s_or_b32 exec_lo, exec_lo, s2
	s_load_b64 s[10:11], s[0:1], 0x60
	s_and_not1_b32 vcc_lo, exec_lo, s40
	s_cbranch_vccnz .LBB755_87
; %bb.86:
	v_cmp_gt_u32_e32 vcc_lo, s39, v16
	s_wait_loadcnt 0x0
	v_dual_add_nc_u32 v18, 2, v16 :: v_dual_bitop2_b32 v17, 1, v16 bitop3:0x54
	v_dual_add_nc_u32 v19, 4, v16 :: v_dual_cndmask_b32 v69, 0, v69, vcc_lo
	s_delay_alu instid0(VALU_DEP_2) | instskip(SKIP_4) | instid1(VALU_DEP_4)
	v_cmp_gt_u32_e32 vcc_lo, s39, v17
	v_add_nc_u32_e32 v17, 3, v16
	v_cndmask_b32_e32 v68, 0, v68, vcc_lo
	v_cmp_gt_u32_e32 vcc_lo, s39, v18
	v_dual_cndmask_b32 v67, 0, v67 :: v_dual_add_nc_u32 v18, 5, v16
	v_cmp_gt_u32_e32 vcc_lo, s39, v17
	v_dual_cndmask_b32 v66, 0, v66 :: v_dual_add_nc_u32 v17, 6, v16
	v_cmp_gt_u32_e32 vcc_lo, s39, v19
	v_dual_add_nc_u32 v19, 8, v16 :: v_dual_cndmask_b32 v65, 0, v65, vcc_lo
	v_cmp_gt_u32_e32 vcc_lo, s39, v18
	v_add_nc_u32_e32 v18, 7, v16
	v_cndmask_b32_e32 v64, 0, v64, vcc_lo
	v_cmp_gt_u32_e32 vcc_lo, s39, v17
	v_dual_add_nc_u32 v17, 9, v16 :: v_dual_cndmask_b32 v63, 0, v63, vcc_lo
	s_delay_alu instid0(VALU_DEP_4)
	v_cmp_gt_u32_e32 vcc_lo, s39, v18
	v_dual_add_nc_u32 v18, 10, v16 :: v_dual_cndmask_b32 v62, 0, v62, vcc_lo
	v_cmp_gt_u32_e32 vcc_lo, s39, v19
	v_dual_add_nc_u32 v19, 12, v16 :: v_dual_cndmask_b32 v61, 0, v61, vcc_lo
	v_cmp_gt_u32_e32 vcc_lo, s39, v17
	v_add_nc_u32_e32 v17, 11, v16
	v_cndmask_b32_e32 v60, 0, v60, vcc_lo
	v_cmp_gt_u32_e32 vcc_lo, s39, v18
	v_dual_cndmask_b32 v59, 0, v59 :: v_dual_add_nc_u32 v18, 13, v16
	s_delay_alu instid0(VALU_DEP_4)
	v_cmp_gt_u32_e32 vcc_lo, s39, v17
	v_dual_cndmask_b32 v58, 0, v58 :: v_dual_add_nc_u32 v17, 14, v16
	v_cmp_gt_u32_e32 vcc_lo, s39, v19
	v_dual_add_nc_u32 v19, 16, v16 :: v_dual_cndmask_b32 v57, 0, v57, vcc_lo
	v_cmp_gt_u32_e32 vcc_lo, s39, v18
	v_add_nc_u32_e32 v18, 15, v16
	v_cndmask_b32_e32 v56, 0, v56, vcc_lo
	v_cmp_gt_u32_e32 vcc_lo, s39, v17
	v_dual_add_nc_u32 v17, 17, v16 :: v_dual_cndmask_b32 v55, 0, v55, vcc_lo
	s_delay_alu instid0(VALU_DEP_4)
	v_cmp_gt_u32_e32 vcc_lo, s39, v18
	v_dual_add_nc_u32 v18, 18, v16 :: v_dual_cndmask_b32 v54, 0, v54, vcc_lo
	v_cmp_gt_u32_e32 vcc_lo, s39, v19
	v_dual_add_nc_u32 v19, 20, v16 :: v_dual_cndmask_b32 v53, 0, v53, vcc_lo
	v_cmp_gt_u32_e32 vcc_lo, s39, v17
	v_add_nc_u32_e32 v17, 19, v16
	v_cndmask_b32_e32 v52, 0, v52, vcc_lo
	v_cmp_gt_u32_e32 vcc_lo, s39, v18
	v_dual_cndmask_b32 v51, 0, v51 :: v_dual_add_nc_u32 v18, 21, v16
	s_delay_alu instid0(VALU_DEP_4)
	v_cmp_gt_u32_e32 vcc_lo, s39, v17
	v_dual_cndmask_b32 v50, 0, v50 :: v_dual_add_nc_u32 v17, 22, v16
	v_cmp_gt_u32_e32 vcc_lo, s39, v19
	v_dual_add_nc_u32 v19, 24, v16 :: v_dual_cndmask_b32 v49, 0, v49, vcc_lo
	v_cmp_gt_u32_e32 vcc_lo, s39, v18
	v_add_nc_u32_e32 v18, 23, v16
	v_cndmask_b32_e32 v48, 0, v48, vcc_lo
	v_cmp_gt_u32_e32 vcc_lo, s39, v17
	v_dual_add_nc_u32 v17, 25, v16 :: v_dual_cndmask_b32 v47, 0, v47, vcc_lo
	s_delay_alu instid0(VALU_DEP_4)
	v_cmp_gt_u32_e32 vcc_lo, s39, v18
	v_dual_add_nc_u32 v18, 26, v16 :: v_dual_cndmask_b32 v46, 0, v46, vcc_lo
	v_cmp_gt_u32_e32 vcc_lo, s39, v19
	v_dual_add_nc_u32 v19, 28, v16 :: v_dual_cndmask_b32 v45, 0, v45, vcc_lo
	v_cmp_gt_u32_e32 vcc_lo, s39, v17
	v_dual_add_nc_u32 v17, 27, v16 :: v_dual_add_nc_u32 v16, 29, v16
	v_cndmask_b32_e32 v44, 0, v44, vcc_lo
	v_cmp_gt_u32_e32 vcc_lo, s39, v18
	v_cndmask_b32_e32 v43, 0, v43, vcc_lo
	s_delay_alu instid0(VALU_DEP_4)
	v_cmp_gt_u32_e32 vcc_lo, s39, v17
	v_cndmask_b32_e32 v42, 0, v42, vcc_lo
	v_cmp_gt_u32_e32 vcc_lo, s39, v19
	v_cndmask_b32_e32 v41, 0, v41, vcc_lo
	v_cmp_gt_u32_e32 vcc_lo, s39, v16
	v_cndmask_b32_e32 v40, 0, v40, vcc_lo
.LBB755_87:
	v_and_b32_e32 v70, 0xff, v49
	v_and_b32_e32 v71, 0xff, v48
	;; [unrolled: 1-line block ×6, first 2 shown]
	s_wait_loadcnt 0x0
	v_dual_add_nc_u32 v16, v70, v71 :: v_dual_bitop2_b32 v18, 31, v0 bitop3:0x54
	v_and_b32_e32 v76, 0xff, v55
	v_and_b32_e32 v77, 0xff, v54
	v_and_b32_e32 v78, 0xff, v57
	s_delay_alu instid0(VALU_DEP_4)
	v_add3_u32 v16, v16, v73, v72
	v_and_b32_e32 v79, 0xff, v56
	v_and_b32_e32 v80, 0xff, v59
	v_and_b32_e32 v81, 0xff, v58
	v_and_b32_e32 v82, 0xff, v61
	v_add3_u32 v16, v16, v75, v74
	v_and_b32_e32 v83, 0xff, v60
	v_and_b32_e32 v84, 0xff, v63
	v_and_b32_e32 v85, 0xff, v62
	v_and_b32_e32 v86, 0xff, v65
	;; [unrolled: 5-line block ×4, first 2 shown]
	v_add3_u32 v16, v16, v81, v80
	v_and_b32_e32 v91, 0xff, v44
	v_and_b32_e32 v92, 0xff, v43
	;; [unrolled: 1-line block ×3, first 2 shown]
	v_mbcnt_lo_u32_b32 v100, -1, 0
	v_add3_u32 v16, v16, v83, v82
	v_and_b32_e32 v95, 0xff, v41
	v_and_b32_e32 v17, 0xff, v40
	v_lshrrev_b32_e32 v101, 5, v0
	v_and_b32_e32 v19, 15, v100
	v_add3_u32 v16, v16, v85, v84
	v_and_b32_e32 v20, 16, v100
	v_cmp_eq_u32_e64 s2, v0, v18
	s_and_b32 vcc_lo, exec_lo, s41
	v_cmp_eq_u32_e64 s7, 0, v19
	v_add3_u32 v16, v16, v87, v86
	v_cmp_lt_u32_e64 s6, 1, v19
	v_cmp_lt_u32_e64 s5, 3, v19
	;; [unrolled: 1-line block ×3, first 2 shown]
	v_cmp_eq_u32_e64 s3, 0, v20
	v_add3_u32 v16, v16, v96, v94
	s_mov_b32 s8, -1
	s_wait_dscnt 0x0
	s_barrier_signal -1
	s_barrier_wait -1
	v_add3_u32 v16, v16, v98, v97
	s_delay_alu instid0(VALU_DEP_1) | instskip(NEXT) | instid1(VALU_DEP_1)
	v_add3_u32 v16, v16, v88, v89
	v_add3_u32 v16, v16, v90, v91
	s_delay_alu instid0(VALU_DEP_1) | instskip(NEXT) | instid1(VALU_DEP_1)
	v_add3_u32 v16, v16, v92, v93
	v_add3_u32 v102, v16, v95, v17
	s_cbranch_vccz .LBB755_109
; %bb.88:
	s_delay_alu instid0(VALU_DEP_1) | instskip(NEXT) | instid1(VALU_DEP_1)
	v_mov_b32_dpp v16, v102 row_shr:1 row_mask:0xf bank_mask:0xf
	v_cndmask_b32_e64 v16, v16, 0, s7
	s_delay_alu instid0(VALU_DEP_1) | instskip(NEXT) | instid1(VALU_DEP_1)
	v_add_nc_u32_e32 v16, v16, v102
	v_mov_b32_dpp v17, v16 row_shr:2 row_mask:0xf bank_mask:0xf
	s_delay_alu instid0(VALU_DEP_1) | instskip(NEXT) | instid1(VALU_DEP_1)
	v_cndmask_b32_e64 v17, 0, v17, s6
	v_add_nc_u32_e32 v16, v16, v17
	s_delay_alu instid0(VALU_DEP_1) | instskip(NEXT) | instid1(VALU_DEP_1)
	v_mov_b32_dpp v17, v16 row_shr:4 row_mask:0xf bank_mask:0xf
	v_cndmask_b32_e64 v17, 0, v17, s5
	s_delay_alu instid0(VALU_DEP_1) | instskip(NEXT) | instid1(VALU_DEP_1)
	v_add_nc_u32_e32 v16, v16, v17
	v_mov_b32_dpp v17, v16 row_shr:8 row_mask:0xf bank_mask:0xf
	s_delay_alu instid0(VALU_DEP_1) | instskip(NEXT) | instid1(VALU_DEP_1)
	v_cndmask_b32_e64 v17, 0, v17, s4
	v_add_nc_u32_e32 v16, v16, v17
	ds_swizzle_b32 v17, v16 offset:swizzle(BROADCAST,32,15)
	s_wait_dscnt 0x0
	v_cndmask_b32_e64 v17, v17, 0, s3
	s_delay_alu instid0(VALU_DEP_1)
	v_add_nc_u32_e32 v16, v16, v17
	s_and_saveexec_b32 s8, s2
; %bb.89:
	v_lshlrev_b32_e32 v17, 2, v101
	ds_store_b32 v17, v16
; %bb.90:
	s_or_b32 exec_lo, exec_lo, s8
	s_delay_alu instid0(SALU_CYCLE_1)
	s_mov_b32 s8, exec_lo
	s_wait_dscnt 0x0
	s_barrier_signal -1
	s_barrier_wait -1
	v_cmpx_gt_u32_e32 8, v0
	s_cbranch_execz .LBB755_92
; %bb.91:
	v_lshlrev_b32_e32 v17, 2, v0
	v_and_b32_e32 v19, 7, v100
	ds_load_b32 v18, v17
	v_cmp_ne_u32_e32 vcc_lo, 0, v19
	s_wait_dscnt 0x0
	v_mov_b32_dpp v20, v18 row_shr:1 row_mask:0xf bank_mask:0xf
	s_delay_alu instid0(VALU_DEP_1) | instskip(SKIP_1) | instid1(VALU_DEP_2)
	v_cndmask_b32_e32 v20, 0, v20, vcc_lo
	v_cmp_lt_u32_e32 vcc_lo, 1, v19
	v_add_nc_u32_e32 v18, v20, v18
	s_delay_alu instid0(VALU_DEP_1) | instskip(NEXT) | instid1(VALU_DEP_1)
	v_mov_b32_dpp v20, v18 row_shr:2 row_mask:0xf bank_mask:0xf
	v_cndmask_b32_e32 v20, 0, v20, vcc_lo
	v_cmp_lt_u32_e32 vcc_lo, 3, v19
	s_delay_alu instid0(VALU_DEP_2) | instskip(NEXT) | instid1(VALU_DEP_1)
	v_add_nc_u32_e32 v18, v18, v20
	v_mov_b32_dpp v20, v18 row_shr:4 row_mask:0xf bank_mask:0xf
	s_delay_alu instid0(VALU_DEP_1) | instskip(NEXT) | instid1(VALU_DEP_1)
	v_cndmask_b32_e32 v19, 0, v20, vcc_lo
	v_add_nc_u32_e32 v18, v18, v19
	ds_store_b32 v17, v18
.LBB755_92:
	s_or_b32 exec_lo, exec_lo, s8
	s_delay_alu instid0(SALU_CYCLE_1)
	s_mov_b32 s9, exec_lo
	v_cmp_gt_u32_e32 vcc_lo, 32, v0
	s_wait_dscnt 0x0
	s_barrier_signal -1
	s_barrier_wait -1
                                        ; implicit-def: $vgpr99
	v_cmpx_lt_u32_e32 31, v0
	s_cbranch_execz .LBB755_94
; %bb.93:
	v_lshl_add_u32 v17, v101, 2, -4
	ds_load_b32 v99, v17
	s_wait_dscnt 0x0
	v_add_nc_u32_e32 v16, v99, v16
.LBB755_94:
	s_or_b32 exec_lo, exec_lo, s9
	v_sub_co_u32 v17, s8, v100, 1
	s_delay_alu instid0(VALU_DEP_1) | instskip(NEXT) | instid1(VALU_DEP_1)
	v_cmp_gt_i32_e64 s9, 0, v17
	v_cndmask_b32_e64 v17, v17, v100, s9
	s_delay_alu instid0(VALU_DEP_1)
	v_lshlrev_b32_e32 v17, 2, v17
	ds_bpermute_b32 v103, v17, v16
	s_and_saveexec_b32 s9, vcc_lo
	s_cbranch_execz .LBB755_114
; %bb.95:
	v_mov_b32_e32 v23, 0
	ds_load_b32 v16, v23 offset:28
	s_and_saveexec_b32 s12, s8
	s_cbranch_execz .LBB755_97
; %bb.96:
	s_add_co_i32 s13, s38, 32
	s_delay_alu instid0(SALU_CYCLE_1)
	v_dual_mov_b32 v17, 1 :: v_dual_mov_b32 v18, s13
	s_wait_xcnt 0x0
	s_wait_dscnt 0x0
	s_wait_kmcnt 0x0
	global_store_b64 v18, v[16:17], s[10:11] scale_offset scope:SCOPE_DEV
.LBB755_97:
	s_wait_xcnt 0x0
	s_or_b32 exec_lo, exec_lo, s12
	v_xad_u32 v18, v100, -1, s38
	s_mov_b32 s13, 0
	s_mov_b32 s12, exec_lo
	s_delay_alu instid0(VALU_DEP_1)
	v_add_nc_u32_e32 v22, 32, v18
	s_wait_kmcnt 0x0
	global_load_b64 v[20:21], v22, s[10:11] scale_offset scope:SCOPE_DEV
	s_wait_loadcnt 0x0
	v_and_b32_e32 v17, 0xff, v21
	s_wait_xcnt 0x0
	s_delay_alu instid0(VALU_DEP_1)
	v_cmpx_eq_u16_e32 0, v17
	s_cbranch_execz .LBB755_101
; %bb.98:
	v_lshl_add_u64 v[22:23], v[22:23], 3, s[10:11]
.LBB755_99:                             ; =>This Inner Loop Header: Depth=1
	global_load_b64 v[20:21], v[22:23], off scope:SCOPE_DEV
	s_wait_loadcnt 0x0
	v_and_b32_e32 v17, 0xff, v21
	s_delay_alu instid0(VALU_DEP_1)
	v_cmp_ne_u16_e32 vcc_lo, 0, v17
	s_or_b32 s13, vcc_lo, s13
	s_wait_xcnt 0x0
	s_and_not1_b32 exec_lo, exec_lo, s13
	s_cbranch_execnz .LBB755_99
; %bb.100:
	s_or_b32 exec_lo, exec_lo, s13
.LBB755_101:
	s_delay_alu instid0(SALU_CYCLE_1)
	s_or_b32 exec_lo, exec_lo, s12
	v_cmp_ne_u32_e32 vcc_lo, 31, v100
	v_lshlrev_b32_e64 v105, v100, -1
	v_dual_add_nc_u32 v107, 2, v100 :: v_dual_add_nc_u32 v109, 4, v100
	v_dual_add_nc_u32 v111, 8, v100 :: v_dual_add_nc_u32 v113, 16, v100
	v_add_co_ci_u32_e64 v17, null, 0, v100, vcc_lo
	v_lshl_or_b32 v112, v100, 2, 64
	s_delay_alu instid0(VALU_DEP_2)
	v_lshlrev_b32_e32 v104, 2, v17
	v_and_b32_e32 v17, 0xff, v21
	ds_bpermute_b32 v19, v104, v20
	v_cmp_eq_u16_e32 vcc_lo, 2, v17
	v_and_or_b32 v17, vcc_lo, v105, 0x80000000
	v_cmp_gt_u32_e32 vcc_lo, 30, v100
	s_delay_alu instid0(VALU_DEP_2) | instskip(SKIP_1) | instid1(VALU_DEP_2)
	v_ctz_i32_b32_e32 v17, v17
	v_cndmask_b32_e64 v22, 0, 2, vcc_lo
	v_cmp_lt_u32_e32 vcc_lo, v100, v17
	s_delay_alu instid0(VALU_DEP_2)
	v_add_lshl_u32 v106, v22, v100, 2
	s_wait_dscnt 0x0
	v_cndmask_b32_e32 v19, 0, v19, vcc_lo
	v_cmp_gt_u32_e32 vcc_lo, 28, v100
	v_cndmask_b32_e64 v22, 0, 4, vcc_lo
	v_cmp_le_u32_e32 vcc_lo, v107, v17
	s_delay_alu instid0(VALU_DEP_4) | instskip(NEXT) | instid1(VALU_DEP_3)
	v_add_nc_u32_e32 v19, v19, v20
	v_add_lshl_u32 v108, v22, v100, 2
	ds_bpermute_b32 v20, v106, v19
	s_wait_dscnt 0x0
	v_cndmask_b32_e32 v20, 0, v20, vcc_lo
	v_cmp_gt_u32_e32 vcc_lo, 24, v100
	v_cndmask_b32_e64 v22, 0, 8, vcc_lo
	v_cmp_le_u32_e32 vcc_lo, v109, v17
	s_delay_alu instid0(VALU_DEP_4) | instskip(NEXT) | instid1(VALU_DEP_3)
	v_add_nc_u32_e32 v19, v19, v20
	v_add_lshl_u32 v110, v22, v100, 2
	ds_bpermute_b32 v20, v108, v19
	s_wait_dscnt 0x0
	v_cndmask_b32_e32 v20, 0, v20, vcc_lo
	v_cmp_le_u32_e32 vcc_lo, v111, v17
	s_delay_alu instid0(VALU_DEP_2) | instskip(SKIP_4) | instid1(VALU_DEP_2)
	v_add_nc_u32_e32 v19, v19, v20
	ds_bpermute_b32 v20, v110, v19
	s_wait_dscnt 0x0
	v_cndmask_b32_e32 v20, 0, v20, vcc_lo
	v_cmp_le_u32_e32 vcc_lo, v113, v17
	v_add_nc_u32_e32 v19, v19, v20
	ds_bpermute_b32 v20, v112, v19
	s_wait_dscnt 0x0
	v_cndmask_b32_e32 v17, 0, v20, vcc_lo
	s_delay_alu instid0(VALU_DEP_1)
	v_dual_mov_b32 v19, 0 :: v_dual_add_nc_u32 v20, v19, v17
	s_branch .LBB755_104
.LBB755_102:                            ;   in Loop: Header=BB755_104 Depth=1
	s_or_b32 exec_lo, exec_lo, s12
	v_and_b32_e32 v22, 0xff, v21
	ds_bpermute_b32 v23, v104, v20
	v_subrev_nc_u32_e32 v18, 32, v18
	s_mov_b32 s12, 0
	v_cmp_eq_u16_e32 vcc_lo, 2, v22
	v_and_or_b32 v22, vcc_lo, v105, 0x80000000
	s_delay_alu instid0(VALU_DEP_1) | instskip(NEXT) | instid1(VALU_DEP_1)
	v_ctz_i32_b32_e32 v22, v22
	v_cmp_lt_u32_e32 vcc_lo, v100, v22
	s_wait_dscnt 0x0
	v_cndmask_b32_e32 v23, 0, v23, vcc_lo
	v_cmp_le_u32_e32 vcc_lo, v107, v22
	s_delay_alu instid0(VALU_DEP_2) | instskip(SKIP_4) | instid1(VALU_DEP_2)
	v_add_nc_u32_e32 v20, v23, v20
	ds_bpermute_b32 v23, v106, v20
	s_wait_dscnt 0x0
	v_cndmask_b32_e32 v23, 0, v23, vcc_lo
	v_cmp_le_u32_e32 vcc_lo, v109, v22
	v_add_nc_u32_e32 v20, v20, v23
	ds_bpermute_b32 v23, v108, v20
	s_wait_dscnt 0x0
	v_cndmask_b32_e32 v23, 0, v23, vcc_lo
	v_cmp_le_u32_e32 vcc_lo, v111, v22
	s_delay_alu instid0(VALU_DEP_2) | instskip(SKIP_4) | instid1(VALU_DEP_2)
	v_add_nc_u32_e32 v20, v20, v23
	ds_bpermute_b32 v23, v110, v20
	s_wait_dscnt 0x0
	v_cndmask_b32_e32 v23, 0, v23, vcc_lo
	v_cmp_le_u32_e32 vcc_lo, v113, v22
	v_add_nc_u32_e32 v20, v20, v23
	ds_bpermute_b32 v23, v112, v20
	s_wait_dscnt 0x0
	v_cndmask_b32_e32 v22, 0, v23, vcc_lo
	s_delay_alu instid0(VALU_DEP_1)
	v_add3_u32 v20, v22, v17, v20
.LBB755_103:                            ;   in Loop: Header=BB755_104 Depth=1
	s_and_b32 vcc_lo, exec_lo, s12
	s_cbranch_vccnz .LBB755_110
.LBB755_104:                            ; =>This Loop Header: Depth=1
                                        ;     Child Loop BB755_107 Depth 2
	v_and_b32_e32 v17, 0xff, v21
	s_mov_b32 s12, -1
                                        ; implicit-def: $vgpr21
	s_delay_alu instid0(VALU_DEP_1)
	v_cmp_ne_u16_e32 vcc_lo, 2, v17
	v_mov_b32_e32 v17, v20
                                        ; implicit-def: $vgpr20
	s_cmp_lg_u32 vcc_lo, exec_lo
	s_cbranch_scc1 .LBB755_103
; %bb.105:                              ;   in Loop: Header=BB755_104 Depth=1
	global_load_b64 v[20:21], v18, s[10:11] scale_offset scope:SCOPE_DEV
	s_mov_b32 s12, exec_lo
	s_wait_loadcnt 0x0
	v_and_b32_e32 v22, 0xff, v21
	s_wait_xcnt 0x0
	s_delay_alu instid0(VALU_DEP_1)
	v_cmpx_eq_u16_e32 0, v22
	s_cbranch_execz .LBB755_102
; %bb.106:                              ;   in Loop: Header=BB755_104 Depth=1
	v_lshl_add_u64 v[22:23], v[18:19], 3, s[10:11]
	s_mov_b32 s13, 0
.LBB755_107:                            ;   Parent Loop BB755_104 Depth=1
                                        ; =>  This Inner Loop Header: Depth=2
	global_load_b64 v[20:21], v[22:23], off scope:SCOPE_DEV
	s_wait_loadcnt 0x0
	v_and_b32_e32 v114, 0xff, v21
	s_delay_alu instid0(VALU_DEP_1)
	v_cmp_ne_u16_e32 vcc_lo, 0, v114
	s_or_b32 s13, vcc_lo, s13
	s_wait_xcnt 0x0
	s_and_not1_b32 exec_lo, exec_lo, s13
	s_cbranch_execnz .LBB755_107
; %bb.108:                              ;   in Loop: Header=BB755_104 Depth=1
	s_or_b32 exec_lo, exec_lo, s13
	s_branch .LBB755_102
.LBB755_109:
                                        ; implicit-def: $vgpr18
                                        ; implicit-def: $vgpr16
                                        ; implicit-def: $vgpr99
	s_and_b32 vcc_lo, exec_lo, s8
	s_cbranch_vccnz .LBB755_115
	s_branch .LBB755_124
.LBB755_110:
	s_and_saveexec_b32 s12, s8
	s_cbranch_execz .LBB755_112
; %bb.111:
	s_add_co_i32 s13, s38, 32
	v_dual_mov_b32 v19, 2 :: v_dual_add_nc_u32 v18, v17, v16
	v_dual_mov_b32 v20, s13 :: v_dual_mov_b32 v21, 0
	global_store_b64 v20, v[18:19], s[10:11] scale_offset scope:SCOPE_DEV
	ds_store_b64 v21, v[16:17] offset:15360
.LBB755_112:
	s_wait_xcnt 0x0
	s_or_b32 exec_lo, exec_lo, s12
	v_cmp_eq_u32_e32 vcc_lo, 0, v0
	s_and_b32 exec_lo, exec_lo, vcc_lo
; %bb.113:
	v_mov_b32_e32 v16, 0
	ds_store_b32 v16, v17 offset:28
.LBB755_114:
	s_or_b32 exec_lo, exec_lo, s9
	s_wait_dscnt 0x0
	v_dual_mov_b32 v16, 0 :: v_dual_cndmask_b32 v19, v103, v99, s8
	s_wait_storecnt 0x0
	s_barrier_signal -1
	s_barrier_wait -1
	ds_load_b32 v18, v16 offset:28
	s_wait_dscnt 0x0
	s_barrier_signal -1
	s_barrier_wait -1
	ds_load_b64 v[16:17], v16 offset:15360
	v_cmp_ne_u32_e32 vcc_lo, 0, v0
	v_cndmask_b32_e32 v19, 0, v19, vcc_lo
	s_wait_dscnt 0x0
	s_delay_alu instid0(VALU_DEP_1)
	v_dual_mov_b32 v18, v17 :: v_dual_add_nc_u32 v99, v18, v19
	s_branch .LBB755_124
.LBB755_115:
	v_mov_b32_dpp v16, v102 row_shr:1 row_mask:0xf bank_mask:0xf
	s_delay_alu instid0(VALU_DEP_1) | instskip(NEXT) | instid1(VALU_DEP_1)
	v_cndmask_b32_e64 v16, v16, 0, s7
	v_add_nc_u32_e32 v16, v16, v102
	s_delay_alu instid0(VALU_DEP_1) | instskip(NEXT) | instid1(VALU_DEP_1)
	v_mov_b32_dpp v17, v16 row_shr:2 row_mask:0xf bank_mask:0xf
	v_cndmask_b32_e64 v17, 0, v17, s6
	s_delay_alu instid0(VALU_DEP_1) | instskip(NEXT) | instid1(VALU_DEP_1)
	v_add_nc_u32_e32 v16, v16, v17
	v_mov_b32_dpp v17, v16 row_shr:4 row_mask:0xf bank_mask:0xf
	s_delay_alu instid0(VALU_DEP_1) | instskip(NEXT) | instid1(VALU_DEP_1)
	v_cndmask_b32_e64 v17, 0, v17, s5
	v_add_nc_u32_e32 v16, v16, v17
	s_delay_alu instid0(VALU_DEP_1) | instskip(NEXT) | instid1(VALU_DEP_1)
	v_mov_b32_dpp v17, v16 row_shr:8 row_mask:0xf bank_mask:0xf
	v_cndmask_b32_e64 v17, 0, v17, s4
	s_delay_alu instid0(VALU_DEP_1) | instskip(SKIP_3) | instid1(VALU_DEP_1)
	v_add_nc_u32_e32 v16, v16, v17
	ds_swizzle_b32 v17, v16 offset:swizzle(BROADCAST,32,15)
	s_wait_dscnt 0x0
	v_cndmask_b32_e64 v17, v17, 0, s3
	v_add_nc_u32_e32 v16, v16, v17
	s_and_saveexec_b32 s3, s2
; %bb.116:
	v_lshlrev_b32_e32 v17, 2, v101
	ds_store_b32 v17, v16
; %bb.117:
	s_or_b32 exec_lo, exec_lo, s3
	s_delay_alu instid0(SALU_CYCLE_1)
	s_mov_b32 s2, exec_lo
	s_wait_dscnt 0x0
	s_barrier_signal -1
	s_barrier_wait -1
	v_cmpx_gt_u32_e32 8, v0
	s_cbranch_execz .LBB755_119
; %bb.118:
	v_lshlrev_b32_e32 v17, 2, v0
	v_and_b32_e32 v19, 7, v100
	ds_load_b32 v18, v17
	v_cmp_ne_u32_e32 vcc_lo, 0, v19
	s_wait_dscnt 0x0
	v_mov_b32_dpp v20, v18 row_shr:1 row_mask:0xf bank_mask:0xf
	s_delay_alu instid0(VALU_DEP_1) | instskip(SKIP_1) | instid1(VALU_DEP_2)
	v_cndmask_b32_e32 v20, 0, v20, vcc_lo
	v_cmp_lt_u32_e32 vcc_lo, 1, v19
	v_add_nc_u32_e32 v18, v20, v18
	s_delay_alu instid0(VALU_DEP_1) | instskip(NEXT) | instid1(VALU_DEP_1)
	v_mov_b32_dpp v20, v18 row_shr:2 row_mask:0xf bank_mask:0xf
	v_cndmask_b32_e32 v20, 0, v20, vcc_lo
	v_cmp_lt_u32_e32 vcc_lo, 3, v19
	s_delay_alu instid0(VALU_DEP_2) | instskip(NEXT) | instid1(VALU_DEP_1)
	v_add_nc_u32_e32 v18, v18, v20
	v_mov_b32_dpp v20, v18 row_shr:4 row_mask:0xf bank_mask:0xf
	s_delay_alu instid0(VALU_DEP_1) | instskip(NEXT) | instid1(VALU_DEP_1)
	v_cndmask_b32_e32 v19, 0, v20, vcc_lo
	v_add_nc_u32_e32 v18, v18, v19
	ds_store_b32 v17, v18
.LBB755_119:
	s_or_b32 exec_lo, exec_lo, s2
	v_dual_mov_b32 v17, 0 :: v_dual_mov_b32 v18, 0
	s_mov_b32 s2, exec_lo
	s_wait_dscnt 0x0
	s_barrier_signal -1
	s_barrier_wait -1
	v_cmpx_lt_u32_e32 31, v0
; %bb.120:
	v_lshl_add_u32 v18, v101, 2, -4
	ds_load_b32 v18, v18
; %bb.121:
	s_or_b32 exec_lo, exec_lo, s2
	v_sub_co_u32 v19, vcc_lo, v100, 1
	s_delay_alu instid0(VALU_DEP_1) | instskip(NEXT) | instid1(VALU_DEP_1)
	v_cmp_gt_i32_e64 s2, 0, v19
	v_cndmask_b32_e64 v19, v19, v100, s2
	s_wait_dscnt 0x0
	v_add_nc_u32_e32 v16, v18, v16
	v_cmp_eq_u32_e64 s2, 0, v0
	s_delay_alu instid0(VALU_DEP_3)
	v_lshlrev_b32_e32 v19, 2, v19
	ds_bpermute_b32 v19, v19, v16
	ds_load_b32 v16, v17 offset:28
	s_and_saveexec_b32 s3, s2
	s_cbranch_execz .LBB755_123
; %bb.122:
	v_dual_mov_b32 v20, 0 :: v_dual_mov_b32 v17, 2
	s_wait_xcnt 0x0
	s_wait_dscnt 0x0
	s_wait_kmcnt 0x0
	global_store_b64 v20, v[16:17], s[10:11] offset:256 scope:SCOPE_DEV
.LBB755_123:
	s_wait_xcnt 0x0
	s_or_b32 exec_lo, exec_lo, s3
	s_wait_dscnt 0x1
	v_dual_cndmask_b32 v17, v19, v18 :: v_dual_mov_b32 v18, 0
	s_wait_storecnt_dscnt 0x0
	s_barrier_signal -1
	s_barrier_wait -1
	s_delay_alu instid0(VALU_DEP_1)
	v_cndmask_b32_e64 v99, v17, 0, s2
.LBB755_124:
	s_delay_alu instid0(VALU_DEP_1)
	v_add_nc_u32_e32 v100, v99, v97
	s_load_b64 s[2:3], s[0:1], 0x28
	v_cmp_gt_u32_e32 vcc_lo, 0x101, v16
	s_wait_xcnt 0x0
	s_mov_b32 s0, -1
	v_dual_add_nc_u32 v98, v100, v98 :: v_dual_bitop2_b32 v69, 1, v69 bitop3:0x40
	s_and_b32 vcc_lo, exec_lo, vcc_lo
	s_delay_alu instid0(VALU_DEP_1) | instskip(NEXT) | instid1(VALU_DEP_1)
	v_add_nc_u32_e32 v97, v98, v94
	v_add_nc_u32_e32 v96, v97, v96
	s_delay_alu instid0(VALU_DEP_1) | instskip(NEXT) | instid1(VALU_DEP_1)
	v_add_nc_u32_e32 v94, v96, v86
	v_add_nc_u32_e32 v87, v94, v87
	;; [unrolled: 3-line block ×13, first 2 shown]
	s_delay_alu instid0(VALU_DEP_1)
	v_add_nc_u32_e32 v17, v19, v95
	s_cbranch_vccnz .LBB755_128
; %bb.125:
	s_and_b32 vcc_lo, exec_lo, s0
	s_cbranch_vccnz .LBB755_189
.LBB755_126:
	v_cmp_eq_u32_e32 vcc_lo, 0, v0
	s_and_b32 s0, vcc_lo, s31
	s_delay_alu instid0(SALU_CYCLE_1)
	s_and_saveexec_b32 s1, s0
	s_cbranch_execnz .LBB755_264
.LBB755_127:
	s_sendmsg sendmsg(MSG_DEALLOC_VGPRS)
	s_endpgm
.LBB755_128:
	v_add_nc_u32_e32 v88, v18, v16
	v_cmp_eq_u32_e64 s0, 1, v69
	s_wait_kmcnt 0x0
	s_lshl_b64 s[4:5], s[34:35], 1
	s_delay_alu instid0(SALU_CYCLE_1) | instskip(SKIP_2) | instid1(SALU_CYCLE_1)
	s_add_nc_u64 s[4:5], s[2:3], s[4:5]
	v_cmp_lt_u32_e32 vcc_lo, v99, v88
	s_or_b32 s1, s33, vcc_lo
	s_and_b32 s1, s1, s0
	s_delay_alu instid0(SALU_CYCLE_1)
	s_and_saveexec_b32 s0, s1
	s_cbranch_execz .LBB755_130
; %bb.129:
	global_store_b16 v99, v14, s[4:5] scale_offset
.LBB755_130:
	s_wait_xcnt 0x0
	s_or_b32 exec_lo, exec_lo, s0
	v_and_b32_e32 v89, 1, v68
	v_cmp_lt_u32_e32 vcc_lo, v100, v88
	s_delay_alu instid0(VALU_DEP_2) | instskip(SKIP_1) | instid1(SALU_CYCLE_1)
	v_cmp_eq_u32_e64 s0, 1, v89
	s_or_b32 s1, s33, vcc_lo
	s_and_b32 s1, s1, s0
	s_delay_alu instid0(SALU_CYCLE_1)
	s_and_saveexec_b32 s0, s1
	s_cbranch_execz .LBB755_132
; %bb.131:
	global_store_b16 v100, v39, s[4:5] scale_offset
.LBB755_132:
	s_wait_xcnt 0x0
	s_or_b32 exec_lo, exec_lo, s0
	v_and_b32_e32 v89, 1, v67
	v_cmp_lt_u32_e32 vcc_lo, v98, v88
	s_delay_alu instid0(VALU_DEP_2) | instskip(SKIP_1) | instid1(SALU_CYCLE_1)
	v_cmp_eq_u32_e64 s0, 1, v89
	;; [unrolled: 14-line block ×29, first 2 shown]
	s_or_b32 s1, s33, vcc_lo
	s_and_b32 s1, s1, s0
	s_delay_alu instid0(SALU_CYCLE_1)
	s_and_saveexec_b32 s0, s1
	s_cbranch_execz .LBB755_188
; %bb.187:
	global_store_b16 v17, v25, s[4:5] scale_offset
.LBB755_188:
	s_wait_xcnt 0x0
	s_or_b32 exec_lo, exec_lo, s0
	s_branch .LBB755_126
.LBB755_189:
	s_mov_b32 s0, exec_lo
	v_cmpx_eq_u32_e32 1, v69
; %bb.190:
	v_sub_nc_u32_e32 v69, v99, v18
	s_delay_alu instid0(VALU_DEP_1)
	v_lshlrev_b32_e32 v69, 1, v69
	ds_store_b16 v69, v14
; %bb.191:
	s_or_b32 exec_lo, exec_lo, s0
	v_and_b32_e32 v14, 1, v68
	s_mov_b32 s0, exec_lo
	s_delay_alu instid0(VALU_DEP_1)
	v_cmpx_eq_u32_e32 1, v14
; %bb.192:
	v_sub_nc_u32_e32 v14, v100, v18
	s_delay_alu instid0(VALU_DEP_1)
	v_lshlrev_b32_e32 v14, 1, v14
	ds_store_b16 v14, v39
; %bb.193:
	s_or_b32 exec_lo, exec_lo, s0
	v_and_b32_e32 v14, 1, v67
	s_mov_b32 s0, exec_lo
	s_delay_alu instid0(VALU_DEP_1)
	;; [unrolled: 11-line block ×29, first 2 shown]
	v_cmpx_eq_u32_e32 1, v1
; %bb.248:
	v_sub_nc_u32_e32 v1, v17, v18
	s_delay_alu instid0(VALU_DEP_1)
	v_lshlrev_b32_e32 v1, 1, v1
	ds_store_b16 v1, v25
; %bb.249:
	s_or_b32 exec_lo, exec_lo, s0
	v_or_b32_e32 v1, 0x100, v0
	v_mov_b32_e32 v19, 0
	s_wait_kmcnt 0x0
	s_lshl_b64 s[0:1], s[34:35], 1
	s_wait_storecnt_dscnt 0x0
	s_add_nc_u64 s[0:1], s[2:3], s[0:1]
	v_max_u32_e32 v3, v16, v1
	v_lshlrev_b64_e32 v[4:5], 1, v[18:19]
	s_mov_b32 s3, -1
	s_barrier_signal -1
	s_barrier_wait -1
	v_xad_u32 v2, v0, -1, v3
	s_delay_alu instid0(VALU_DEP_2) | instskip(SKIP_1) | instid1(VALU_DEP_2)
	v_add_nc_u64_e32 v[8:9], s[0:1], v[4:5]
	s_mov_b32 s1, exec_lo
	v_cmp_gt_u32_e64 s0, 0x1b00, v2
	v_cmpx_lt_u32_e32 0x1aff, v2
	s_cbranch_execz .LBB755_260
; %bb.250:
	v_sub_nc_u32_e32 v3, v0, v3
	s_mov_b32 s2, exec_lo
	s_delay_alu instid0(VALU_DEP_1) | instskip(NEXT) | instid1(VALU_DEP_1)
	v_or_b32_e32 v3, 0xff, v3
	v_cmpx_ge_u32_e64 v3, v0
	s_cbranch_execz .LBB755_259
; %bb.251:
	v_lshrrev_b32_e32 v12, 8, v2
	v_or_b32_e32 v3, 0x300, v0
	v_or_b32_e32 v2, 0x200, v0
	s_delay_alu instid0(VALU_DEP_3) | instskip(NEXT) | instid1(VALU_DEP_1)
	v_dual_mov_b32 v19, 0 :: v_dual_add_nc_u32 v4, -3, v12
	v_lshrrev_b32_e32 v5, 2, v4
	v_lshlrev_b32_e32 v13, 1, v0
	v_cmp_lt_u32_e32 vcc_lo, 11, v4
	s_delay_alu instid0(VALU_DEP_3)
	v_add_nc_u32_e32 v14, 1, v5
	v_mov_b64_e32 v[6:7], v[2:3]
	v_mov_b64_e32 v[4:5], v[0:1]
	s_and_saveexec_b32 s3, vcc_lo
	s_cbranch_execz .LBB755_255
; %bb.252:
	v_mov_b64_e32 v[6:7], v[2:3]
	v_mov_b64_e32 v[4:5], v[0:1]
	v_and_b32_e32 v15, 0x7ffffffc, v14
	v_dual_mov_b32 v11, 0 :: v_dual_mov_b32 v17, v13
	s_mov_b32 s4, 0
	s_mov_b32 s5, 0
.LBB755_253:                            ; =>This Inner Loop Header: Depth=1
	s_delay_alu instid0(VALU_DEP_1)
	v_dual_mov_b32 v10, v4 :: v_dual_mov_b32 v23, v11
	ds_load_u16 v1, v17
	ds_load_u16 v44, v17 offset:512
	ds_load_u16 v45, v17 offset:1024
	;; [unrolled: 1-line block ×15, first 2 shown]
	v_add_nc_u32_e32 v17, 0x2000, v17
	v_lshl_add_u64 v[36:37], v[10:11], 1, v[8:9]
	v_dual_mov_b32 v10, v5 :: v_dual_add_nc_u32 v15, -4, v15
	v_dual_mov_b32 v29, v11 :: v_dual_add_nc_u32 v22, 0x400, v5
	v_dual_mov_b32 v35, v11 :: v_dual_add_nc_u32 v28, 0x800, v5
	s_delay_alu instid0(VALU_DEP_3) | instskip(SKIP_2) | instid1(SALU_CYCLE_1)
	v_lshl_add_u64 v[38:39], v[10:11], 1, v[8:9]
	v_mov_b32_e32 v10, v6
	s_add_co_i32 s5, s5, 16
	v_dual_mov_b32 v19, s5 :: v_dual_add_nc_u32 v34, 0xc00, v5
	v_add_nc_u32_e32 v5, 0x1000, v5
	s_delay_alu instid0(VALU_DEP_3)
	v_lshl_add_u64 v[40:41], v[10:11], 1, v[8:9]
	v_mov_b32_e32 v10, v7
	s_wait_dscnt 0xf
	global_store_b16 v[36:37], v1, off
	s_wait_dscnt 0xe
	global_store_b16 v[38:39], v44, off
	;; [unrolled: 2-line block ×3, first 2 shown]
	v_dual_mov_b32 v21, v11 :: v_dual_add_nc_u32 v2, 0x400, v7
	v_lshl_add_u64 v[42:43], v[10:11], 1, v[8:9]
	v_add_nc_u32_e32 v10, 0x400, v4
	v_dual_mov_b32 v3, v11 :: v_dual_add_nc_u32 v20, 0x400, v6
	v_dual_mov_b32 v27, v11 :: v_dual_add_nc_u32 v24, 0x800, v7
	s_wait_xcnt 0x2
	s_delay_alu instid0(VALU_DEP_3)
	v_lshl_add_u64 v[36:37], v[10:11], 1, v[8:9]
	v_add_nc_u32_e32 v10, 0x800, v4
	v_dual_mov_b32 v25, v11 :: v_dual_add_nc_u32 v26, 0x800, v6
	v_cmp_eq_u32_e32 vcc_lo, 0, v15
	v_lshl_add_u64 v[22:23], v[22:23], 1, v[8:9]
	s_wait_dscnt 0xc
	global_store_b16 v[42:43], v46, off
	s_wait_dscnt 0xb
	global_store_b16 v[36:37], v47, off
	s_wait_xcnt 0x0
	v_lshl_add_u64 v[36:37], v[10:11], 1, v[8:9]
	v_add_nc_u32_e32 v10, 0xc00, v4
	v_dual_mov_b32 v33, v11 :: v_dual_add_nc_u32 v30, 0xc00, v7
	v_dual_mov_b32 v31, v11 :: v_dual_add_nc_u32 v32, 0xc00, v6
	v_lshl_add_u64 v[20:21], v[20:21], 1, v[8:9]
	v_add_nc_u32_e32 v6, 0x1000, v6
	v_add_nc_u32_e32 v7, 0x1000, v7
	;; [unrolled: 1-line block ×3, first 2 shown]
	v_lshl_add_u64 v[2:3], v[2:3], 1, v[8:9]
	v_lshl_add_u64 v[28:29], v[28:29], 1, v[8:9]
	;; [unrolled: 1-line block ×4, first 2 shown]
	s_or_b32 s4, vcc_lo, s4
	s_wait_dscnt 0xa
	global_store_b16 v[22:23], v48, off
	s_wait_dscnt 0x9
	global_store_b16 v[20:21], v49, off
	;; [unrolled: 2-line block ×3, first 2 shown]
	s_wait_xcnt 0x0
	v_lshl_add_u64 v[2:3], v[10:11], 1, v[8:9]
	v_lshl_add_u64 v[34:35], v[34:35], 1, v[8:9]
	;; [unrolled: 1-line block ×4, first 2 shown]
	s_wait_dscnt 0x7
	global_store_b16 v[36:37], v51, off
	s_wait_dscnt 0x6
	global_store_b16 v[28:29], v52, off
	;; [unrolled: 2-line block ×8, first 2 shown]
	s_wait_xcnt 0x0
	s_and_not1_b32 exec_lo, exec_lo, s4
	s_cbranch_execnz .LBB755_253
; %bb.254:
	s_or_b32 exec_lo, exec_lo, s4
.LBB755_255:
	s_delay_alu instid0(SALU_CYCLE_1) | instskip(SKIP_3) | instid1(VALU_DEP_1)
	s_or_b32 exec_lo, exec_lo, s3
	v_and_b32_e32 v1, 3, v14
	s_mov_b32 s4, 0
	s_mov_b32 s3, exec_lo
	v_cmpx_ne_u32_e32 0, v1
	s_cbranch_execz .LBB755_258
; %bb.256:
	v_lshl_or_b32 v10, v19, 9, v13
	v_mov_b32_e32 v3, 0
.LBB755_257:                            ; =>This Inner Loop Header: Depth=1
	v_dual_mov_b32 v2, v4 :: v_dual_add_nc_u32 v1, -1, v1
	ds_load_u16 v11, v10
	ds_load_u16 v13, v10 offset:512
	ds_load_u16 v17, v10 offset:1024
	;; [unrolled: 1-line block ×3, first 2 shown]
	v_add_nc_u32_e32 v4, 0x400, v4
	v_add_nc_u32_e32 v10, 0x800, v10
	v_lshl_add_u64 v[14:15], v[2:3], 1, v[8:9]
	v_dual_mov_b32 v2, v5 :: v_dual_add_nc_u32 v5, 0x400, v5
	v_cmp_eq_u32_e32 vcc_lo, 0, v1
	s_delay_alu instid0(VALU_DEP_2) | instskip(SKIP_3) | instid1(VALU_DEP_2)
	v_lshl_add_u64 v[20:21], v[2:3], 1, v[8:9]
	v_mov_b32_e32 v2, v6
	v_add_nc_u32_e32 v6, 0x400, v6
	s_or_b32 s4, vcc_lo, s4
	v_lshl_add_u64 v[22:23], v[2:3], 1, v[8:9]
	v_dual_mov_b32 v2, v7 :: v_dual_add_nc_u32 v7, 0x400, v7
	s_delay_alu instid0(VALU_DEP_1)
	v_lshl_add_u64 v[24:25], v[2:3], 1, v[8:9]
	s_wait_dscnt 0x3
	global_store_b16 v[14:15], v11, off
	s_wait_dscnt 0x2
	global_store_b16 v[20:21], v13, off
	;; [unrolled: 2-line block ×4, first 2 shown]
	s_wait_xcnt 0x0
	s_and_not1_b32 exec_lo, exec_lo, s4
	s_cbranch_execnz .LBB755_257
.LBB755_258:
	s_or_b32 exec_lo, exec_lo, s3
	v_add_nc_u32_e32 v1, 1, v12
	s_delay_alu instid0(VALU_DEP_1) | instskip(NEXT) | instid1(VALU_DEP_1)
	v_and_b32_e32 v2, 0x1fffffc, v1
	v_cmp_ne_u32_e32 vcc_lo, v1, v2
	v_lshl_or_b32 v24, v2, 8, v0
	s_or_not1_b32 s3, vcc_lo, exec_lo
.LBB755_259:
	s_or_b32 exec_lo, exec_lo, s2
	s_delay_alu instid0(SALU_CYCLE_1) | instskip(SKIP_1) | instid1(SALU_CYCLE_1)
	s_and_not1_b32 s0, s0, exec_lo
	s_and_b32 s2, s3, exec_lo
	s_or_b32 s0, s0, s2
.LBB755_260:
	s_or_b32 exec_lo, exec_lo, s1
	s_and_saveexec_b32 s1, s0
	s_cbranch_execz .LBB755_263
; %bb.261:
	v_lshlrev_b32_e32 v1, 1, v24
	s_mov_b32 s0, 0
.LBB755_262:                            ; =>This Inner Loop Header: Depth=1
	ds_load_u16 v2, v1
	v_readfirstlane_b32 s2, v8
	v_readfirstlane_b32 s3, v9
	v_add_nc_u32_e32 v1, 0x200, v1
	s_wait_dscnt 0x0
	global_store_b16 v24, v2, s[2:3] scale_offset
	s_wait_xcnt 0x0
	v_add_nc_u32_e32 v24, 0x100, v24
	s_delay_alu instid0(VALU_DEP_1) | instskip(SKIP_1) | instid1(SALU_CYCLE_1)
	v_cmp_ge_u32_e32 vcc_lo, v24, v16
	s_or_b32 s0, vcc_lo, s0
	s_and_not1_b32 exec_lo, exec_lo, s0
	s_cbranch_execnz .LBB755_262
.LBB755_263:
	s_or_b32 exec_lo, exec_lo, s1
	v_cmp_eq_u32_e32 vcc_lo, 0, v0
	s_and_b32 s0, vcc_lo, s31
	s_delay_alu instid0(SALU_CYCLE_1)
	s_and_saveexec_b32 s1, s0
	s_cbranch_execz .LBB755_127
.LBB755_264:
	v_mov_b32_e32 v17, 0
	s_wait_kmcnt 0x0
	s_delay_alu instid0(VALU_DEP_1) | instskip(SKIP_1) | instid1(VALU_DEP_1)
	v_add_nc_u64_e32 v[0:1], s[34:35], v[16:17]
	v_mov_b32_e32 v19, v17
	v_add_nc_u64_e32 v[0:1], v[0:1], v[18:19]
	global_store_b64 v17, v[0:1], s[36:37]
	s_sendmsg sendmsg(MSG_DEALLOC_VGPRS)
	s_endpgm
	.section	.rodata,"a",@progbits
	.p2align	6, 0x0
	.amdhsa_kernel _ZN7rocprim17ROCPRIM_400000_NS6detail17trampoline_kernelINS0_14default_configENS1_25partition_config_selectorILNS1_17partition_subalgoE8EtNS0_10empty_typeEbEEZZNS1_14partition_implILS5_8ELb0ES3_jPKtPS6_PKS6_NS0_5tupleIJPtS6_EEENSE_IJSB_SB_EEENS0_18inequality_wrapperIN6hipcub16HIPCUB_304000_NS8EqualityEEEPlJS6_EEE10hipError_tPvRmT3_T4_T5_T6_T7_T9_mT8_P12ihipStream_tbDpT10_ENKUlT_T0_E_clISt17integral_constantIbLb0EES17_EEDaS12_S13_EUlS12_E_NS1_11comp_targetILNS1_3genE0ELNS1_11target_archE4294967295ELNS1_3gpuE0ELNS1_3repE0EEENS1_30default_config_static_selectorELNS0_4arch9wavefront6targetE0EEEvT1_
		.amdhsa_group_segment_fixed_size 15368
		.amdhsa_private_segment_fixed_size 0
		.amdhsa_kernarg_size 112
		.amdhsa_user_sgpr_count 2
		.amdhsa_user_sgpr_dispatch_ptr 0
		.amdhsa_user_sgpr_queue_ptr 0
		.amdhsa_user_sgpr_kernarg_segment_ptr 1
		.amdhsa_user_sgpr_dispatch_id 0
		.amdhsa_user_sgpr_kernarg_preload_length 0
		.amdhsa_user_sgpr_kernarg_preload_offset 0
		.amdhsa_user_sgpr_private_segment_size 0
		.amdhsa_wavefront_size32 1
		.amdhsa_uses_dynamic_stack 0
		.amdhsa_enable_private_segment 0
		.amdhsa_system_sgpr_workgroup_id_x 1
		.amdhsa_system_sgpr_workgroup_id_y 0
		.amdhsa_system_sgpr_workgroup_id_z 0
		.amdhsa_system_sgpr_workgroup_info 0
		.amdhsa_system_vgpr_workitem_id 0
		.amdhsa_next_free_vgpr 115
		.amdhsa_next_free_sgpr 49
		.amdhsa_named_barrier_count 0
		.amdhsa_reserve_vcc 1
		.amdhsa_float_round_mode_32 0
		.amdhsa_float_round_mode_16_64 0
		.amdhsa_float_denorm_mode_32 3
		.amdhsa_float_denorm_mode_16_64 3
		.amdhsa_fp16_overflow 0
		.amdhsa_memory_ordered 1
		.amdhsa_forward_progress 1
		.amdhsa_inst_pref_size 109
		.amdhsa_round_robin_scheduling 0
		.amdhsa_exception_fp_ieee_invalid_op 0
		.amdhsa_exception_fp_denorm_src 0
		.amdhsa_exception_fp_ieee_div_zero 0
		.amdhsa_exception_fp_ieee_overflow 0
		.amdhsa_exception_fp_ieee_underflow 0
		.amdhsa_exception_fp_ieee_inexact 0
		.amdhsa_exception_int_div_zero 0
	.end_amdhsa_kernel
	.section	.text._ZN7rocprim17ROCPRIM_400000_NS6detail17trampoline_kernelINS0_14default_configENS1_25partition_config_selectorILNS1_17partition_subalgoE8EtNS0_10empty_typeEbEEZZNS1_14partition_implILS5_8ELb0ES3_jPKtPS6_PKS6_NS0_5tupleIJPtS6_EEENSE_IJSB_SB_EEENS0_18inequality_wrapperIN6hipcub16HIPCUB_304000_NS8EqualityEEEPlJS6_EEE10hipError_tPvRmT3_T4_T5_T6_T7_T9_mT8_P12ihipStream_tbDpT10_ENKUlT_T0_E_clISt17integral_constantIbLb0EES17_EEDaS12_S13_EUlS12_E_NS1_11comp_targetILNS1_3genE0ELNS1_11target_archE4294967295ELNS1_3gpuE0ELNS1_3repE0EEENS1_30default_config_static_selectorELNS0_4arch9wavefront6targetE0EEEvT1_,"axG",@progbits,_ZN7rocprim17ROCPRIM_400000_NS6detail17trampoline_kernelINS0_14default_configENS1_25partition_config_selectorILNS1_17partition_subalgoE8EtNS0_10empty_typeEbEEZZNS1_14partition_implILS5_8ELb0ES3_jPKtPS6_PKS6_NS0_5tupleIJPtS6_EEENSE_IJSB_SB_EEENS0_18inequality_wrapperIN6hipcub16HIPCUB_304000_NS8EqualityEEEPlJS6_EEE10hipError_tPvRmT3_T4_T5_T6_T7_T9_mT8_P12ihipStream_tbDpT10_ENKUlT_T0_E_clISt17integral_constantIbLb0EES17_EEDaS12_S13_EUlS12_E_NS1_11comp_targetILNS1_3genE0ELNS1_11target_archE4294967295ELNS1_3gpuE0ELNS1_3repE0EEENS1_30default_config_static_selectorELNS0_4arch9wavefront6targetE0EEEvT1_,comdat
.Lfunc_end755:
	.size	_ZN7rocprim17ROCPRIM_400000_NS6detail17trampoline_kernelINS0_14default_configENS1_25partition_config_selectorILNS1_17partition_subalgoE8EtNS0_10empty_typeEbEEZZNS1_14partition_implILS5_8ELb0ES3_jPKtPS6_PKS6_NS0_5tupleIJPtS6_EEENSE_IJSB_SB_EEENS0_18inequality_wrapperIN6hipcub16HIPCUB_304000_NS8EqualityEEEPlJS6_EEE10hipError_tPvRmT3_T4_T5_T6_T7_T9_mT8_P12ihipStream_tbDpT10_ENKUlT_T0_E_clISt17integral_constantIbLb0EES17_EEDaS12_S13_EUlS12_E_NS1_11comp_targetILNS1_3genE0ELNS1_11target_archE4294967295ELNS1_3gpuE0ELNS1_3repE0EEENS1_30default_config_static_selectorELNS0_4arch9wavefront6targetE0EEEvT1_, .Lfunc_end755-_ZN7rocprim17ROCPRIM_400000_NS6detail17trampoline_kernelINS0_14default_configENS1_25partition_config_selectorILNS1_17partition_subalgoE8EtNS0_10empty_typeEbEEZZNS1_14partition_implILS5_8ELb0ES3_jPKtPS6_PKS6_NS0_5tupleIJPtS6_EEENSE_IJSB_SB_EEENS0_18inequality_wrapperIN6hipcub16HIPCUB_304000_NS8EqualityEEEPlJS6_EEE10hipError_tPvRmT3_T4_T5_T6_T7_T9_mT8_P12ihipStream_tbDpT10_ENKUlT_T0_E_clISt17integral_constantIbLb0EES17_EEDaS12_S13_EUlS12_E_NS1_11comp_targetILNS1_3genE0ELNS1_11target_archE4294967295ELNS1_3gpuE0ELNS1_3repE0EEENS1_30default_config_static_selectorELNS0_4arch9wavefront6targetE0EEEvT1_
                                        ; -- End function
	.set _ZN7rocprim17ROCPRIM_400000_NS6detail17trampoline_kernelINS0_14default_configENS1_25partition_config_selectorILNS1_17partition_subalgoE8EtNS0_10empty_typeEbEEZZNS1_14partition_implILS5_8ELb0ES3_jPKtPS6_PKS6_NS0_5tupleIJPtS6_EEENSE_IJSB_SB_EEENS0_18inequality_wrapperIN6hipcub16HIPCUB_304000_NS8EqualityEEEPlJS6_EEE10hipError_tPvRmT3_T4_T5_T6_T7_T9_mT8_P12ihipStream_tbDpT10_ENKUlT_T0_E_clISt17integral_constantIbLb0EES17_EEDaS12_S13_EUlS12_E_NS1_11comp_targetILNS1_3genE0ELNS1_11target_archE4294967295ELNS1_3gpuE0ELNS1_3repE0EEENS1_30default_config_static_selectorELNS0_4arch9wavefront6targetE0EEEvT1_.num_vgpr, 115
	.set _ZN7rocprim17ROCPRIM_400000_NS6detail17trampoline_kernelINS0_14default_configENS1_25partition_config_selectorILNS1_17partition_subalgoE8EtNS0_10empty_typeEbEEZZNS1_14partition_implILS5_8ELb0ES3_jPKtPS6_PKS6_NS0_5tupleIJPtS6_EEENSE_IJSB_SB_EEENS0_18inequality_wrapperIN6hipcub16HIPCUB_304000_NS8EqualityEEEPlJS6_EEE10hipError_tPvRmT3_T4_T5_T6_T7_T9_mT8_P12ihipStream_tbDpT10_ENKUlT_T0_E_clISt17integral_constantIbLb0EES17_EEDaS12_S13_EUlS12_E_NS1_11comp_targetILNS1_3genE0ELNS1_11target_archE4294967295ELNS1_3gpuE0ELNS1_3repE0EEENS1_30default_config_static_selectorELNS0_4arch9wavefront6targetE0EEEvT1_.num_agpr, 0
	.set _ZN7rocprim17ROCPRIM_400000_NS6detail17trampoline_kernelINS0_14default_configENS1_25partition_config_selectorILNS1_17partition_subalgoE8EtNS0_10empty_typeEbEEZZNS1_14partition_implILS5_8ELb0ES3_jPKtPS6_PKS6_NS0_5tupleIJPtS6_EEENSE_IJSB_SB_EEENS0_18inequality_wrapperIN6hipcub16HIPCUB_304000_NS8EqualityEEEPlJS6_EEE10hipError_tPvRmT3_T4_T5_T6_T7_T9_mT8_P12ihipStream_tbDpT10_ENKUlT_T0_E_clISt17integral_constantIbLb0EES17_EEDaS12_S13_EUlS12_E_NS1_11comp_targetILNS1_3genE0ELNS1_11target_archE4294967295ELNS1_3gpuE0ELNS1_3repE0EEENS1_30default_config_static_selectorELNS0_4arch9wavefront6targetE0EEEvT1_.numbered_sgpr, 49
	.set _ZN7rocprim17ROCPRIM_400000_NS6detail17trampoline_kernelINS0_14default_configENS1_25partition_config_selectorILNS1_17partition_subalgoE8EtNS0_10empty_typeEbEEZZNS1_14partition_implILS5_8ELb0ES3_jPKtPS6_PKS6_NS0_5tupleIJPtS6_EEENSE_IJSB_SB_EEENS0_18inequality_wrapperIN6hipcub16HIPCUB_304000_NS8EqualityEEEPlJS6_EEE10hipError_tPvRmT3_T4_T5_T6_T7_T9_mT8_P12ihipStream_tbDpT10_ENKUlT_T0_E_clISt17integral_constantIbLb0EES17_EEDaS12_S13_EUlS12_E_NS1_11comp_targetILNS1_3genE0ELNS1_11target_archE4294967295ELNS1_3gpuE0ELNS1_3repE0EEENS1_30default_config_static_selectorELNS0_4arch9wavefront6targetE0EEEvT1_.num_named_barrier, 0
	.set _ZN7rocprim17ROCPRIM_400000_NS6detail17trampoline_kernelINS0_14default_configENS1_25partition_config_selectorILNS1_17partition_subalgoE8EtNS0_10empty_typeEbEEZZNS1_14partition_implILS5_8ELb0ES3_jPKtPS6_PKS6_NS0_5tupleIJPtS6_EEENSE_IJSB_SB_EEENS0_18inequality_wrapperIN6hipcub16HIPCUB_304000_NS8EqualityEEEPlJS6_EEE10hipError_tPvRmT3_T4_T5_T6_T7_T9_mT8_P12ihipStream_tbDpT10_ENKUlT_T0_E_clISt17integral_constantIbLb0EES17_EEDaS12_S13_EUlS12_E_NS1_11comp_targetILNS1_3genE0ELNS1_11target_archE4294967295ELNS1_3gpuE0ELNS1_3repE0EEENS1_30default_config_static_selectorELNS0_4arch9wavefront6targetE0EEEvT1_.private_seg_size, 0
	.set _ZN7rocprim17ROCPRIM_400000_NS6detail17trampoline_kernelINS0_14default_configENS1_25partition_config_selectorILNS1_17partition_subalgoE8EtNS0_10empty_typeEbEEZZNS1_14partition_implILS5_8ELb0ES3_jPKtPS6_PKS6_NS0_5tupleIJPtS6_EEENSE_IJSB_SB_EEENS0_18inequality_wrapperIN6hipcub16HIPCUB_304000_NS8EqualityEEEPlJS6_EEE10hipError_tPvRmT3_T4_T5_T6_T7_T9_mT8_P12ihipStream_tbDpT10_ENKUlT_T0_E_clISt17integral_constantIbLb0EES17_EEDaS12_S13_EUlS12_E_NS1_11comp_targetILNS1_3genE0ELNS1_11target_archE4294967295ELNS1_3gpuE0ELNS1_3repE0EEENS1_30default_config_static_selectorELNS0_4arch9wavefront6targetE0EEEvT1_.uses_vcc, 1
	.set _ZN7rocprim17ROCPRIM_400000_NS6detail17trampoline_kernelINS0_14default_configENS1_25partition_config_selectorILNS1_17partition_subalgoE8EtNS0_10empty_typeEbEEZZNS1_14partition_implILS5_8ELb0ES3_jPKtPS6_PKS6_NS0_5tupleIJPtS6_EEENSE_IJSB_SB_EEENS0_18inequality_wrapperIN6hipcub16HIPCUB_304000_NS8EqualityEEEPlJS6_EEE10hipError_tPvRmT3_T4_T5_T6_T7_T9_mT8_P12ihipStream_tbDpT10_ENKUlT_T0_E_clISt17integral_constantIbLb0EES17_EEDaS12_S13_EUlS12_E_NS1_11comp_targetILNS1_3genE0ELNS1_11target_archE4294967295ELNS1_3gpuE0ELNS1_3repE0EEENS1_30default_config_static_selectorELNS0_4arch9wavefront6targetE0EEEvT1_.uses_flat_scratch, 0
	.set _ZN7rocprim17ROCPRIM_400000_NS6detail17trampoline_kernelINS0_14default_configENS1_25partition_config_selectorILNS1_17partition_subalgoE8EtNS0_10empty_typeEbEEZZNS1_14partition_implILS5_8ELb0ES3_jPKtPS6_PKS6_NS0_5tupleIJPtS6_EEENSE_IJSB_SB_EEENS0_18inequality_wrapperIN6hipcub16HIPCUB_304000_NS8EqualityEEEPlJS6_EEE10hipError_tPvRmT3_T4_T5_T6_T7_T9_mT8_P12ihipStream_tbDpT10_ENKUlT_T0_E_clISt17integral_constantIbLb0EES17_EEDaS12_S13_EUlS12_E_NS1_11comp_targetILNS1_3genE0ELNS1_11target_archE4294967295ELNS1_3gpuE0ELNS1_3repE0EEENS1_30default_config_static_selectorELNS0_4arch9wavefront6targetE0EEEvT1_.has_dyn_sized_stack, 0
	.set _ZN7rocprim17ROCPRIM_400000_NS6detail17trampoline_kernelINS0_14default_configENS1_25partition_config_selectorILNS1_17partition_subalgoE8EtNS0_10empty_typeEbEEZZNS1_14partition_implILS5_8ELb0ES3_jPKtPS6_PKS6_NS0_5tupleIJPtS6_EEENSE_IJSB_SB_EEENS0_18inequality_wrapperIN6hipcub16HIPCUB_304000_NS8EqualityEEEPlJS6_EEE10hipError_tPvRmT3_T4_T5_T6_T7_T9_mT8_P12ihipStream_tbDpT10_ENKUlT_T0_E_clISt17integral_constantIbLb0EES17_EEDaS12_S13_EUlS12_E_NS1_11comp_targetILNS1_3genE0ELNS1_11target_archE4294967295ELNS1_3gpuE0ELNS1_3repE0EEENS1_30default_config_static_selectorELNS0_4arch9wavefront6targetE0EEEvT1_.has_recursion, 0
	.set _ZN7rocprim17ROCPRIM_400000_NS6detail17trampoline_kernelINS0_14default_configENS1_25partition_config_selectorILNS1_17partition_subalgoE8EtNS0_10empty_typeEbEEZZNS1_14partition_implILS5_8ELb0ES3_jPKtPS6_PKS6_NS0_5tupleIJPtS6_EEENSE_IJSB_SB_EEENS0_18inequality_wrapperIN6hipcub16HIPCUB_304000_NS8EqualityEEEPlJS6_EEE10hipError_tPvRmT3_T4_T5_T6_T7_T9_mT8_P12ihipStream_tbDpT10_ENKUlT_T0_E_clISt17integral_constantIbLb0EES17_EEDaS12_S13_EUlS12_E_NS1_11comp_targetILNS1_3genE0ELNS1_11target_archE4294967295ELNS1_3gpuE0ELNS1_3repE0EEENS1_30default_config_static_selectorELNS0_4arch9wavefront6targetE0EEEvT1_.has_indirect_call, 0
	.section	.AMDGPU.csdata,"",@progbits
; Kernel info:
; codeLenInByte = 13940
; TotalNumSgprs: 51
; NumVgprs: 115
; ScratchSize: 0
; MemoryBound: 0
; FloatMode: 240
; IeeeMode: 1
; LDSByteSize: 15368 bytes/workgroup (compile time only)
; SGPRBlocks: 0
; VGPRBlocks: 7
; NumSGPRsForWavesPerEU: 51
; NumVGPRsForWavesPerEU: 115
; NamedBarCnt: 0
; Occupancy: 8
; WaveLimiterHint : 1
; COMPUTE_PGM_RSRC2:SCRATCH_EN: 0
; COMPUTE_PGM_RSRC2:USER_SGPR: 2
; COMPUTE_PGM_RSRC2:TRAP_HANDLER: 0
; COMPUTE_PGM_RSRC2:TGID_X_EN: 1
; COMPUTE_PGM_RSRC2:TGID_Y_EN: 0
; COMPUTE_PGM_RSRC2:TGID_Z_EN: 0
; COMPUTE_PGM_RSRC2:TIDIG_COMP_CNT: 0
	.section	.text._ZN7rocprim17ROCPRIM_400000_NS6detail17trampoline_kernelINS0_14default_configENS1_25partition_config_selectorILNS1_17partition_subalgoE8EtNS0_10empty_typeEbEEZZNS1_14partition_implILS5_8ELb0ES3_jPKtPS6_PKS6_NS0_5tupleIJPtS6_EEENSE_IJSB_SB_EEENS0_18inequality_wrapperIN6hipcub16HIPCUB_304000_NS8EqualityEEEPlJS6_EEE10hipError_tPvRmT3_T4_T5_T6_T7_T9_mT8_P12ihipStream_tbDpT10_ENKUlT_T0_E_clISt17integral_constantIbLb0EES17_EEDaS12_S13_EUlS12_E_NS1_11comp_targetILNS1_3genE5ELNS1_11target_archE942ELNS1_3gpuE9ELNS1_3repE0EEENS1_30default_config_static_selectorELNS0_4arch9wavefront6targetE0EEEvT1_,"axG",@progbits,_ZN7rocprim17ROCPRIM_400000_NS6detail17trampoline_kernelINS0_14default_configENS1_25partition_config_selectorILNS1_17partition_subalgoE8EtNS0_10empty_typeEbEEZZNS1_14partition_implILS5_8ELb0ES3_jPKtPS6_PKS6_NS0_5tupleIJPtS6_EEENSE_IJSB_SB_EEENS0_18inequality_wrapperIN6hipcub16HIPCUB_304000_NS8EqualityEEEPlJS6_EEE10hipError_tPvRmT3_T4_T5_T6_T7_T9_mT8_P12ihipStream_tbDpT10_ENKUlT_T0_E_clISt17integral_constantIbLb0EES17_EEDaS12_S13_EUlS12_E_NS1_11comp_targetILNS1_3genE5ELNS1_11target_archE942ELNS1_3gpuE9ELNS1_3repE0EEENS1_30default_config_static_selectorELNS0_4arch9wavefront6targetE0EEEvT1_,comdat
	.protected	_ZN7rocprim17ROCPRIM_400000_NS6detail17trampoline_kernelINS0_14default_configENS1_25partition_config_selectorILNS1_17partition_subalgoE8EtNS0_10empty_typeEbEEZZNS1_14partition_implILS5_8ELb0ES3_jPKtPS6_PKS6_NS0_5tupleIJPtS6_EEENSE_IJSB_SB_EEENS0_18inequality_wrapperIN6hipcub16HIPCUB_304000_NS8EqualityEEEPlJS6_EEE10hipError_tPvRmT3_T4_T5_T6_T7_T9_mT8_P12ihipStream_tbDpT10_ENKUlT_T0_E_clISt17integral_constantIbLb0EES17_EEDaS12_S13_EUlS12_E_NS1_11comp_targetILNS1_3genE5ELNS1_11target_archE942ELNS1_3gpuE9ELNS1_3repE0EEENS1_30default_config_static_selectorELNS0_4arch9wavefront6targetE0EEEvT1_ ; -- Begin function _ZN7rocprim17ROCPRIM_400000_NS6detail17trampoline_kernelINS0_14default_configENS1_25partition_config_selectorILNS1_17partition_subalgoE8EtNS0_10empty_typeEbEEZZNS1_14partition_implILS5_8ELb0ES3_jPKtPS6_PKS6_NS0_5tupleIJPtS6_EEENSE_IJSB_SB_EEENS0_18inequality_wrapperIN6hipcub16HIPCUB_304000_NS8EqualityEEEPlJS6_EEE10hipError_tPvRmT3_T4_T5_T6_T7_T9_mT8_P12ihipStream_tbDpT10_ENKUlT_T0_E_clISt17integral_constantIbLb0EES17_EEDaS12_S13_EUlS12_E_NS1_11comp_targetILNS1_3genE5ELNS1_11target_archE942ELNS1_3gpuE9ELNS1_3repE0EEENS1_30default_config_static_selectorELNS0_4arch9wavefront6targetE0EEEvT1_
	.globl	_ZN7rocprim17ROCPRIM_400000_NS6detail17trampoline_kernelINS0_14default_configENS1_25partition_config_selectorILNS1_17partition_subalgoE8EtNS0_10empty_typeEbEEZZNS1_14partition_implILS5_8ELb0ES3_jPKtPS6_PKS6_NS0_5tupleIJPtS6_EEENSE_IJSB_SB_EEENS0_18inequality_wrapperIN6hipcub16HIPCUB_304000_NS8EqualityEEEPlJS6_EEE10hipError_tPvRmT3_T4_T5_T6_T7_T9_mT8_P12ihipStream_tbDpT10_ENKUlT_T0_E_clISt17integral_constantIbLb0EES17_EEDaS12_S13_EUlS12_E_NS1_11comp_targetILNS1_3genE5ELNS1_11target_archE942ELNS1_3gpuE9ELNS1_3repE0EEENS1_30default_config_static_selectorELNS0_4arch9wavefront6targetE0EEEvT1_
	.p2align	8
	.type	_ZN7rocprim17ROCPRIM_400000_NS6detail17trampoline_kernelINS0_14default_configENS1_25partition_config_selectorILNS1_17partition_subalgoE8EtNS0_10empty_typeEbEEZZNS1_14partition_implILS5_8ELb0ES3_jPKtPS6_PKS6_NS0_5tupleIJPtS6_EEENSE_IJSB_SB_EEENS0_18inequality_wrapperIN6hipcub16HIPCUB_304000_NS8EqualityEEEPlJS6_EEE10hipError_tPvRmT3_T4_T5_T6_T7_T9_mT8_P12ihipStream_tbDpT10_ENKUlT_T0_E_clISt17integral_constantIbLb0EES17_EEDaS12_S13_EUlS12_E_NS1_11comp_targetILNS1_3genE5ELNS1_11target_archE942ELNS1_3gpuE9ELNS1_3repE0EEENS1_30default_config_static_selectorELNS0_4arch9wavefront6targetE0EEEvT1_,@function
_ZN7rocprim17ROCPRIM_400000_NS6detail17trampoline_kernelINS0_14default_configENS1_25partition_config_selectorILNS1_17partition_subalgoE8EtNS0_10empty_typeEbEEZZNS1_14partition_implILS5_8ELb0ES3_jPKtPS6_PKS6_NS0_5tupleIJPtS6_EEENSE_IJSB_SB_EEENS0_18inequality_wrapperIN6hipcub16HIPCUB_304000_NS8EqualityEEEPlJS6_EEE10hipError_tPvRmT3_T4_T5_T6_T7_T9_mT8_P12ihipStream_tbDpT10_ENKUlT_T0_E_clISt17integral_constantIbLb0EES17_EEDaS12_S13_EUlS12_E_NS1_11comp_targetILNS1_3genE5ELNS1_11target_archE942ELNS1_3gpuE9ELNS1_3repE0EEENS1_30default_config_static_selectorELNS0_4arch9wavefront6targetE0EEEvT1_: ; @_ZN7rocprim17ROCPRIM_400000_NS6detail17trampoline_kernelINS0_14default_configENS1_25partition_config_selectorILNS1_17partition_subalgoE8EtNS0_10empty_typeEbEEZZNS1_14partition_implILS5_8ELb0ES3_jPKtPS6_PKS6_NS0_5tupleIJPtS6_EEENSE_IJSB_SB_EEENS0_18inequality_wrapperIN6hipcub16HIPCUB_304000_NS8EqualityEEEPlJS6_EEE10hipError_tPvRmT3_T4_T5_T6_T7_T9_mT8_P12ihipStream_tbDpT10_ENKUlT_T0_E_clISt17integral_constantIbLb0EES17_EEDaS12_S13_EUlS12_E_NS1_11comp_targetILNS1_3genE5ELNS1_11target_archE942ELNS1_3gpuE9ELNS1_3repE0EEENS1_30default_config_static_selectorELNS0_4arch9wavefront6targetE0EEEvT1_
; %bb.0:
	.section	.rodata,"a",@progbits
	.p2align	6, 0x0
	.amdhsa_kernel _ZN7rocprim17ROCPRIM_400000_NS6detail17trampoline_kernelINS0_14default_configENS1_25partition_config_selectorILNS1_17partition_subalgoE8EtNS0_10empty_typeEbEEZZNS1_14partition_implILS5_8ELb0ES3_jPKtPS6_PKS6_NS0_5tupleIJPtS6_EEENSE_IJSB_SB_EEENS0_18inequality_wrapperIN6hipcub16HIPCUB_304000_NS8EqualityEEEPlJS6_EEE10hipError_tPvRmT3_T4_T5_T6_T7_T9_mT8_P12ihipStream_tbDpT10_ENKUlT_T0_E_clISt17integral_constantIbLb0EES17_EEDaS12_S13_EUlS12_E_NS1_11comp_targetILNS1_3genE5ELNS1_11target_archE942ELNS1_3gpuE9ELNS1_3repE0EEENS1_30default_config_static_selectorELNS0_4arch9wavefront6targetE0EEEvT1_
		.amdhsa_group_segment_fixed_size 0
		.amdhsa_private_segment_fixed_size 0
		.amdhsa_kernarg_size 112
		.amdhsa_user_sgpr_count 2
		.amdhsa_user_sgpr_dispatch_ptr 0
		.amdhsa_user_sgpr_queue_ptr 0
		.amdhsa_user_sgpr_kernarg_segment_ptr 1
		.amdhsa_user_sgpr_dispatch_id 0
		.amdhsa_user_sgpr_kernarg_preload_length 0
		.amdhsa_user_sgpr_kernarg_preload_offset 0
		.amdhsa_user_sgpr_private_segment_size 0
		.amdhsa_wavefront_size32 1
		.amdhsa_uses_dynamic_stack 0
		.amdhsa_enable_private_segment 0
		.amdhsa_system_sgpr_workgroup_id_x 1
		.amdhsa_system_sgpr_workgroup_id_y 0
		.amdhsa_system_sgpr_workgroup_id_z 0
		.amdhsa_system_sgpr_workgroup_info 0
		.amdhsa_system_vgpr_workitem_id 0
		.amdhsa_next_free_vgpr 1
		.amdhsa_next_free_sgpr 1
		.amdhsa_named_barrier_count 0
		.amdhsa_reserve_vcc 0
		.amdhsa_float_round_mode_32 0
		.amdhsa_float_round_mode_16_64 0
		.amdhsa_float_denorm_mode_32 3
		.amdhsa_float_denorm_mode_16_64 3
		.amdhsa_fp16_overflow 0
		.amdhsa_memory_ordered 1
		.amdhsa_forward_progress 1
		.amdhsa_inst_pref_size 0
		.amdhsa_round_robin_scheduling 0
		.amdhsa_exception_fp_ieee_invalid_op 0
		.amdhsa_exception_fp_denorm_src 0
		.amdhsa_exception_fp_ieee_div_zero 0
		.amdhsa_exception_fp_ieee_overflow 0
		.amdhsa_exception_fp_ieee_underflow 0
		.amdhsa_exception_fp_ieee_inexact 0
		.amdhsa_exception_int_div_zero 0
	.end_amdhsa_kernel
	.section	.text._ZN7rocprim17ROCPRIM_400000_NS6detail17trampoline_kernelINS0_14default_configENS1_25partition_config_selectorILNS1_17partition_subalgoE8EtNS0_10empty_typeEbEEZZNS1_14partition_implILS5_8ELb0ES3_jPKtPS6_PKS6_NS0_5tupleIJPtS6_EEENSE_IJSB_SB_EEENS0_18inequality_wrapperIN6hipcub16HIPCUB_304000_NS8EqualityEEEPlJS6_EEE10hipError_tPvRmT3_T4_T5_T6_T7_T9_mT8_P12ihipStream_tbDpT10_ENKUlT_T0_E_clISt17integral_constantIbLb0EES17_EEDaS12_S13_EUlS12_E_NS1_11comp_targetILNS1_3genE5ELNS1_11target_archE942ELNS1_3gpuE9ELNS1_3repE0EEENS1_30default_config_static_selectorELNS0_4arch9wavefront6targetE0EEEvT1_,"axG",@progbits,_ZN7rocprim17ROCPRIM_400000_NS6detail17trampoline_kernelINS0_14default_configENS1_25partition_config_selectorILNS1_17partition_subalgoE8EtNS0_10empty_typeEbEEZZNS1_14partition_implILS5_8ELb0ES3_jPKtPS6_PKS6_NS0_5tupleIJPtS6_EEENSE_IJSB_SB_EEENS0_18inequality_wrapperIN6hipcub16HIPCUB_304000_NS8EqualityEEEPlJS6_EEE10hipError_tPvRmT3_T4_T5_T6_T7_T9_mT8_P12ihipStream_tbDpT10_ENKUlT_T0_E_clISt17integral_constantIbLb0EES17_EEDaS12_S13_EUlS12_E_NS1_11comp_targetILNS1_3genE5ELNS1_11target_archE942ELNS1_3gpuE9ELNS1_3repE0EEENS1_30default_config_static_selectorELNS0_4arch9wavefront6targetE0EEEvT1_,comdat
.Lfunc_end756:
	.size	_ZN7rocprim17ROCPRIM_400000_NS6detail17trampoline_kernelINS0_14default_configENS1_25partition_config_selectorILNS1_17partition_subalgoE8EtNS0_10empty_typeEbEEZZNS1_14partition_implILS5_8ELb0ES3_jPKtPS6_PKS6_NS0_5tupleIJPtS6_EEENSE_IJSB_SB_EEENS0_18inequality_wrapperIN6hipcub16HIPCUB_304000_NS8EqualityEEEPlJS6_EEE10hipError_tPvRmT3_T4_T5_T6_T7_T9_mT8_P12ihipStream_tbDpT10_ENKUlT_T0_E_clISt17integral_constantIbLb0EES17_EEDaS12_S13_EUlS12_E_NS1_11comp_targetILNS1_3genE5ELNS1_11target_archE942ELNS1_3gpuE9ELNS1_3repE0EEENS1_30default_config_static_selectorELNS0_4arch9wavefront6targetE0EEEvT1_, .Lfunc_end756-_ZN7rocprim17ROCPRIM_400000_NS6detail17trampoline_kernelINS0_14default_configENS1_25partition_config_selectorILNS1_17partition_subalgoE8EtNS0_10empty_typeEbEEZZNS1_14partition_implILS5_8ELb0ES3_jPKtPS6_PKS6_NS0_5tupleIJPtS6_EEENSE_IJSB_SB_EEENS0_18inequality_wrapperIN6hipcub16HIPCUB_304000_NS8EqualityEEEPlJS6_EEE10hipError_tPvRmT3_T4_T5_T6_T7_T9_mT8_P12ihipStream_tbDpT10_ENKUlT_T0_E_clISt17integral_constantIbLb0EES17_EEDaS12_S13_EUlS12_E_NS1_11comp_targetILNS1_3genE5ELNS1_11target_archE942ELNS1_3gpuE9ELNS1_3repE0EEENS1_30default_config_static_selectorELNS0_4arch9wavefront6targetE0EEEvT1_
                                        ; -- End function
	.set _ZN7rocprim17ROCPRIM_400000_NS6detail17trampoline_kernelINS0_14default_configENS1_25partition_config_selectorILNS1_17partition_subalgoE8EtNS0_10empty_typeEbEEZZNS1_14partition_implILS5_8ELb0ES3_jPKtPS6_PKS6_NS0_5tupleIJPtS6_EEENSE_IJSB_SB_EEENS0_18inequality_wrapperIN6hipcub16HIPCUB_304000_NS8EqualityEEEPlJS6_EEE10hipError_tPvRmT3_T4_T5_T6_T7_T9_mT8_P12ihipStream_tbDpT10_ENKUlT_T0_E_clISt17integral_constantIbLb0EES17_EEDaS12_S13_EUlS12_E_NS1_11comp_targetILNS1_3genE5ELNS1_11target_archE942ELNS1_3gpuE9ELNS1_3repE0EEENS1_30default_config_static_selectorELNS0_4arch9wavefront6targetE0EEEvT1_.num_vgpr, 0
	.set _ZN7rocprim17ROCPRIM_400000_NS6detail17trampoline_kernelINS0_14default_configENS1_25partition_config_selectorILNS1_17partition_subalgoE8EtNS0_10empty_typeEbEEZZNS1_14partition_implILS5_8ELb0ES3_jPKtPS6_PKS6_NS0_5tupleIJPtS6_EEENSE_IJSB_SB_EEENS0_18inequality_wrapperIN6hipcub16HIPCUB_304000_NS8EqualityEEEPlJS6_EEE10hipError_tPvRmT3_T4_T5_T6_T7_T9_mT8_P12ihipStream_tbDpT10_ENKUlT_T0_E_clISt17integral_constantIbLb0EES17_EEDaS12_S13_EUlS12_E_NS1_11comp_targetILNS1_3genE5ELNS1_11target_archE942ELNS1_3gpuE9ELNS1_3repE0EEENS1_30default_config_static_selectorELNS0_4arch9wavefront6targetE0EEEvT1_.num_agpr, 0
	.set _ZN7rocprim17ROCPRIM_400000_NS6detail17trampoline_kernelINS0_14default_configENS1_25partition_config_selectorILNS1_17partition_subalgoE8EtNS0_10empty_typeEbEEZZNS1_14partition_implILS5_8ELb0ES3_jPKtPS6_PKS6_NS0_5tupleIJPtS6_EEENSE_IJSB_SB_EEENS0_18inequality_wrapperIN6hipcub16HIPCUB_304000_NS8EqualityEEEPlJS6_EEE10hipError_tPvRmT3_T4_T5_T6_T7_T9_mT8_P12ihipStream_tbDpT10_ENKUlT_T0_E_clISt17integral_constantIbLb0EES17_EEDaS12_S13_EUlS12_E_NS1_11comp_targetILNS1_3genE5ELNS1_11target_archE942ELNS1_3gpuE9ELNS1_3repE0EEENS1_30default_config_static_selectorELNS0_4arch9wavefront6targetE0EEEvT1_.numbered_sgpr, 0
	.set _ZN7rocprim17ROCPRIM_400000_NS6detail17trampoline_kernelINS0_14default_configENS1_25partition_config_selectorILNS1_17partition_subalgoE8EtNS0_10empty_typeEbEEZZNS1_14partition_implILS5_8ELb0ES3_jPKtPS6_PKS6_NS0_5tupleIJPtS6_EEENSE_IJSB_SB_EEENS0_18inequality_wrapperIN6hipcub16HIPCUB_304000_NS8EqualityEEEPlJS6_EEE10hipError_tPvRmT3_T4_T5_T6_T7_T9_mT8_P12ihipStream_tbDpT10_ENKUlT_T0_E_clISt17integral_constantIbLb0EES17_EEDaS12_S13_EUlS12_E_NS1_11comp_targetILNS1_3genE5ELNS1_11target_archE942ELNS1_3gpuE9ELNS1_3repE0EEENS1_30default_config_static_selectorELNS0_4arch9wavefront6targetE0EEEvT1_.num_named_barrier, 0
	.set _ZN7rocprim17ROCPRIM_400000_NS6detail17trampoline_kernelINS0_14default_configENS1_25partition_config_selectorILNS1_17partition_subalgoE8EtNS0_10empty_typeEbEEZZNS1_14partition_implILS5_8ELb0ES3_jPKtPS6_PKS6_NS0_5tupleIJPtS6_EEENSE_IJSB_SB_EEENS0_18inequality_wrapperIN6hipcub16HIPCUB_304000_NS8EqualityEEEPlJS6_EEE10hipError_tPvRmT3_T4_T5_T6_T7_T9_mT8_P12ihipStream_tbDpT10_ENKUlT_T0_E_clISt17integral_constantIbLb0EES17_EEDaS12_S13_EUlS12_E_NS1_11comp_targetILNS1_3genE5ELNS1_11target_archE942ELNS1_3gpuE9ELNS1_3repE0EEENS1_30default_config_static_selectorELNS0_4arch9wavefront6targetE0EEEvT1_.private_seg_size, 0
	.set _ZN7rocprim17ROCPRIM_400000_NS6detail17trampoline_kernelINS0_14default_configENS1_25partition_config_selectorILNS1_17partition_subalgoE8EtNS0_10empty_typeEbEEZZNS1_14partition_implILS5_8ELb0ES3_jPKtPS6_PKS6_NS0_5tupleIJPtS6_EEENSE_IJSB_SB_EEENS0_18inequality_wrapperIN6hipcub16HIPCUB_304000_NS8EqualityEEEPlJS6_EEE10hipError_tPvRmT3_T4_T5_T6_T7_T9_mT8_P12ihipStream_tbDpT10_ENKUlT_T0_E_clISt17integral_constantIbLb0EES17_EEDaS12_S13_EUlS12_E_NS1_11comp_targetILNS1_3genE5ELNS1_11target_archE942ELNS1_3gpuE9ELNS1_3repE0EEENS1_30default_config_static_selectorELNS0_4arch9wavefront6targetE0EEEvT1_.uses_vcc, 0
	.set _ZN7rocprim17ROCPRIM_400000_NS6detail17trampoline_kernelINS0_14default_configENS1_25partition_config_selectorILNS1_17partition_subalgoE8EtNS0_10empty_typeEbEEZZNS1_14partition_implILS5_8ELb0ES3_jPKtPS6_PKS6_NS0_5tupleIJPtS6_EEENSE_IJSB_SB_EEENS0_18inequality_wrapperIN6hipcub16HIPCUB_304000_NS8EqualityEEEPlJS6_EEE10hipError_tPvRmT3_T4_T5_T6_T7_T9_mT8_P12ihipStream_tbDpT10_ENKUlT_T0_E_clISt17integral_constantIbLb0EES17_EEDaS12_S13_EUlS12_E_NS1_11comp_targetILNS1_3genE5ELNS1_11target_archE942ELNS1_3gpuE9ELNS1_3repE0EEENS1_30default_config_static_selectorELNS0_4arch9wavefront6targetE0EEEvT1_.uses_flat_scratch, 0
	.set _ZN7rocprim17ROCPRIM_400000_NS6detail17trampoline_kernelINS0_14default_configENS1_25partition_config_selectorILNS1_17partition_subalgoE8EtNS0_10empty_typeEbEEZZNS1_14partition_implILS5_8ELb0ES3_jPKtPS6_PKS6_NS0_5tupleIJPtS6_EEENSE_IJSB_SB_EEENS0_18inequality_wrapperIN6hipcub16HIPCUB_304000_NS8EqualityEEEPlJS6_EEE10hipError_tPvRmT3_T4_T5_T6_T7_T9_mT8_P12ihipStream_tbDpT10_ENKUlT_T0_E_clISt17integral_constantIbLb0EES17_EEDaS12_S13_EUlS12_E_NS1_11comp_targetILNS1_3genE5ELNS1_11target_archE942ELNS1_3gpuE9ELNS1_3repE0EEENS1_30default_config_static_selectorELNS0_4arch9wavefront6targetE0EEEvT1_.has_dyn_sized_stack, 0
	.set _ZN7rocprim17ROCPRIM_400000_NS6detail17trampoline_kernelINS0_14default_configENS1_25partition_config_selectorILNS1_17partition_subalgoE8EtNS0_10empty_typeEbEEZZNS1_14partition_implILS5_8ELb0ES3_jPKtPS6_PKS6_NS0_5tupleIJPtS6_EEENSE_IJSB_SB_EEENS0_18inequality_wrapperIN6hipcub16HIPCUB_304000_NS8EqualityEEEPlJS6_EEE10hipError_tPvRmT3_T4_T5_T6_T7_T9_mT8_P12ihipStream_tbDpT10_ENKUlT_T0_E_clISt17integral_constantIbLb0EES17_EEDaS12_S13_EUlS12_E_NS1_11comp_targetILNS1_3genE5ELNS1_11target_archE942ELNS1_3gpuE9ELNS1_3repE0EEENS1_30default_config_static_selectorELNS0_4arch9wavefront6targetE0EEEvT1_.has_recursion, 0
	.set _ZN7rocprim17ROCPRIM_400000_NS6detail17trampoline_kernelINS0_14default_configENS1_25partition_config_selectorILNS1_17partition_subalgoE8EtNS0_10empty_typeEbEEZZNS1_14partition_implILS5_8ELb0ES3_jPKtPS6_PKS6_NS0_5tupleIJPtS6_EEENSE_IJSB_SB_EEENS0_18inequality_wrapperIN6hipcub16HIPCUB_304000_NS8EqualityEEEPlJS6_EEE10hipError_tPvRmT3_T4_T5_T6_T7_T9_mT8_P12ihipStream_tbDpT10_ENKUlT_T0_E_clISt17integral_constantIbLb0EES17_EEDaS12_S13_EUlS12_E_NS1_11comp_targetILNS1_3genE5ELNS1_11target_archE942ELNS1_3gpuE9ELNS1_3repE0EEENS1_30default_config_static_selectorELNS0_4arch9wavefront6targetE0EEEvT1_.has_indirect_call, 0
	.section	.AMDGPU.csdata,"",@progbits
; Kernel info:
; codeLenInByte = 0
; TotalNumSgprs: 0
; NumVgprs: 0
; ScratchSize: 0
; MemoryBound: 0
; FloatMode: 240
; IeeeMode: 1
; LDSByteSize: 0 bytes/workgroup (compile time only)
; SGPRBlocks: 0
; VGPRBlocks: 0
; NumSGPRsForWavesPerEU: 1
; NumVGPRsForWavesPerEU: 1
; NamedBarCnt: 0
; Occupancy: 16
; WaveLimiterHint : 0
; COMPUTE_PGM_RSRC2:SCRATCH_EN: 0
; COMPUTE_PGM_RSRC2:USER_SGPR: 2
; COMPUTE_PGM_RSRC2:TRAP_HANDLER: 0
; COMPUTE_PGM_RSRC2:TGID_X_EN: 1
; COMPUTE_PGM_RSRC2:TGID_Y_EN: 0
; COMPUTE_PGM_RSRC2:TGID_Z_EN: 0
; COMPUTE_PGM_RSRC2:TIDIG_COMP_CNT: 0
	.section	.text._ZN7rocprim17ROCPRIM_400000_NS6detail17trampoline_kernelINS0_14default_configENS1_25partition_config_selectorILNS1_17partition_subalgoE8EtNS0_10empty_typeEbEEZZNS1_14partition_implILS5_8ELb0ES3_jPKtPS6_PKS6_NS0_5tupleIJPtS6_EEENSE_IJSB_SB_EEENS0_18inequality_wrapperIN6hipcub16HIPCUB_304000_NS8EqualityEEEPlJS6_EEE10hipError_tPvRmT3_T4_T5_T6_T7_T9_mT8_P12ihipStream_tbDpT10_ENKUlT_T0_E_clISt17integral_constantIbLb0EES17_EEDaS12_S13_EUlS12_E_NS1_11comp_targetILNS1_3genE4ELNS1_11target_archE910ELNS1_3gpuE8ELNS1_3repE0EEENS1_30default_config_static_selectorELNS0_4arch9wavefront6targetE0EEEvT1_,"axG",@progbits,_ZN7rocprim17ROCPRIM_400000_NS6detail17trampoline_kernelINS0_14default_configENS1_25partition_config_selectorILNS1_17partition_subalgoE8EtNS0_10empty_typeEbEEZZNS1_14partition_implILS5_8ELb0ES3_jPKtPS6_PKS6_NS0_5tupleIJPtS6_EEENSE_IJSB_SB_EEENS0_18inequality_wrapperIN6hipcub16HIPCUB_304000_NS8EqualityEEEPlJS6_EEE10hipError_tPvRmT3_T4_T5_T6_T7_T9_mT8_P12ihipStream_tbDpT10_ENKUlT_T0_E_clISt17integral_constantIbLb0EES17_EEDaS12_S13_EUlS12_E_NS1_11comp_targetILNS1_3genE4ELNS1_11target_archE910ELNS1_3gpuE8ELNS1_3repE0EEENS1_30default_config_static_selectorELNS0_4arch9wavefront6targetE0EEEvT1_,comdat
	.protected	_ZN7rocprim17ROCPRIM_400000_NS6detail17trampoline_kernelINS0_14default_configENS1_25partition_config_selectorILNS1_17partition_subalgoE8EtNS0_10empty_typeEbEEZZNS1_14partition_implILS5_8ELb0ES3_jPKtPS6_PKS6_NS0_5tupleIJPtS6_EEENSE_IJSB_SB_EEENS0_18inequality_wrapperIN6hipcub16HIPCUB_304000_NS8EqualityEEEPlJS6_EEE10hipError_tPvRmT3_T4_T5_T6_T7_T9_mT8_P12ihipStream_tbDpT10_ENKUlT_T0_E_clISt17integral_constantIbLb0EES17_EEDaS12_S13_EUlS12_E_NS1_11comp_targetILNS1_3genE4ELNS1_11target_archE910ELNS1_3gpuE8ELNS1_3repE0EEENS1_30default_config_static_selectorELNS0_4arch9wavefront6targetE0EEEvT1_ ; -- Begin function _ZN7rocprim17ROCPRIM_400000_NS6detail17trampoline_kernelINS0_14default_configENS1_25partition_config_selectorILNS1_17partition_subalgoE8EtNS0_10empty_typeEbEEZZNS1_14partition_implILS5_8ELb0ES3_jPKtPS6_PKS6_NS0_5tupleIJPtS6_EEENSE_IJSB_SB_EEENS0_18inequality_wrapperIN6hipcub16HIPCUB_304000_NS8EqualityEEEPlJS6_EEE10hipError_tPvRmT3_T4_T5_T6_T7_T9_mT8_P12ihipStream_tbDpT10_ENKUlT_T0_E_clISt17integral_constantIbLb0EES17_EEDaS12_S13_EUlS12_E_NS1_11comp_targetILNS1_3genE4ELNS1_11target_archE910ELNS1_3gpuE8ELNS1_3repE0EEENS1_30default_config_static_selectorELNS0_4arch9wavefront6targetE0EEEvT1_
	.globl	_ZN7rocprim17ROCPRIM_400000_NS6detail17trampoline_kernelINS0_14default_configENS1_25partition_config_selectorILNS1_17partition_subalgoE8EtNS0_10empty_typeEbEEZZNS1_14partition_implILS5_8ELb0ES3_jPKtPS6_PKS6_NS0_5tupleIJPtS6_EEENSE_IJSB_SB_EEENS0_18inequality_wrapperIN6hipcub16HIPCUB_304000_NS8EqualityEEEPlJS6_EEE10hipError_tPvRmT3_T4_T5_T6_T7_T9_mT8_P12ihipStream_tbDpT10_ENKUlT_T0_E_clISt17integral_constantIbLb0EES17_EEDaS12_S13_EUlS12_E_NS1_11comp_targetILNS1_3genE4ELNS1_11target_archE910ELNS1_3gpuE8ELNS1_3repE0EEENS1_30default_config_static_selectorELNS0_4arch9wavefront6targetE0EEEvT1_
	.p2align	8
	.type	_ZN7rocprim17ROCPRIM_400000_NS6detail17trampoline_kernelINS0_14default_configENS1_25partition_config_selectorILNS1_17partition_subalgoE8EtNS0_10empty_typeEbEEZZNS1_14partition_implILS5_8ELb0ES3_jPKtPS6_PKS6_NS0_5tupleIJPtS6_EEENSE_IJSB_SB_EEENS0_18inequality_wrapperIN6hipcub16HIPCUB_304000_NS8EqualityEEEPlJS6_EEE10hipError_tPvRmT3_T4_T5_T6_T7_T9_mT8_P12ihipStream_tbDpT10_ENKUlT_T0_E_clISt17integral_constantIbLb0EES17_EEDaS12_S13_EUlS12_E_NS1_11comp_targetILNS1_3genE4ELNS1_11target_archE910ELNS1_3gpuE8ELNS1_3repE0EEENS1_30default_config_static_selectorELNS0_4arch9wavefront6targetE0EEEvT1_,@function
_ZN7rocprim17ROCPRIM_400000_NS6detail17trampoline_kernelINS0_14default_configENS1_25partition_config_selectorILNS1_17partition_subalgoE8EtNS0_10empty_typeEbEEZZNS1_14partition_implILS5_8ELb0ES3_jPKtPS6_PKS6_NS0_5tupleIJPtS6_EEENSE_IJSB_SB_EEENS0_18inequality_wrapperIN6hipcub16HIPCUB_304000_NS8EqualityEEEPlJS6_EEE10hipError_tPvRmT3_T4_T5_T6_T7_T9_mT8_P12ihipStream_tbDpT10_ENKUlT_T0_E_clISt17integral_constantIbLb0EES17_EEDaS12_S13_EUlS12_E_NS1_11comp_targetILNS1_3genE4ELNS1_11target_archE910ELNS1_3gpuE8ELNS1_3repE0EEENS1_30default_config_static_selectorELNS0_4arch9wavefront6targetE0EEEvT1_: ; @_ZN7rocprim17ROCPRIM_400000_NS6detail17trampoline_kernelINS0_14default_configENS1_25partition_config_selectorILNS1_17partition_subalgoE8EtNS0_10empty_typeEbEEZZNS1_14partition_implILS5_8ELb0ES3_jPKtPS6_PKS6_NS0_5tupleIJPtS6_EEENSE_IJSB_SB_EEENS0_18inequality_wrapperIN6hipcub16HIPCUB_304000_NS8EqualityEEEPlJS6_EEE10hipError_tPvRmT3_T4_T5_T6_T7_T9_mT8_P12ihipStream_tbDpT10_ENKUlT_T0_E_clISt17integral_constantIbLb0EES17_EEDaS12_S13_EUlS12_E_NS1_11comp_targetILNS1_3genE4ELNS1_11target_archE910ELNS1_3gpuE8ELNS1_3repE0EEENS1_30default_config_static_selectorELNS0_4arch9wavefront6targetE0EEEvT1_
; %bb.0:
	.section	.rodata,"a",@progbits
	.p2align	6, 0x0
	.amdhsa_kernel _ZN7rocprim17ROCPRIM_400000_NS6detail17trampoline_kernelINS0_14default_configENS1_25partition_config_selectorILNS1_17partition_subalgoE8EtNS0_10empty_typeEbEEZZNS1_14partition_implILS5_8ELb0ES3_jPKtPS6_PKS6_NS0_5tupleIJPtS6_EEENSE_IJSB_SB_EEENS0_18inequality_wrapperIN6hipcub16HIPCUB_304000_NS8EqualityEEEPlJS6_EEE10hipError_tPvRmT3_T4_T5_T6_T7_T9_mT8_P12ihipStream_tbDpT10_ENKUlT_T0_E_clISt17integral_constantIbLb0EES17_EEDaS12_S13_EUlS12_E_NS1_11comp_targetILNS1_3genE4ELNS1_11target_archE910ELNS1_3gpuE8ELNS1_3repE0EEENS1_30default_config_static_selectorELNS0_4arch9wavefront6targetE0EEEvT1_
		.amdhsa_group_segment_fixed_size 0
		.amdhsa_private_segment_fixed_size 0
		.amdhsa_kernarg_size 112
		.amdhsa_user_sgpr_count 2
		.amdhsa_user_sgpr_dispatch_ptr 0
		.amdhsa_user_sgpr_queue_ptr 0
		.amdhsa_user_sgpr_kernarg_segment_ptr 1
		.amdhsa_user_sgpr_dispatch_id 0
		.amdhsa_user_sgpr_kernarg_preload_length 0
		.amdhsa_user_sgpr_kernarg_preload_offset 0
		.amdhsa_user_sgpr_private_segment_size 0
		.amdhsa_wavefront_size32 1
		.amdhsa_uses_dynamic_stack 0
		.amdhsa_enable_private_segment 0
		.amdhsa_system_sgpr_workgroup_id_x 1
		.amdhsa_system_sgpr_workgroup_id_y 0
		.amdhsa_system_sgpr_workgroup_id_z 0
		.amdhsa_system_sgpr_workgroup_info 0
		.amdhsa_system_vgpr_workitem_id 0
		.amdhsa_next_free_vgpr 1
		.amdhsa_next_free_sgpr 1
		.amdhsa_named_barrier_count 0
		.amdhsa_reserve_vcc 0
		.amdhsa_float_round_mode_32 0
		.amdhsa_float_round_mode_16_64 0
		.amdhsa_float_denorm_mode_32 3
		.amdhsa_float_denorm_mode_16_64 3
		.amdhsa_fp16_overflow 0
		.amdhsa_memory_ordered 1
		.amdhsa_forward_progress 1
		.amdhsa_inst_pref_size 0
		.amdhsa_round_robin_scheduling 0
		.amdhsa_exception_fp_ieee_invalid_op 0
		.amdhsa_exception_fp_denorm_src 0
		.amdhsa_exception_fp_ieee_div_zero 0
		.amdhsa_exception_fp_ieee_overflow 0
		.amdhsa_exception_fp_ieee_underflow 0
		.amdhsa_exception_fp_ieee_inexact 0
		.amdhsa_exception_int_div_zero 0
	.end_amdhsa_kernel
	.section	.text._ZN7rocprim17ROCPRIM_400000_NS6detail17trampoline_kernelINS0_14default_configENS1_25partition_config_selectorILNS1_17partition_subalgoE8EtNS0_10empty_typeEbEEZZNS1_14partition_implILS5_8ELb0ES3_jPKtPS6_PKS6_NS0_5tupleIJPtS6_EEENSE_IJSB_SB_EEENS0_18inequality_wrapperIN6hipcub16HIPCUB_304000_NS8EqualityEEEPlJS6_EEE10hipError_tPvRmT3_T4_T5_T6_T7_T9_mT8_P12ihipStream_tbDpT10_ENKUlT_T0_E_clISt17integral_constantIbLb0EES17_EEDaS12_S13_EUlS12_E_NS1_11comp_targetILNS1_3genE4ELNS1_11target_archE910ELNS1_3gpuE8ELNS1_3repE0EEENS1_30default_config_static_selectorELNS0_4arch9wavefront6targetE0EEEvT1_,"axG",@progbits,_ZN7rocprim17ROCPRIM_400000_NS6detail17trampoline_kernelINS0_14default_configENS1_25partition_config_selectorILNS1_17partition_subalgoE8EtNS0_10empty_typeEbEEZZNS1_14partition_implILS5_8ELb0ES3_jPKtPS6_PKS6_NS0_5tupleIJPtS6_EEENSE_IJSB_SB_EEENS0_18inequality_wrapperIN6hipcub16HIPCUB_304000_NS8EqualityEEEPlJS6_EEE10hipError_tPvRmT3_T4_T5_T6_T7_T9_mT8_P12ihipStream_tbDpT10_ENKUlT_T0_E_clISt17integral_constantIbLb0EES17_EEDaS12_S13_EUlS12_E_NS1_11comp_targetILNS1_3genE4ELNS1_11target_archE910ELNS1_3gpuE8ELNS1_3repE0EEENS1_30default_config_static_selectorELNS0_4arch9wavefront6targetE0EEEvT1_,comdat
.Lfunc_end757:
	.size	_ZN7rocprim17ROCPRIM_400000_NS6detail17trampoline_kernelINS0_14default_configENS1_25partition_config_selectorILNS1_17partition_subalgoE8EtNS0_10empty_typeEbEEZZNS1_14partition_implILS5_8ELb0ES3_jPKtPS6_PKS6_NS0_5tupleIJPtS6_EEENSE_IJSB_SB_EEENS0_18inequality_wrapperIN6hipcub16HIPCUB_304000_NS8EqualityEEEPlJS6_EEE10hipError_tPvRmT3_T4_T5_T6_T7_T9_mT8_P12ihipStream_tbDpT10_ENKUlT_T0_E_clISt17integral_constantIbLb0EES17_EEDaS12_S13_EUlS12_E_NS1_11comp_targetILNS1_3genE4ELNS1_11target_archE910ELNS1_3gpuE8ELNS1_3repE0EEENS1_30default_config_static_selectorELNS0_4arch9wavefront6targetE0EEEvT1_, .Lfunc_end757-_ZN7rocprim17ROCPRIM_400000_NS6detail17trampoline_kernelINS0_14default_configENS1_25partition_config_selectorILNS1_17partition_subalgoE8EtNS0_10empty_typeEbEEZZNS1_14partition_implILS5_8ELb0ES3_jPKtPS6_PKS6_NS0_5tupleIJPtS6_EEENSE_IJSB_SB_EEENS0_18inequality_wrapperIN6hipcub16HIPCUB_304000_NS8EqualityEEEPlJS6_EEE10hipError_tPvRmT3_T4_T5_T6_T7_T9_mT8_P12ihipStream_tbDpT10_ENKUlT_T0_E_clISt17integral_constantIbLb0EES17_EEDaS12_S13_EUlS12_E_NS1_11comp_targetILNS1_3genE4ELNS1_11target_archE910ELNS1_3gpuE8ELNS1_3repE0EEENS1_30default_config_static_selectorELNS0_4arch9wavefront6targetE0EEEvT1_
                                        ; -- End function
	.set _ZN7rocprim17ROCPRIM_400000_NS6detail17trampoline_kernelINS0_14default_configENS1_25partition_config_selectorILNS1_17partition_subalgoE8EtNS0_10empty_typeEbEEZZNS1_14partition_implILS5_8ELb0ES3_jPKtPS6_PKS6_NS0_5tupleIJPtS6_EEENSE_IJSB_SB_EEENS0_18inequality_wrapperIN6hipcub16HIPCUB_304000_NS8EqualityEEEPlJS6_EEE10hipError_tPvRmT3_T4_T5_T6_T7_T9_mT8_P12ihipStream_tbDpT10_ENKUlT_T0_E_clISt17integral_constantIbLb0EES17_EEDaS12_S13_EUlS12_E_NS1_11comp_targetILNS1_3genE4ELNS1_11target_archE910ELNS1_3gpuE8ELNS1_3repE0EEENS1_30default_config_static_selectorELNS0_4arch9wavefront6targetE0EEEvT1_.num_vgpr, 0
	.set _ZN7rocprim17ROCPRIM_400000_NS6detail17trampoline_kernelINS0_14default_configENS1_25partition_config_selectorILNS1_17partition_subalgoE8EtNS0_10empty_typeEbEEZZNS1_14partition_implILS5_8ELb0ES3_jPKtPS6_PKS6_NS0_5tupleIJPtS6_EEENSE_IJSB_SB_EEENS0_18inequality_wrapperIN6hipcub16HIPCUB_304000_NS8EqualityEEEPlJS6_EEE10hipError_tPvRmT3_T4_T5_T6_T7_T9_mT8_P12ihipStream_tbDpT10_ENKUlT_T0_E_clISt17integral_constantIbLb0EES17_EEDaS12_S13_EUlS12_E_NS1_11comp_targetILNS1_3genE4ELNS1_11target_archE910ELNS1_3gpuE8ELNS1_3repE0EEENS1_30default_config_static_selectorELNS0_4arch9wavefront6targetE0EEEvT1_.num_agpr, 0
	.set _ZN7rocprim17ROCPRIM_400000_NS6detail17trampoline_kernelINS0_14default_configENS1_25partition_config_selectorILNS1_17partition_subalgoE8EtNS0_10empty_typeEbEEZZNS1_14partition_implILS5_8ELb0ES3_jPKtPS6_PKS6_NS0_5tupleIJPtS6_EEENSE_IJSB_SB_EEENS0_18inequality_wrapperIN6hipcub16HIPCUB_304000_NS8EqualityEEEPlJS6_EEE10hipError_tPvRmT3_T4_T5_T6_T7_T9_mT8_P12ihipStream_tbDpT10_ENKUlT_T0_E_clISt17integral_constantIbLb0EES17_EEDaS12_S13_EUlS12_E_NS1_11comp_targetILNS1_3genE4ELNS1_11target_archE910ELNS1_3gpuE8ELNS1_3repE0EEENS1_30default_config_static_selectorELNS0_4arch9wavefront6targetE0EEEvT1_.numbered_sgpr, 0
	.set _ZN7rocprim17ROCPRIM_400000_NS6detail17trampoline_kernelINS0_14default_configENS1_25partition_config_selectorILNS1_17partition_subalgoE8EtNS0_10empty_typeEbEEZZNS1_14partition_implILS5_8ELb0ES3_jPKtPS6_PKS6_NS0_5tupleIJPtS6_EEENSE_IJSB_SB_EEENS0_18inequality_wrapperIN6hipcub16HIPCUB_304000_NS8EqualityEEEPlJS6_EEE10hipError_tPvRmT3_T4_T5_T6_T7_T9_mT8_P12ihipStream_tbDpT10_ENKUlT_T0_E_clISt17integral_constantIbLb0EES17_EEDaS12_S13_EUlS12_E_NS1_11comp_targetILNS1_3genE4ELNS1_11target_archE910ELNS1_3gpuE8ELNS1_3repE0EEENS1_30default_config_static_selectorELNS0_4arch9wavefront6targetE0EEEvT1_.num_named_barrier, 0
	.set _ZN7rocprim17ROCPRIM_400000_NS6detail17trampoline_kernelINS0_14default_configENS1_25partition_config_selectorILNS1_17partition_subalgoE8EtNS0_10empty_typeEbEEZZNS1_14partition_implILS5_8ELb0ES3_jPKtPS6_PKS6_NS0_5tupleIJPtS6_EEENSE_IJSB_SB_EEENS0_18inequality_wrapperIN6hipcub16HIPCUB_304000_NS8EqualityEEEPlJS6_EEE10hipError_tPvRmT3_T4_T5_T6_T7_T9_mT8_P12ihipStream_tbDpT10_ENKUlT_T0_E_clISt17integral_constantIbLb0EES17_EEDaS12_S13_EUlS12_E_NS1_11comp_targetILNS1_3genE4ELNS1_11target_archE910ELNS1_3gpuE8ELNS1_3repE0EEENS1_30default_config_static_selectorELNS0_4arch9wavefront6targetE0EEEvT1_.private_seg_size, 0
	.set _ZN7rocprim17ROCPRIM_400000_NS6detail17trampoline_kernelINS0_14default_configENS1_25partition_config_selectorILNS1_17partition_subalgoE8EtNS0_10empty_typeEbEEZZNS1_14partition_implILS5_8ELb0ES3_jPKtPS6_PKS6_NS0_5tupleIJPtS6_EEENSE_IJSB_SB_EEENS0_18inequality_wrapperIN6hipcub16HIPCUB_304000_NS8EqualityEEEPlJS6_EEE10hipError_tPvRmT3_T4_T5_T6_T7_T9_mT8_P12ihipStream_tbDpT10_ENKUlT_T0_E_clISt17integral_constantIbLb0EES17_EEDaS12_S13_EUlS12_E_NS1_11comp_targetILNS1_3genE4ELNS1_11target_archE910ELNS1_3gpuE8ELNS1_3repE0EEENS1_30default_config_static_selectorELNS0_4arch9wavefront6targetE0EEEvT1_.uses_vcc, 0
	.set _ZN7rocprim17ROCPRIM_400000_NS6detail17trampoline_kernelINS0_14default_configENS1_25partition_config_selectorILNS1_17partition_subalgoE8EtNS0_10empty_typeEbEEZZNS1_14partition_implILS5_8ELb0ES3_jPKtPS6_PKS6_NS0_5tupleIJPtS6_EEENSE_IJSB_SB_EEENS0_18inequality_wrapperIN6hipcub16HIPCUB_304000_NS8EqualityEEEPlJS6_EEE10hipError_tPvRmT3_T4_T5_T6_T7_T9_mT8_P12ihipStream_tbDpT10_ENKUlT_T0_E_clISt17integral_constantIbLb0EES17_EEDaS12_S13_EUlS12_E_NS1_11comp_targetILNS1_3genE4ELNS1_11target_archE910ELNS1_3gpuE8ELNS1_3repE0EEENS1_30default_config_static_selectorELNS0_4arch9wavefront6targetE0EEEvT1_.uses_flat_scratch, 0
	.set _ZN7rocprim17ROCPRIM_400000_NS6detail17trampoline_kernelINS0_14default_configENS1_25partition_config_selectorILNS1_17partition_subalgoE8EtNS0_10empty_typeEbEEZZNS1_14partition_implILS5_8ELb0ES3_jPKtPS6_PKS6_NS0_5tupleIJPtS6_EEENSE_IJSB_SB_EEENS0_18inequality_wrapperIN6hipcub16HIPCUB_304000_NS8EqualityEEEPlJS6_EEE10hipError_tPvRmT3_T4_T5_T6_T7_T9_mT8_P12ihipStream_tbDpT10_ENKUlT_T0_E_clISt17integral_constantIbLb0EES17_EEDaS12_S13_EUlS12_E_NS1_11comp_targetILNS1_3genE4ELNS1_11target_archE910ELNS1_3gpuE8ELNS1_3repE0EEENS1_30default_config_static_selectorELNS0_4arch9wavefront6targetE0EEEvT1_.has_dyn_sized_stack, 0
	.set _ZN7rocprim17ROCPRIM_400000_NS6detail17trampoline_kernelINS0_14default_configENS1_25partition_config_selectorILNS1_17partition_subalgoE8EtNS0_10empty_typeEbEEZZNS1_14partition_implILS5_8ELb0ES3_jPKtPS6_PKS6_NS0_5tupleIJPtS6_EEENSE_IJSB_SB_EEENS0_18inequality_wrapperIN6hipcub16HIPCUB_304000_NS8EqualityEEEPlJS6_EEE10hipError_tPvRmT3_T4_T5_T6_T7_T9_mT8_P12ihipStream_tbDpT10_ENKUlT_T0_E_clISt17integral_constantIbLb0EES17_EEDaS12_S13_EUlS12_E_NS1_11comp_targetILNS1_3genE4ELNS1_11target_archE910ELNS1_3gpuE8ELNS1_3repE0EEENS1_30default_config_static_selectorELNS0_4arch9wavefront6targetE0EEEvT1_.has_recursion, 0
	.set _ZN7rocprim17ROCPRIM_400000_NS6detail17trampoline_kernelINS0_14default_configENS1_25partition_config_selectorILNS1_17partition_subalgoE8EtNS0_10empty_typeEbEEZZNS1_14partition_implILS5_8ELb0ES3_jPKtPS6_PKS6_NS0_5tupleIJPtS6_EEENSE_IJSB_SB_EEENS0_18inequality_wrapperIN6hipcub16HIPCUB_304000_NS8EqualityEEEPlJS6_EEE10hipError_tPvRmT3_T4_T5_T6_T7_T9_mT8_P12ihipStream_tbDpT10_ENKUlT_T0_E_clISt17integral_constantIbLb0EES17_EEDaS12_S13_EUlS12_E_NS1_11comp_targetILNS1_3genE4ELNS1_11target_archE910ELNS1_3gpuE8ELNS1_3repE0EEENS1_30default_config_static_selectorELNS0_4arch9wavefront6targetE0EEEvT1_.has_indirect_call, 0
	.section	.AMDGPU.csdata,"",@progbits
; Kernel info:
; codeLenInByte = 0
; TotalNumSgprs: 0
; NumVgprs: 0
; ScratchSize: 0
; MemoryBound: 0
; FloatMode: 240
; IeeeMode: 1
; LDSByteSize: 0 bytes/workgroup (compile time only)
; SGPRBlocks: 0
; VGPRBlocks: 0
; NumSGPRsForWavesPerEU: 1
; NumVGPRsForWavesPerEU: 1
; NamedBarCnt: 0
; Occupancy: 16
; WaveLimiterHint : 0
; COMPUTE_PGM_RSRC2:SCRATCH_EN: 0
; COMPUTE_PGM_RSRC2:USER_SGPR: 2
; COMPUTE_PGM_RSRC2:TRAP_HANDLER: 0
; COMPUTE_PGM_RSRC2:TGID_X_EN: 1
; COMPUTE_PGM_RSRC2:TGID_Y_EN: 0
; COMPUTE_PGM_RSRC2:TGID_Z_EN: 0
; COMPUTE_PGM_RSRC2:TIDIG_COMP_CNT: 0
	.section	.text._ZN7rocprim17ROCPRIM_400000_NS6detail17trampoline_kernelINS0_14default_configENS1_25partition_config_selectorILNS1_17partition_subalgoE8EtNS0_10empty_typeEbEEZZNS1_14partition_implILS5_8ELb0ES3_jPKtPS6_PKS6_NS0_5tupleIJPtS6_EEENSE_IJSB_SB_EEENS0_18inequality_wrapperIN6hipcub16HIPCUB_304000_NS8EqualityEEEPlJS6_EEE10hipError_tPvRmT3_T4_T5_T6_T7_T9_mT8_P12ihipStream_tbDpT10_ENKUlT_T0_E_clISt17integral_constantIbLb0EES17_EEDaS12_S13_EUlS12_E_NS1_11comp_targetILNS1_3genE3ELNS1_11target_archE908ELNS1_3gpuE7ELNS1_3repE0EEENS1_30default_config_static_selectorELNS0_4arch9wavefront6targetE0EEEvT1_,"axG",@progbits,_ZN7rocprim17ROCPRIM_400000_NS6detail17trampoline_kernelINS0_14default_configENS1_25partition_config_selectorILNS1_17partition_subalgoE8EtNS0_10empty_typeEbEEZZNS1_14partition_implILS5_8ELb0ES3_jPKtPS6_PKS6_NS0_5tupleIJPtS6_EEENSE_IJSB_SB_EEENS0_18inequality_wrapperIN6hipcub16HIPCUB_304000_NS8EqualityEEEPlJS6_EEE10hipError_tPvRmT3_T4_T5_T6_T7_T9_mT8_P12ihipStream_tbDpT10_ENKUlT_T0_E_clISt17integral_constantIbLb0EES17_EEDaS12_S13_EUlS12_E_NS1_11comp_targetILNS1_3genE3ELNS1_11target_archE908ELNS1_3gpuE7ELNS1_3repE0EEENS1_30default_config_static_selectorELNS0_4arch9wavefront6targetE0EEEvT1_,comdat
	.protected	_ZN7rocprim17ROCPRIM_400000_NS6detail17trampoline_kernelINS0_14default_configENS1_25partition_config_selectorILNS1_17partition_subalgoE8EtNS0_10empty_typeEbEEZZNS1_14partition_implILS5_8ELb0ES3_jPKtPS6_PKS6_NS0_5tupleIJPtS6_EEENSE_IJSB_SB_EEENS0_18inequality_wrapperIN6hipcub16HIPCUB_304000_NS8EqualityEEEPlJS6_EEE10hipError_tPvRmT3_T4_T5_T6_T7_T9_mT8_P12ihipStream_tbDpT10_ENKUlT_T0_E_clISt17integral_constantIbLb0EES17_EEDaS12_S13_EUlS12_E_NS1_11comp_targetILNS1_3genE3ELNS1_11target_archE908ELNS1_3gpuE7ELNS1_3repE0EEENS1_30default_config_static_selectorELNS0_4arch9wavefront6targetE0EEEvT1_ ; -- Begin function _ZN7rocprim17ROCPRIM_400000_NS6detail17trampoline_kernelINS0_14default_configENS1_25partition_config_selectorILNS1_17partition_subalgoE8EtNS0_10empty_typeEbEEZZNS1_14partition_implILS5_8ELb0ES3_jPKtPS6_PKS6_NS0_5tupleIJPtS6_EEENSE_IJSB_SB_EEENS0_18inequality_wrapperIN6hipcub16HIPCUB_304000_NS8EqualityEEEPlJS6_EEE10hipError_tPvRmT3_T4_T5_T6_T7_T9_mT8_P12ihipStream_tbDpT10_ENKUlT_T0_E_clISt17integral_constantIbLb0EES17_EEDaS12_S13_EUlS12_E_NS1_11comp_targetILNS1_3genE3ELNS1_11target_archE908ELNS1_3gpuE7ELNS1_3repE0EEENS1_30default_config_static_selectorELNS0_4arch9wavefront6targetE0EEEvT1_
	.globl	_ZN7rocprim17ROCPRIM_400000_NS6detail17trampoline_kernelINS0_14default_configENS1_25partition_config_selectorILNS1_17partition_subalgoE8EtNS0_10empty_typeEbEEZZNS1_14partition_implILS5_8ELb0ES3_jPKtPS6_PKS6_NS0_5tupleIJPtS6_EEENSE_IJSB_SB_EEENS0_18inequality_wrapperIN6hipcub16HIPCUB_304000_NS8EqualityEEEPlJS6_EEE10hipError_tPvRmT3_T4_T5_T6_T7_T9_mT8_P12ihipStream_tbDpT10_ENKUlT_T0_E_clISt17integral_constantIbLb0EES17_EEDaS12_S13_EUlS12_E_NS1_11comp_targetILNS1_3genE3ELNS1_11target_archE908ELNS1_3gpuE7ELNS1_3repE0EEENS1_30default_config_static_selectorELNS0_4arch9wavefront6targetE0EEEvT1_
	.p2align	8
	.type	_ZN7rocprim17ROCPRIM_400000_NS6detail17trampoline_kernelINS0_14default_configENS1_25partition_config_selectorILNS1_17partition_subalgoE8EtNS0_10empty_typeEbEEZZNS1_14partition_implILS5_8ELb0ES3_jPKtPS6_PKS6_NS0_5tupleIJPtS6_EEENSE_IJSB_SB_EEENS0_18inequality_wrapperIN6hipcub16HIPCUB_304000_NS8EqualityEEEPlJS6_EEE10hipError_tPvRmT3_T4_T5_T6_T7_T9_mT8_P12ihipStream_tbDpT10_ENKUlT_T0_E_clISt17integral_constantIbLb0EES17_EEDaS12_S13_EUlS12_E_NS1_11comp_targetILNS1_3genE3ELNS1_11target_archE908ELNS1_3gpuE7ELNS1_3repE0EEENS1_30default_config_static_selectorELNS0_4arch9wavefront6targetE0EEEvT1_,@function
_ZN7rocprim17ROCPRIM_400000_NS6detail17trampoline_kernelINS0_14default_configENS1_25partition_config_selectorILNS1_17partition_subalgoE8EtNS0_10empty_typeEbEEZZNS1_14partition_implILS5_8ELb0ES3_jPKtPS6_PKS6_NS0_5tupleIJPtS6_EEENSE_IJSB_SB_EEENS0_18inequality_wrapperIN6hipcub16HIPCUB_304000_NS8EqualityEEEPlJS6_EEE10hipError_tPvRmT3_T4_T5_T6_T7_T9_mT8_P12ihipStream_tbDpT10_ENKUlT_T0_E_clISt17integral_constantIbLb0EES17_EEDaS12_S13_EUlS12_E_NS1_11comp_targetILNS1_3genE3ELNS1_11target_archE908ELNS1_3gpuE7ELNS1_3repE0EEENS1_30default_config_static_selectorELNS0_4arch9wavefront6targetE0EEEvT1_: ; @_ZN7rocprim17ROCPRIM_400000_NS6detail17trampoline_kernelINS0_14default_configENS1_25partition_config_selectorILNS1_17partition_subalgoE8EtNS0_10empty_typeEbEEZZNS1_14partition_implILS5_8ELb0ES3_jPKtPS6_PKS6_NS0_5tupleIJPtS6_EEENSE_IJSB_SB_EEENS0_18inequality_wrapperIN6hipcub16HIPCUB_304000_NS8EqualityEEEPlJS6_EEE10hipError_tPvRmT3_T4_T5_T6_T7_T9_mT8_P12ihipStream_tbDpT10_ENKUlT_T0_E_clISt17integral_constantIbLb0EES17_EEDaS12_S13_EUlS12_E_NS1_11comp_targetILNS1_3genE3ELNS1_11target_archE908ELNS1_3gpuE7ELNS1_3repE0EEENS1_30default_config_static_selectorELNS0_4arch9wavefront6targetE0EEEvT1_
; %bb.0:
	.section	.rodata,"a",@progbits
	.p2align	6, 0x0
	.amdhsa_kernel _ZN7rocprim17ROCPRIM_400000_NS6detail17trampoline_kernelINS0_14default_configENS1_25partition_config_selectorILNS1_17partition_subalgoE8EtNS0_10empty_typeEbEEZZNS1_14partition_implILS5_8ELb0ES3_jPKtPS6_PKS6_NS0_5tupleIJPtS6_EEENSE_IJSB_SB_EEENS0_18inequality_wrapperIN6hipcub16HIPCUB_304000_NS8EqualityEEEPlJS6_EEE10hipError_tPvRmT3_T4_T5_T6_T7_T9_mT8_P12ihipStream_tbDpT10_ENKUlT_T0_E_clISt17integral_constantIbLb0EES17_EEDaS12_S13_EUlS12_E_NS1_11comp_targetILNS1_3genE3ELNS1_11target_archE908ELNS1_3gpuE7ELNS1_3repE0EEENS1_30default_config_static_selectorELNS0_4arch9wavefront6targetE0EEEvT1_
		.amdhsa_group_segment_fixed_size 0
		.amdhsa_private_segment_fixed_size 0
		.amdhsa_kernarg_size 112
		.amdhsa_user_sgpr_count 2
		.amdhsa_user_sgpr_dispatch_ptr 0
		.amdhsa_user_sgpr_queue_ptr 0
		.amdhsa_user_sgpr_kernarg_segment_ptr 1
		.amdhsa_user_sgpr_dispatch_id 0
		.amdhsa_user_sgpr_kernarg_preload_length 0
		.amdhsa_user_sgpr_kernarg_preload_offset 0
		.amdhsa_user_sgpr_private_segment_size 0
		.amdhsa_wavefront_size32 1
		.amdhsa_uses_dynamic_stack 0
		.amdhsa_enable_private_segment 0
		.amdhsa_system_sgpr_workgroup_id_x 1
		.amdhsa_system_sgpr_workgroup_id_y 0
		.amdhsa_system_sgpr_workgroup_id_z 0
		.amdhsa_system_sgpr_workgroup_info 0
		.amdhsa_system_vgpr_workitem_id 0
		.amdhsa_next_free_vgpr 1
		.amdhsa_next_free_sgpr 1
		.amdhsa_named_barrier_count 0
		.amdhsa_reserve_vcc 0
		.amdhsa_float_round_mode_32 0
		.amdhsa_float_round_mode_16_64 0
		.amdhsa_float_denorm_mode_32 3
		.amdhsa_float_denorm_mode_16_64 3
		.amdhsa_fp16_overflow 0
		.amdhsa_memory_ordered 1
		.amdhsa_forward_progress 1
		.amdhsa_inst_pref_size 0
		.amdhsa_round_robin_scheduling 0
		.amdhsa_exception_fp_ieee_invalid_op 0
		.amdhsa_exception_fp_denorm_src 0
		.amdhsa_exception_fp_ieee_div_zero 0
		.amdhsa_exception_fp_ieee_overflow 0
		.amdhsa_exception_fp_ieee_underflow 0
		.amdhsa_exception_fp_ieee_inexact 0
		.amdhsa_exception_int_div_zero 0
	.end_amdhsa_kernel
	.section	.text._ZN7rocprim17ROCPRIM_400000_NS6detail17trampoline_kernelINS0_14default_configENS1_25partition_config_selectorILNS1_17partition_subalgoE8EtNS0_10empty_typeEbEEZZNS1_14partition_implILS5_8ELb0ES3_jPKtPS6_PKS6_NS0_5tupleIJPtS6_EEENSE_IJSB_SB_EEENS0_18inequality_wrapperIN6hipcub16HIPCUB_304000_NS8EqualityEEEPlJS6_EEE10hipError_tPvRmT3_T4_T5_T6_T7_T9_mT8_P12ihipStream_tbDpT10_ENKUlT_T0_E_clISt17integral_constantIbLb0EES17_EEDaS12_S13_EUlS12_E_NS1_11comp_targetILNS1_3genE3ELNS1_11target_archE908ELNS1_3gpuE7ELNS1_3repE0EEENS1_30default_config_static_selectorELNS0_4arch9wavefront6targetE0EEEvT1_,"axG",@progbits,_ZN7rocprim17ROCPRIM_400000_NS6detail17trampoline_kernelINS0_14default_configENS1_25partition_config_selectorILNS1_17partition_subalgoE8EtNS0_10empty_typeEbEEZZNS1_14partition_implILS5_8ELb0ES3_jPKtPS6_PKS6_NS0_5tupleIJPtS6_EEENSE_IJSB_SB_EEENS0_18inequality_wrapperIN6hipcub16HIPCUB_304000_NS8EqualityEEEPlJS6_EEE10hipError_tPvRmT3_T4_T5_T6_T7_T9_mT8_P12ihipStream_tbDpT10_ENKUlT_T0_E_clISt17integral_constantIbLb0EES17_EEDaS12_S13_EUlS12_E_NS1_11comp_targetILNS1_3genE3ELNS1_11target_archE908ELNS1_3gpuE7ELNS1_3repE0EEENS1_30default_config_static_selectorELNS0_4arch9wavefront6targetE0EEEvT1_,comdat
.Lfunc_end758:
	.size	_ZN7rocprim17ROCPRIM_400000_NS6detail17trampoline_kernelINS0_14default_configENS1_25partition_config_selectorILNS1_17partition_subalgoE8EtNS0_10empty_typeEbEEZZNS1_14partition_implILS5_8ELb0ES3_jPKtPS6_PKS6_NS0_5tupleIJPtS6_EEENSE_IJSB_SB_EEENS0_18inequality_wrapperIN6hipcub16HIPCUB_304000_NS8EqualityEEEPlJS6_EEE10hipError_tPvRmT3_T4_T5_T6_T7_T9_mT8_P12ihipStream_tbDpT10_ENKUlT_T0_E_clISt17integral_constantIbLb0EES17_EEDaS12_S13_EUlS12_E_NS1_11comp_targetILNS1_3genE3ELNS1_11target_archE908ELNS1_3gpuE7ELNS1_3repE0EEENS1_30default_config_static_selectorELNS0_4arch9wavefront6targetE0EEEvT1_, .Lfunc_end758-_ZN7rocprim17ROCPRIM_400000_NS6detail17trampoline_kernelINS0_14default_configENS1_25partition_config_selectorILNS1_17partition_subalgoE8EtNS0_10empty_typeEbEEZZNS1_14partition_implILS5_8ELb0ES3_jPKtPS6_PKS6_NS0_5tupleIJPtS6_EEENSE_IJSB_SB_EEENS0_18inequality_wrapperIN6hipcub16HIPCUB_304000_NS8EqualityEEEPlJS6_EEE10hipError_tPvRmT3_T4_T5_T6_T7_T9_mT8_P12ihipStream_tbDpT10_ENKUlT_T0_E_clISt17integral_constantIbLb0EES17_EEDaS12_S13_EUlS12_E_NS1_11comp_targetILNS1_3genE3ELNS1_11target_archE908ELNS1_3gpuE7ELNS1_3repE0EEENS1_30default_config_static_selectorELNS0_4arch9wavefront6targetE0EEEvT1_
                                        ; -- End function
	.set _ZN7rocprim17ROCPRIM_400000_NS6detail17trampoline_kernelINS0_14default_configENS1_25partition_config_selectorILNS1_17partition_subalgoE8EtNS0_10empty_typeEbEEZZNS1_14partition_implILS5_8ELb0ES3_jPKtPS6_PKS6_NS0_5tupleIJPtS6_EEENSE_IJSB_SB_EEENS0_18inequality_wrapperIN6hipcub16HIPCUB_304000_NS8EqualityEEEPlJS6_EEE10hipError_tPvRmT3_T4_T5_T6_T7_T9_mT8_P12ihipStream_tbDpT10_ENKUlT_T0_E_clISt17integral_constantIbLb0EES17_EEDaS12_S13_EUlS12_E_NS1_11comp_targetILNS1_3genE3ELNS1_11target_archE908ELNS1_3gpuE7ELNS1_3repE0EEENS1_30default_config_static_selectorELNS0_4arch9wavefront6targetE0EEEvT1_.num_vgpr, 0
	.set _ZN7rocprim17ROCPRIM_400000_NS6detail17trampoline_kernelINS0_14default_configENS1_25partition_config_selectorILNS1_17partition_subalgoE8EtNS0_10empty_typeEbEEZZNS1_14partition_implILS5_8ELb0ES3_jPKtPS6_PKS6_NS0_5tupleIJPtS6_EEENSE_IJSB_SB_EEENS0_18inequality_wrapperIN6hipcub16HIPCUB_304000_NS8EqualityEEEPlJS6_EEE10hipError_tPvRmT3_T4_T5_T6_T7_T9_mT8_P12ihipStream_tbDpT10_ENKUlT_T0_E_clISt17integral_constantIbLb0EES17_EEDaS12_S13_EUlS12_E_NS1_11comp_targetILNS1_3genE3ELNS1_11target_archE908ELNS1_3gpuE7ELNS1_3repE0EEENS1_30default_config_static_selectorELNS0_4arch9wavefront6targetE0EEEvT1_.num_agpr, 0
	.set _ZN7rocprim17ROCPRIM_400000_NS6detail17trampoline_kernelINS0_14default_configENS1_25partition_config_selectorILNS1_17partition_subalgoE8EtNS0_10empty_typeEbEEZZNS1_14partition_implILS5_8ELb0ES3_jPKtPS6_PKS6_NS0_5tupleIJPtS6_EEENSE_IJSB_SB_EEENS0_18inequality_wrapperIN6hipcub16HIPCUB_304000_NS8EqualityEEEPlJS6_EEE10hipError_tPvRmT3_T4_T5_T6_T7_T9_mT8_P12ihipStream_tbDpT10_ENKUlT_T0_E_clISt17integral_constantIbLb0EES17_EEDaS12_S13_EUlS12_E_NS1_11comp_targetILNS1_3genE3ELNS1_11target_archE908ELNS1_3gpuE7ELNS1_3repE0EEENS1_30default_config_static_selectorELNS0_4arch9wavefront6targetE0EEEvT1_.numbered_sgpr, 0
	.set _ZN7rocprim17ROCPRIM_400000_NS6detail17trampoline_kernelINS0_14default_configENS1_25partition_config_selectorILNS1_17partition_subalgoE8EtNS0_10empty_typeEbEEZZNS1_14partition_implILS5_8ELb0ES3_jPKtPS6_PKS6_NS0_5tupleIJPtS6_EEENSE_IJSB_SB_EEENS0_18inequality_wrapperIN6hipcub16HIPCUB_304000_NS8EqualityEEEPlJS6_EEE10hipError_tPvRmT3_T4_T5_T6_T7_T9_mT8_P12ihipStream_tbDpT10_ENKUlT_T0_E_clISt17integral_constantIbLb0EES17_EEDaS12_S13_EUlS12_E_NS1_11comp_targetILNS1_3genE3ELNS1_11target_archE908ELNS1_3gpuE7ELNS1_3repE0EEENS1_30default_config_static_selectorELNS0_4arch9wavefront6targetE0EEEvT1_.num_named_barrier, 0
	.set _ZN7rocprim17ROCPRIM_400000_NS6detail17trampoline_kernelINS0_14default_configENS1_25partition_config_selectorILNS1_17partition_subalgoE8EtNS0_10empty_typeEbEEZZNS1_14partition_implILS5_8ELb0ES3_jPKtPS6_PKS6_NS0_5tupleIJPtS6_EEENSE_IJSB_SB_EEENS0_18inequality_wrapperIN6hipcub16HIPCUB_304000_NS8EqualityEEEPlJS6_EEE10hipError_tPvRmT3_T4_T5_T6_T7_T9_mT8_P12ihipStream_tbDpT10_ENKUlT_T0_E_clISt17integral_constantIbLb0EES17_EEDaS12_S13_EUlS12_E_NS1_11comp_targetILNS1_3genE3ELNS1_11target_archE908ELNS1_3gpuE7ELNS1_3repE0EEENS1_30default_config_static_selectorELNS0_4arch9wavefront6targetE0EEEvT1_.private_seg_size, 0
	.set _ZN7rocprim17ROCPRIM_400000_NS6detail17trampoline_kernelINS0_14default_configENS1_25partition_config_selectorILNS1_17partition_subalgoE8EtNS0_10empty_typeEbEEZZNS1_14partition_implILS5_8ELb0ES3_jPKtPS6_PKS6_NS0_5tupleIJPtS6_EEENSE_IJSB_SB_EEENS0_18inequality_wrapperIN6hipcub16HIPCUB_304000_NS8EqualityEEEPlJS6_EEE10hipError_tPvRmT3_T4_T5_T6_T7_T9_mT8_P12ihipStream_tbDpT10_ENKUlT_T0_E_clISt17integral_constantIbLb0EES17_EEDaS12_S13_EUlS12_E_NS1_11comp_targetILNS1_3genE3ELNS1_11target_archE908ELNS1_3gpuE7ELNS1_3repE0EEENS1_30default_config_static_selectorELNS0_4arch9wavefront6targetE0EEEvT1_.uses_vcc, 0
	.set _ZN7rocprim17ROCPRIM_400000_NS6detail17trampoline_kernelINS0_14default_configENS1_25partition_config_selectorILNS1_17partition_subalgoE8EtNS0_10empty_typeEbEEZZNS1_14partition_implILS5_8ELb0ES3_jPKtPS6_PKS6_NS0_5tupleIJPtS6_EEENSE_IJSB_SB_EEENS0_18inequality_wrapperIN6hipcub16HIPCUB_304000_NS8EqualityEEEPlJS6_EEE10hipError_tPvRmT3_T4_T5_T6_T7_T9_mT8_P12ihipStream_tbDpT10_ENKUlT_T0_E_clISt17integral_constantIbLb0EES17_EEDaS12_S13_EUlS12_E_NS1_11comp_targetILNS1_3genE3ELNS1_11target_archE908ELNS1_3gpuE7ELNS1_3repE0EEENS1_30default_config_static_selectorELNS0_4arch9wavefront6targetE0EEEvT1_.uses_flat_scratch, 0
	.set _ZN7rocprim17ROCPRIM_400000_NS6detail17trampoline_kernelINS0_14default_configENS1_25partition_config_selectorILNS1_17partition_subalgoE8EtNS0_10empty_typeEbEEZZNS1_14partition_implILS5_8ELb0ES3_jPKtPS6_PKS6_NS0_5tupleIJPtS6_EEENSE_IJSB_SB_EEENS0_18inequality_wrapperIN6hipcub16HIPCUB_304000_NS8EqualityEEEPlJS6_EEE10hipError_tPvRmT3_T4_T5_T6_T7_T9_mT8_P12ihipStream_tbDpT10_ENKUlT_T0_E_clISt17integral_constantIbLb0EES17_EEDaS12_S13_EUlS12_E_NS1_11comp_targetILNS1_3genE3ELNS1_11target_archE908ELNS1_3gpuE7ELNS1_3repE0EEENS1_30default_config_static_selectorELNS0_4arch9wavefront6targetE0EEEvT1_.has_dyn_sized_stack, 0
	.set _ZN7rocprim17ROCPRIM_400000_NS6detail17trampoline_kernelINS0_14default_configENS1_25partition_config_selectorILNS1_17partition_subalgoE8EtNS0_10empty_typeEbEEZZNS1_14partition_implILS5_8ELb0ES3_jPKtPS6_PKS6_NS0_5tupleIJPtS6_EEENSE_IJSB_SB_EEENS0_18inequality_wrapperIN6hipcub16HIPCUB_304000_NS8EqualityEEEPlJS6_EEE10hipError_tPvRmT3_T4_T5_T6_T7_T9_mT8_P12ihipStream_tbDpT10_ENKUlT_T0_E_clISt17integral_constantIbLb0EES17_EEDaS12_S13_EUlS12_E_NS1_11comp_targetILNS1_3genE3ELNS1_11target_archE908ELNS1_3gpuE7ELNS1_3repE0EEENS1_30default_config_static_selectorELNS0_4arch9wavefront6targetE0EEEvT1_.has_recursion, 0
	.set _ZN7rocprim17ROCPRIM_400000_NS6detail17trampoline_kernelINS0_14default_configENS1_25partition_config_selectorILNS1_17partition_subalgoE8EtNS0_10empty_typeEbEEZZNS1_14partition_implILS5_8ELb0ES3_jPKtPS6_PKS6_NS0_5tupleIJPtS6_EEENSE_IJSB_SB_EEENS0_18inequality_wrapperIN6hipcub16HIPCUB_304000_NS8EqualityEEEPlJS6_EEE10hipError_tPvRmT3_T4_T5_T6_T7_T9_mT8_P12ihipStream_tbDpT10_ENKUlT_T0_E_clISt17integral_constantIbLb0EES17_EEDaS12_S13_EUlS12_E_NS1_11comp_targetILNS1_3genE3ELNS1_11target_archE908ELNS1_3gpuE7ELNS1_3repE0EEENS1_30default_config_static_selectorELNS0_4arch9wavefront6targetE0EEEvT1_.has_indirect_call, 0
	.section	.AMDGPU.csdata,"",@progbits
; Kernel info:
; codeLenInByte = 0
; TotalNumSgprs: 0
; NumVgprs: 0
; ScratchSize: 0
; MemoryBound: 0
; FloatMode: 240
; IeeeMode: 1
; LDSByteSize: 0 bytes/workgroup (compile time only)
; SGPRBlocks: 0
; VGPRBlocks: 0
; NumSGPRsForWavesPerEU: 1
; NumVGPRsForWavesPerEU: 1
; NamedBarCnt: 0
; Occupancy: 16
; WaveLimiterHint : 0
; COMPUTE_PGM_RSRC2:SCRATCH_EN: 0
; COMPUTE_PGM_RSRC2:USER_SGPR: 2
; COMPUTE_PGM_RSRC2:TRAP_HANDLER: 0
; COMPUTE_PGM_RSRC2:TGID_X_EN: 1
; COMPUTE_PGM_RSRC2:TGID_Y_EN: 0
; COMPUTE_PGM_RSRC2:TGID_Z_EN: 0
; COMPUTE_PGM_RSRC2:TIDIG_COMP_CNT: 0
	.section	.text._ZN7rocprim17ROCPRIM_400000_NS6detail17trampoline_kernelINS0_14default_configENS1_25partition_config_selectorILNS1_17partition_subalgoE8EtNS0_10empty_typeEbEEZZNS1_14partition_implILS5_8ELb0ES3_jPKtPS6_PKS6_NS0_5tupleIJPtS6_EEENSE_IJSB_SB_EEENS0_18inequality_wrapperIN6hipcub16HIPCUB_304000_NS8EqualityEEEPlJS6_EEE10hipError_tPvRmT3_T4_T5_T6_T7_T9_mT8_P12ihipStream_tbDpT10_ENKUlT_T0_E_clISt17integral_constantIbLb0EES17_EEDaS12_S13_EUlS12_E_NS1_11comp_targetILNS1_3genE2ELNS1_11target_archE906ELNS1_3gpuE6ELNS1_3repE0EEENS1_30default_config_static_selectorELNS0_4arch9wavefront6targetE0EEEvT1_,"axG",@progbits,_ZN7rocprim17ROCPRIM_400000_NS6detail17trampoline_kernelINS0_14default_configENS1_25partition_config_selectorILNS1_17partition_subalgoE8EtNS0_10empty_typeEbEEZZNS1_14partition_implILS5_8ELb0ES3_jPKtPS6_PKS6_NS0_5tupleIJPtS6_EEENSE_IJSB_SB_EEENS0_18inequality_wrapperIN6hipcub16HIPCUB_304000_NS8EqualityEEEPlJS6_EEE10hipError_tPvRmT3_T4_T5_T6_T7_T9_mT8_P12ihipStream_tbDpT10_ENKUlT_T0_E_clISt17integral_constantIbLb0EES17_EEDaS12_S13_EUlS12_E_NS1_11comp_targetILNS1_3genE2ELNS1_11target_archE906ELNS1_3gpuE6ELNS1_3repE0EEENS1_30default_config_static_selectorELNS0_4arch9wavefront6targetE0EEEvT1_,comdat
	.protected	_ZN7rocprim17ROCPRIM_400000_NS6detail17trampoline_kernelINS0_14default_configENS1_25partition_config_selectorILNS1_17partition_subalgoE8EtNS0_10empty_typeEbEEZZNS1_14partition_implILS5_8ELb0ES3_jPKtPS6_PKS6_NS0_5tupleIJPtS6_EEENSE_IJSB_SB_EEENS0_18inequality_wrapperIN6hipcub16HIPCUB_304000_NS8EqualityEEEPlJS6_EEE10hipError_tPvRmT3_T4_T5_T6_T7_T9_mT8_P12ihipStream_tbDpT10_ENKUlT_T0_E_clISt17integral_constantIbLb0EES17_EEDaS12_S13_EUlS12_E_NS1_11comp_targetILNS1_3genE2ELNS1_11target_archE906ELNS1_3gpuE6ELNS1_3repE0EEENS1_30default_config_static_selectorELNS0_4arch9wavefront6targetE0EEEvT1_ ; -- Begin function _ZN7rocprim17ROCPRIM_400000_NS6detail17trampoline_kernelINS0_14default_configENS1_25partition_config_selectorILNS1_17partition_subalgoE8EtNS0_10empty_typeEbEEZZNS1_14partition_implILS5_8ELb0ES3_jPKtPS6_PKS6_NS0_5tupleIJPtS6_EEENSE_IJSB_SB_EEENS0_18inequality_wrapperIN6hipcub16HIPCUB_304000_NS8EqualityEEEPlJS6_EEE10hipError_tPvRmT3_T4_T5_T6_T7_T9_mT8_P12ihipStream_tbDpT10_ENKUlT_T0_E_clISt17integral_constantIbLb0EES17_EEDaS12_S13_EUlS12_E_NS1_11comp_targetILNS1_3genE2ELNS1_11target_archE906ELNS1_3gpuE6ELNS1_3repE0EEENS1_30default_config_static_selectorELNS0_4arch9wavefront6targetE0EEEvT1_
	.globl	_ZN7rocprim17ROCPRIM_400000_NS6detail17trampoline_kernelINS0_14default_configENS1_25partition_config_selectorILNS1_17partition_subalgoE8EtNS0_10empty_typeEbEEZZNS1_14partition_implILS5_8ELb0ES3_jPKtPS6_PKS6_NS0_5tupleIJPtS6_EEENSE_IJSB_SB_EEENS0_18inequality_wrapperIN6hipcub16HIPCUB_304000_NS8EqualityEEEPlJS6_EEE10hipError_tPvRmT3_T4_T5_T6_T7_T9_mT8_P12ihipStream_tbDpT10_ENKUlT_T0_E_clISt17integral_constantIbLb0EES17_EEDaS12_S13_EUlS12_E_NS1_11comp_targetILNS1_3genE2ELNS1_11target_archE906ELNS1_3gpuE6ELNS1_3repE0EEENS1_30default_config_static_selectorELNS0_4arch9wavefront6targetE0EEEvT1_
	.p2align	8
	.type	_ZN7rocprim17ROCPRIM_400000_NS6detail17trampoline_kernelINS0_14default_configENS1_25partition_config_selectorILNS1_17partition_subalgoE8EtNS0_10empty_typeEbEEZZNS1_14partition_implILS5_8ELb0ES3_jPKtPS6_PKS6_NS0_5tupleIJPtS6_EEENSE_IJSB_SB_EEENS0_18inequality_wrapperIN6hipcub16HIPCUB_304000_NS8EqualityEEEPlJS6_EEE10hipError_tPvRmT3_T4_T5_T6_T7_T9_mT8_P12ihipStream_tbDpT10_ENKUlT_T0_E_clISt17integral_constantIbLb0EES17_EEDaS12_S13_EUlS12_E_NS1_11comp_targetILNS1_3genE2ELNS1_11target_archE906ELNS1_3gpuE6ELNS1_3repE0EEENS1_30default_config_static_selectorELNS0_4arch9wavefront6targetE0EEEvT1_,@function
_ZN7rocprim17ROCPRIM_400000_NS6detail17trampoline_kernelINS0_14default_configENS1_25partition_config_selectorILNS1_17partition_subalgoE8EtNS0_10empty_typeEbEEZZNS1_14partition_implILS5_8ELb0ES3_jPKtPS6_PKS6_NS0_5tupleIJPtS6_EEENSE_IJSB_SB_EEENS0_18inequality_wrapperIN6hipcub16HIPCUB_304000_NS8EqualityEEEPlJS6_EEE10hipError_tPvRmT3_T4_T5_T6_T7_T9_mT8_P12ihipStream_tbDpT10_ENKUlT_T0_E_clISt17integral_constantIbLb0EES17_EEDaS12_S13_EUlS12_E_NS1_11comp_targetILNS1_3genE2ELNS1_11target_archE906ELNS1_3gpuE6ELNS1_3repE0EEENS1_30default_config_static_selectorELNS0_4arch9wavefront6targetE0EEEvT1_: ; @_ZN7rocprim17ROCPRIM_400000_NS6detail17trampoline_kernelINS0_14default_configENS1_25partition_config_selectorILNS1_17partition_subalgoE8EtNS0_10empty_typeEbEEZZNS1_14partition_implILS5_8ELb0ES3_jPKtPS6_PKS6_NS0_5tupleIJPtS6_EEENSE_IJSB_SB_EEENS0_18inequality_wrapperIN6hipcub16HIPCUB_304000_NS8EqualityEEEPlJS6_EEE10hipError_tPvRmT3_T4_T5_T6_T7_T9_mT8_P12ihipStream_tbDpT10_ENKUlT_T0_E_clISt17integral_constantIbLb0EES17_EEDaS12_S13_EUlS12_E_NS1_11comp_targetILNS1_3genE2ELNS1_11target_archE906ELNS1_3gpuE6ELNS1_3repE0EEENS1_30default_config_static_selectorELNS0_4arch9wavefront6targetE0EEEvT1_
; %bb.0:
	.section	.rodata,"a",@progbits
	.p2align	6, 0x0
	.amdhsa_kernel _ZN7rocprim17ROCPRIM_400000_NS6detail17trampoline_kernelINS0_14default_configENS1_25partition_config_selectorILNS1_17partition_subalgoE8EtNS0_10empty_typeEbEEZZNS1_14partition_implILS5_8ELb0ES3_jPKtPS6_PKS6_NS0_5tupleIJPtS6_EEENSE_IJSB_SB_EEENS0_18inequality_wrapperIN6hipcub16HIPCUB_304000_NS8EqualityEEEPlJS6_EEE10hipError_tPvRmT3_T4_T5_T6_T7_T9_mT8_P12ihipStream_tbDpT10_ENKUlT_T0_E_clISt17integral_constantIbLb0EES17_EEDaS12_S13_EUlS12_E_NS1_11comp_targetILNS1_3genE2ELNS1_11target_archE906ELNS1_3gpuE6ELNS1_3repE0EEENS1_30default_config_static_selectorELNS0_4arch9wavefront6targetE0EEEvT1_
		.amdhsa_group_segment_fixed_size 0
		.amdhsa_private_segment_fixed_size 0
		.amdhsa_kernarg_size 112
		.amdhsa_user_sgpr_count 2
		.amdhsa_user_sgpr_dispatch_ptr 0
		.amdhsa_user_sgpr_queue_ptr 0
		.amdhsa_user_sgpr_kernarg_segment_ptr 1
		.amdhsa_user_sgpr_dispatch_id 0
		.amdhsa_user_sgpr_kernarg_preload_length 0
		.amdhsa_user_sgpr_kernarg_preload_offset 0
		.amdhsa_user_sgpr_private_segment_size 0
		.amdhsa_wavefront_size32 1
		.amdhsa_uses_dynamic_stack 0
		.amdhsa_enable_private_segment 0
		.amdhsa_system_sgpr_workgroup_id_x 1
		.amdhsa_system_sgpr_workgroup_id_y 0
		.amdhsa_system_sgpr_workgroup_id_z 0
		.amdhsa_system_sgpr_workgroup_info 0
		.amdhsa_system_vgpr_workitem_id 0
		.amdhsa_next_free_vgpr 1
		.amdhsa_next_free_sgpr 1
		.amdhsa_named_barrier_count 0
		.amdhsa_reserve_vcc 0
		.amdhsa_float_round_mode_32 0
		.amdhsa_float_round_mode_16_64 0
		.amdhsa_float_denorm_mode_32 3
		.amdhsa_float_denorm_mode_16_64 3
		.amdhsa_fp16_overflow 0
		.amdhsa_memory_ordered 1
		.amdhsa_forward_progress 1
		.amdhsa_inst_pref_size 0
		.amdhsa_round_robin_scheduling 0
		.amdhsa_exception_fp_ieee_invalid_op 0
		.amdhsa_exception_fp_denorm_src 0
		.amdhsa_exception_fp_ieee_div_zero 0
		.amdhsa_exception_fp_ieee_overflow 0
		.amdhsa_exception_fp_ieee_underflow 0
		.amdhsa_exception_fp_ieee_inexact 0
		.amdhsa_exception_int_div_zero 0
	.end_amdhsa_kernel
	.section	.text._ZN7rocprim17ROCPRIM_400000_NS6detail17trampoline_kernelINS0_14default_configENS1_25partition_config_selectorILNS1_17partition_subalgoE8EtNS0_10empty_typeEbEEZZNS1_14partition_implILS5_8ELb0ES3_jPKtPS6_PKS6_NS0_5tupleIJPtS6_EEENSE_IJSB_SB_EEENS0_18inequality_wrapperIN6hipcub16HIPCUB_304000_NS8EqualityEEEPlJS6_EEE10hipError_tPvRmT3_T4_T5_T6_T7_T9_mT8_P12ihipStream_tbDpT10_ENKUlT_T0_E_clISt17integral_constantIbLb0EES17_EEDaS12_S13_EUlS12_E_NS1_11comp_targetILNS1_3genE2ELNS1_11target_archE906ELNS1_3gpuE6ELNS1_3repE0EEENS1_30default_config_static_selectorELNS0_4arch9wavefront6targetE0EEEvT1_,"axG",@progbits,_ZN7rocprim17ROCPRIM_400000_NS6detail17trampoline_kernelINS0_14default_configENS1_25partition_config_selectorILNS1_17partition_subalgoE8EtNS0_10empty_typeEbEEZZNS1_14partition_implILS5_8ELb0ES3_jPKtPS6_PKS6_NS0_5tupleIJPtS6_EEENSE_IJSB_SB_EEENS0_18inequality_wrapperIN6hipcub16HIPCUB_304000_NS8EqualityEEEPlJS6_EEE10hipError_tPvRmT3_T4_T5_T6_T7_T9_mT8_P12ihipStream_tbDpT10_ENKUlT_T0_E_clISt17integral_constantIbLb0EES17_EEDaS12_S13_EUlS12_E_NS1_11comp_targetILNS1_3genE2ELNS1_11target_archE906ELNS1_3gpuE6ELNS1_3repE0EEENS1_30default_config_static_selectorELNS0_4arch9wavefront6targetE0EEEvT1_,comdat
.Lfunc_end759:
	.size	_ZN7rocprim17ROCPRIM_400000_NS6detail17trampoline_kernelINS0_14default_configENS1_25partition_config_selectorILNS1_17partition_subalgoE8EtNS0_10empty_typeEbEEZZNS1_14partition_implILS5_8ELb0ES3_jPKtPS6_PKS6_NS0_5tupleIJPtS6_EEENSE_IJSB_SB_EEENS0_18inequality_wrapperIN6hipcub16HIPCUB_304000_NS8EqualityEEEPlJS6_EEE10hipError_tPvRmT3_T4_T5_T6_T7_T9_mT8_P12ihipStream_tbDpT10_ENKUlT_T0_E_clISt17integral_constantIbLb0EES17_EEDaS12_S13_EUlS12_E_NS1_11comp_targetILNS1_3genE2ELNS1_11target_archE906ELNS1_3gpuE6ELNS1_3repE0EEENS1_30default_config_static_selectorELNS0_4arch9wavefront6targetE0EEEvT1_, .Lfunc_end759-_ZN7rocprim17ROCPRIM_400000_NS6detail17trampoline_kernelINS0_14default_configENS1_25partition_config_selectorILNS1_17partition_subalgoE8EtNS0_10empty_typeEbEEZZNS1_14partition_implILS5_8ELb0ES3_jPKtPS6_PKS6_NS0_5tupleIJPtS6_EEENSE_IJSB_SB_EEENS0_18inequality_wrapperIN6hipcub16HIPCUB_304000_NS8EqualityEEEPlJS6_EEE10hipError_tPvRmT3_T4_T5_T6_T7_T9_mT8_P12ihipStream_tbDpT10_ENKUlT_T0_E_clISt17integral_constantIbLb0EES17_EEDaS12_S13_EUlS12_E_NS1_11comp_targetILNS1_3genE2ELNS1_11target_archE906ELNS1_3gpuE6ELNS1_3repE0EEENS1_30default_config_static_selectorELNS0_4arch9wavefront6targetE0EEEvT1_
                                        ; -- End function
	.set _ZN7rocprim17ROCPRIM_400000_NS6detail17trampoline_kernelINS0_14default_configENS1_25partition_config_selectorILNS1_17partition_subalgoE8EtNS0_10empty_typeEbEEZZNS1_14partition_implILS5_8ELb0ES3_jPKtPS6_PKS6_NS0_5tupleIJPtS6_EEENSE_IJSB_SB_EEENS0_18inequality_wrapperIN6hipcub16HIPCUB_304000_NS8EqualityEEEPlJS6_EEE10hipError_tPvRmT3_T4_T5_T6_T7_T9_mT8_P12ihipStream_tbDpT10_ENKUlT_T0_E_clISt17integral_constantIbLb0EES17_EEDaS12_S13_EUlS12_E_NS1_11comp_targetILNS1_3genE2ELNS1_11target_archE906ELNS1_3gpuE6ELNS1_3repE0EEENS1_30default_config_static_selectorELNS0_4arch9wavefront6targetE0EEEvT1_.num_vgpr, 0
	.set _ZN7rocprim17ROCPRIM_400000_NS6detail17trampoline_kernelINS0_14default_configENS1_25partition_config_selectorILNS1_17partition_subalgoE8EtNS0_10empty_typeEbEEZZNS1_14partition_implILS5_8ELb0ES3_jPKtPS6_PKS6_NS0_5tupleIJPtS6_EEENSE_IJSB_SB_EEENS0_18inequality_wrapperIN6hipcub16HIPCUB_304000_NS8EqualityEEEPlJS6_EEE10hipError_tPvRmT3_T4_T5_T6_T7_T9_mT8_P12ihipStream_tbDpT10_ENKUlT_T0_E_clISt17integral_constantIbLb0EES17_EEDaS12_S13_EUlS12_E_NS1_11comp_targetILNS1_3genE2ELNS1_11target_archE906ELNS1_3gpuE6ELNS1_3repE0EEENS1_30default_config_static_selectorELNS0_4arch9wavefront6targetE0EEEvT1_.num_agpr, 0
	.set _ZN7rocprim17ROCPRIM_400000_NS6detail17trampoline_kernelINS0_14default_configENS1_25partition_config_selectorILNS1_17partition_subalgoE8EtNS0_10empty_typeEbEEZZNS1_14partition_implILS5_8ELb0ES3_jPKtPS6_PKS6_NS0_5tupleIJPtS6_EEENSE_IJSB_SB_EEENS0_18inequality_wrapperIN6hipcub16HIPCUB_304000_NS8EqualityEEEPlJS6_EEE10hipError_tPvRmT3_T4_T5_T6_T7_T9_mT8_P12ihipStream_tbDpT10_ENKUlT_T0_E_clISt17integral_constantIbLb0EES17_EEDaS12_S13_EUlS12_E_NS1_11comp_targetILNS1_3genE2ELNS1_11target_archE906ELNS1_3gpuE6ELNS1_3repE0EEENS1_30default_config_static_selectorELNS0_4arch9wavefront6targetE0EEEvT1_.numbered_sgpr, 0
	.set _ZN7rocprim17ROCPRIM_400000_NS6detail17trampoline_kernelINS0_14default_configENS1_25partition_config_selectorILNS1_17partition_subalgoE8EtNS0_10empty_typeEbEEZZNS1_14partition_implILS5_8ELb0ES3_jPKtPS6_PKS6_NS0_5tupleIJPtS6_EEENSE_IJSB_SB_EEENS0_18inequality_wrapperIN6hipcub16HIPCUB_304000_NS8EqualityEEEPlJS6_EEE10hipError_tPvRmT3_T4_T5_T6_T7_T9_mT8_P12ihipStream_tbDpT10_ENKUlT_T0_E_clISt17integral_constantIbLb0EES17_EEDaS12_S13_EUlS12_E_NS1_11comp_targetILNS1_3genE2ELNS1_11target_archE906ELNS1_3gpuE6ELNS1_3repE0EEENS1_30default_config_static_selectorELNS0_4arch9wavefront6targetE0EEEvT1_.num_named_barrier, 0
	.set _ZN7rocprim17ROCPRIM_400000_NS6detail17trampoline_kernelINS0_14default_configENS1_25partition_config_selectorILNS1_17partition_subalgoE8EtNS0_10empty_typeEbEEZZNS1_14partition_implILS5_8ELb0ES3_jPKtPS6_PKS6_NS0_5tupleIJPtS6_EEENSE_IJSB_SB_EEENS0_18inequality_wrapperIN6hipcub16HIPCUB_304000_NS8EqualityEEEPlJS6_EEE10hipError_tPvRmT3_T4_T5_T6_T7_T9_mT8_P12ihipStream_tbDpT10_ENKUlT_T0_E_clISt17integral_constantIbLb0EES17_EEDaS12_S13_EUlS12_E_NS1_11comp_targetILNS1_3genE2ELNS1_11target_archE906ELNS1_3gpuE6ELNS1_3repE0EEENS1_30default_config_static_selectorELNS0_4arch9wavefront6targetE0EEEvT1_.private_seg_size, 0
	.set _ZN7rocprim17ROCPRIM_400000_NS6detail17trampoline_kernelINS0_14default_configENS1_25partition_config_selectorILNS1_17partition_subalgoE8EtNS0_10empty_typeEbEEZZNS1_14partition_implILS5_8ELb0ES3_jPKtPS6_PKS6_NS0_5tupleIJPtS6_EEENSE_IJSB_SB_EEENS0_18inequality_wrapperIN6hipcub16HIPCUB_304000_NS8EqualityEEEPlJS6_EEE10hipError_tPvRmT3_T4_T5_T6_T7_T9_mT8_P12ihipStream_tbDpT10_ENKUlT_T0_E_clISt17integral_constantIbLb0EES17_EEDaS12_S13_EUlS12_E_NS1_11comp_targetILNS1_3genE2ELNS1_11target_archE906ELNS1_3gpuE6ELNS1_3repE0EEENS1_30default_config_static_selectorELNS0_4arch9wavefront6targetE0EEEvT1_.uses_vcc, 0
	.set _ZN7rocprim17ROCPRIM_400000_NS6detail17trampoline_kernelINS0_14default_configENS1_25partition_config_selectorILNS1_17partition_subalgoE8EtNS0_10empty_typeEbEEZZNS1_14partition_implILS5_8ELb0ES3_jPKtPS6_PKS6_NS0_5tupleIJPtS6_EEENSE_IJSB_SB_EEENS0_18inequality_wrapperIN6hipcub16HIPCUB_304000_NS8EqualityEEEPlJS6_EEE10hipError_tPvRmT3_T4_T5_T6_T7_T9_mT8_P12ihipStream_tbDpT10_ENKUlT_T0_E_clISt17integral_constantIbLb0EES17_EEDaS12_S13_EUlS12_E_NS1_11comp_targetILNS1_3genE2ELNS1_11target_archE906ELNS1_3gpuE6ELNS1_3repE0EEENS1_30default_config_static_selectorELNS0_4arch9wavefront6targetE0EEEvT1_.uses_flat_scratch, 0
	.set _ZN7rocprim17ROCPRIM_400000_NS6detail17trampoline_kernelINS0_14default_configENS1_25partition_config_selectorILNS1_17partition_subalgoE8EtNS0_10empty_typeEbEEZZNS1_14partition_implILS5_8ELb0ES3_jPKtPS6_PKS6_NS0_5tupleIJPtS6_EEENSE_IJSB_SB_EEENS0_18inequality_wrapperIN6hipcub16HIPCUB_304000_NS8EqualityEEEPlJS6_EEE10hipError_tPvRmT3_T4_T5_T6_T7_T9_mT8_P12ihipStream_tbDpT10_ENKUlT_T0_E_clISt17integral_constantIbLb0EES17_EEDaS12_S13_EUlS12_E_NS1_11comp_targetILNS1_3genE2ELNS1_11target_archE906ELNS1_3gpuE6ELNS1_3repE0EEENS1_30default_config_static_selectorELNS0_4arch9wavefront6targetE0EEEvT1_.has_dyn_sized_stack, 0
	.set _ZN7rocprim17ROCPRIM_400000_NS6detail17trampoline_kernelINS0_14default_configENS1_25partition_config_selectorILNS1_17partition_subalgoE8EtNS0_10empty_typeEbEEZZNS1_14partition_implILS5_8ELb0ES3_jPKtPS6_PKS6_NS0_5tupleIJPtS6_EEENSE_IJSB_SB_EEENS0_18inequality_wrapperIN6hipcub16HIPCUB_304000_NS8EqualityEEEPlJS6_EEE10hipError_tPvRmT3_T4_T5_T6_T7_T9_mT8_P12ihipStream_tbDpT10_ENKUlT_T0_E_clISt17integral_constantIbLb0EES17_EEDaS12_S13_EUlS12_E_NS1_11comp_targetILNS1_3genE2ELNS1_11target_archE906ELNS1_3gpuE6ELNS1_3repE0EEENS1_30default_config_static_selectorELNS0_4arch9wavefront6targetE0EEEvT1_.has_recursion, 0
	.set _ZN7rocprim17ROCPRIM_400000_NS6detail17trampoline_kernelINS0_14default_configENS1_25partition_config_selectorILNS1_17partition_subalgoE8EtNS0_10empty_typeEbEEZZNS1_14partition_implILS5_8ELb0ES3_jPKtPS6_PKS6_NS0_5tupleIJPtS6_EEENSE_IJSB_SB_EEENS0_18inequality_wrapperIN6hipcub16HIPCUB_304000_NS8EqualityEEEPlJS6_EEE10hipError_tPvRmT3_T4_T5_T6_T7_T9_mT8_P12ihipStream_tbDpT10_ENKUlT_T0_E_clISt17integral_constantIbLb0EES17_EEDaS12_S13_EUlS12_E_NS1_11comp_targetILNS1_3genE2ELNS1_11target_archE906ELNS1_3gpuE6ELNS1_3repE0EEENS1_30default_config_static_selectorELNS0_4arch9wavefront6targetE0EEEvT1_.has_indirect_call, 0
	.section	.AMDGPU.csdata,"",@progbits
; Kernel info:
; codeLenInByte = 0
; TotalNumSgprs: 0
; NumVgprs: 0
; ScratchSize: 0
; MemoryBound: 0
; FloatMode: 240
; IeeeMode: 1
; LDSByteSize: 0 bytes/workgroup (compile time only)
; SGPRBlocks: 0
; VGPRBlocks: 0
; NumSGPRsForWavesPerEU: 1
; NumVGPRsForWavesPerEU: 1
; NamedBarCnt: 0
; Occupancy: 16
; WaveLimiterHint : 0
; COMPUTE_PGM_RSRC2:SCRATCH_EN: 0
; COMPUTE_PGM_RSRC2:USER_SGPR: 2
; COMPUTE_PGM_RSRC2:TRAP_HANDLER: 0
; COMPUTE_PGM_RSRC2:TGID_X_EN: 1
; COMPUTE_PGM_RSRC2:TGID_Y_EN: 0
; COMPUTE_PGM_RSRC2:TGID_Z_EN: 0
; COMPUTE_PGM_RSRC2:TIDIG_COMP_CNT: 0
	.section	.text._ZN7rocprim17ROCPRIM_400000_NS6detail17trampoline_kernelINS0_14default_configENS1_25partition_config_selectorILNS1_17partition_subalgoE8EtNS0_10empty_typeEbEEZZNS1_14partition_implILS5_8ELb0ES3_jPKtPS6_PKS6_NS0_5tupleIJPtS6_EEENSE_IJSB_SB_EEENS0_18inequality_wrapperIN6hipcub16HIPCUB_304000_NS8EqualityEEEPlJS6_EEE10hipError_tPvRmT3_T4_T5_T6_T7_T9_mT8_P12ihipStream_tbDpT10_ENKUlT_T0_E_clISt17integral_constantIbLb0EES17_EEDaS12_S13_EUlS12_E_NS1_11comp_targetILNS1_3genE10ELNS1_11target_archE1200ELNS1_3gpuE4ELNS1_3repE0EEENS1_30default_config_static_selectorELNS0_4arch9wavefront6targetE0EEEvT1_,"axG",@progbits,_ZN7rocprim17ROCPRIM_400000_NS6detail17trampoline_kernelINS0_14default_configENS1_25partition_config_selectorILNS1_17partition_subalgoE8EtNS0_10empty_typeEbEEZZNS1_14partition_implILS5_8ELb0ES3_jPKtPS6_PKS6_NS0_5tupleIJPtS6_EEENSE_IJSB_SB_EEENS0_18inequality_wrapperIN6hipcub16HIPCUB_304000_NS8EqualityEEEPlJS6_EEE10hipError_tPvRmT3_T4_T5_T6_T7_T9_mT8_P12ihipStream_tbDpT10_ENKUlT_T0_E_clISt17integral_constantIbLb0EES17_EEDaS12_S13_EUlS12_E_NS1_11comp_targetILNS1_3genE10ELNS1_11target_archE1200ELNS1_3gpuE4ELNS1_3repE0EEENS1_30default_config_static_selectorELNS0_4arch9wavefront6targetE0EEEvT1_,comdat
	.protected	_ZN7rocprim17ROCPRIM_400000_NS6detail17trampoline_kernelINS0_14default_configENS1_25partition_config_selectorILNS1_17partition_subalgoE8EtNS0_10empty_typeEbEEZZNS1_14partition_implILS5_8ELb0ES3_jPKtPS6_PKS6_NS0_5tupleIJPtS6_EEENSE_IJSB_SB_EEENS0_18inequality_wrapperIN6hipcub16HIPCUB_304000_NS8EqualityEEEPlJS6_EEE10hipError_tPvRmT3_T4_T5_T6_T7_T9_mT8_P12ihipStream_tbDpT10_ENKUlT_T0_E_clISt17integral_constantIbLb0EES17_EEDaS12_S13_EUlS12_E_NS1_11comp_targetILNS1_3genE10ELNS1_11target_archE1200ELNS1_3gpuE4ELNS1_3repE0EEENS1_30default_config_static_selectorELNS0_4arch9wavefront6targetE0EEEvT1_ ; -- Begin function _ZN7rocprim17ROCPRIM_400000_NS6detail17trampoline_kernelINS0_14default_configENS1_25partition_config_selectorILNS1_17partition_subalgoE8EtNS0_10empty_typeEbEEZZNS1_14partition_implILS5_8ELb0ES3_jPKtPS6_PKS6_NS0_5tupleIJPtS6_EEENSE_IJSB_SB_EEENS0_18inequality_wrapperIN6hipcub16HIPCUB_304000_NS8EqualityEEEPlJS6_EEE10hipError_tPvRmT3_T4_T5_T6_T7_T9_mT8_P12ihipStream_tbDpT10_ENKUlT_T0_E_clISt17integral_constantIbLb0EES17_EEDaS12_S13_EUlS12_E_NS1_11comp_targetILNS1_3genE10ELNS1_11target_archE1200ELNS1_3gpuE4ELNS1_3repE0EEENS1_30default_config_static_selectorELNS0_4arch9wavefront6targetE0EEEvT1_
	.globl	_ZN7rocprim17ROCPRIM_400000_NS6detail17trampoline_kernelINS0_14default_configENS1_25partition_config_selectorILNS1_17partition_subalgoE8EtNS0_10empty_typeEbEEZZNS1_14partition_implILS5_8ELb0ES3_jPKtPS6_PKS6_NS0_5tupleIJPtS6_EEENSE_IJSB_SB_EEENS0_18inequality_wrapperIN6hipcub16HIPCUB_304000_NS8EqualityEEEPlJS6_EEE10hipError_tPvRmT3_T4_T5_T6_T7_T9_mT8_P12ihipStream_tbDpT10_ENKUlT_T0_E_clISt17integral_constantIbLb0EES17_EEDaS12_S13_EUlS12_E_NS1_11comp_targetILNS1_3genE10ELNS1_11target_archE1200ELNS1_3gpuE4ELNS1_3repE0EEENS1_30default_config_static_selectorELNS0_4arch9wavefront6targetE0EEEvT1_
	.p2align	8
	.type	_ZN7rocprim17ROCPRIM_400000_NS6detail17trampoline_kernelINS0_14default_configENS1_25partition_config_selectorILNS1_17partition_subalgoE8EtNS0_10empty_typeEbEEZZNS1_14partition_implILS5_8ELb0ES3_jPKtPS6_PKS6_NS0_5tupleIJPtS6_EEENSE_IJSB_SB_EEENS0_18inequality_wrapperIN6hipcub16HIPCUB_304000_NS8EqualityEEEPlJS6_EEE10hipError_tPvRmT3_T4_T5_T6_T7_T9_mT8_P12ihipStream_tbDpT10_ENKUlT_T0_E_clISt17integral_constantIbLb0EES17_EEDaS12_S13_EUlS12_E_NS1_11comp_targetILNS1_3genE10ELNS1_11target_archE1200ELNS1_3gpuE4ELNS1_3repE0EEENS1_30default_config_static_selectorELNS0_4arch9wavefront6targetE0EEEvT1_,@function
_ZN7rocprim17ROCPRIM_400000_NS6detail17trampoline_kernelINS0_14default_configENS1_25partition_config_selectorILNS1_17partition_subalgoE8EtNS0_10empty_typeEbEEZZNS1_14partition_implILS5_8ELb0ES3_jPKtPS6_PKS6_NS0_5tupleIJPtS6_EEENSE_IJSB_SB_EEENS0_18inequality_wrapperIN6hipcub16HIPCUB_304000_NS8EqualityEEEPlJS6_EEE10hipError_tPvRmT3_T4_T5_T6_T7_T9_mT8_P12ihipStream_tbDpT10_ENKUlT_T0_E_clISt17integral_constantIbLb0EES17_EEDaS12_S13_EUlS12_E_NS1_11comp_targetILNS1_3genE10ELNS1_11target_archE1200ELNS1_3gpuE4ELNS1_3repE0EEENS1_30default_config_static_selectorELNS0_4arch9wavefront6targetE0EEEvT1_: ; @_ZN7rocprim17ROCPRIM_400000_NS6detail17trampoline_kernelINS0_14default_configENS1_25partition_config_selectorILNS1_17partition_subalgoE8EtNS0_10empty_typeEbEEZZNS1_14partition_implILS5_8ELb0ES3_jPKtPS6_PKS6_NS0_5tupleIJPtS6_EEENSE_IJSB_SB_EEENS0_18inequality_wrapperIN6hipcub16HIPCUB_304000_NS8EqualityEEEPlJS6_EEE10hipError_tPvRmT3_T4_T5_T6_T7_T9_mT8_P12ihipStream_tbDpT10_ENKUlT_T0_E_clISt17integral_constantIbLb0EES17_EEDaS12_S13_EUlS12_E_NS1_11comp_targetILNS1_3genE10ELNS1_11target_archE1200ELNS1_3gpuE4ELNS1_3repE0EEENS1_30default_config_static_selectorELNS0_4arch9wavefront6targetE0EEEvT1_
; %bb.0:
	.section	.rodata,"a",@progbits
	.p2align	6, 0x0
	.amdhsa_kernel _ZN7rocprim17ROCPRIM_400000_NS6detail17trampoline_kernelINS0_14default_configENS1_25partition_config_selectorILNS1_17partition_subalgoE8EtNS0_10empty_typeEbEEZZNS1_14partition_implILS5_8ELb0ES3_jPKtPS6_PKS6_NS0_5tupleIJPtS6_EEENSE_IJSB_SB_EEENS0_18inequality_wrapperIN6hipcub16HIPCUB_304000_NS8EqualityEEEPlJS6_EEE10hipError_tPvRmT3_T4_T5_T6_T7_T9_mT8_P12ihipStream_tbDpT10_ENKUlT_T0_E_clISt17integral_constantIbLb0EES17_EEDaS12_S13_EUlS12_E_NS1_11comp_targetILNS1_3genE10ELNS1_11target_archE1200ELNS1_3gpuE4ELNS1_3repE0EEENS1_30default_config_static_selectorELNS0_4arch9wavefront6targetE0EEEvT1_
		.amdhsa_group_segment_fixed_size 0
		.amdhsa_private_segment_fixed_size 0
		.amdhsa_kernarg_size 112
		.amdhsa_user_sgpr_count 2
		.amdhsa_user_sgpr_dispatch_ptr 0
		.amdhsa_user_sgpr_queue_ptr 0
		.amdhsa_user_sgpr_kernarg_segment_ptr 1
		.amdhsa_user_sgpr_dispatch_id 0
		.amdhsa_user_sgpr_kernarg_preload_length 0
		.amdhsa_user_sgpr_kernarg_preload_offset 0
		.amdhsa_user_sgpr_private_segment_size 0
		.amdhsa_wavefront_size32 1
		.amdhsa_uses_dynamic_stack 0
		.amdhsa_enable_private_segment 0
		.amdhsa_system_sgpr_workgroup_id_x 1
		.amdhsa_system_sgpr_workgroup_id_y 0
		.amdhsa_system_sgpr_workgroup_id_z 0
		.amdhsa_system_sgpr_workgroup_info 0
		.amdhsa_system_vgpr_workitem_id 0
		.amdhsa_next_free_vgpr 1
		.amdhsa_next_free_sgpr 1
		.amdhsa_named_barrier_count 0
		.amdhsa_reserve_vcc 0
		.amdhsa_float_round_mode_32 0
		.amdhsa_float_round_mode_16_64 0
		.amdhsa_float_denorm_mode_32 3
		.amdhsa_float_denorm_mode_16_64 3
		.amdhsa_fp16_overflow 0
		.amdhsa_memory_ordered 1
		.amdhsa_forward_progress 1
		.amdhsa_inst_pref_size 0
		.amdhsa_round_robin_scheduling 0
		.amdhsa_exception_fp_ieee_invalid_op 0
		.amdhsa_exception_fp_denorm_src 0
		.amdhsa_exception_fp_ieee_div_zero 0
		.amdhsa_exception_fp_ieee_overflow 0
		.amdhsa_exception_fp_ieee_underflow 0
		.amdhsa_exception_fp_ieee_inexact 0
		.amdhsa_exception_int_div_zero 0
	.end_amdhsa_kernel
	.section	.text._ZN7rocprim17ROCPRIM_400000_NS6detail17trampoline_kernelINS0_14default_configENS1_25partition_config_selectorILNS1_17partition_subalgoE8EtNS0_10empty_typeEbEEZZNS1_14partition_implILS5_8ELb0ES3_jPKtPS6_PKS6_NS0_5tupleIJPtS6_EEENSE_IJSB_SB_EEENS0_18inequality_wrapperIN6hipcub16HIPCUB_304000_NS8EqualityEEEPlJS6_EEE10hipError_tPvRmT3_T4_T5_T6_T7_T9_mT8_P12ihipStream_tbDpT10_ENKUlT_T0_E_clISt17integral_constantIbLb0EES17_EEDaS12_S13_EUlS12_E_NS1_11comp_targetILNS1_3genE10ELNS1_11target_archE1200ELNS1_3gpuE4ELNS1_3repE0EEENS1_30default_config_static_selectorELNS0_4arch9wavefront6targetE0EEEvT1_,"axG",@progbits,_ZN7rocprim17ROCPRIM_400000_NS6detail17trampoline_kernelINS0_14default_configENS1_25partition_config_selectorILNS1_17partition_subalgoE8EtNS0_10empty_typeEbEEZZNS1_14partition_implILS5_8ELb0ES3_jPKtPS6_PKS6_NS0_5tupleIJPtS6_EEENSE_IJSB_SB_EEENS0_18inequality_wrapperIN6hipcub16HIPCUB_304000_NS8EqualityEEEPlJS6_EEE10hipError_tPvRmT3_T4_T5_T6_T7_T9_mT8_P12ihipStream_tbDpT10_ENKUlT_T0_E_clISt17integral_constantIbLb0EES17_EEDaS12_S13_EUlS12_E_NS1_11comp_targetILNS1_3genE10ELNS1_11target_archE1200ELNS1_3gpuE4ELNS1_3repE0EEENS1_30default_config_static_selectorELNS0_4arch9wavefront6targetE0EEEvT1_,comdat
.Lfunc_end760:
	.size	_ZN7rocprim17ROCPRIM_400000_NS6detail17trampoline_kernelINS0_14default_configENS1_25partition_config_selectorILNS1_17partition_subalgoE8EtNS0_10empty_typeEbEEZZNS1_14partition_implILS5_8ELb0ES3_jPKtPS6_PKS6_NS0_5tupleIJPtS6_EEENSE_IJSB_SB_EEENS0_18inequality_wrapperIN6hipcub16HIPCUB_304000_NS8EqualityEEEPlJS6_EEE10hipError_tPvRmT3_T4_T5_T6_T7_T9_mT8_P12ihipStream_tbDpT10_ENKUlT_T0_E_clISt17integral_constantIbLb0EES17_EEDaS12_S13_EUlS12_E_NS1_11comp_targetILNS1_3genE10ELNS1_11target_archE1200ELNS1_3gpuE4ELNS1_3repE0EEENS1_30default_config_static_selectorELNS0_4arch9wavefront6targetE0EEEvT1_, .Lfunc_end760-_ZN7rocprim17ROCPRIM_400000_NS6detail17trampoline_kernelINS0_14default_configENS1_25partition_config_selectorILNS1_17partition_subalgoE8EtNS0_10empty_typeEbEEZZNS1_14partition_implILS5_8ELb0ES3_jPKtPS6_PKS6_NS0_5tupleIJPtS6_EEENSE_IJSB_SB_EEENS0_18inequality_wrapperIN6hipcub16HIPCUB_304000_NS8EqualityEEEPlJS6_EEE10hipError_tPvRmT3_T4_T5_T6_T7_T9_mT8_P12ihipStream_tbDpT10_ENKUlT_T0_E_clISt17integral_constantIbLb0EES17_EEDaS12_S13_EUlS12_E_NS1_11comp_targetILNS1_3genE10ELNS1_11target_archE1200ELNS1_3gpuE4ELNS1_3repE0EEENS1_30default_config_static_selectorELNS0_4arch9wavefront6targetE0EEEvT1_
                                        ; -- End function
	.set _ZN7rocprim17ROCPRIM_400000_NS6detail17trampoline_kernelINS0_14default_configENS1_25partition_config_selectorILNS1_17partition_subalgoE8EtNS0_10empty_typeEbEEZZNS1_14partition_implILS5_8ELb0ES3_jPKtPS6_PKS6_NS0_5tupleIJPtS6_EEENSE_IJSB_SB_EEENS0_18inequality_wrapperIN6hipcub16HIPCUB_304000_NS8EqualityEEEPlJS6_EEE10hipError_tPvRmT3_T4_T5_T6_T7_T9_mT8_P12ihipStream_tbDpT10_ENKUlT_T0_E_clISt17integral_constantIbLb0EES17_EEDaS12_S13_EUlS12_E_NS1_11comp_targetILNS1_3genE10ELNS1_11target_archE1200ELNS1_3gpuE4ELNS1_3repE0EEENS1_30default_config_static_selectorELNS0_4arch9wavefront6targetE0EEEvT1_.num_vgpr, 0
	.set _ZN7rocprim17ROCPRIM_400000_NS6detail17trampoline_kernelINS0_14default_configENS1_25partition_config_selectorILNS1_17partition_subalgoE8EtNS0_10empty_typeEbEEZZNS1_14partition_implILS5_8ELb0ES3_jPKtPS6_PKS6_NS0_5tupleIJPtS6_EEENSE_IJSB_SB_EEENS0_18inequality_wrapperIN6hipcub16HIPCUB_304000_NS8EqualityEEEPlJS6_EEE10hipError_tPvRmT3_T4_T5_T6_T7_T9_mT8_P12ihipStream_tbDpT10_ENKUlT_T0_E_clISt17integral_constantIbLb0EES17_EEDaS12_S13_EUlS12_E_NS1_11comp_targetILNS1_3genE10ELNS1_11target_archE1200ELNS1_3gpuE4ELNS1_3repE0EEENS1_30default_config_static_selectorELNS0_4arch9wavefront6targetE0EEEvT1_.num_agpr, 0
	.set _ZN7rocprim17ROCPRIM_400000_NS6detail17trampoline_kernelINS0_14default_configENS1_25partition_config_selectorILNS1_17partition_subalgoE8EtNS0_10empty_typeEbEEZZNS1_14partition_implILS5_8ELb0ES3_jPKtPS6_PKS6_NS0_5tupleIJPtS6_EEENSE_IJSB_SB_EEENS0_18inequality_wrapperIN6hipcub16HIPCUB_304000_NS8EqualityEEEPlJS6_EEE10hipError_tPvRmT3_T4_T5_T6_T7_T9_mT8_P12ihipStream_tbDpT10_ENKUlT_T0_E_clISt17integral_constantIbLb0EES17_EEDaS12_S13_EUlS12_E_NS1_11comp_targetILNS1_3genE10ELNS1_11target_archE1200ELNS1_3gpuE4ELNS1_3repE0EEENS1_30default_config_static_selectorELNS0_4arch9wavefront6targetE0EEEvT1_.numbered_sgpr, 0
	.set _ZN7rocprim17ROCPRIM_400000_NS6detail17trampoline_kernelINS0_14default_configENS1_25partition_config_selectorILNS1_17partition_subalgoE8EtNS0_10empty_typeEbEEZZNS1_14partition_implILS5_8ELb0ES3_jPKtPS6_PKS6_NS0_5tupleIJPtS6_EEENSE_IJSB_SB_EEENS0_18inequality_wrapperIN6hipcub16HIPCUB_304000_NS8EqualityEEEPlJS6_EEE10hipError_tPvRmT3_T4_T5_T6_T7_T9_mT8_P12ihipStream_tbDpT10_ENKUlT_T0_E_clISt17integral_constantIbLb0EES17_EEDaS12_S13_EUlS12_E_NS1_11comp_targetILNS1_3genE10ELNS1_11target_archE1200ELNS1_3gpuE4ELNS1_3repE0EEENS1_30default_config_static_selectorELNS0_4arch9wavefront6targetE0EEEvT1_.num_named_barrier, 0
	.set _ZN7rocprim17ROCPRIM_400000_NS6detail17trampoline_kernelINS0_14default_configENS1_25partition_config_selectorILNS1_17partition_subalgoE8EtNS0_10empty_typeEbEEZZNS1_14partition_implILS5_8ELb0ES3_jPKtPS6_PKS6_NS0_5tupleIJPtS6_EEENSE_IJSB_SB_EEENS0_18inequality_wrapperIN6hipcub16HIPCUB_304000_NS8EqualityEEEPlJS6_EEE10hipError_tPvRmT3_T4_T5_T6_T7_T9_mT8_P12ihipStream_tbDpT10_ENKUlT_T0_E_clISt17integral_constantIbLb0EES17_EEDaS12_S13_EUlS12_E_NS1_11comp_targetILNS1_3genE10ELNS1_11target_archE1200ELNS1_3gpuE4ELNS1_3repE0EEENS1_30default_config_static_selectorELNS0_4arch9wavefront6targetE0EEEvT1_.private_seg_size, 0
	.set _ZN7rocprim17ROCPRIM_400000_NS6detail17trampoline_kernelINS0_14default_configENS1_25partition_config_selectorILNS1_17partition_subalgoE8EtNS0_10empty_typeEbEEZZNS1_14partition_implILS5_8ELb0ES3_jPKtPS6_PKS6_NS0_5tupleIJPtS6_EEENSE_IJSB_SB_EEENS0_18inequality_wrapperIN6hipcub16HIPCUB_304000_NS8EqualityEEEPlJS6_EEE10hipError_tPvRmT3_T4_T5_T6_T7_T9_mT8_P12ihipStream_tbDpT10_ENKUlT_T0_E_clISt17integral_constantIbLb0EES17_EEDaS12_S13_EUlS12_E_NS1_11comp_targetILNS1_3genE10ELNS1_11target_archE1200ELNS1_3gpuE4ELNS1_3repE0EEENS1_30default_config_static_selectorELNS0_4arch9wavefront6targetE0EEEvT1_.uses_vcc, 0
	.set _ZN7rocprim17ROCPRIM_400000_NS6detail17trampoline_kernelINS0_14default_configENS1_25partition_config_selectorILNS1_17partition_subalgoE8EtNS0_10empty_typeEbEEZZNS1_14partition_implILS5_8ELb0ES3_jPKtPS6_PKS6_NS0_5tupleIJPtS6_EEENSE_IJSB_SB_EEENS0_18inequality_wrapperIN6hipcub16HIPCUB_304000_NS8EqualityEEEPlJS6_EEE10hipError_tPvRmT3_T4_T5_T6_T7_T9_mT8_P12ihipStream_tbDpT10_ENKUlT_T0_E_clISt17integral_constantIbLb0EES17_EEDaS12_S13_EUlS12_E_NS1_11comp_targetILNS1_3genE10ELNS1_11target_archE1200ELNS1_3gpuE4ELNS1_3repE0EEENS1_30default_config_static_selectorELNS0_4arch9wavefront6targetE0EEEvT1_.uses_flat_scratch, 0
	.set _ZN7rocprim17ROCPRIM_400000_NS6detail17trampoline_kernelINS0_14default_configENS1_25partition_config_selectorILNS1_17partition_subalgoE8EtNS0_10empty_typeEbEEZZNS1_14partition_implILS5_8ELb0ES3_jPKtPS6_PKS6_NS0_5tupleIJPtS6_EEENSE_IJSB_SB_EEENS0_18inequality_wrapperIN6hipcub16HIPCUB_304000_NS8EqualityEEEPlJS6_EEE10hipError_tPvRmT3_T4_T5_T6_T7_T9_mT8_P12ihipStream_tbDpT10_ENKUlT_T0_E_clISt17integral_constantIbLb0EES17_EEDaS12_S13_EUlS12_E_NS1_11comp_targetILNS1_3genE10ELNS1_11target_archE1200ELNS1_3gpuE4ELNS1_3repE0EEENS1_30default_config_static_selectorELNS0_4arch9wavefront6targetE0EEEvT1_.has_dyn_sized_stack, 0
	.set _ZN7rocprim17ROCPRIM_400000_NS6detail17trampoline_kernelINS0_14default_configENS1_25partition_config_selectorILNS1_17partition_subalgoE8EtNS0_10empty_typeEbEEZZNS1_14partition_implILS5_8ELb0ES3_jPKtPS6_PKS6_NS0_5tupleIJPtS6_EEENSE_IJSB_SB_EEENS0_18inequality_wrapperIN6hipcub16HIPCUB_304000_NS8EqualityEEEPlJS6_EEE10hipError_tPvRmT3_T4_T5_T6_T7_T9_mT8_P12ihipStream_tbDpT10_ENKUlT_T0_E_clISt17integral_constantIbLb0EES17_EEDaS12_S13_EUlS12_E_NS1_11comp_targetILNS1_3genE10ELNS1_11target_archE1200ELNS1_3gpuE4ELNS1_3repE0EEENS1_30default_config_static_selectorELNS0_4arch9wavefront6targetE0EEEvT1_.has_recursion, 0
	.set _ZN7rocprim17ROCPRIM_400000_NS6detail17trampoline_kernelINS0_14default_configENS1_25partition_config_selectorILNS1_17partition_subalgoE8EtNS0_10empty_typeEbEEZZNS1_14partition_implILS5_8ELb0ES3_jPKtPS6_PKS6_NS0_5tupleIJPtS6_EEENSE_IJSB_SB_EEENS0_18inequality_wrapperIN6hipcub16HIPCUB_304000_NS8EqualityEEEPlJS6_EEE10hipError_tPvRmT3_T4_T5_T6_T7_T9_mT8_P12ihipStream_tbDpT10_ENKUlT_T0_E_clISt17integral_constantIbLb0EES17_EEDaS12_S13_EUlS12_E_NS1_11comp_targetILNS1_3genE10ELNS1_11target_archE1200ELNS1_3gpuE4ELNS1_3repE0EEENS1_30default_config_static_selectorELNS0_4arch9wavefront6targetE0EEEvT1_.has_indirect_call, 0
	.section	.AMDGPU.csdata,"",@progbits
; Kernel info:
; codeLenInByte = 0
; TotalNumSgprs: 0
; NumVgprs: 0
; ScratchSize: 0
; MemoryBound: 0
; FloatMode: 240
; IeeeMode: 1
; LDSByteSize: 0 bytes/workgroup (compile time only)
; SGPRBlocks: 0
; VGPRBlocks: 0
; NumSGPRsForWavesPerEU: 1
; NumVGPRsForWavesPerEU: 1
; NamedBarCnt: 0
; Occupancy: 16
; WaveLimiterHint : 0
; COMPUTE_PGM_RSRC2:SCRATCH_EN: 0
; COMPUTE_PGM_RSRC2:USER_SGPR: 2
; COMPUTE_PGM_RSRC2:TRAP_HANDLER: 0
; COMPUTE_PGM_RSRC2:TGID_X_EN: 1
; COMPUTE_PGM_RSRC2:TGID_Y_EN: 0
; COMPUTE_PGM_RSRC2:TGID_Z_EN: 0
; COMPUTE_PGM_RSRC2:TIDIG_COMP_CNT: 0
	.section	.text._ZN7rocprim17ROCPRIM_400000_NS6detail17trampoline_kernelINS0_14default_configENS1_25partition_config_selectorILNS1_17partition_subalgoE8EtNS0_10empty_typeEbEEZZNS1_14partition_implILS5_8ELb0ES3_jPKtPS6_PKS6_NS0_5tupleIJPtS6_EEENSE_IJSB_SB_EEENS0_18inequality_wrapperIN6hipcub16HIPCUB_304000_NS8EqualityEEEPlJS6_EEE10hipError_tPvRmT3_T4_T5_T6_T7_T9_mT8_P12ihipStream_tbDpT10_ENKUlT_T0_E_clISt17integral_constantIbLb0EES17_EEDaS12_S13_EUlS12_E_NS1_11comp_targetILNS1_3genE9ELNS1_11target_archE1100ELNS1_3gpuE3ELNS1_3repE0EEENS1_30default_config_static_selectorELNS0_4arch9wavefront6targetE0EEEvT1_,"axG",@progbits,_ZN7rocprim17ROCPRIM_400000_NS6detail17trampoline_kernelINS0_14default_configENS1_25partition_config_selectorILNS1_17partition_subalgoE8EtNS0_10empty_typeEbEEZZNS1_14partition_implILS5_8ELb0ES3_jPKtPS6_PKS6_NS0_5tupleIJPtS6_EEENSE_IJSB_SB_EEENS0_18inequality_wrapperIN6hipcub16HIPCUB_304000_NS8EqualityEEEPlJS6_EEE10hipError_tPvRmT3_T4_T5_T6_T7_T9_mT8_P12ihipStream_tbDpT10_ENKUlT_T0_E_clISt17integral_constantIbLb0EES17_EEDaS12_S13_EUlS12_E_NS1_11comp_targetILNS1_3genE9ELNS1_11target_archE1100ELNS1_3gpuE3ELNS1_3repE0EEENS1_30default_config_static_selectorELNS0_4arch9wavefront6targetE0EEEvT1_,comdat
	.protected	_ZN7rocprim17ROCPRIM_400000_NS6detail17trampoline_kernelINS0_14default_configENS1_25partition_config_selectorILNS1_17partition_subalgoE8EtNS0_10empty_typeEbEEZZNS1_14partition_implILS5_8ELb0ES3_jPKtPS6_PKS6_NS0_5tupleIJPtS6_EEENSE_IJSB_SB_EEENS0_18inequality_wrapperIN6hipcub16HIPCUB_304000_NS8EqualityEEEPlJS6_EEE10hipError_tPvRmT3_T4_T5_T6_T7_T9_mT8_P12ihipStream_tbDpT10_ENKUlT_T0_E_clISt17integral_constantIbLb0EES17_EEDaS12_S13_EUlS12_E_NS1_11comp_targetILNS1_3genE9ELNS1_11target_archE1100ELNS1_3gpuE3ELNS1_3repE0EEENS1_30default_config_static_selectorELNS0_4arch9wavefront6targetE0EEEvT1_ ; -- Begin function _ZN7rocprim17ROCPRIM_400000_NS6detail17trampoline_kernelINS0_14default_configENS1_25partition_config_selectorILNS1_17partition_subalgoE8EtNS0_10empty_typeEbEEZZNS1_14partition_implILS5_8ELb0ES3_jPKtPS6_PKS6_NS0_5tupleIJPtS6_EEENSE_IJSB_SB_EEENS0_18inequality_wrapperIN6hipcub16HIPCUB_304000_NS8EqualityEEEPlJS6_EEE10hipError_tPvRmT3_T4_T5_T6_T7_T9_mT8_P12ihipStream_tbDpT10_ENKUlT_T0_E_clISt17integral_constantIbLb0EES17_EEDaS12_S13_EUlS12_E_NS1_11comp_targetILNS1_3genE9ELNS1_11target_archE1100ELNS1_3gpuE3ELNS1_3repE0EEENS1_30default_config_static_selectorELNS0_4arch9wavefront6targetE0EEEvT1_
	.globl	_ZN7rocprim17ROCPRIM_400000_NS6detail17trampoline_kernelINS0_14default_configENS1_25partition_config_selectorILNS1_17partition_subalgoE8EtNS0_10empty_typeEbEEZZNS1_14partition_implILS5_8ELb0ES3_jPKtPS6_PKS6_NS0_5tupleIJPtS6_EEENSE_IJSB_SB_EEENS0_18inequality_wrapperIN6hipcub16HIPCUB_304000_NS8EqualityEEEPlJS6_EEE10hipError_tPvRmT3_T4_T5_T6_T7_T9_mT8_P12ihipStream_tbDpT10_ENKUlT_T0_E_clISt17integral_constantIbLb0EES17_EEDaS12_S13_EUlS12_E_NS1_11comp_targetILNS1_3genE9ELNS1_11target_archE1100ELNS1_3gpuE3ELNS1_3repE0EEENS1_30default_config_static_selectorELNS0_4arch9wavefront6targetE0EEEvT1_
	.p2align	8
	.type	_ZN7rocprim17ROCPRIM_400000_NS6detail17trampoline_kernelINS0_14default_configENS1_25partition_config_selectorILNS1_17partition_subalgoE8EtNS0_10empty_typeEbEEZZNS1_14partition_implILS5_8ELb0ES3_jPKtPS6_PKS6_NS0_5tupleIJPtS6_EEENSE_IJSB_SB_EEENS0_18inequality_wrapperIN6hipcub16HIPCUB_304000_NS8EqualityEEEPlJS6_EEE10hipError_tPvRmT3_T4_T5_T6_T7_T9_mT8_P12ihipStream_tbDpT10_ENKUlT_T0_E_clISt17integral_constantIbLb0EES17_EEDaS12_S13_EUlS12_E_NS1_11comp_targetILNS1_3genE9ELNS1_11target_archE1100ELNS1_3gpuE3ELNS1_3repE0EEENS1_30default_config_static_selectorELNS0_4arch9wavefront6targetE0EEEvT1_,@function
_ZN7rocprim17ROCPRIM_400000_NS6detail17trampoline_kernelINS0_14default_configENS1_25partition_config_selectorILNS1_17partition_subalgoE8EtNS0_10empty_typeEbEEZZNS1_14partition_implILS5_8ELb0ES3_jPKtPS6_PKS6_NS0_5tupleIJPtS6_EEENSE_IJSB_SB_EEENS0_18inequality_wrapperIN6hipcub16HIPCUB_304000_NS8EqualityEEEPlJS6_EEE10hipError_tPvRmT3_T4_T5_T6_T7_T9_mT8_P12ihipStream_tbDpT10_ENKUlT_T0_E_clISt17integral_constantIbLb0EES17_EEDaS12_S13_EUlS12_E_NS1_11comp_targetILNS1_3genE9ELNS1_11target_archE1100ELNS1_3gpuE3ELNS1_3repE0EEENS1_30default_config_static_selectorELNS0_4arch9wavefront6targetE0EEEvT1_: ; @_ZN7rocprim17ROCPRIM_400000_NS6detail17trampoline_kernelINS0_14default_configENS1_25partition_config_selectorILNS1_17partition_subalgoE8EtNS0_10empty_typeEbEEZZNS1_14partition_implILS5_8ELb0ES3_jPKtPS6_PKS6_NS0_5tupleIJPtS6_EEENSE_IJSB_SB_EEENS0_18inequality_wrapperIN6hipcub16HIPCUB_304000_NS8EqualityEEEPlJS6_EEE10hipError_tPvRmT3_T4_T5_T6_T7_T9_mT8_P12ihipStream_tbDpT10_ENKUlT_T0_E_clISt17integral_constantIbLb0EES17_EEDaS12_S13_EUlS12_E_NS1_11comp_targetILNS1_3genE9ELNS1_11target_archE1100ELNS1_3gpuE3ELNS1_3repE0EEENS1_30default_config_static_selectorELNS0_4arch9wavefront6targetE0EEEvT1_
; %bb.0:
	.section	.rodata,"a",@progbits
	.p2align	6, 0x0
	.amdhsa_kernel _ZN7rocprim17ROCPRIM_400000_NS6detail17trampoline_kernelINS0_14default_configENS1_25partition_config_selectorILNS1_17partition_subalgoE8EtNS0_10empty_typeEbEEZZNS1_14partition_implILS5_8ELb0ES3_jPKtPS6_PKS6_NS0_5tupleIJPtS6_EEENSE_IJSB_SB_EEENS0_18inequality_wrapperIN6hipcub16HIPCUB_304000_NS8EqualityEEEPlJS6_EEE10hipError_tPvRmT3_T4_T5_T6_T7_T9_mT8_P12ihipStream_tbDpT10_ENKUlT_T0_E_clISt17integral_constantIbLb0EES17_EEDaS12_S13_EUlS12_E_NS1_11comp_targetILNS1_3genE9ELNS1_11target_archE1100ELNS1_3gpuE3ELNS1_3repE0EEENS1_30default_config_static_selectorELNS0_4arch9wavefront6targetE0EEEvT1_
		.amdhsa_group_segment_fixed_size 0
		.amdhsa_private_segment_fixed_size 0
		.amdhsa_kernarg_size 112
		.amdhsa_user_sgpr_count 2
		.amdhsa_user_sgpr_dispatch_ptr 0
		.amdhsa_user_sgpr_queue_ptr 0
		.amdhsa_user_sgpr_kernarg_segment_ptr 1
		.amdhsa_user_sgpr_dispatch_id 0
		.amdhsa_user_sgpr_kernarg_preload_length 0
		.amdhsa_user_sgpr_kernarg_preload_offset 0
		.amdhsa_user_sgpr_private_segment_size 0
		.amdhsa_wavefront_size32 1
		.amdhsa_uses_dynamic_stack 0
		.amdhsa_enable_private_segment 0
		.amdhsa_system_sgpr_workgroup_id_x 1
		.amdhsa_system_sgpr_workgroup_id_y 0
		.amdhsa_system_sgpr_workgroup_id_z 0
		.amdhsa_system_sgpr_workgroup_info 0
		.amdhsa_system_vgpr_workitem_id 0
		.amdhsa_next_free_vgpr 1
		.amdhsa_next_free_sgpr 1
		.amdhsa_named_barrier_count 0
		.amdhsa_reserve_vcc 0
		.amdhsa_float_round_mode_32 0
		.amdhsa_float_round_mode_16_64 0
		.amdhsa_float_denorm_mode_32 3
		.amdhsa_float_denorm_mode_16_64 3
		.amdhsa_fp16_overflow 0
		.amdhsa_memory_ordered 1
		.amdhsa_forward_progress 1
		.amdhsa_inst_pref_size 0
		.amdhsa_round_robin_scheduling 0
		.amdhsa_exception_fp_ieee_invalid_op 0
		.amdhsa_exception_fp_denorm_src 0
		.amdhsa_exception_fp_ieee_div_zero 0
		.amdhsa_exception_fp_ieee_overflow 0
		.amdhsa_exception_fp_ieee_underflow 0
		.amdhsa_exception_fp_ieee_inexact 0
		.amdhsa_exception_int_div_zero 0
	.end_amdhsa_kernel
	.section	.text._ZN7rocprim17ROCPRIM_400000_NS6detail17trampoline_kernelINS0_14default_configENS1_25partition_config_selectorILNS1_17partition_subalgoE8EtNS0_10empty_typeEbEEZZNS1_14partition_implILS5_8ELb0ES3_jPKtPS6_PKS6_NS0_5tupleIJPtS6_EEENSE_IJSB_SB_EEENS0_18inequality_wrapperIN6hipcub16HIPCUB_304000_NS8EqualityEEEPlJS6_EEE10hipError_tPvRmT3_T4_T5_T6_T7_T9_mT8_P12ihipStream_tbDpT10_ENKUlT_T0_E_clISt17integral_constantIbLb0EES17_EEDaS12_S13_EUlS12_E_NS1_11comp_targetILNS1_3genE9ELNS1_11target_archE1100ELNS1_3gpuE3ELNS1_3repE0EEENS1_30default_config_static_selectorELNS0_4arch9wavefront6targetE0EEEvT1_,"axG",@progbits,_ZN7rocprim17ROCPRIM_400000_NS6detail17trampoline_kernelINS0_14default_configENS1_25partition_config_selectorILNS1_17partition_subalgoE8EtNS0_10empty_typeEbEEZZNS1_14partition_implILS5_8ELb0ES3_jPKtPS6_PKS6_NS0_5tupleIJPtS6_EEENSE_IJSB_SB_EEENS0_18inequality_wrapperIN6hipcub16HIPCUB_304000_NS8EqualityEEEPlJS6_EEE10hipError_tPvRmT3_T4_T5_T6_T7_T9_mT8_P12ihipStream_tbDpT10_ENKUlT_T0_E_clISt17integral_constantIbLb0EES17_EEDaS12_S13_EUlS12_E_NS1_11comp_targetILNS1_3genE9ELNS1_11target_archE1100ELNS1_3gpuE3ELNS1_3repE0EEENS1_30default_config_static_selectorELNS0_4arch9wavefront6targetE0EEEvT1_,comdat
.Lfunc_end761:
	.size	_ZN7rocprim17ROCPRIM_400000_NS6detail17trampoline_kernelINS0_14default_configENS1_25partition_config_selectorILNS1_17partition_subalgoE8EtNS0_10empty_typeEbEEZZNS1_14partition_implILS5_8ELb0ES3_jPKtPS6_PKS6_NS0_5tupleIJPtS6_EEENSE_IJSB_SB_EEENS0_18inequality_wrapperIN6hipcub16HIPCUB_304000_NS8EqualityEEEPlJS6_EEE10hipError_tPvRmT3_T4_T5_T6_T7_T9_mT8_P12ihipStream_tbDpT10_ENKUlT_T0_E_clISt17integral_constantIbLb0EES17_EEDaS12_S13_EUlS12_E_NS1_11comp_targetILNS1_3genE9ELNS1_11target_archE1100ELNS1_3gpuE3ELNS1_3repE0EEENS1_30default_config_static_selectorELNS0_4arch9wavefront6targetE0EEEvT1_, .Lfunc_end761-_ZN7rocprim17ROCPRIM_400000_NS6detail17trampoline_kernelINS0_14default_configENS1_25partition_config_selectorILNS1_17partition_subalgoE8EtNS0_10empty_typeEbEEZZNS1_14partition_implILS5_8ELb0ES3_jPKtPS6_PKS6_NS0_5tupleIJPtS6_EEENSE_IJSB_SB_EEENS0_18inequality_wrapperIN6hipcub16HIPCUB_304000_NS8EqualityEEEPlJS6_EEE10hipError_tPvRmT3_T4_T5_T6_T7_T9_mT8_P12ihipStream_tbDpT10_ENKUlT_T0_E_clISt17integral_constantIbLb0EES17_EEDaS12_S13_EUlS12_E_NS1_11comp_targetILNS1_3genE9ELNS1_11target_archE1100ELNS1_3gpuE3ELNS1_3repE0EEENS1_30default_config_static_selectorELNS0_4arch9wavefront6targetE0EEEvT1_
                                        ; -- End function
	.set _ZN7rocprim17ROCPRIM_400000_NS6detail17trampoline_kernelINS0_14default_configENS1_25partition_config_selectorILNS1_17partition_subalgoE8EtNS0_10empty_typeEbEEZZNS1_14partition_implILS5_8ELb0ES3_jPKtPS6_PKS6_NS0_5tupleIJPtS6_EEENSE_IJSB_SB_EEENS0_18inequality_wrapperIN6hipcub16HIPCUB_304000_NS8EqualityEEEPlJS6_EEE10hipError_tPvRmT3_T4_T5_T6_T7_T9_mT8_P12ihipStream_tbDpT10_ENKUlT_T0_E_clISt17integral_constantIbLb0EES17_EEDaS12_S13_EUlS12_E_NS1_11comp_targetILNS1_3genE9ELNS1_11target_archE1100ELNS1_3gpuE3ELNS1_3repE0EEENS1_30default_config_static_selectorELNS0_4arch9wavefront6targetE0EEEvT1_.num_vgpr, 0
	.set _ZN7rocprim17ROCPRIM_400000_NS6detail17trampoline_kernelINS0_14default_configENS1_25partition_config_selectorILNS1_17partition_subalgoE8EtNS0_10empty_typeEbEEZZNS1_14partition_implILS5_8ELb0ES3_jPKtPS6_PKS6_NS0_5tupleIJPtS6_EEENSE_IJSB_SB_EEENS0_18inequality_wrapperIN6hipcub16HIPCUB_304000_NS8EqualityEEEPlJS6_EEE10hipError_tPvRmT3_T4_T5_T6_T7_T9_mT8_P12ihipStream_tbDpT10_ENKUlT_T0_E_clISt17integral_constantIbLb0EES17_EEDaS12_S13_EUlS12_E_NS1_11comp_targetILNS1_3genE9ELNS1_11target_archE1100ELNS1_3gpuE3ELNS1_3repE0EEENS1_30default_config_static_selectorELNS0_4arch9wavefront6targetE0EEEvT1_.num_agpr, 0
	.set _ZN7rocprim17ROCPRIM_400000_NS6detail17trampoline_kernelINS0_14default_configENS1_25partition_config_selectorILNS1_17partition_subalgoE8EtNS0_10empty_typeEbEEZZNS1_14partition_implILS5_8ELb0ES3_jPKtPS6_PKS6_NS0_5tupleIJPtS6_EEENSE_IJSB_SB_EEENS0_18inequality_wrapperIN6hipcub16HIPCUB_304000_NS8EqualityEEEPlJS6_EEE10hipError_tPvRmT3_T4_T5_T6_T7_T9_mT8_P12ihipStream_tbDpT10_ENKUlT_T0_E_clISt17integral_constantIbLb0EES17_EEDaS12_S13_EUlS12_E_NS1_11comp_targetILNS1_3genE9ELNS1_11target_archE1100ELNS1_3gpuE3ELNS1_3repE0EEENS1_30default_config_static_selectorELNS0_4arch9wavefront6targetE0EEEvT1_.numbered_sgpr, 0
	.set _ZN7rocprim17ROCPRIM_400000_NS6detail17trampoline_kernelINS0_14default_configENS1_25partition_config_selectorILNS1_17partition_subalgoE8EtNS0_10empty_typeEbEEZZNS1_14partition_implILS5_8ELb0ES3_jPKtPS6_PKS6_NS0_5tupleIJPtS6_EEENSE_IJSB_SB_EEENS0_18inequality_wrapperIN6hipcub16HIPCUB_304000_NS8EqualityEEEPlJS6_EEE10hipError_tPvRmT3_T4_T5_T6_T7_T9_mT8_P12ihipStream_tbDpT10_ENKUlT_T0_E_clISt17integral_constantIbLb0EES17_EEDaS12_S13_EUlS12_E_NS1_11comp_targetILNS1_3genE9ELNS1_11target_archE1100ELNS1_3gpuE3ELNS1_3repE0EEENS1_30default_config_static_selectorELNS0_4arch9wavefront6targetE0EEEvT1_.num_named_barrier, 0
	.set _ZN7rocprim17ROCPRIM_400000_NS6detail17trampoline_kernelINS0_14default_configENS1_25partition_config_selectorILNS1_17partition_subalgoE8EtNS0_10empty_typeEbEEZZNS1_14partition_implILS5_8ELb0ES3_jPKtPS6_PKS6_NS0_5tupleIJPtS6_EEENSE_IJSB_SB_EEENS0_18inequality_wrapperIN6hipcub16HIPCUB_304000_NS8EqualityEEEPlJS6_EEE10hipError_tPvRmT3_T4_T5_T6_T7_T9_mT8_P12ihipStream_tbDpT10_ENKUlT_T0_E_clISt17integral_constantIbLb0EES17_EEDaS12_S13_EUlS12_E_NS1_11comp_targetILNS1_3genE9ELNS1_11target_archE1100ELNS1_3gpuE3ELNS1_3repE0EEENS1_30default_config_static_selectorELNS0_4arch9wavefront6targetE0EEEvT1_.private_seg_size, 0
	.set _ZN7rocprim17ROCPRIM_400000_NS6detail17trampoline_kernelINS0_14default_configENS1_25partition_config_selectorILNS1_17partition_subalgoE8EtNS0_10empty_typeEbEEZZNS1_14partition_implILS5_8ELb0ES3_jPKtPS6_PKS6_NS0_5tupleIJPtS6_EEENSE_IJSB_SB_EEENS0_18inequality_wrapperIN6hipcub16HIPCUB_304000_NS8EqualityEEEPlJS6_EEE10hipError_tPvRmT3_T4_T5_T6_T7_T9_mT8_P12ihipStream_tbDpT10_ENKUlT_T0_E_clISt17integral_constantIbLb0EES17_EEDaS12_S13_EUlS12_E_NS1_11comp_targetILNS1_3genE9ELNS1_11target_archE1100ELNS1_3gpuE3ELNS1_3repE0EEENS1_30default_config_static_selectorELNS0_4arch9wavefront6targetE0EEEvT1_.uses_vcc, 0
	.set _ZN7rocprim17ROCPRIM_400000_NS6detail17trampoline_kernelINS0_14default_configENS1_25partition_config_selectorILNS1_17partition_subalgoE8EtNS0_10empty_typeEbEEZZNS1_14partition_implILS5_8ELb0ES3_jPKtPS6_PKS6_NS0_5tupleIJPtS6_EEENSE_IJSB_SB_EEENS0_18inequality_wrapperIN6hipcub16HIPCUB_304000_NS8EqualityEEEPlJS6_EEE10hipError_tPvRmT3_T4_T5_T6_T7_T9_mT8_P12ihipStream_tbDpT10_ENKUlT_T0_E_clISt17integral_constantIbLb0EES17_EEDaS12_S13_EUlS12_E_NS1_11comp_targetILNS1_3genE9ELNS1_11target_archE1100ELNS1_3gpuE3ELNS1_3repE0EEENS1_30default_config_static_selectorELNS0_4arch9wavefront6targetE0EEEvT1_.uses_flat_scratch, 0
	.set _ZN7rocprim17ROCPRIM_400000_NS6detail17trampoline_kernelINS0_14default_configENS1_25partition_config_selectorILNS1_17partition_subalgoE8EtNS0_10empty_typeEbEEZZNS1_14partition_implILS5_8ELb0ES3_jPKtPS6_PKS6_NS0_5tupleIJPtS6_EEENSE_IJSB_SB_EEENS0_18inequality_wrapperIN6hipcub16HIPCUB_304000_NS8EqualityEEEPlJS6_EEE10hipError_tPvRmT3_T4_T5_T6_T7_T9_mT8_P12ihipStream_tbDpT10_ENKUlT_T0_E_clISt17integral_constantIbLb0EES17_EEDaS12_S13_EUlS12_E_NS1_11comp_targetILNS1_3genE9ELNS1_11target_archE1100ELNS1_3gpuE3ELNS1_3repE0EEENS1_30default_config_static_selectorELNS0_4arch9wavefront6targetE0EEEvT1_.has_dyn_sized_stack, 0
	.set _ZN7rocprim17ROCPRIM_400000_NS6detail17trampoline_kernelINS0_14default_configENS1_25partition_config_selectorILNS1_17partition_subalgoE8EtNS0_10empty_typeEbEEZZNS1_14partition_implILS5_8ELb0ES3_jPKtPS6_PKS6_NS0_5tupleIJPtS6_EEENSE_IJSB_SB_EEENS0_18inequality_wrapperIN6hipcub16HIPCUB_304000_NS8EqualityEEEPlJS6_EEE10hipError_tPvRmT3_T4_T5_T6_T7_T9_mT8_P12ihipStream_tbDpT10_ENKUlT_T0_E_clISt17integral_constantIbLb0EES17_EEDaS12_S13_EUlS12_E_NS1_11comp_targetILNS1_3genE9ELNS1_11target_archE1100ELNS1_3gpuE3ELNS1_3repE0EEENS1_30default_config_static_selectorELNS0_4arch9wavefront6targetE0EEEvT1_.has_recursion, 0
	.set _ZN7rocprim17ROCPRIM_400000_NS6detail17trampoline_kernelINS0_14default_configENS1_25partition_config_selectorILNS1_17partition_subalgoE8EtNS0_10empty_typeEbEEZZNS1_14partition_implILS5_8ELb0ES3_jPKtPS6_PKS6_NS0_5tupleIJPtS6_EEENSE_IJSB_SB_EEENS0_18inequality_wrapperIN6hipcub16HIPCUB_304000_NS8EqualityEEEPlJS6_EEE10hipError_tPvRmT3_T4_T5_T6_T7_T9_mT8_P12ihipStream_tbDpT10_ENKUlT_T0_E_clISt17integral_constantIbLb0EES17_EEDaS12_S13_EUlS12_E_NS1_11comp_targetILNS1_3genE9ELNS1_11target_archE1100ELNS1_3gpuE3ELNS1_3repE0EEENS1_30default_config_static_selectorELNS0_4arch9wavefront6targetE0EEEvT1_.has_indirect_call, 0
	.section	.AMDGPU.csdata,"",@progbits
; Kernel info:
; codeLenInByte = 0
; TotalNumSgprs: 0
; NumVgprs: 0
; ScratchSize: 0
; MemoryBound: 0
; FloatMode: 240
; IeeeMode: 1
; LDSByteSize: 0 bytes/workgroup (compile time only)
; SGPRBlocks: 0
; VGPRBlocks: 0
; NumSGPRsForWavesPerEU: 1
; NumVGPRsForWavesPerEU: 1
; NamedBarCnt: 0
; Occupancy: 16
; WaveLimiterHint : 0
; COMPUTE_PGM_RSRC2:SCRATCH_EN: 0
; COMPUTE_PGM_RSRC2:USER_SGPR: 2
; COMPUTE_PGM_RSRC2:TRAP_HANDLER: 0
; COMPUTE_PGM_RSRC2:TGID_X_EN: 1
; COMPUTE_PGM_RSRC2:TGID_Y_EN: 0
; COMPUTE_PGM_RSRC2:TGID_Z_EN: 0
; COMPUTE_PGM_RSRC2:TIDIG_COMP_CNT: 0
	.section	.text._ZN7rocprim17ROCPRIM_400000_NS6detail17trampoline_kernelINS0_14default_configENS1_25partition_config_selectorILNS1_17partition_subalgoE8EtNS0_10empty_typeEbEEZZNS1_14partition_implILS5_8ELb0ES3_jPKtPS6_PKS6_NS0_5tupleIJPtS6_EEENSE_IJSB_SB_EEENS0_18inequality_wrapperIN6hipcub16HIPCUB_304000_NS8EqualityEEEPlJS6_EEE10hipError_tPvRmT3_T4_T5_T6_T7_T9_mT8_P12ihipStream_tbDpT10_ENKUlT_T0_E_clISt17integral_constantIbLb0EES17_EEDaS12_S13_EUlS12_E_NS1_11comp_targetILNS1_3genE8ELNS1_11target_archE1030ELNS1_3gpuE2ELNS1_3repE0EEENS1_30default_config_static_selectorELNS0_4arch9wavefront6targetE0EEEvT1_,"axG",@progbits,_ZN7rocprim17ROCPRIM_400000_NS6detail17trampoline_kernelINS0_14default_configENS1_25partition_config_selectorILNS1_17partition_subalgoE8EtNS0_10empty_typeEbEEZZNS1_14partition_implILS5_8ELb0ES3_jPKtPS6_PKS6_NS0_5tupleIJPtS6_EEENSE_IJSB_SB_EEENS0_18inequality_wrapperIN6hipcub16HIPCUB_304000_NS8EqualityEEEPlJS6_EEE10hipError_tPvRmT3_T4_T5_T6_T7_T9_mT8_P12ihipStream_tbDpT10_ENKUlT_T0_E_clISt17integral_constantIbLb0EES17_EEDaS12_S13_EUlS12_E_NS1_11comp_targetILNS1_3genE8ELNS1_11target_archE1030ELNS1_3gpuE2ELNS1_3repE0EEENS1_30default_config_static_selectorELNS0_4arch9wavefront6targetE0EEEvT1_,comdat
	.protected	_ZN7rocprim17ROCPRIM_400000_NS6detail17trampoline_kernelINS0_14default_configENS1_25partition_config_selectorILNS1_17partition_subalgoE8EtNS0_10empty_typeEbEEZZNS1_14partition_implILS5_8ELb0ES3_jPKtPS6_PKS6_NS0_5tupleIJPtS6_EEENSE_IJSB_SB_EEENS0_18inequality_wrapperIN6hipcub16HIPCUB_304000_NS8EqualityEEEPlJS6_EEE10hipError_tPvRmT3_T4_T5_T6_T7_T9_mT8_P12ihipStream_tbDpT10_ENKUlT_T0_E_clISt17integral_constantIbLb0EES17_EEDaS12_S13_EUlS12_E_NS1_11comp_targetILNS1_3genE8ELNS1_11target_archE1030ELNS1_3gpuE2ELNS1_3repE0EEENS1_30default_config_static_selectorELNS0_4arch9wavefront6targetE0EEEvT1_ ; -- Begin function _ZN7rocprim17ROCPRIM_400000_NS6detail17trampoline_kernelINS0_14default_configENS1_25partition_config_selectorILNS1_17partition_subalgoE8EtNS0_10empty_typeEbEEZZNS1_14partition_implILS5_8ELb0ES3_jPKtPS6_PKS6_NS0_5tupleIJPtS6_EEENSE_IJSB_SB_EEENS0_18inequality_wrapperIN6hipcub16HIPCUB_304000_NS8EqualityEEEPlJS6_EEE10hipError_tPvRmT3_T4_T5_T6_T7_T9_mT8_P12ihipStream_tbDpT10_ENKUlT_T0_E_clISt17integral_constantIbLb0EES17_EEDaS12_S13_EUlS12_E_NS1_11comp_targetILNS1_3genE8ELNS1_11target_archE1030ELNS1_3gpuE2ELNS1_3repE0EEENS1_30default_config_static_selectorELNS0_4arch9wavefront6targetE0EEEvT1_
	.globl	_ZN7rocprim17ROCPRIM_400000_NS6detail17trampoline_kernelINS0_14default_configENS1_25partition_config_selectorILNS1_17partition_subalgoE8EtNS0_10empty_typeEbEEZZNS1_14partition_implILS5_8ELb0ES3_jPKtPS6_PKS6_NS0_5tupleIJPtS6_EEENSE_IJSB_SB_EEENS0_18inequality_wrapperIN6hipcub16HIPCUB_304000_NS8EqualityEEEPlJS6_EEE10hipError_tPvRmT3_T4_T5_T6_T7_T9_mT8_P12ihipStream_tbDpT10_ENKUlT_T0_E_clISt17integral_constantIbLb0EES17_EEDaS12_S13_EUlS12_E_NS1_11comp_targetILNS1_3genE8ELNS1_11target_archE1030ELNS1_3gpuE2ELNS1_3repE0EEENS1_30default_config_static_selectorELNS0_4arch9wavefront6targetE0EEEvT1_
	.p2align	8
	.type	_ZN7rocprim17ROCPRIM_400000_NS6detail17trampoline_kernelINS0_14default_configENS1_25partition_config_selectorILNS1_17partition_subalgoE8EtNS0_10empty_typeEbEEZZNS1_14partition_implILS5_8ELb0ES3_jPKtPS6_PKS6_NS0_5tupleIJPtS6_EEENSE_IJSB_SB_EEENS0_18inequality_wrapperIN6hipcub16HIPCUB_304000_NS8EqualityEEEPlJS6_EEE10hipError_tPvRmT3_T4_T5_T6_T7_T9_mT8_P12ihipStream_tbDpT10_ENKUlT_T0_E_clISt17integral_constantIbLb0EES17_EEDaS12_S13_EUlS12_E_NS1_11comp_targetILNS1_3genE8ELNS1_11target_archE1030ELNS1_3gpuE2ELNS1_3repE0EEENS1_30default_config_static_selectorELNS0_4arch9wavefront6targetE0EEEvT1_,@function
_ZN7rocprim17ROCPRIM_400000_NS6detail17trampoline_kernelINS0_14default_configENS1_25partition_config_selectorILNS1_17partition_subalgoE8EtNS0_10empty_typeEbEEZZNS1_14partition_implILS5_8ELb0ES3_jPKtPS6_PKS6_NS0_5tupleIJPtS6_EEENSE_IJSB_SB_EEENS0_18inequality_wrapperIN6hipcub16HIPCUB_304000_NS8EqualityEEEPlJS6_EEE10hipError_tPvRmT3_T4_T5_T6_T7_T9_mT8_P12ihipStream_tbDpT10_ENKUlT_T0_E_clISt17integral_constantIbLb0EES17_EEDaS12_S13_EUlS12_E_NS1_11comp_targetILNS1_3genE8ELNS1_11target_archE1030ELNS1_3gpuE2ELNS1_3repE0EEENS1_30default_config_static_selectorELNS0_4arch9wavefront6targetE0EEEvT1_: ; @_ZN7rocprim17ROCPRIM_400000_NS6detail17trampoline_kernelINS0_14default_configENS1_25partition_config_selectorILNS1_17partition_subalgoE8EtNS0_10empty_typeEbEEZZNS1_14partition_implILS5_8ELb0ES3_jPKtPS6_PKS6_NS0_5tupleIJPtS6_EEENSE_IJSB_SB_EEENS0_18inequality_wrapperIN6hipcub16HIPCUB_304000_NS8EqualityEEEPlJS6_EEE10hipError_tPvRmT3_T4_T5_T6_T7_T9_mT8_P12ihipStream_tbDpT10_ENKUlT_T0_E_clISt17integral_constantIbLb0EES17_EEDaS12_S13_EUlS12_E_NS1_11comp_targetILNS1_3genE8ELNS1_11target_archE1030ELNS1_3gpuE2ELNS1_3repE0EEENS1_30default_config_static_selectorELNS0_4arch9wavefront6targetE0EEEvT1_
; %bb.0:
	.section	.rodata,"a",@progbits
	.p2align	6, 0x0
	.amdhsa_kernel _ZN7rocprim17ROCPRIM_400000_NS6detail17trampoline_kernelINS0_14default_configENS1_25partition_config_selectorILNS1_17partition_subalgoE8EtNS0_10empty_typeEbEEZZNS1_14partition_implILS5_8ELb0ES3_jPKtPS6_PKS6_NS0_5tupleIJPtS6_EEENSE_IJSB_SB_EEENS0_18inequality_wrapperIN6hipcub16HIPCUB_304000_NS8EqualityEEEPlJS6_EEE10hipError_tPvRmT3_T4_T5_T6_T7_T9_mT8_P12ihipStream_tbDpT10_ENKUlT_T0_E_clISt17integral_constantIbLb0EES17_EEDaS12_S13_EUlS12_E_NS1_11comp_targetILNS1_3genE8ELNS1_11target_archE1030ELNS1_3gpuE2ELNS1_3repE0EEENS1_30default_config_static_selectorELNS0_4arch9wavefront6targetE0EEEvT1_
		.amdhsa_group_segment_fixed_size 0
		.amdhsa_private_segment_fixed_size 0
		.amdhsa_kernarg_size 112
		.amdhsa_user_sgpr_count 2
		.amdhsa_user_sgpr_dispatch_ptr 0
		.amdhsa_user_sgpr_queue_ptr 0
		.amdhsa_user_sgpr_kernarg_segment_ptr 1
		.amdhsa_user_sgpr_dispatch_id 0
		.amdhsa_user_sgpr_kernarg_preload_length 0
		.amdhsa_user_sgpr_kernarg_preload_offset 0
		.amdhsa_user_sgpr_private_segment_size 0
		.amdhsa_wavefront_size32 1
		.amdhsa_uses_dynamic_stack 0
		.amdhsa_enable_private_segment 0
		.amdhsa_system_sgpr_workgroup_id_x 1
		.amdhsa_system_sgpr_workgroup_id_y 0
		.amdhsa_system_sgpr_workgroup_id_z 0
		.amdhsa_system_sgpr_workgroup_info 0
		.amdhsa_system_vgpr_workitem_id 0
		.amdhsa_next_free_vgpr 1
		.amdhsa_next_free_sgpr 1
		.amdhsa_named_barrier_count 0
		.amdhsa_reserve_vcc 0
		.amdhsa_float_round_mode_32 0
		.amdhsa_float_round_mode_16_64 0
		.amdhsa_float_denorm_mode_32 3
		.amdhsa_float_denorm_mode_16_64 3
		.amdhsa_fp16_overflow 0
		.amdhsa_memory_ordered 1
		.amdhsa_forward_progress 1
		.amdhsa_inst_pref_size 0
		.amdhsa_round_robin_scheduling 0
		.amdhsa_exception_fp_ieee_invalid_op 0
		.amdhsa_exception_fp_denorm_src 0
		.amdhsa_exception_fp_ieee_div_zero 0
		.amdhsa_exception_fp_ieee_overflow 0
		.amdhsa_exception_fp_ieee_underflow 0
		.amdhsa_exception_fp_ieee_inexact 0
		.amdhsa_exception_int_div_zero 0
	.end_amdhsa_kernel
	.section	.text._ZN7rocprim17ROCPRIM_400000_NS6detail17trampoline_kernelINS0_14default_configENS1_25partition_config_selectorILNS1_17partition_subalgoE8EtNS0_10empty_typeEbEEZZNS1_14partition_implILS5_8ELb0ES3_jPKtPS6_PKS6_NS0_5tupleIJPtS6_EEENSE_IJSB_SB_EEENS0_18inequality_wrapperIN6hipcub16HIPCUB_304000_NS8EqualityEEEPlJS6_EEE10hipError_tPvRmT3_T4_T5_T6_T7_T9_mT8_P12ihipStream_tbDpT10_ENKUlT_T0_E_clISt17integral_constantIbLb0EES17_EEDaS12_S13_EUlS12_E_NS1_11comp_targetILNS1_3genE8ELNS1_11target_archE1030ELNS1_3gpuE2ELNS1_3repE0EEENS1_30default_config_static_selectorELNS0_4arch9wavefront6targetE0EEEvT1_,"axG",@progbits,_ZN7rocprim17ROCPRIM_400000_NS6detail17trampoline_kernelINS0_14default_configENS1_25partition_config_selectorILNS1_17partition_subalgoE8EtNS0_10empty_typeEbEEZZNS1_14partition_implILS5_8ELb0ES3_jPKtPS6_PKS6_NS0_5tupleIJPtS6_EEENSE_IJSB_SB_EEENS0_18inequality_wrapperIN6hipcub16HIPCUB_304000_NS8EqualityEEEPlJS6_EEE10hipError_tPvRmT3_T4_T5_T6_T7_T9_mT8_P12ihipStream_tbDpT10_ENKUlT_T0_E_clISt17integral_constantIbLb0EES17_EEDaS12_S13_EUlS12_E_NS1_11comp_targetILNS1_3genE8ELNS1_11target_archE1030ELNS1_3gpuE2ELNS1_3repE0EEENS1_30default_config_static_selectorELNS0_4arch9wavefront6targetE0EEEvT1_,comdat
.Lfunc_end762:
	.size	_ZN7rocprim17ROCPRIM_400000_NS6detail17trampoline_kernelINS0_14default_configENS1_25partition_config_selectorILNS1_17partition_subalgoE8EtNS0_10empty_typeEbEEZZNS1_14partition_implILS5_8ELb0ES3_jPKtPS6_PKS6_NS0_5tupleIJPtS6_EEENSE_IJSB_SB_EEENS0_18inequality_wrapperIN6hipcub16HIPCUB_304000_NS8EqualityEEEPlJS6_EEE10hipError_tPvRmT3_T4_T5_T6_T7_T9_mT8_P12ihipStream_tbDpT10_ENKUlT_T0_E_clISt17integral_constantIbLb0EES17_EEDaS12_S13_EUlS12_E_NS1_11comp_targetILNS1_3genE8ELNS1_11target_archE1030ELNS1_3gpuE2ELNS1_3repE0EEENS1_30default_config_static_selectorELNS0_4arch9wavefront6targetE0EEEvT1_, .Lfunc_end762-_ZN7rocprim17ROCPRIM_400000_NS6detail17trampoline_kernelINS0_14default_configENS1_25partition_config_selectorILNS1_17partition_subalgoE8EtNS0_10empty_typeEbEEZZNS1_14partition_implILS5_8ELb0ES3_jPKtPS6_PKS6_NS0_5tupleIJPtS6_EEENSE_IJSB_SB_EEENS0_18inequality_wrapperIN6hipcub16HIPCUB_304000_NS8EqualityEEEPlJS6_EEE10hipError_tPvRmT3_T4_T5_T6_T7_T9_mT8_P12ihipStream_tbDpT10_ENKUlT_T0_E_clISt17integral_constantIbLb0EES17_EEDaS12_S13_EUlS12_E_NS1_11comp_targetILNS1_3genE8ELNS1_11target_archE1030ELNS1_3gpuE2ELNS1_3repE0EEENS1_30default_config_static_selectorELNS0_4arch9wavefront6targetE0EEEvT1_
                                        ; -- End function
	.set _ZN7rocprim17ROCPRIM_400000_NS6detail17trampoline_kernelINS0_14default_configENS1_25partition_config_selectorILNS1_17partition_subalgoE8EtNS0_10empty_typeEbEEZZNS1_14partition_implILS5_8ELb0ES3_jPKtPS6_PKS6_NS0_5tupleIJPtS6_EEENSE_IJSB_SB_EEENS0_18inequality_wrapperIN6hipcub16HIPCUB_304000_NS8EqualityEEEPlJS6_EEE10hipError_tPvRmT3_T4_T5_T6_T7_T9_mT8_P12ihipStream_tbDpT10_ENKUlT_T0_E_clISt17integral_constantIbLb0EES17_EEDaS12_S13_EUlS12_E_NS1_11comp_targetILNS1_3genE8ELNS1_11target_archE1030ELNS1_3gpuE2ELNS1_3repE0EEENS1_30default_config_static_selectorELNS0_4arch9wavefront6targetE0EEEvT1_.num_vgpr, 0
	.set _ZN7rocprim17ROCPRIM_400000_NS6detail17trampoline_kernelINS0_14default_configENS1_25partition_config_selectorILNS1_17partition_subalgoE8EtNS0_10empty_typeEbEEZZNS1_14partition_implILS5_8ELb0ES3_jPKtPS6_PKS6_NS0_5tupleIJPtS6_EEENSE_IJSB_SB_EEENS0_18inequality_wrapperIN6hipcub16HIPCUB_304000_NS8EqualityEEEPlJS6_EEE10hipError_tPvRmT3_T4_T5_T6_T7_T9_mT8_P12ihipStream_tbDpT10_ENKUlT_T0_E_clISt17integral_constantIbLb0EES17_EEDaS12_S13_EUlS12_E_NS1_11comp_targetILNS1_3genE8ELNS1_11target_archE1030ELNS1_3gpuE2ELNS1_3repE0EEENS1_30default_config_static_selectorELNS0_4arch9wavefront6targetE0EEEvT1_.num_agpr, 0
	.set _ZN7rocprim17ROCPRIM_400000_NS6detail17trampoline_kernelINS0_14default_configENS1_25partition_config_selectorILNS1_17partition_subalgoE8EtNS0_10empty_typeEbEEZZNS1_14partition_implILS5_8ELb0ES3_jPKtPS6_PKS6_NS0_5tupleIJPtS6_EEENSE_IJSB_SB_EEENS0_18inequality_wrapperIN6hipcub16HIPCUB_304000_NS8EqualityEEEPlJS6_EEE10hipError_tPvRmT3_T4_T5_T6_T7_T9_mT8_P12ihipStream_tbDpT10_ENKUlT_T0_E_clISt17integral_constantIbLb0EES17_EEDaS12_S13_EUlS12_E_NS1_11comp_targetILNS1_3genE8ELNS1_11target_archE1030ELNS1_3gpuE2ELNS1_3repE0EEENS1_30default_config_static_selectorELNS0_4arch9wavefront6targetE0EEEvT1_.numbered_sgpr, 0
	.set _ZN7rocprim17ROCPRIM_400000_NS6detail17trampoline_kernelINS0_14default_configENS1_25partition_config_selectorILNS1_17partition_subalgoE8EtNS0_10empty_typeEbEEZZNS1_14partition_implILS5_8ELb0ES3_jPKtPS6_PKS6_NS0_5tupleIJPtS6_EEENSE_IJSB_SB_EEENS0_18inequality_wrapperIN6hipcub16HIPCUB_304000_NS8EqualityEEEPlJS6_EEE10hipError_tPvRmT3_T4_T5_T6_T7_T9_mT8_P12ihipStream_tbDpT10_ENKUlT_T0_E_clISt17integral_constantIbLb0EES17_EEDaS12_S13_EUlS12_E_NS1_11comp_targetILNS1_3genE8ELNS1_11target_archE1030ELNS1_3gpuE2ELNS1_3repE0EEENS1_30default_config_static_selectorELNS0_4arch9wavefront6targetE0EEEvT1_.num_named_barrier, 0
	.set _ZN7rocprim17ROCPRIM_400000_NS6detail17trampoline_kernelINS0_14default_configENS1_25partition_config_selectorILNS1_17partition_subalgoE8EtNS0_10empty_typeEbEEZZNS1_14partition_implILS5_8ELb0ES3_jPKtPS6_PKS6_NS0_5tupleIJPtS6_EEENSE_IJSB_SB_EEENS0_18inequality_wrapperIN6hipcub16HIPCUB_304000_NS8EqualityEEEPlJS6_EEE10hipError_tPvRmT3_T4_T5_T6_T7_T9_mT8_P12ihipStream_tbDpT10_ENKUlT_T0_E_clISt17integral_constantIbLb0EES17_EEDaS12_S13_EUlS12_E_NS1_11comp_targetILNS1_3genE8ELNS1_11target_archE1030ELNS1_3gpuE2ELNS1_3repE0EEENS1_30default_config_static_selectorELNS0_4arch9wavefront6targetE0EEEvT1_.private_seg_size, 0
	.set _ZN7rocprim17ROCPRIM_400000_NS6detail17trampoline_kernelINS0_14default_configENS1_25partition_config_selectorILNS1_17partition_subalgoE8EtNS0_10empty_typeEbEEZZNS1_14partition_implILS5_8ELb0ES3_jPKtPS6_PKS6_NS0_5tupleIJPtS6_EEENSE_IJSB_SB_EEENS0_18inequality_wrapperIN6hipcub16HIPCUB_304000_NS8EqualityEEEPlJS6_EEE10hipError_tPvRmT3_T4_T5_T6_T7_T9_mT8_P12ihipStream_tbDpT10_ENKUlT_T0_E_clISt17integral_constantIbLb0EES17_EEDaS12_S13_EUlS12_E_NS1_11comp_targetILNS1_3genE8ELNS1_11target_archE1030ELNS1_3gpuE2ELNS1_3repE0EEENS1_30default_config_static_selectorELNS0_4arch9wavefront6targetE0EEEvT1_.uses_vcc, 0
	.set _ZN7rocprim17ROCPRIM_400000_NS6detail17trampoline_kernelINS0_14default_configENS1_25partition_config_selectorILNS1_17partition_subalgoE8EtNS0_10empty_typeEbEEZZNS1_14partition_implILS5_8ELb0ES3_jPKtPS6_PKS6_NS0_5tupleIJPtS6_EEENSE_IJSB_SB_EEENS0_18inequality_wrapperIN6hipcub16HIPCUB_304000_NS8EqualityEEEPlJS6_EEE10hipError_tPvRmT3_T4_T5_T6_T7_T9_mT8_P12ihipStream_tbDpT10_ENKUlT_T0_E_clISt17integral_constantIbLb0EES17_EEDaS12_S13_EUlS12_E_NS1_11comp_targetILNS1_3genE8ELNS1_11target_archE1030ELNS1_3gpuE2ELNS1_3repE0EEENS1_30default_config_static_selectorELNS0_4arch9wavefront6targetE0EEEvT1_.uses_flat_scratch, 0
	.set _ZN7rocprim17ROCPRIM_400000_NS6detail17trampoline_kernelINS0_14default_configENS1_25partition_config_selectorILNS1_17partition_subalgoE8EtNS0_10empty_typeEbEEZZNS1_14partition_implILS5_8ELb0ES3_jPKtPS6_PKS6_NS0_5tupleIJPtS6_EEENSE_IJSB_SB_EEENS0_18inequality_wrapperIN6hipcub16HIPCUB_304000_NS8EqualityEEEPlJS6_EEE10hipError_tPvRmT3_T4_T5_T6_T7_T9_mT8_P12ihipStream_tbDpT10_ENKUlT_T0_E_clISt17integral_constantIbLb0EES17_EEDaS12_S13_EUlS12_E_NS1_11comp_targetILNS1_3genE8ELNS1_11target_archE1030ELNS1_3gpuE2ELNS1_3repE0EEENS1_30default_config_static_selectorELNS0_4arch9wavefront6targetE0EEEvT1_.has_dyn_sized_stack, 0
	.set _ZN7rocprim17ROCPRIM_400000_NS6detail17trampoline_kernelINS0_14default_configENS1_25partition_config_selectorILNS1_17partition_subalgoE8EtNS0_10empty_typeEbEEZZNS1_14partition_implILS5_8ELb0ES3_jPKtPS6_PKS6_NS0_5tupleIJPtS6_EEENSE_IJSB_SB_EEENS0_18inequality_wrapperIN6hipcub16HIPCUB_304000_NS8EqualityEEEPlJS6_EEE10hipError_tPvRmT3_T4_T5_T6_T7_T9_mT8_P12ihipStream_tbDpT10_ENKUlT_T0_E_clISt17integral_constantIbLb0EES17_EEDaS12_S13_EUlS12_E_NS1_11comp_targetILNS1_3genE8ELNS1_11target_archE1030ELNS1_3gpuE2ELNS1_3repE0EEENS1_30default_config_static_selectorELNS0_4arch9wavefront6targetE0EEEvT1_.has_recursion, 0
	.set _ZN7rocprim17ROCPRIM_400000_NS6detail17trampoline_kernelINS0_14default_configENS1_25partition_config_selectorILNS1_17partition_subalgoE8EtNS0_10empty_typeEbEEZZNS1_14partition_implILS5_8ELb0ES3_jPKtPS6_PKS6_NS0_5tupleIJPtS6_EEENSE_IJSB_SB_EEENS0_18inequality_wrapperIN6hipcub16HIPCUB_304000_NS8EqualityEEEPlJS6_EEE10hipError_tPvRmT3_T4_T5_T6_T7_T9_mT8_P12ihipStream_tbDpT10_ENKUlT_T0_E_clISt17integral_constantIbLb0EES17_EEDaS12_S13_EUlS12_E_NS1_11comp_targetILNS1_3genE8ELNS1_11target_archE1030ELNS1_3gpuE2ELNS1_3repE0EEENS1_30default_config_static_selectorELNS0_4arch9wavefront6targetE0EEEvT1_.has_indirect_call, 0
	.section	.AMDGPU.csdata,"",@progbits
; Kernel info:
; codeLenInByte = 0
; TotalNumSgprs: 0
; NumVgprs: 0
; ScratchSize: 0
; MemoryBound: 0
; FloatMode: 240
; IeeeMode: 1
; LDSByteSize: 0 bytes/workgroup (compile time only)
; SGPRBlocks: 0
; VGPRBlocks: 0
; NumSGPRsForWavesPerEU: 1
; NumVGPRsForWavesPerEU: 1
; NamedBarCnt: 0
; Occupancy: 16
; WaveLimiterHint : 0
; COMPUTE_PGM_RSRC2:SCRATCH_EN: 0
; COMPUTE_PGM_RSRC2:USER_SGPR: 2
; COMPUTE_PGM_RSRC2:TRAP_HANDLER: 0
; COMPUTE_PGM_RSRC2:TGID_X_EN: 1
; COMPUTE_PGM_RSRC2:TGID_Y_EN: 0
; COMPUTE_PGM_RSRC2:TGID_Z_EN: 0
; COMPUTE_PGM_RSRC2:TIDIG_COMP_CNT: 0
	.section	.text._ZN7rocprim17ROCPRIM_400000_NS6detail17trampoline_kernelINS0_14default_configENS1_25partition_config_selectorILNS1_17partition_subalgoE8EtNS0_10empty_typeEbEEZZNS1_14partition_implILS5_8ELb0ES3_jPKtPS6_PKS6_NS0_5tupleIJPtS6_EEENSE_IJSB_SB_EEENS0_18inequality_wrapperIN6hipcub16HIPCUB_304000_NS8EqualityEEEPlJS6_EEE10hipError_tPvRmT3_T4_T5_T6_T7_T9_mT8_P12ihipStream_tbDpT10_ENKUlT_T0_E_clISt17integral_constantIbLb1EES17_EEDaS12_S13_EUlS12_E_NS1_11comp_targetILNS1_3genE0ELNS1_11target_archE4294967295ELNS1_3gpuE0ELNS1_3repE0EEENS1_30default_config_static_selectorELNS0_4arch9wavefront6targetE0EEEvT1_,"axG",@progbits,_ZN7rocprim17ROCPRIM_400000_NS6detail17trampoline_kernelINS0_14default_configENS1_25partition_config_selectorILNS1_17partition_subalgoE8EtNS0_10empty_typeEbEEZZNS1_14partition_implILS5_8ELb0ES3_jPKtPS6_PKS6_NS0_5tupleIJPtS6_EEENSE_IJSB_SB_EEENS0_18inequality_wrapperIN6hipcub16HIPCUB_304000_NS8EqualityEEEPlJS6_EEE10hipError_tPvRmT3_T4_T5_T6_T7_T9_mT8_P12ihipStream_tbDpT10_ENKUlT_T0_E_clISt17integral_constantIbLb1EES17_EEDaS12_S13_EUlS12_E_NS1_11comp_targetILNS1_3genE0ELNS1_11target_archE4294967295ELNS1_3gpuE0ELNS1_3repE0EEENS1_30default_config_static_selectorELNS0_4arch9wavefront6targetE0EEEvT1_,comdat
	.protected	_ZN7rocprim17ROCPRIM_400000_NS6detail17trampoline_kernelINS0_14default_configENS1_25partition_config_selectorILNS1_17partition_subalgoE8EtNS0_10empty_typeEbEEZZNS1_14partition_implILS5_8ELb0ES3_jPKtPS6_PKS6_NS0_5tupleIJPtS6_EEENSE_IJSB_SB_EEENS0_18inequality_wrapperIN6hipcub16HIPCUB_304000_NS8EqualityEEEPlJS6_EEE10hipError_tPvRmT3_T4_T5_T6_T7_T9_mT8_P12ihipStream_tbDpT10_ENKUlT_T0_E_clISt17integral_constantIbLb1EES17_EEDaS12_S13_EUlS12_E_NS1_11comp_targetILNS1_3genE0ELNS1_11target_archE4294967295ELNS1_3gpuE0ELNS1_3repE0EEENS1_30default_config_static_selectorELNS0_4arch9wavefront6targetE0EEEvT1_ ; -- Begin function _ZN7rocprim17ROCPRIM_400000_NS6detail17trampoline_kernelINS0_14default_configENS1_25partition_config_selectorILNS1_17partition_subalgoE8EtNS0_10empty_typeEbEEZZNS1_14partition_implILS5_8ELb0ES3_jPKtPS6_PKS6_NS0_5tupleIJPtS6_EEENSE_IJSB_SB_EEENS0_18inequality_wrapperIN6hipcub16HIPCUB_304000_NS8EqualityEEEPlJS6_EEE10hipError_tPvRmT3_T4_T5_T6_T7_T9_mT8_P12ihipStream_tbDpT10_ENKUlT_T0_E_clISt17integral_constantIbLb1EES17_EEDaS12_S13_EUlS12_E_NS1_11comp_targetILNS1_3genE0ELNS1_11target_archE4294967295ELNS1_3gpuE0ELNS1_3repE0EEENS1_30default_config_static_selectorELNS0_4arch9wavefront6targetE0EEEvT1_
	.globl	_ZN7rocprim17ROCPRIM_400000_NS6detail17trampoline_kernelINS0_14default_configENS1_25partition_config_selectorILNS1_17partition_subalgoE8EtNS0_10empty_typeEbEEZZNS1_14partition_implILS5_8ELb0ES3_jPKtPS6_PKS6_NS0_5tupleIJPtS6_EEENSE_IJSB_SB_EEENS0_18inequality_wrapperIN6hipcub16HIPCUB_304000_NS8EqualityEEEPlJS6_EEE10hipError_tPvRmT3_T4_T5_T6_T7_T9_mT8_P12ihipStream_tbDpT10_ENKUlT_T0_E_clISt17integral_constantIbLb1EES17_EEDaS12_S13_EUlS12_E_NS1_11comp_targetILNS1_3genE0ELNS1_11target_archE4294967295ELNS1_3gpuE0ELNS1_3repE0EEENS1_30default_config_static_selectorELNS0_4arch9wavefront6targetE0EEEvT1_
	.p2align	8
	.type	_ZN7rocprim17ROCPRIM_400000_NS6detail17trampoline_kernelINS0_14default_configENS1_25partition_config_selectorILNS1_17partition_subalgoE8EtNS0_10empty_typeEbEEZZNS1_14partition_implILS5_8ELb0ES3_jPKtPS6_PKS6_NS0_5tupleIJPtS6_EEENSE_IJSB_SB_EEENS0_18inequality_wrapperIN6hipcub16HIPCUB_304000_NS8EqualityEEEPlJS6_EEE10hipError_tPvRmT3_T4_T5_T6_T7_T9_mT8_P12ihipStream_tbDpT10_ENKUlT_T0_E_clISt17integral_constantIbLb1EES17_EEDaS12_S13_EUlS12_E_NS1_11comp_targetILNS1_3genE0ELNS1_11target_archE4294967295ELNS1_3gpuE0ELNS1_3repE0EEENS1_30default_config_static_selectorELNS0_4arch9wavefront6targetE0EEEvT1_,@function
_ZN7rocprim17ROCPRIM_400000_NS6detail17trampoline_kernelINS0_14default_configENS1_25partition_config_selectorILNS1_17partition_subalgoE8EtNS0_10empty_typeEbEEZZNS1_14partition_implILS5_8ELb0ES3_jPKtPS6_PKS6_NS0_5tupleIJPtS6_EEENSE_IJSB_SB_EEENS0_18inequality_wrapperIN6hipcub16HIPCUB_304000_NS8EqualityEEEPlJS6_EEE10hipError_tPvRmT3_T4_T5_T6_T7_T9_mT8_P12ihipStream_tbDpT10_ENKUlT_T0_E_clISt17integral_constantIbLb1EES17_EEDaS12_S13_EUlS12_E_NS1_11comp_targetILNS1_3genE0ELNS1_11target_archE4294967295ELNS1_3gpuE0ELNS1_3repE0EEENS1_30default_config_static_selectorELNS0_4arch9wavefront6targetE0EEEvT1_: ; @_ZN7rocprim17ROCPRIM_400000_NS6detail17trampoline_kernelINS0_14default_configENS1_25partition_config_selectorILNS1_17partition_subalgoE8EtNS0_10empty_typeEbEEZZNS1_14partition_implILS5_8ELb0ES3_jPKtPS6_PKS6_NS0_5tupleIJPtS6_EEENSE_IJSB_SB_EEENS0_18inequality_wrapperIN6hipcub16HIPCUB_304000_NS8EqualityEEEPlJS6_EEE10hipError_tPvRmT3_T4_T5_T6_T7_T9_mT8_P12ihipStream_tbDpT10_ENKUlT_T0_E_clISt17integral_constantIbLb1EES17_EEDaS12_S13_EUlS12_E_NS1_11comp_targetILNS1_3genE0ELNS1_11target_archE4294967295ELNS1_3gpuE0ELNS1_3repE0EEENS1_30default_config_static_selectorELNS0_4arch9wavefront6targetE0EEEvT1_
; %bb.0:
	s_endpgm
	.section	.rodata,"a",@progbits
	.p2align	6, 0x0
	.amdhsa_kernel _ZN7rocprim17ROCPRIM_400000_NS6detail17trampoline_kernelINS0_14default_configENS1_25partition_config_selectorILNS1_17partition_subalgoE8EtNS0_10empty_typeEbEEZZNS1_14partition_implILS5_8ELb0ES3_jPKtPS6_PKS6_NS0_5tupleIJPtS6_EEENSE_IJSB_SB_EEENS0_18inequality_wrapperIN6hipcub16HIPCUB_304000_NS8EqualityEEEPlJS6_EEE10hipError_tPvRmT3_T4_T5_T6_T7_T9_mT8_P12ihipStream_tbDpT10_ENKUlT_T0_E_clISt17integral_constantIbLb1EES17_EEDaS12_S13_EUlS12_E_NS1_11comp_targetILNS1_3genE0ELNS1_11target_archE4294967295ELNS1_3gpuE0ELNS1_3repE0EEENS1_30default_config_static_selectorELNS0_4arch9wavefront6targetE0EEEvT1_
		.amdhsa_group_segment_fixed_size 0
		.amdhsa_private_segment_fixed_size 0
		.amdhsa_kernarg_size 128
		.amdhsa_user_sgpr_count 2
		.amdhsa_user_sgpr_dispatch_ptr 0
		.amdhsa_user_sgpr_queue_ptr 0
		.amdhsa_user_sgpr_kernarg_segment_ptr 1
		.amdhsa_user_sgpr_dispatch_id 0
		.amdhsa_user_sgpr_kernarg_preload_length 0
		.amdhsa_user_sgpr_kernarg_preload_offset 0
		.amdhsa_user_sgpr_private_segment_size 0
		.amdhsa_wavefront_size32 1
		.amdhsa_uses_dynamic_stack 0
		.amdhsa_enable_private_segment 0
		.amdhsa_system_sgpr_workgroup_id_x 1
		.amdhsa_system_sgpr_workgroup_id_y 0
		.amdhsa_system_sgpr_workgroup_id_z 0
		.amdhsa_system_sgpr_workgroup_info 0
		.amdhsa_system_vgpr_workitem_id 0
		.amdhsa_next_free_vgpr 1
		.amdhsa_next_free_sgpr 1
		.amdhsa_named_barrier_count 0
		.amdhsa_reserve_vcc 0
		.amdhsa_float_round_mode_32 0
		.amdhsa_float_round_mode_16_64 0
		.amdhsa_float_denorm_mode_32 3
		.amdhsa_float_denorm_mode_16_64 3
		.amdhsa_fp16_overflow 0
		.amdhsa_memory_ordered 1
		.amdhsa_forward_progress 1
		.amdhsa_inst_pref_size 1
		.amdhsa_round_robin_scheduling 0
		.amdhsa_exception_fp_ieee_invalid_op 0
		.amdhsa_exception_fp_denorm_src 0
		.amdhsa_exception_fp_ieee_div_zero 0
		.amdhsa_exception_fp_ieee_overflow 0
		.amdhsa_exception_fp_ieee_underflow 0
		.amdhsa_exception_fp_ieee_inexact 0
		.amdhsa_exception_int_div_zero 0
	.end_amdhsa_kernel
	.section	.text._ZN7rocprim17ROCPRIM_400000_NS6detail17trampoline_kernelINS0_14default_configENS1_25partition_config_selectorILNS1_17partition_subalgoE8EtNS0_10empty_typeEbEEZZNS1_14partition_implILS5_8ELb0ES3_jPKtPS6_PKS6_NS0_5tupleIJPtS6_EEENSE_IJSB_SB_EEENS0_18inequality_wrapperIN6hipcub16HIPCUB_304000_NS8EqualityEEEPlJS6_EEE10hipError_tPvRmT3_T4_T5_T6_T7_T9_mT8_P12ihipStream_tbDpT10_ENKUlT_T0_E_clISt17integral_constantIbLb1EES17_EEDaS12_S13_EUlS12_E_NS1_11comp_targetILNS1_3genE0ELNS1_11target_archE4294967295ELNS1_3gpuE0ELNS1_3repE0EEENS1_30default_config_static_selectorELNS0_4arch9wavefront6targetE0EEEvT1_,"axG",@progbits,_ZN7rocprim17ROCPRIM_400000_NS6detail17trampoline_kernelINS0_14default_configENS1_25partition_config_selectorILNS1_17partition_subalgoE8EtNS0_10empty_typeEbEEZZNS1_14partition_implILS5_8ELb0ES3_jPKtPS6_PKS6_NS0_5tupleIJPtS6_EEENSE_IJSB_SB_EEENS0_18inequality_wrapperIN6hipcub16HIPCUB_304000_NS8EqualityEEEPlJS6_EEE10hipError_tPvRmT3_T4_T5_T6_T7_T9_mT8_P12ihipStream_tbDpT10_ENKUlT_T0_E_clISt17integral_constantIbLb1EES17_EEDaS12_S13_EUlS12_E_NS1_11comp_targetILNS1_3genE0ELNS1_11target_archE4294967295ELNS1_3gpuE0ELNS1_3repE0EEENS1_30default_config_static_selectorELNS0_4arch9wavefront6targetE0EEEvT1_,comdat
.Lfunc_end763:
	.size	_ZN7rocprim17ROCPRIM_400000_NS6detail17trampoline_kernelINS0_14default_configENS1_25partition_config_selectorILNS1_17partition_subalgoE8EtNS0_10empty_typeEbEEZZNS1_14partition_implILS5_8ELb0ES3_jPKtPS6_PKS6_NS0_5tupleIJPtS6_EEENSE_IJSB_SB_EEENS0_18inequality_wrapperIN6hipcub16HIPCUB_304000_NS8EqualityEEEPlJS6_EEE10hipError_tPvRmT3_T4_T5_T6_T7_T9_mT8_P12ihipStream_tbDpT10_ENKUlT_T0_E_clISt17integral_constantIbLb1EES17_EEDaS12_S13_EUlS12_E_NS1_11comp_targetILNS1_3genE0ELNS1_11target_archE4294967295ELNS1_3gpuE0ELNS1_3repE0EEENS1_30default_config_static_selectorELNS0_4arch9wavefront6targetE0EEEvT1_, .Lfunc_end763-_ZN7rocprim17ROCPRIM_400000_NS6detail17trampoline_kernelINS0_14default_configENS1_25partition_config_selectorILNS1_17partition_subalgoE8EtNS0_10empty_typeEbEEZZNS1_14partition_implILS5_8ELb0ES3_jPKtPS6_PKS6_NS0_5tupleIJPtS6_EEENSE_IJSB_SB_EEENS0_18inequality_wrapperIN6hipcub16HIPCUB_304000_NS8EqualityEEEPlJS6_EEE10hipError_tPvRmT3_T4_T5_T6_T7_T9_mT8_P12ihipStream_tbDpT10_ENKUlT_T0_E_clISt17integral_constantIbLb1EES17_EEDaS12_S13_EUlS12_E_NS1_11comp_targetILNS1_3genE0ELNS1_11target_archE4294967295ELNS1_3gpuE0ELNS1_3repE0EEENS1_30default_config_static_selectorELNS0_4arch9wavefront6targetE0EEEvT1_
                                        ; -- End function
	.set _ZN7rocprim17ROCPRIM_400000_NS6detail17trampoline_kernelINS0_14default_configENS1_25partition_config_selectorILNS1_17partition_subalgoE8EtNS0_10empty_typeEbEEZZNS1_14partition_implILS5_8ELb0ES3_jPKtPS6_PKS6_NS0_5tupleIJPtS6_EEENSE_IJSB_SB_EEENS0_18inequality_wrapperIN6hipcub16HIPCUB_304000_NS8EqualityEEEPlJS6_EEE10hipError_tPvRmT3_T4_T5_T6_T7_T9_mT8_P12ihipStream_tbDpT10_ENKUlT_T0_E_clISt17integral_constantIbLb1EES17_EEDaS12_S13_EUlS12_E_NS1_11comp_targetILNS1_3genE0ELNS1_11target_archE4294967295ELNS1_3gpuE0ELNS1_3repE0EEENS1_30default_config_static_selectorELNS0_4arch9wavefront6targetE0EEEvT1_.num_vgpr, 0
	.set _ZN7rocprim17ROCPRIM_400000_NS6detail17trampoline_kernelINS0_14default_configENS1_25partition_config_selectorILNS1_17partition_subalgoE8EtNS0_10empty_typeEbEEZZNS1_14partition_implILS5_8ELb0ES3_jPKtPS6_PKS6_NS0_5tupleIJPtS6_EEENSE_IJSB_SB_EEENS0_18inequality_wrapperIN6hipcub16HIPCUB_304000_NS8EqualityEEEPlJS6_EEE10hipError_tPvRmT3_T4_T5_T6_T7_T9_mT8_P12ihipStream_tbDpT10_ENKUlT_T0_E_clISt17integral_constantIbLb1EES17_EEDaS12_S13_EUlS12_E_NS1_11comp_targetILNS1_3genE0ELNS1_11target_archE4294967295ELNS1_3gpuE0ELNS1_3repE0EEENS1_30default_config_static_selectorELNS0_4arch9wavefront6targetE0EEEvT1_.num_agpr, 0
	.set _ZN7rocprim17ROCPRIM_400000_NS6detail17trampoline_kernelINS0_14default_configENS1_25partition_config_selectorILNS1_17partition_subalgoE8EtNS0_10empty_typeEbEEZZNS1_14partition_implILS5_8ELb0ES3_jPKtPS6_PKS6_NS0_5tupleIJPtS6_EEENSE_IJSB_SB_EEENS0_18inequality_wrapperIN6hipcub16HIPCUB_304000_NS8EqualityEEEPlJS6_EEE10hipError_tPvRmT3_T4_T5_T6_T7_T9_mT8_P12ihipStream_tbDpT10_ENKUlT_T0_E_clISt17integral_constantIbLb1EES17_EEDaS12_S13_EUlS12_E_NS1_11comp_targetILNS1_3genE0ELNS1_11target_archE4294967295ELNS1_3gpuE0ELNS1_3repE0EEENS1_30default_config_static_selectorELNS0_4arch9wavefront6targetE0EEEvT1_.numbered_sgpr, 0
	.set _ZN7rocprim17ROCPRIM_400000_NS6detail17trampoline_kernelINS0_14default_configENS1_25partition_config_selectorILNS1_17partition_subalgoE8EtNS0_10empty_typeEbEEZZNS1_14partition_implILS5_8ELb0ES3_jPKtPS6_PKS6_NS0_5tupleIJPtS6_EEENSE_IJSB_SB_EEENS0_18inequality_wrapperIN6hipcub16HIPCUB_304000_NS8EqualityEEEPlJS6_EEE10hipError_tPvRmT3_T4_T5_T6_T7_T9_mT8_P12ihipStream_tbDpT10_ENKUlT_T0_E_clISt17integral_constantIbLb1EES17_EEDaS12_S13_EUlS12_E_NS1_11comp_targetILNS1_3genE0ELNS1_11target_archE4294967295ELNS1_3gpuE0ELNS1_3repE0EEENS1_30default_config_static_selectorELNS0_4arch9wavefront6targetE0EEEvT1_.num_named_barrier, 0
	.set _ZN7rocprim17ROCPRIM_400000_NS6detail17trampoline_kernelINS0_14default_configENS1_25partition_config_selectorILNS1_17partition_subalgoE8EtNS0_10empty_typeEbEEZZNS1_14partition_implILS5_8ELb0ES3_jPKtPS6_PKS6_NS0_5tupleIJPtS6_EEENSE_IJSB_SB_EEENS0_18inequality_wrapperIN6hipcub16HIPCUB_304000_NS8EqualityEEEPlJS6_EEE10hipError_tPvRmT3_T4_T5_T6_T7_T9_mT8_P12ihipStream_tbDpT10_ENKUlT_T0_E_clISt17integral_constantIbLb1EES17_EEDaS12_S13_EUlS12_E_NS1_11comp_targetILNS1_3genE0ELNS1_11target_archE4294967295ELNS1_3gpuE0ELNS1_3repE0EEENS1_30default_config_static_selectorELNS0_4arch9wavefront6targetE0EEEvT1_.private_seg_size, 0
	.set _ZN7rocprim17ROCPRIM_400000_NS6detail17trampoline_kernelINS0_14default_configENS1_25partition_config_selectorILNS1_17partition_subalgoE8EtNS0_10empty_typeEbEEZZNS1_14partition_implILS5_8ELb0ES3_jPKtPS6_PKS6_NS0_5tupleIJPtS6_EEENSE_IJSB_SB_EEENS0_18inequality_wrapperIN6hipcub16HIPCUB_304000_NS8EqualityEEEPlJS6_EEE10hipError_tPvRmT3_T4_T5_T6_T7_T9_mT8_P12ihipStream_tbDpT10_ENKUlT_T0_E_clISt17integral_constantIbLb1EES17_EEDaS12_S13_EUlS12_E_NS1_11comp_targetILNS1_3genE0ELNS1_11target_archE4294967295ELNS1_3gpuE0ELNS1_3repE0EEENS1_30default_config_static_selectorELNS0_4arch9wavefront6targetE0EEEvT1_.uses_vcc, 0
	.set _ZN7rocprim17ROCPRIM_400000_NS6detail17trampoline_kernelINS0_14default_configENS1_25partition_config_selectorILNS1_17partition_subalgoE8EtNS0_10empty_typeEbEEZZNS1_14partition_implILS5_8ELb0ES3_jPKtPS6_PKS6_NS0_5tupleIJPtS6_EEENSE_IJSB_SB_EEENS0_18inequality_wrapperIN6hipcub16HIPCUB_304000_NS8EqualityEEEPlJS6_EEE10hipError_tPvRmT3_T4_T5_T6_T7_T9_mT8_P12ihipStream_tbDpT10_ENKUlT_T0_E_clISt17integral_constantIbLb1EES17_EEDaS12_S13_EUlS12_E_NS1_11comp_targetILNS1_3genE0ELNS1_11target_archE4294967295ELNS1_3gpuE0ELNS1_3repE0EEENS1_30default_config_static_selectorELNS0_4arch9wavefront6targetE0EEEvT1_.uses_flat_scratch, 0
	.set _ZN7rocprim17ROCPRIM_400000_NS6detail17trampoline_kernelINS0_14default_configENS1_25partition_config_selectorILNS1_17partition_subalgoE8EtNS0_10empty_typeEbEEZZNS1_14partition_implILS5_8ELb0ES3_jPKtPS6_PKS6_NS0_5tupleIJPtS6_EEENSE_IJSB_SB_EEENS0_18inequality_wrapperIN6hipcub16HIPCUB_304000_NS8EqualityEEEPlJS6_EEE10hipError_tPvRmT3_T4_T5_T6_T7_T9_mT8_P12ihipStream_tbDpT10_ENKUlT_T0_E_clISt17integral_constantIbLb1EES17_EEDaS12_S13_EUlS12_E_NS1_11comp_targetILNS1_3genE0ELNS1_11target_archE4294967295ELNS1_3gpuE0ELNS1_3repE0EEENS1_30default_config_static_selectorELNS0_4arch9wavefront6targetE0EEEvT1_.has_dyn_sized_stack, 0
	.set _ZN7rocprim17ROCPRIM_400000_NS6detail17trampoline_kernelINS0_14default_configENS1_25partition_config_selectorILNS1_17partition_subalgoE8EtNS0_10empty_typeEbEEZZNS1_14partition_implILS5_8ELb0ES3_jPKtPS6_PKS6_NS0_5tupleIJPtS6_EEENSE_IJSB_SB_EEENS0_18inequality_wrapperIN6hipcub16HIPCUB_304000_NS8EqualityEEEPlJS6_EEE10hipError_tPvRmT3_T4_T5_T6_T7_T9_mT8_P12ihipStream_tbDpT10_ENKUlT_T0_E_clISt17integral_constantIbLb1EES17_EEDaS12_S13_EUlS12_E_NS1_11comp_targetILNS1_3genE0ELNS1_11target_archE4294967295ELNS1_3gpuE0ELNS1_3repE0EEENS1_30default_config_static_selectorELNS0_4arch9wavefront6targetE0EEEvT1_.has_recursion, 0
	.set _ZN7rocprim17ROCPRIM_400000_NS6detail17trampoline_kernelINS0_14default_configENS1_25partition_config_selectorILNS1_17partition_subalgoE8EtNS0_10empty_typeEbEEZZNS1_14partition_implILS5_8ELb0ES3_jPKtPS6_PKS6_NS0_5tupleIJPtS6_EEENSE_IJSB_SB_EEENS0_18inequality_wrapperIN6hipcub16HIPCUB_304000_NS8EqualityEEEPlJS6_EEE10hipError_tPvRmT3_T4_T5_T6_T7_T9_mT8_P12ihipStream_tbDpT10_ENKUlT_T0_E_clISt17integral_constantIbLb1EES17_EEDaS12_S13_EUlS12_E_NS1_11comp_targetILNS1_3genE0ELNS1_11target_archE4294967295ELNS1_3gpuE0ELNS1_3repE0EEENS1_30default_config_static_selectorELNS0_4arch9wavefront6targetE0EEEvT1_.has_indirect_call, 0
	.section	.AMDGPU.csdata,"",@progbits
; Kernel info:
; codeLenInByte = 4
; TotalNumSgprs: 0
; NumVgprs: 0
; ScratchSize: 0
; MemoryBound: 0
; FloatMode: 240
; IeeeMode: 1
; LDSByteSize: 0 bytes/workgroup (compile time only)
; SGPRBlocks: 0
; VGPRBlocks: 0
; NumSGPRsForWavesPerEU: 1
; NumVGPRsForWavesPerEU: 1
; NamedBarCnt: 0
; Occupancy: 16
; WaveLimiterHint : 0
; COMPUTE_PGM_RSRC2:SCRATCH_EN: 0
; COMPUTE_PGM_RSRC2:USER_SGPR: 2
; COMPUTE_PGM_RSRC2:TRAP_HANDLER: 0
; COMPUTE_PGM_RSRC2:TGID_X_EN: 1
; COMPUTE_PGM_RSRC2:TGID_Y_EN: 0
; COMPUTE_PGM_RSRC2:TGID_Z_EN: 0
; COMPUTE_PGM_RSRC2:TIDIG_COMP_CNT: 0
	.section	.text._ZN7rocprim17ROCPRIM_400000_NS6detail17trampoline_kernelINS0_14default_configENS1_25partition_config_selectorILNS1_17partition_subalgoE8EtNS0_10empty_typeEbEEZZNS1_14partition_implILS5_8ELb0ES3_jPKtPS6_PKS6_NS0_5tupleIJPtS6_EEENSE_IJSB_SB_EEENS0_18inequality_wrapperIN6hipcub16HIPCUB_304000_NS8EqualityEEEPlJS6_EEE10hipError_tPvRmT3_T4_T5_T6_T7_T9_mT8_P12ihipStream_tbDpT10_ENKUlT_T0_E_clISt17integral_constantIbLb1EES17_EEDaS12_S13_EUlS12_E_NS1_11comp_targetILNS1_3genE5ELNS1_11target_archE942ELNS1_3gpuE9ELNS1_3repE0EEENS1_30default_config_static_selectorELNS0_4arch9wavefront6targetE0EEEvT1_,"axG",@progbits,_ZN7rocprim17ROCPRIM_400000_NS6detail17trampoline_kernelINS0_14default_configENS1_25partition_config_selectorILNS1_17partition_subalgoE8EtNS0_10empty_typeEbEEZZNS1_14partition_implILS5_8ELb0ES3_jPKtPS6_PKS6_NS0_5tupleIJPtS6_EEENSE_IJSB_SB_EEENS0_18inequality_wrapperIN6hipcub16HIPCUB_304000_NS8EqualityEEEPlJS6_EEE10hipError_tPvRmT3_T4_T5_T6_T7_T9_mT8_P12ihipStream_tbDpT10_ENKUlT_T0_E_clISt17integral_constantIbLb1EES17_EEDaS12_S13_EUlS12_E_NS1_11comp_targetILNS1_3genE5ELNS1_11target_archE942ELNS1_3gpuE9ELNS1_3repE0EEENS1_30default_config_static_selectorELNS0_4arch9wavefront6targetE0EEEvT1_,comdat
	.protected	_ZN7rocprim17ROCPRIM_400000_NS6detail17trampoline_kernelINS0_14default_configENS1_25partition_config_selectorILNS1_17partition_subalgoE8EtNS0_10empty_typeEbEEZZNS1_14partition_implILS5_8ELb0ES3_jPKtPS6_PKS6_NS0_5tupleIJPtS6_EEENSE_IJSB_SB_EEENS0_18inequality_wrapperIN6hipcub16HIPCUB_304000_NS8EqualityEEEPlJS6_EEE10hipError_tPvRmT3_T4_T5_T6_T7_T9_mT8_P12ihipStream_tbDpT10_ENKUlT_T0_E_clISt17integral_constantIbLb1EES17_EEDaS12_S13_EUlS12_E_NS1_11comp_targetILNS1_3genE5ELNS1_11target_archE942ELNS1_3gpuE9ELNS1_3repE0EEENS1_30default_config_static_selectorELNS0_4arch9wavefront6targetE0EEEvT1_ ; -- Begin function _ZN7rocprim17ROCPRIM_400000_NS6detail17trampoline_kernelINS0_14default_configENS1_25partition_config_selectorILNS1_17partition_subalgoE8EtNS0_10empty_typeEbEEZZNS1_14partition_implILS5_8ELb0ES3_jPKtPS6_PKS6_NS0_5tupleIJPtS6_EEENSE_IJSB_SB_EEENS0_18inequality_wrapperIN6hipcub16HIPCUB_304000_NS8EqualityEEEPlJS6_EEE10hipError_tPvRmT3_T4_T5_T6_T7_T9_mT8_P12ihipStream_tbDpT10_ENKUlT_T0_E_clISt17integral_constantIbLb1EES17_EEDaS12_S13_EUlS12_E_NS1_11comp_targetILNS1_3genE5ELNS1_11target_archE942ELNS1_3gpuE9ELNS1_3repE0EEENS1_30default_config_static_selectorELNS0_4arch9wavefront6targetE0EEEvT1_
	.globl	_ZN7rocprim17ROCPRIM_400000_NS6detail17trampoline_kernelINS0_14default_configENS1_25partition_config_selectorILNS1_17partition_subalgoE8EtNS0_10empty_typeEbEEZZNS1_14partition_implILS5_8ELb0ES3_jPKtPS6_PKS6_NS0_5tupleIJPtS6_EEENSE_IJSB_SB_EEENS0_18inequality_wrapperIN6hipcub16HIPCUB_304000_NS8EqualityEEEPlJS6_EEE10hipError_tPvRmT3_T4_T5_T6_T7_T9_mT8_P12ihipStream_tbDpT10_ENKUlT_T0_E_clISt17integral_constantIbLb1EES17_EEDaS12_S13_EUlS12_E_NS1_11comp_targetILNS1_3genE5ELNS1_11target_archE942ELNS1_3gpuE9ELNS1_3repE0EEENS1_30default_config_static_selectorELNS0_4arch9wavefront6targetE0EEEvT1_
	.p2align	8
	.type	_ZN7rocprim17ROCPRIM_400000_NS6detail17trampoline_kernelINS0_14default_configENS1_25partition_config_selectorILNS1_17partition_subalgoE8EtNS0_10empty_typeEbEEZZNS1_14partition_implILS5_8ELb0ES3_jPKtPS6_PKS6_NS0_5tupleIJPtS6_EEENSE_IJSB_SB_EEENS0_18inequality_wrapperIN6hipcub16HIPCUB_304000_NS8EqualityEEEPlJS6_EEE10hipError_tPvRmT3_T4_T5_T6_T7_T9_mT8_P12ihipStream_tbDpT10_ENKUlT_T0_E_clISt17integral_constantIbLb1EES17_EEDaS12_S13_EUlS12_E_NS1_11comp_targetILNS1_3genE5ELNS1_11target_archE942ELNS1_3gpuE9ELNS1_3repE0EEENS1_30default_config_static_selectorELNS0_4arch9wavefront6targetE0EEEvT1_,@function
_ZN7rocprim17ROCPRIM_400000_NS6detail17trampoline_kernelINS0_14default_configENS1_25partition_config_selectorILNS1_17partition_subalgoE8EtNS0_10empty_typeEbEEZZNS1_14partition_implILS5_8ELb0ES3_jPKtPS6_PKS6_NS0_5tupleIJPtS6_EEENSE_IJSB_SB_EEENS0_18inequality_wrapperIN6hipcub16HIPCUB_304000_NS8EqualityEEEPlJS6_EEE10hipError_tPvRmT3_T4_T5_T6_T7_T9_mT8_P12ihipStream_tbDpT10_ENKUlT_T0_E_clISt17integral_constantIbLb1EES17_EEDaS12_S13_EUlS12_E_NS1_11comp_targetILNS1_3genE5ELNS1_11target_archE942ELNS1_3gpuE9ELNS1_3repE0EEENS1_30default_config_static_selectorELNS0_4arch9wavefront6targetE0EEEvT1_: ; @_ZN7rocprim17ROCPRIM_400000_NS6detail17trampoline_kernelINS0_14default_configENS1_25partition_config_selectorILNS1_17partition_subalgoE8EtNS0_10empty_typeEbEEZZNS1_14partition_implILS5_8ELb0ES3_jPKtPS6_PKS6_NS0_5tupleIJPtS6_EEENSE_IJSB_SB_EEENS0_18inequality_wrapperIN6hipcub16HIPCUB_304000_NS8EqualityEEEPlJS6_EEE10hipError_tPvRmT3_T4_T5_T6_T7_T9_mT8_P12ihipStream_tbDpT10_ENKUlT_T0_E_clISt17integral_constantIbLb1EES17_EEDaS12_S13_EUlS12_E_NS1_11comp_targetILNS1_3genE5ELNS1_11target_archE942ELNS1_3gpuE9ELNS1_3repE0EEENS1_30default_config_static_selectorELNS0_4arch9wavefront6targetE0EEEvT1_
; %bb.0:
	.section	.rodata,"a",@progbits
	.p2align	6, 0x0
	.amdhsa_kernel _ZN7rocprim17ROCPRIM_400000_NS6detail17trampoline_kernelINS0_14default_configENS1_25partition_config_selectorILNS1_17partition_subalgoE8EtNS0_10empty_typeEbEEZZNS1_14partition_implILS5_8ELb0ES3_jPKtPS6_PKS6_NS0_5tupleIJPtS6_EEENSE_IJSB_SB_EEENS0_18inequality_wrapperIN6hipcub16HIPCUB_304000_NS8EqualityEEEPlJS6_EEE10hipError_tPvRmT3_T4_T5_T6_T7_T9_mT8_P12ihipStream_tbDpT10_ENKUlT_T0_E_clISt17integral_constantIbLb1EES17_EEDaS12_S13_EUlS12_E_NS1_11comp_targetILNS1_3genE5ELNS1_11target_archE942ELNS1_3gpuE9ELNS1_3repE0EEENS1_30default_config_static_selectorELNS0_4arch9wavefront6targetE0EEEvT1_
		.amdhsa_group_segment_fixed_size 0
		.amdhsa_private_segment_fixed_size 0
		.amdhsa_kernarg_size 128
		.amdhsa_user_sgpr_count 2
		.amdhsa_user_sgpr_dispatch_ptr 0
		.amdhsa_user_sgpr_queue_ptr 0
		.amdhsa_user_sgpr_kernarg_segment_ptr 1
		.amdhsa_user_sgpr_dispatch_id 0
		.amdhsa_user_sgpr_kernarg_preload_length 0
		.amdhsa_user_sgpr_kernarg_preload_offset 0
		.amdhsa_user_sgpr_private_segment_size 0
		.amdhsa_wavefront_size32 1
		.amdhsa_uses_dynamic_stack 0
		.amdhsa_enable_private_segment 0
		.amdhsa_system_sgpr_workgroup_id_x 1
		.amdhsa_system_sgpr_workgroup_id_y 0
		.amdhsa_system_sgpr_workgroup_id_z 0
		.amdhsa_system_sgpr_workgroup_info 0
		.amdhsa_system_vgpr_workitem_id 0
		.amdhsa_next_free_vgpr 1
		.amdhsa_next_free_sgpr 1
		.amdhsa_named_barrier_count 0
		.amdhsa_reserve_vcc 0
		.amdhsa_float_round_mode_32 0
		.amdhsa_float_round_mode_16_64 0
		.amdhsa_float_denorm_mode_32 3
		.amdhsa_float_denorm_mode_16_64 3
		.amdhsa_fp16_overflow 0
		.amdhsa_memory_ordered 1
		.amdhsa_forward_progress 1
		.amdhsa_inst_pref_size 0
		.amdhsa_round_robin_scheduling 0
		.amdhsa_exception_fp_ieee_invalid_op 0
		.amdhsa_exception_fp_denorm_src 0
		.amdhsa_exception_fp_ieee_div_zero 0
		.amdhsa_exception_fp_ieee_overflow 0
		.amdhsa_exception_fp_ieee_underflow 0
		.amdhsa_exception_fp_ieee_inexact 0
		.amdhsa_exception_int_div_zero 0
	.end_amdhsa_kernel
	.section	.text._ZN7rocprim17ROCPRIM_400000_NS6detail17trampoline_kernelINS0_14default_configENS1_25partition_config_selectorILNS1_17partition_subalgoE8EtNS0_10empty_typeEbEEZZNS1_14partition_implILS5_8ELb0ES3_jPKtPS6_PKS6_NS0_5tupleIJPtS6_EEENSE_IJSB_SB_EEENS0_18inequality_wrapperIN6hipcub16HIPCUB_304000_NS8EqualityEEEPlJS6_EEE10hipError_tPvRmT3_T4_T5_T6_T7_T9_mT8_P12ihipStream_tbDpT10_ENKUlT_T0_E_clISt17integral_constantIbLb1EES17_EEDaS12_S13_EUlS12_E_NS1_11comp_targetILNS1_3genE5ELNS1_11target_archE942ELNS1_3gpuE9ELNS1_3repE0EEENS1_30default_config_static_selectorELNS0_4arch9wavefront6targetE0EEEvT1_,"axG",@progbits,_ZN7rocprim17ROCPRIM_400000_NS6detail17trampoline_kernelINS0_14default_configENS1_25partition_config_selectorILNS1_17partition_subalgoE8EtNS0_10empty_typeEbEEZZNS1_14partition_implILS5_8ELb0ES3_jPKtPS6_PKS6_NS0_5tupleIJPtS6_EEENSE_IJSB_SB_EEENS0_18inequality_wrapperIN6hipcub16HIPCUB_304000_NS8EqualityEEEPlJS6_EEE10hipError_tPvRmT3_T4_T5_T6_T7_T9_mT8_P12ihipStream_tbDpT10_ENKUlT_T0_E_clISt17integral_constantIbLb1EES17_EEDaS12_S13_EUlS12_E_NS1_11comp_targetILNS1_3genE5ELNS1_11target_archE942ELNS1_3gpuE9ELNS1_3repE0EEENS1_30default_config_static_selectorELNS0_4arch9wavefront6targetE0EEEvT1_,comdat
.Lfunc_end764:
	.size	_ZN7rocprim17ROCPRIM_400000_NS6detail17trampoline_kernelINS0_14default_configENS1_25partition_config_selectorILNS1_17partition_subalgoE8EtNS0_10empty_typeEbEEZZNS1_14partition_implILS5_8ELb0ES3_jPKtPS6_PKS6_NS0_5tupleIJPtS6_EEENSE_IJSB_SB_EEENS0_18inequality_wrapperIN6hipcub16HIPCUB_304000_NS8EqualityEEEPlJS6_EEE10hipError_tPvRmT3_T4_T5_T6_T7_T9_mT8_P12ihipStream_tbDpT10_ENKUlT_T0_E_clISt17integral_constantIbLb1EES17_EEDaS12_S13_EUlS12_E_NS1_11comp_targetILNS1_3genE5ELNS1_11target_archE942ELNS1_3gpuE9ELNS1_3repE0EEENS1_30default_config_static_selectorELNS0_4arch9wavefront6targetE0EEEvT1_, .Lfunc_end764-_ZN7rocprim17ROCPRIM_400000_NS6detail17trampoline_kernelINS0_14default_configENS1_25partition_config_selectorILNS1_17partition_subalgoE8EtNS0_10empty_typeEbEEZZNS1_14partition_implILS5_8ELb0ES3_jPKtPS6_PKS6_NS0_5tupleIJPtS6_EEENSE_IJSB_SB_EEENS0_18inequality_wrapperIN6hipcub16HIPCUB_304000_NS8EqualityEEEPlJS6_EEE10hipError_tPvRmT3_T4_T5_T6_T7_T9_mT8_P12ihipStream_tbDpT10_ENKUlT_T0_E_clISt17integral_constantIbLb1EES17_EEDaS12_S13_EUlS12_E_NS1_11comp_targetILNS1_3genE5ELNS1_11target_archE942ELNS1_3gpuE9ELNS1_3repE0EEENS1_30default_config_static_selectorELNS0_4arch9wavefront6targetE0EEEvT1_
                                        ; -- End function
	.set _ZN7rocprim17ROCPRIM_400000_NS6detail17trampoline_kernelINS0_14default_configENS1_25partition_config_selectorILNS1_17partition_subalgoE8EtNS0_10empty_typeEbEEZZNS1_14partition_implILS5_8ELb0ES3_jPKtPS6_PKS6_NS0_5tupleIJPtS6_EEENSE_IJSB_SB_EEENS0_18inequality_wrapperIN6hipcub16HIPCUB_304000_NS8EqualityEEEPlJS6_EEE10hipError_tPvRmT3_T4_T5_T6_T7_T9_mT8_P12ihipStream_tbDpT10_ENKUlT_T0_E_clISt17integral_constantIbLb1EES17_EEDaS12_S13_EUlS12_E_NS1_11comp_targetILNS1_3genE5ELNS1_11target_archE942ELNS1_3gpuE9ELNS1_3repE0EEENS1_30default_config_static_selectorELNS0_4arch9wavefront6targetE0EEEvT1_.num_vgpr, 0
	.set _ZN7rocprim17ROCPRIM_400000_NS6detail17trampoline_kernelINS0_14default_configENS1_25partition_config_selectorILNS1_17partition_subalgoE8EtNS0_10empty_typeEbEEZZNS1_14partition_implILS5_8ELb0ES3_jPKtPS6_PKS6_NS0_5tupleIJPtS6_EEENSE_IJSB_SB_EEENS0_18inequality_wrapperIN6hipcub16HIPCUB_304000_NS8EqualityEEEPlJS6_EEE10hipError_tPvRmT3_T4_T5_T6_T7_T9_mT8_P12ihipStream_tbDpT10_ENKUlT_T0_E_clISt17integral_constantIbLb1EES17_EEDaS12_S13_EUlS12_E_NS1_11comp_targetILNS1_3genE5ELNS1_11target_archE942ELNS1_3gpuE9ELNS1_3repE0EEENS1_30default_config_static_selectorELNS0_4arch9wavefront6targetE0EEEvT1_.num_agpr, 0
	.set _ZN7rocprim17ROCPRIM_400000_NS6detail17trampoline_kernelINS0_14default_configENS1_25partition_config_selectorILNS1_17partition_subalgoE8EtNS0_10empty_typeEbEEZZNS1_14partition_implILS5_8ELb0ES3_jPKtPS6_PKS6_NS0_5tupleIJPtS6_EEENSE_IJSB_SB_EEENS0_18inequality_wrapperIN6hipcub16HIPCUB_304000_NS8EqualityEEEPlJS6_EEE10hipError_tPvRmT3_T4_T5_T6_T7_T9_mT8_P12ihipStream_tbDpT10_ENKUlT_T0_E_clISt17integral_constantIbLb1EES17_EEDaS12_S13_EUlS12_E_NS1_11comp_targetILNS1_3genE5ELNS1_11target_archE942ELNS1_3gpuE9ELNS1_3repE0EEENS1_30default_config_static_selectorELNS0_4arch9wavefront6targetE0EEEvT1_.numbered_sgpr, 0
	.set _ZN7rocprim17ROCPRIM_400000_NS6detail17trampoline_kernelINS0_14default_configENS1_25partition_config_selectorILNS1_17partition_subalgoE8EtNS0_10empty_typeEbEEZZNS1_14partition_implILS5_8ELb0ES3_jPKtPS6_PKS6_NS0_5tupleIJPtS6_EEENSE_IJSB_SB_EEENS0_18inequality_wrapperIN6hipcub16HIPCUB_304000_NS8EqualityEEEPlJS6_EEE10hipError_tPvRmT3_T4_T5_T6_T7_T9_mT8_P12ihipStream_tbDpT10_ENKUlT_T0_E_clISt17integral_constantIbLb1EES17_EEDaS12_S13_EUlS12_E_NS1_11comp_targetILNS1_3genE5ELNS1_11target_archE942ELNS1_3gpuE9ELNS1_3repE0EEENS1_30default_config_static_selectorELNS0_4arch9wavefront6targetE0EEEvT1_.num_named_barrier, 0
	.set _ZN7rocprim17ROCPRIM_400000_NS6detail17trampoline_kernelINS0_14default_configENS1_25partition_config_selectorILNS1_17partition_subalgoE8EtNS0_10empty_typeEbEEZZNS1_14partition_implILS5_8ELb0ES3_jPKtPS6_PKS6_NS0_5tupleIJPtS6_EEENSE_IJSB_SB_EEENS0_18inequality_wrapperIN6hipcub16HIPCUB_304000_NS8EqualityEEEPlJS6_EEE10hipError_tPvRmT3_T4_T5_T6_T7_T9_mT8_P12ihipStream_tbDpT10_ENKUlT_T0_E_clISt17integral_constantIbLb1EES17_EEDaS12_S13_EUlS12_E_NS1_11comp_targetILNS1_3genE5ELNS1_11target_archE942ELNS1_3gpuE9ELNS1_3repE0EEENS1_30default_config_static_selectorELNS0_4arch9wavefront6targetE0EEEvT1_.private_seg_size, 0
	.set _ZN7rocprim17ROCPRIM_400000_NS6detail17trampoline_kernelINS0_14default_configENS1_25partition_config_selectorILNS1_17partition_subalgoE8EtNS0_10empty_typeEbEEZZNS1_14partition_implILS5_8ELb0ES3_jPKtPS6_PKS6_NS0_5tupleIJPtS6_EEENSE_IJSB_SB_EEENS0_18inequality_wrapperIN6hipcub16HIPCUB_304000_NS8EqualityEEEPlJS6_EEE10hipError_tPvRmT3_T4_T5_T6_T7_T9_mT8_P12ihipStream_tbDpT10_ENKUlT_T0_E_clISt17integral_constantIbLb1EES17_EEDaS12_S13_EUlS12_E_NS1_11comp_targetILNS1_3genE5ELNS1_11target_archE942ELNS1_3gpuE9ELNS1_3repE0EEENS1_30default_config_static_selectorELNS0_4arch9wavefront6targetE0EEEvT1_.uses_vcc, 0
	.set _ZN7rocprim17ROCPRIM_400000_NS6detail17trampoline_kernelINS0_14default_configENS1_25partition_config_selectorILNS1_17partition_subalgoE8EtNS0_10empty_typeEbEEZZNS1_14partition_implILS5_8ELb0ES3_jPKtPS6_PKS6_NS0_5tupleIJPtS6_EEENSE_IJSB_SB_EEENS0_18inequality_wrapperIN6hipcub16HIPCUB_304000_NS8EqualityEEEPlJS6_EEE10hipError_tPvRmT3_T4_T5_T6_T7_T9_mT8_P12ihipStream_tbDpT10_ENKUlT_T0_E_clISt17integral_constantIbLb1EES17_EEDaS12_S13_EUlS12_E_NS1_11comp_targetILNS1_3genE5ELNS1_11target_archE942ELNS1_3gpuE9ELNS1_3repE0EEENS1_30default_config_static_selectorELNS0_4arch9wavefront6targetE0EEEvT1_.uses_flat_scratch, 0
	.set _ZN7rocprim17ROCPRIM_400000_NS6detail17trampoline_kernelINS0_14default_configENS1_25partition_config_selectorILNS1_17partition_subalgoE8EtNS0_10empty_typeEbEEZZNS1_14partition_implILS5_8ELb0ES3_jPKtPS6_PKS6_NS0_5tupleIJPtS6_EEENSE_IJSB_SB_EEENS0_18inequality_wrapperIN6hipcub16HIPCUB_304000_NS8EqualityEEEPlJS6_EEE10hipError_tPvRmT3_T4_T5_T6_T7_T9_mT8_P12ihipStream_tbDpT10_ENKUlT_T0_E_clISt17integral_constantIbLb1EES17_EEDaS12_S13_EUlS12_E_NS1_11comp_targetILNS1_3genE5ELNS1_11target_archE942ELNS1_3gpuE9ELNS1_3repE0EEENS1_30default_config_static_selectorELNS0_4arch9wavefront6targetE0EEEvT1_.has_dyn_sized_stack, 0
	.set _ZN7rocprim17ROCPRIM_400000_NS6detail17trampoline_kernelINS0_14default_configENS1_25partition_config_selectorILNS1_17partition_subalgoE8EtNS0_10empty_typeEbEEZZNS1_14partition_implILS5_8ELb0ES3_jPKtPS6_PKS6_NS0_5tupleIJPtS6_EEENSE_IJSB_SB_EEENS0_18inequality_wrapperIN6hipcub16HIPCUB_304000_NS8EqualityEEEPlJS6_EEE10hipError_tPvRmT3_T4_T5_T6_T7_T9_mT8_P12ihipStream_tbDpT10_ENKUlT_T0_E_clISt17integral_constantIbLb1EES17_EEDaS12_S13_EUlS12_E_NS1_11comp_targetILNS1_3genE5ELNS1_11target_archE942ELNS1_3gpuE9ELNS1_3repE0EEENS1_30default_config_static_selectorELNS0_4arch9wavefront6targetE0EEEvT1_.has_recursion, 0
	.set _ZN7rocprim17ROCPRIM_400000_NS6detail17trampoline_kernelINS0_14default_configENS1_25partition_config_selectorILNS1_17partition_subalgoE8EtNS0_10empty_typeEbEEZZNS1_14partition_implILS5_8ELb0ES3_jPKtPS6_PKS6_NS0_5tupleIJPtS6_EEENSE_IJSB_SB_EEENS0_18inequality_wrapperIN6hipcub16HIPCUB_304000_NS8EqualityEEEPlJS6_EEE10hipError_tPvRmT3_T4_T5_T6_T7_T9_mT8_P12ihipStream_tbDpT10_ENKUlT_T0_E_clISt17integral_constantIbLb1EES17_EEDaS12_S13_EUlS12_E_NS1_11comp_targetILNS1_3genE5ELNS1_11target_archE942ELNS1_3gpuE9ELNS1_3repE0EEENS1_30default_config_static_selectorELNS0_4arch9wavefront6targetE0EEEvT1_.has_indirect_call, 0
	.section	.AMDGPU.csdata,"",@progbits
; Kernel info:
; codeLenInByte = 0
; TotalNumSgprs: 0
; NumVgprs: 0
; ScratchSize: 0
; MemoryBound: 0
; FloatMode: 240
; IeeeMode: 1
; LDSByteSize: 0 bytes/workgroup (compile time only)
; SGPRBlocks: 0
; VGPRBlocks: 0
; NumSGPRsForWavesPerEU: 1
; NumVGPRsForWavesPerEU: 1
; NamedBarCnt: 0
; Occupancy: 16
; WaveLimiterHint : 0
; COMPUTE_PGM_RSRC2:SCRATCH_EN: 0
; COMPUTE_PGM_RSRC2:USER_SGPR: 2
; COMPUTE_PGM_RSRC2:TRAP_HANDLER: 0
; COMPUTE_PGM_RSRC2:TGID_X_EN: 1
; COMPUTE_PGM_RSRC2:TGID_Y_EN: 0
; COMPUTE_PGM_RSRC2:TGID_Z_EN: 0
; COMPUTE_PGM_RSRC2:TIDIG_COMP_CNT: 0
	.section	.text._ZN7rocprim17ROCPRIM_400000_NS6detail17trampoline_kernelINS0_14default_configENS1_25partition_config_selectorILNS1_17partition_subalgoE8EtNS0_10empty_typeEbEEZZNS1_14partition_implILS5_8ELb0ES3_jPKtPS6_PKS6_NS0_5tupleIJPtS6_EEENSE_IJSB_SB_EEENS0_18inequality_wrapperIN6hipcub16HIPCUB_304000_NS8EqualityEEEPlJS6_EEE10hipError_tPvRmT3_T4_T5_T6_T7_T9_mT8_P12ihipStream_tbDpT10_ENKUlT_T0_E_clISt17integral_constantIbLb1EES17_EEDaS12_S13_EUlS12_E_NS1_11comp_targetILNS1_3genE4ELNS1_11target_archE910ELNS1_3gpuE8ELNS1_3repE0EEENS1_30default_config_static_selectorELNS0_4arch9wavefront6targetE0EEEvT1_,"axG",@progbits,_ZN7rocprim17ROCPRIM_400000_NS6detail17trampoline_kernelINS0_14default_configENS1_25partition_config_selectorILNS1_17partition_subalgoE8EtNS0_10empty_typeEbEEZZNS1_14partition_implILS5_8ELb0ES3_jPKtPS6_PKS6_NS0_5tupleIJPtS6_EEENSE_IJSB_SB_EEENS0_18inequality_wrapperIN6hipcub16HIPCUB_304000_NS8EqualityEEEPlJS6_EEE10hipError_tPvRmT3_T4_T5_T6_T7_T9_mT8_P12ihipStream_tbDpT10_ENKUlT_T0_E_clISt17integral_constantIbLb1EES17_EEDaS12_S13_EUlS12_E_NS1_11comp_targetILNS1_3genE4ELNS1_11target_archE910ELNS1_3gpuE8ELNS1_3repE0EEENS1_30default_config_static_selectorELNS0_4arch9wavefront6targetE0EEEvT1_,comdat
	.protected	_ZN7rocprim17ROCPRIM_400000_NS6detail17trampoline_kernelINS0_14default_configENS1_25partition_config_selectorILNS1_17partition_subalgoE8EtNS0_10empty_typeEbEEZZNS1_14partition_implILS5_8ELb0ES3_jPKtPS6_PKS6_NS0_5tupleIJPtS6_EEENSE_IJSB_SB_EEENS0_18inequality_wrapperIN6hipcub16HIPCUB_304000_NS8EqualityEEEPlJS6_EEE10hipError_tPvRmT3_T4_T5_T6_T7_T9_mT8_P12ihipStream_tbDpT10_ENKUlT_T0_E_clISt17integral_constantIbLb1EES17_EEDaS12_S13_EUlS12_E_NS1_11comp_targetILNS1_3genE4ELNS1_11target_archE910ELNS1_3gpuE8ELNS1_3repE0EEENS1_30default_config_static_selectorELNS0_4arch9wavefront6targetE0EEEvT1_ ; -- Begin function _ZN7rocprim17ROCPRIM_400000_NS6detail17trampoline_kernelINS0_14default_configENS1_25partition_config_selectorILNS1_17partition_subalgoE8EtNS0_10empty_typeEbEEZZNS1_14partition_implILS5_8ELb0ES3_jPKtPS6_PKS6_NS0_5tupleIJPtS6_EEENSE_IJSB_SB_EEENS0_18inequality_wrapperIN6hipcub16HIPCUB_304000_NS8EqualityEEEPlJS6_EEE10hipError_tPvRmT3_T4_T5_T6_T7_T9_mT8_P12ihipStream_tbDpT10_ENKUlT_T0_E_clISt17integral_constantIbLb1EES17_EEDaS12_S13_EUlS12_E_NS1_11comp_targetILNS1_3genE4ELNS1_11target_archE910ELNS1_3gpuE8ELNS1_3repE0EEENS1_30default_config_static_selectorELNS0_4arch9wavefront6targetE0EEEvT1_
	.globl	_ZN7rocprim17ROCPRIM_400000_NS6detail17trampoline_kernelINS0_14default_configENS1_25partition_config_selectorILNS1_17partition_subalgoE8EtNS0_10empty_typeEbEEZZNS1_14partition_implILS5_8ELb0ES3_jPKtPS6_PKS6_NS0_5tupleIJPtS6_EEENSE_IJSB_SB_EEENS0_18inequality_wrapperIN6hipcub16HIPCUB_304000_NS8EqualityEEEPlJS6_EEE10hipError_tPvRmT3_T4_T5_T6_T7_T9_mT8_P12ihipStream_tbDpT10_ENKUlT_T0_E_clISt17integral_constantIbLb1EES17_EEDaS12_S13_EUlS12_E_NS1_11comp_targetILNS1_3genE4ELNS1_11target_archE910ELNS1_3gpuE8ELNS1_3repE0EEENS1_30default_config_static_selectorELNS0_4arch9wavefront6targetE0EEEvT1_
	.p2align	8
	.type	_ZN7rocprim17ROCPRIM_400000_NS6detail17trampoline_kernelINS0_14default_configENS1_25partition_config_selectorILNS1_17partition_subalgoE8EtNS0_10empty_typeEbEEZZNS1_14partition_implILS5_8ELb0ES3_jPKtPS6_PKS6_NS0_5tupleIJPtS6_EEENSE_IJSB_SB_EEENS0_18inequality_wrapperIN6hipcub16HIPCUB_304000_NS8EqualityEEEPlJS6_EEE10hipError_tPvRmT3_T4_T5_T6_T7_T9_mT8_P12ihipStream_tbDpT10_ENKUlT_T0_E_clISt17integral_constantIbLb1EES17_EEDaS12_S13_EUlS12_E_NS1_11comp_targetILNS1_3genE4ELNS1_11target_archE910ELNS1_3gpuE8ELNS1_3repE0EEENS1_30default_config_static_selectorELNS0_4arch9wavefront6targetE0EEEvT1_,@function
_ZN7rocprim17ROCPRIM_400000_NS6detail17trampoline_kernelINS0_14default_configENS1_25partition_config_selectorILNS1_17partition_subalgoE8EtNS0_10empty_typeEbEEZZNS1_14partition_implILS5_8ELb0ES3_jPKtPS6_PKS6_NS0_5tupleIJPtS6_EEENSE_IJSB_SB_EEENS0_18inequality_wrapperIN6hipcub16HIPCUB_304000_NS8EqualityEEEPlJS6_EEE10hipError_tPvRmT3_T4_T5_T6_T7_T9_mT8_P12ihipStream_tbDpT10_ENKUlT_T0_E_clISt17integral_constantIbLb1EES17_EEDaS12_S13_EUlS12_E_NS1_11comp_targetILNS1_3genE4ELNS1_11target_archE910ELNS1_3gpuE8ELNS1_3repE0EEENS1_30default_config_static_selectorELNS0_4arch9wavefront6targetE0EEEvT1_: ; @_ZN7rocprim17ROCPRIM_400000_NS6detail17trampoline_kernelINS0_14default_configENS1_25partition_config_selectorILNS1_17partition_subalgoE8EtNS0_10empty_typeEbEEZZNS1_14partition_implILS5_8ELb0ES3_jPKtPS6_PKS6_NS0_5tupleIJPtS6_EEENSE_IJSB_SB_EEENS0_18inequality_wrapperIN6hipcub16HIPCUB_304000_NS8EqualityEEEPlJS6_EEE10hipError_tPvRmT3_T4_T5_T6_T7_T9_mT8_P12ihipStream_tbDpT10_ENKUlT_T0_E_clISt17integral_constantIbLb1EES17_EEDaS12_S13_EUlS12_E_NS1_11comp_targetILNS1_3genE4ELNS1_11target_archE910ELNS1_3gpuE8ELNS1_3repE0EEENS1_30default_config_static_selectorELNS0_4arch9wavefront6targetE0EEEvT1_
; %bb.0:
	.section	.rodata,"a",@progbits
	.p2align	6, 0x0
	.amdhsa_kernel _ZN7rocprim17ROCPRIM_400000_NS6detail17trampoline_kernelINS0_14default_configENS1_25partition_config_selectorILNS1_17partition_subalgoE8EtNS0_10empty_typeEbEEZZNS1_14partition_implILS5_8ELb0ES3_jPKtPS6_PKS6_NS0_5tupleIJPtS6_EEENSE_IJSB_SB_EEENS0_18inequality_wrapperIN6hipcub16HIPCUB_304000_NS8EqualityEEEPlJS6_EEE10hipError_tPvRmT3_T4_T5_T6_T7_T9_mT8_P12ihipStream_tbDpT10_ENKUlT_T0_E_clISt17integral_constantIbLb1EES17_EEDaS12_S13_EUlS12_E_NS1_11comp_targetILNS1_3genE4ELNS1_11target_archE910ELNS1_3gpuE8ELNS1_3repE0EEENS1_30default_config_static_selectorELNS0_4arch9wavefront6targetE0EEEvT1_
		.amdhsa_group_segment_fixed_size 0
		.amdhsa_private_segment_fixed_size 0
		.amdhsa_kernarg_size 128
		.amdhsa_user_sgpr_count 2
		.amdhsa_user_sgpr_dispatch_ptr 0
		.amdhsa_user_sgpr_queue_ptr 0
		.amdhsa_user_sgpr_kernarg_segment_ptr 1
		.amdhsa_user_sgpr_dispatch_id 0
		.amdhsa_user_sgpr_kernarg_preload_length 0
		.amdhsa_user_sgpr_kernarg_preload_offset 0
		.amdhsa_user_sgpr_private_segment_size 0
		.amdhsa_wavefront_size32 1
		.amdhsa_uses_dynamic_stack 0
		.amdhsa_enable_private_segment 0
		.amdhsa_system_sgpr_workgroup_id_x 1
		.amdhsa_system_sgpr_workgroup_id_y 0
		.amdhsa_system_sgpr_workgroup_id_z 0
		.amdhsa_system_sgpr_workgroup_info 0
		.amdhsa_system_vgpr_workitem_id 0
		.amdhsa_next_free_vgpr 1
		.amdhsa_next_free_sgpr 1
		.amdhsa_named_barrier_count 0
		.amdhsa_reserve_vcc 0
		.amdhsa_float_round_mode_32 0
		.amdhsa_float_round_mode_16_64 0
		.amdhsa_float_denorm_mode_32 3
		.amdhsa_float_denorm_mode_16_64 3
		.amdhsa_fp16_overflow 0
		.amdhsa_memory_ordered 1
		.amdhsa_forward_progress 1
		.amdhsa_inst_pref_size 0
		.amdhsa_round_robin_scheduling 0
		.amdhsa_exception_fp_ieee_invalid_op 0
		.amdhsa_exception_fp_denorm_src 0
		.amdhsa_exception_fp_ieee_div_zero 0
		.amdhsa_exception_fp_ieee_overflow 0
		.amdhsa_exception_fp_ieee_underflow 0
		.amdhsa_exception_fp_ieee_inexact 0
		.amdhsa_exception_int_div_zero 0
	.end_amdhsa_kernel
	.section	.text._ZN7rocprim17ROCPRIM_400000_NS6detail17trampoline_kernelINS0_14default_configENS1_25partition_config_selectorILNS1_17partition_subalgoE8EtNS0_10empty_typeEbEEZZNS1_14partition_implILS5_8ELb0ES3_jPKtPS6_PKS6_NS0_5tupleIJPtS6_EEENSE_IJSB_SB_EEENS0_18inequality_wrapperIN6hipcub16HIPCUB_304000_NS8EqualityEEEPlJS6_EEE10hipError_tPvRmT3_T4_T5_T6_T7_T9_mT8_P12ihipStream_tbDpT10_ENKUlT_T0_E_clISt17integral_constantIbLb1EES17_EEDaS12_S13_EUlS12_E_NS1_11comp_targetILNS1_3genE4ELNS1_11target_archE910ELNS1_3gpuE8ELNS1_3repE0EEENS1_30default_config_static_selectorELNS0_4arch9wavefront6targetE0EEEvT1_,"axG",@progbits,_ZN7rocprim17ROCPRIM_400000_NS6detail17trampoline_kernelINS0_14default_configENS1_25partition_config_selectorILNS1_17partition_subalgoE8EtNS0_10empty_typeEbEEZZNS1_14partition_implILS5_8ELb0ES3_jPKtPS6_PKS6_NS0_5tupleIJPtS6_EEENSE_IJSB_SB_EEENS0_18inequality_wrapperIN6hipcub16HIPCUB_304000_NS8EqualityEEEPlJS6_EEE10hipError_tPvRmT3_T4_T5_T6_T7_T9_mT8_P12ihipStream_tbDpT10_ENKUlT_T0_E_clISt17integral_constantIbLb1EES17_EEDaS12_S13_EUlS12_E_NS1_11comp_targetILNS1_3genE4ELNS1_11target_archE910ELNS1_3gpuE8ELNS1_3repE0EEENS1_30default_config_static_selectorELNS0_4arch9wavefront6targetE0EEEvT1_,comdat
.Lfunc_end765:
	.size	_ZN7rocprim17ROCPRIM_400000_NS6detail17trampoline_kernelINS0_14default_configENS1_25partition_config_selectorILNS1_17partition_subalgoE8EtNS0_10empty_typeEbEEZZNS1_14partition_implILS5_8ELb0ES3_jPKtPS6_PKS6_NS0_5tupleIJPtS6_EEENSE_IJSB_SB_EEENS0_18inequality_wrapperIN6hipcub16HIPCUB_304000_NS8EqualityEEEPlJS6_EEE10hipError_tPvRmT3_T4_T5_T6_T7_T9_mT8_P12ihipStream_tbDpT10_ENKUlT_T0_E_clISt17integral_constantIbLb1EES17_EEDaS12_S13_EUlS12_E_NS1_11comp_targetILNS1_3genE4ELNS1_11target_archE910ELNS1_3gpuE8ELNS1_3repE0EEENS1_30default_config_static_selectorELNS0_4arch9wavefront6targetE0EEEvT1_, .Lfunc_end765-_ZN7rocprim17ROCPRIM_400000_NS6detail17trampoline_kernelINS0_14default_configENS1_25partition_config_selectorILNS1_17partition_subalgoE8EtNS0_10empty_typeEbEEZZNS1_14partition_implILS5_8ELb0ES3_jPKtPS6_PKS6_NS0_5tupleIJPtS6_EEENSE_IJSB_SB_EEENS0_18inequality_wrapperIN6hipcub16HIPCUB_304000_NS8EqualityEEEPlJS6_EEE10hipError_tPvRmT3_T4_T5_T6_T7_T9_mT8_P12ihipStream_tbDpT10_ENKUlT_T0_E_clISt17integral_constantIbLb1EES17_EEDaS12_S13_EUlS12_E_NS1_11comp_targetILNS1_3genE4ELNS1_11target_archE910ELNS1_3gpuE8ELNS1_3repE0EEENS1_30default_config_static_selectorELNS0_4arch9wavefront6targetE0EEEvT1_
                                        ; -- End function
	.set _ZN7rocprim17ROCPRIM_400000_NS6detail17trampoline_kernelINS0_14default_configENS1_25partition_config_selectorILNS1_17partition_subalgoE8EtNS0_10empty_typeEbEEZZNS1_14partition_implILS5_8ELb0ES3_jPKtPS6_PKS6_NS0_5tupleIJPtS6_EEENSE_IJSB_SB_EEENS0_18inequality_wrapperIN6hipcub16HIPCUB_304000_NS8EqualityEEEPlJS6_EEE10hipError_tPvRmT3_T4_T5_T6_T7_T9_mT8_P12ihipStream_tbDpT10_ENKUlT_T0_E_clISt17integral_constantIbLb1EES17_EEDaS12_S13_EUlS12_E_NS1_11comp_targetILNS1_3genE4ELNS1_11target_archE910ELNS1_3gpuE8ELNS1_3repE0EEENS1_30default_config_static_selectorELNS0_4arch9wavefront6targetE0EEEvT1_.num_vgpr, 0
	.set _ZN7rocprim17ROCPRIM_400000_NS6detail17trampoline_kernelINS0_14default_configENS1_25partition_config_selectorILNS1_17partition_subalgoE8EtNS0_10empty_typeEbEEZZNS1_14partition_implILS5_8ELb0ES3_jPKtPS6_PKS6_NS0_5tupleIJPtS6_EEENSE_IJSB_SB_EEENS0_18inequality_wrapperIN6hipcub16HIPCUB_304000_NS8EqualityEEEPlJS6_EEE10hipError_tPvRmT3_T4_T5_T6_T7_T9_mT8_P12ihipStream_tbDpT10_ENKUlT_T0_E_clISt17integral_constantIbLb1EES17_EEDaS12_S13_EUlS12_E_NS1_11comp_targetILNS1_3genE4ELNS1_11target_archE910ELNS1_3gpuE8ELNS1_3repE0EEENS1_30default_config_static_selectorELNS0_4arch9wavefront6targetE0EEEvT1_.num_agpr, 0
	.set _ZN7rocprim17ROCPRIM_400000_NS6detail17trampoline_kernelINS0_14default_configENS1_25partition_config_selectorILNS1_17partition_subalgoE8EtNS0_10empty_typeEbEEZZNS1_14partition_implILS5_8ELb0ES3_jPKtPS6_PKS6_NS0_5tupleIJPtS6_EEENSE_IJSB_SB_EEENS0_18inequality_wrapperIN6hipcub16HIPCUB_304000_NS8EqualityEEEPlJS6_EEE10hipError_tPvRmT3_T4_T5_T6_T7_T9_mT8_P12ihipStream_tbDpT10_ENKUlT_T0_E_clISt17integral_constantIbLb1EES17_EEDaS12_S13_EUlS12_E_NS1_11comp_targetILNS1_3genE4ELNS1_11target_archE910ELNS1_3gpuE8ELNS1_3repE0EEENS1_30default_config_static_selectorELNS0_4arch9wavefront6targetE0EEEvT1_.numbered_sgpr, 0
	.set _ZN7rocprim17ROCPRIM_400000_NS6detail17trampoline_kernelINS0_14default_configENS1_25partition_config_selectorILNS1_17partition_subalgoE8EtNS0_10empty_typeEbEEZZNS1_14partition_implILS5_8ELb0ES3_jPKtPS6_PKS6_NS0_5tupleIJPtS6_EEENSE_IJSB_SB_EEENS0_18inequality_wrapperIN6hipcub16HIPCUB_304000_NS8EqualityEEEPlJS6_EEE10hipError_tPvRmT3_T4_T5_T6_T7_T9_mT8_P12ihipStream_tbDpT10_ENKUlT_T0_E_clISt17integral_constantIbLb1EES17_EEDaS12_S13_EUlS12_E_NS1_11comp_targetILNS1_3genE4ELNS1_11target_archE910ELNS1_3gpuE8ELNS1_3repE0EEENS1_30default_config_static_selectorELNS0_4arch9wavefront6targetE0EEEvT1_.num_named_barrier, 0
	.set _ZN7rocprim17ROCPRIM_400000_NS6detail17trampoline_kernelINS0_14default_configENS1_25partition_config_selectorILNS1_17partition_subalgoE8EtNS0_10empty_typeEbEEZZNS1_14partition_implILS5_8ELb0ES3_jPKtPS6_PKS6_NS0_5tupleIJPtS6_EEENSE_IJSB_SB_EEENS0_18inequality_wrapperIN6hipcub16HIPCUB_304000_NS8EqualityEEEPlJS6_EEE10hipError_tPvRmT3_T4_T5_T6_T7_T9_mT8_P12ihipStream_tbDpT10_ENKUlT_T0_E_clISt17integral_constantIbLb1EES17_EEDaS12_S13_EUlS12_E_NS1_11comp_targetILNS1_3genE4ELNS1_11target_archE910ELNS1_3gpuE8ELNS1_3repE0EEENS1_30default_config_static_selectorELNS0_4arch9wavefront6targetE0EEEvT1_.private_seg_size, 0
	.set _ZN7rocprim17ROCPRIM_400000_NS6detail17trampoline_kernelINS0_14default_configENS1_25partition_config_selectorILNS1_17partition_subalgoE8EtNS0_10empty_typeEbEEZZNS1_14partition_implILS5_8ELb0ES3_jPKtPS6_PKS6_NS0_5tupleIJPtS6_EEENSE_IJSB_SB_EEENS0_18inequality_wrapperIN6hipcub16HIPCUB_304000_NS8EqualityEEEPlJS6_EEE10hipError_tPvRmT3_T4_T5_T6_T7_T9_mT8_P12ihipStream_tbDpT10_ENKUlT_T0_E_clISt17integral_constantIbLb1EES17_EEDaS12_S13_EUlS12_E_NS1_11comp_targetILNS1_3genE4ELNS1_11target_archE910ELNS1_3gpuE8ELNS1_3repE0EEENS1_30default_config_static_selectorELNS0_4arch9wavefront6targetE0EEEvT1_.uses_vcc, 0
	.set _ZN7rocprim17ROCPRIM_400000_NS6detail17trampoline_kernelINS0_14default_configENS1_25partition_config_selectorILNS1_17partition_subalgoE8EtNS0_10empty_typeEbEEZZNS1_14partition_implILS5_8ELb0ES3_jPKtPS6_PKS6_NS0_5tupleIJPtS6_EEENSE_IJSB_SB_EEENS0_18inequality_wrapperIN6hipcub16HIPCUB_304000_NS8EqualityEEEPlJS6_EEE10hipError_tPvRmT3_T4_T5_T6_T7_T9_mT8_P12ihipStream_tbDpT10_ENKUlT_T0_E_clISt17integral_constantIbLb1EES17_EEDaS12_S13_EUlS12_E_NS1_11comp_targetILNS1_3genE4ELNS1_11target_archE910ELNS1_3gpuE8ELNS1_3repE0EEENS1_30default_config_static_selectorELNS0_4arch9wavefront6targetE0EEEvT1_.uses_flat_scratch, 0
	.set _ZN7rocprim17ROCPRIM_400000_NS6detail17trampoline_kernelINS0_14default_configENS1_25partition_config_selectorILNS1_17partition_subalgoE8EtNS0_10empty_typeEbEEZZNS1_14partition_implILS5_8ELb0ES3_jPKtPS6_PKS6_NS0_5tupleIJPtS6_EEENSE_IJSB_SB_EEENS0_18inequality_wrapperIN6hipcub16HIPCUB_304000_NS8EqualityEEEPlJS6_EEE10hipError_tPvRmT3_T4_T5_T6_T7_T9_mT8_P12ihipStream_tbDpT10_ENKUlT_T0_E_clISt17integral_constantIbLb1EES17_EEDaS12_S13_EUlS12_E_NS1_11comp_targetILNS1_3genE4ELNS1_11target_archE910ELNS1_3gpuE8ELNS1_3repE0EEENS1_30default_config_static_selectorELNS0_4arch9wavefront6targetE0EEEvT1_.has_dyn_sized_stack, 0
	.set _ZN7rocprim17ROCPRIM_400000_NS6detail17trampoline_kernelINS0_14default_configENS1_25partition_config_selectorILNS1_17partition_subalgoE8EtNS0_10empty_typeEbEEZZNS1_14partition_implILS5_8ELb0ES3_jPKtPS6_PKS6_NS0_5tupleIJPtS6_EEENSE_IJSB_SB_EEENS0_18inequality_wrapperIN6hipcub16HIPCUB_304000_NS8EqualityEEEPlJS6_EEE10hipError_tPvRmT3_T4_T5_T6_T7_T9_mT8_P12ihipStream_tbDpT10_ENKUlT_T0_E_clISt17integral_constantIbLb1EES17_EEDaS12_S13_EUlS12_E_NS1_11comp_targetILNS1_3genE4ELNS1_11target_archE910ELNS1_3gpuE8ELNS1_3repE0EEENS1_30default_config_static_selectorELNS0_4arch9wavefront6targetE0EEEvT1_.has_recursion, 0
	.set _ZN7rocprim17ROCPRIM_400000_NS6detail17trampoline_kernelINS0_14default_configENS1_25partition_config_selectorILNS1_17partition_subalgoE8EtNS0_10empty_typeEbEEZZNS1_14partition_implILS5_8ELb0ES3_jPKtPS6_PKS6_NS0_5tupleIJPtS6_EEENSE_IJSB_SB_EEENS0_18inequality_wrapperIN6hipcub16HIPCUB_304000_NS8EqualityEEEPlJS6_EEE10hipError_tPvRmT3_T4_T5_T6_T7_T9_mT8_P12ihipStream_tbDpT10_ENKUlT_T0_E_clISt17integral_constantIbLb1EES17_EEDaS12_S13_EUlS12_E_NS1_11comp_targetILNS1_3genE4ELNS1_11target_archE910ELNS1_3gpuE8ELNS1_3repE0EEENS1_30default_config_static_selectorELNS0_4arch9wavefront6targetE0EEEvT1_.has_indirect_call, 0
	.section	.AMDGPU.csdata,"",@progbits
; Kernel info:
; codeLenInByte = 0
; TotalNumSgprs: 0
; NumVgprs: 0
; ScratchSize: 0
; MemoryBound: 0
; FloatMode: 240
; IeeeMode: 1
; LDSByteSize: 0 bytes/workgroup (compile time only)
; SGPRBlocks: 0
; VGPRBlocks: 0
; NumSGPRsForWavesPerEU: 1
; NumVGPRsForWavesPerEU: 1
; NamedBarCnt: 0
; Occupancy: 16
; WaveLimiterHint : 0
; COMPUTE_PGM_RSRC2:SCRATCH_EN: 0
; COMPUTE_PGM_RSRC2:USER_SGPR: 2
; COMPUTE_PGM_RSRC2:TRAP_HANDLER: 0
; COMPUTE_PGM_RSRC2:TGID_X_EN: 1
; COMPUTE_PGM_RSRC2:TGID_Y_EN: 0
; COMPUTE_PGM_RSRC2:TGID_Z_EN: 0
; COMPUTE_PGM_RSRC2:TIDIG_COMP_CNT: 0
	.section	.text._ZN7rocprim17ROCPRIM_400000_NS6detail17trampoline_kernelINS0_14default_configENS1_25partition_config_selectorILNS1_17partition_subalgoE8EtNS0_10empty_typeEbEEZZNS1_14partition_implILS5_8ELb0ES3_jPKtPS6_PKS6_NS0_5tupleIJPtS6_EEENSE_IJSB_SB_EEENS0_18inequality_wrapperIN6hipcub16HIPCUB_304000_NS8EqualityEEEPlJS6_EEE10hipError_tPvRmT3_T4_T5_T6_T7_T9_mT8_P12ihipStream_tbDpT10_ENKUlT_T0_E_clISt17integral_constantIbLb1EES17_EEDaS12_S13_EUlS12_E_NS1_11comp_targetILNS1_3genE3ELNS1_11target_archE908ELNS1_3gpuE7ELNS1_3repE0EEENS1_30default_config_static_selectorELNS0_4arch9wavefront6targetE0EEEvT1_,"axG",@progbits,_ZN7rocprim17ROCPRIM_400000_NS6detail17trampoline_kernelINS0_14default_configENS1_25partition_config_selectorILNS1_17partition_subalgoE8EtNS0_10empty_typeEbEEZZNS1_14partition_implILS5_8ELb0ES3_jPKtPS6_PKS6_NS0_5tupleIJPtS6_EEENSE_IJSB_SB_EEENS0_18inequality_wrapperIN6hipcub16HIPCUB_304000_NS8EqualityEEEPlJS6_EEE10hipError_tPvRmT3_T4_T5_T6_T7_T9_mT8_P12ihipStream_tbDpT10_ENKUlT_T0_E_clISt17integral_constantIbLb1EES17_EEDaS12_S13_EUlS12_E_NS1_11comp_targetILNS1_3genE3ELNS1_11target_archE908ELNS1_3gpuE7ELNS1_3repE0EEENS1_30default_config_static_selectorELNS0_4arch9wavefront6targetE0EEEvT1_,comdat
	.protected	_ZN7rocprim17ROCPRIM_400000_NS6detail17trampoline_kernelINS0_14default_configENS1_25partition_config_selectorILNS1_17partition_subalgoE8EtNS0_10empty_typeEbEEZZNS1_14partition_implILS5_8ELb0ES3_jPKtPS6_PKS6_NS0_5tupleIJPtS6_EEENSE_IJSB_SB_EEENS0_18inequality_wrapperIN6hipcub16HIPCUB_304000_NS8EqualityEEEPlJS6_EEE10hipError_tPvRmT3_T4_T5_T6_T7_T9_mT8_P12ihipStream_tbDpT10_ENKUlT_T0_E_clISt17integral_constantIbLb1EES17_EEDaS12_S13_EUlS12_E_NS1_11comp_targetILNS1_3genE3ELNS1_11target_archE908ELNS1_3gpuE7ELNS1_3repE0EEENS1_30default_config_static_selectorELNS0_4arch9wavefront6targetE0EEEvT1_ ; -- Begin function _ZN7rocprim17ROCPRIM_400000_NS6detail17trampoline_kernelINS0_14default_configENS1_25partition_config_selectorILNS1_17partition_subalgoE8EtNS0_10empty_typeEbEEZZNS1_14partition_implILS5_8ELb0ES3_jPKtPS6_PKS6_NS0_5tupleIJPtS6_EEENSE_IJSB_SB_EEENS0_18inequality_wrapperIN6hipcub16HIPCUB_304000_NS8EqualityEEEPlJS6_EEE10hipError_tPvRmT3_T4_T5_T6_T7_T9_mT8_P12ihipStream_tbDpT10_ENKUlT_T0_E_clISt17integral_constantIbLb1EES17_EEDaS12_S13_EUlS12_E_NS1_11comp_targetILNS1_3genE3ELNS1_11target_archE908ELNS1_3gpuE7ELNS1_3repE0EEENS1_30default_config_static_selectorELNS0_4arch9wavefront6targetE0EEEvT1_
	.globl	_ZN7rocprim17ROCPRIM_400000_NS6detail17trampoline_kernelINS0_14default_configENS1_25partition_config_selectorILNS1_17partition_subalgoE8EtNS0_10empty_typeEbEEZZNS1_14partition_implILS5_8ELb0ES3_jPKtPS6_PKS6_NS0_5tupleIJPtS6_EEENSE_IJSB_SB_EEENS0_18inequality_wrapperIN6hipcub16HIPCUB_304000_NS8EqualityEEEPlJS6_EEE10hipError_tPvRmT3_T4_T5_T6_T7_T9_mT8_P12ihipStream_tbDpT10_ENKUlT_T0_E_clISt17integral_constantIbLb1EES17_EEDaS12_S13_EUlS12_E_NS1_11comp_targetILNS1_3genE3ELNS1_11target_archE908ELNS1_3gpuE7ELNS1_3repE0EEENS1_30default_config_static_selectorELNS0_4arch9wavefront6targetE0EEEvT1_
	.p2align	8
	.type	_ZN7rocprim17ROCPRIM_400000_NS6detail17trampoline_kernelINS0_14default_configENS1_25partition_config_selectorILNS1_17partition_subalgoE8EtNS0_10empty_typeEbEEZZNS1_14partition_implILS5_8ELb0ES3_jPKtPS6_PKS6_NS0_5tupleIJPtS6_EEENSE_IJSB_SB_EEENS0_18inequality_wrapperIN6hipcub16HIPCUB_304000_NS8EqualityEEEPlJS6_EEE10hipError_tPvRmT3_T4_T5_T6_T7_T9_mT8_P12ihipStream_tbDpT10_ENKUlT_T0_E_clISt17integral_constantIbLb1EES17_EEDaS12_S13_EUlS12_E_NS1_11comp_targetILNS1_3genE3ELNS1_11target_archE908ELNS1_3gpuE7ELNS1_3repE0EEENS1_30default_config_static_selectorELNS0_4arch9wavefront6targetE0EEEvT1_,@function
_ZN7rocprim17ROCPRIM_400000_NS6detail17trampoline_kernelINS0_14default_configENS1_25partition_config_selectorILNS1_17partition_subalgoE8EtNS0_10empty_typeEbEEZZNS1_14partition_implILS5_8ELb0ES3_jPKtPS6_PKS6_NS0_5tupleIJPtS6_EEENSE_IJSB_SB_EEENS0_18inequality_wrapperIN6hipcub16HIPCUB_304000_NS8EqualityEEEPlJS6_EEE10hipError_tPvRmT3_T4_T5_T6_T7_T9_mT8_P12ihipStream_tbDpT10_ENKUlT_T0_E_clISt17integral_constantIbLb1EES17_EEDaS12_S13_EUlS12_E_NS1_11comp_targetILNS1_3genE3ELNS1_11target_archE908ELNS1_3gpuE7ELNS1_3repE0EEENS1_30default_config_static_selectorELNS0_4arch9wavefront6targetE0EEEvT1_: ; @_ZN7rocprim17ROCPRIM_400000_NS6detail17trampoline_kernelINS0_14default_configENS1_25partition_config_selectorILNS1_17partition_subalgoE8EtNS0_10empty_typeEbEEZZNS1_14partition_implILS5_8ELb0ES3_jPKtPS6_PKS6_NS0_5tupleIJPtS6_EEENSE_IJSB_SB_EEENS0_18inequality_wrapperIN6hipcub16HIPCUB_304000_NS8EqualityEEEPlJS6_EEE10hipError_tPvRmT3_T4_T5_T6_T7_T9_mT8_P12ihipStream_tbDpT10_ENKUlT_T0_E_clISt17integral_constantIbLb1EES17_EEDaS12_S13_EUlS12_E_NS1_11comp_targetILNS1_3genE3ELNS1_11target_archE908ELNS1_3gpuE7ELNS1_3repE0EEENS1_30default_config_static_selectorELNS0_4arch9wavefront6targetE0EEEvT1_
; %bb.0:
	.section	.rodata,"a",@progbits
	.p2align	6, 0x0
	.amdhsa_kernel _ZN7rocprim17ROCPRIM_400000_NS6detail17trampoline_kernelINS0_14default_configENS1_25partition_config_selectorILNS1_17partition_subalgoE8EtNS0_10empty_typeEbEEZZNS1_14partition_implILS5_8ELb0ES3_jPKtPS6_PKS6_NS0_5tupleIJPtS6_EEENSE_IJSB_SB_EEENS0_18inequality_wrapperIN6hipcub16HIPCUB_304000_NS8EqualityEEEPlJS6_EEE10hipError_tPvRmT3_T4_T5_T6_T7_T9_mT8_P12ihipStream_tbDpT10_ENKUlT_T0_E_clISt17integral_constantIbLb1EES17_EEDaS12_S13_EUlS12_E_NS1_11comp_targetILNS1_3genE3ELNS1_11target_archE908ELNS1_3gpuE7ELNS1_3repE0EEENS1_30default_config_static_selectorELNS0_4arch9wavefront6targetE0EEEvT1_
		.amdhsa_group_segment_fixed_size 0
		.amdhsa_private_segment_fixed_size 0
		.amdhsa_kernarg_size 128
		.amdhsa_user_sgpr_count 2
		.amdhsa_user_sgpr_dispatch_ptr 0
		.amdhsa_user_sgpr_queue_ptr 0
		.amdhsa_user_sgpr_kernarg_segment_ptr 1
		.amdhsa_user_sgpr_dispatch_id 0
		.amdhsa_user_sgpr_kernarg_preload_length 0
		.amdhsa_user_sgpr_kernarg_preload_offset 0
		.amdhsa_user_sgpr_private_segment_size 0
		.amdhsa_wavefront_size32 1
		.amdhsa_uses_dynamic_stack 0
		.amdhsa_enable_private_segment 0
		.amdhsa_system_sgpr_workgroup_id_x 1
		.amdhsa_system_sgpr_workgroup_id_y 0
		.amdhsa_system_sgpr_workgroup_id_z 0
		.amdhsa_system_sgpr_workgroup_info 0
		.amdhsa_system_vgpr_workitem_id 0
		.amdhsa_next_free_vgpr 1
		.amdhsa_next_free_sgpr 1
		.amdhsa_named_barrier_count 0
		.amdhsa_reserve_vcc 0
		.amdhsa_float_round_mode_32 0
		.amdhsa_float_round_mode_16_64 0
		.amdhsa_float_denorm_mode_32 3
		.amdhsa_float_denorm_mode_16_64 3
		.amdhsa_fp16_overflow 0
		.amdhsa_memory_ordered 1
		.amdhsa_forward_progress 1
		.amdhsa_inst_pref_size 0
		.amdhsa_round_robin_scheduling 0
		.amdhsa_exception_fp_ieee_invalid_op 0
		.amdhsa_exception_fp_denorm_src 0
		.amdhsa_exception_fp_ieee_div_zero 0
		.amdhsa_exception_fp_ieee_overflow 0
		.amdhsa_exception_fp_ieee_underflow 0
		.amdhsa_exception_fp_ieee_inexact 0
		.amdhsa_exception_int_div_zero 0
	.end_amdhsa_kernel
	.section	.text._ZN7rocprim17ROCPRIM_400000_NS6detail17trampoline_kernelINS0_14default_configENS1_25partition_config_selectorILNS1_17partition_subalgoE8EtNS0_10empty_typeEbEEZZNS1_14partition_implILS5_8ELb0ES3_jPKtPS6_PKS6_NS0_5tupleIJPtS6_EEENSE_IJSB_SB_EEENS0_18inequality_wrapperIN6hipcub16HIPCUB_304000_NS8EqualityEEEPlJS6_EEE10hipError_tPvRmT3_T4_T5_T6_T7_T9_mT8_P12ihipStream_tbDpT10_ENKUlT_T0_E_clISt17integral_constantIbLb1EES17_EEDaS12_S13_EUlS12_E_NS1_11comp_targetILNS1_3genE3ELNS1_11target_archE908ELNS1_3gpuE7ELNS1_3repE0EEENS1_30default_config_static_selectorELNS0_4arch9wavefront6targetE0EEEvT1_,"axG",@progbits,_ZN7rocprim17ROCPRIM_400000_NS6detail17trampoline_kernelINS0_14default_configENS1_25partition_config_selectorILNS1_17partition_subalgoE8EtNS0_10empty_typeEbEEZZNS1_14partition_implILS5_8ELb0ES3_jPKtPS6_PKS6_NS0_5tupleIJPtS6_EEENSE_IJSB_SB_EEENS0_18inequality_wrapperIN6hipcub16HIPCUB_304000_NS8EqualityEEEPlJS6_EEE10hipError_tPvRmT3_T4_T5_T6_T7_T9_mT8_P12ihipStream_tbDpT10_ENKUlT_T0_E_clISt17integral_constantIbLb1EES17_EEDaS12_S13_EUlS12_E_NS1_11comp_targetILNS1_3genE3ELNS1_11target_archE908ELNS1_3gpuE7ELNS1_3repE0EEENS1_30default_config_static_selectorELNS0_4arch9wavefront6targetE0EEEvT1_,comdat
.Lfunc_end766:
	.size	_ZN7rocprim17ROCPRIM_400000_NS6detail17trampoline_kernelINS0_14default_configENS1_25partition_config_selectorILNS1_17partition_subalgoE8EtNS0_10empty_typeEbEEZZNS1_14partition_implILS5_8ELb0ES3_jPKtPS6_PKS6_NS0_5tupleIJPtS6_EEENSE_IJSB_SB_EEENS0_18inequality_wrapperIN6hipcub16HIPCUB_304000_NS8EqualityEEEPlJS6_EEE10hipError_tPvRmT3_T4_T5_T6_T7_T9_mT8_P12ihipStream_tbDpT10_ENKUlT_T0_E_clISt17integral_constantIbLb1EES17_EEDaS12_S13_EUlS12_E_NS1_11comp_targetILNS1_3genE3ELNS1_11target_archE908ELNS1_3gpuE7ELNS1_3repE0EEENS1_30default_config_static_selectorELNS0_4arch9wavefront6targetE0EEEvT1_, .Lfunc_end766-_ZN7rocprim17ROCPRIM_400000_NS6detail17trampoline_kernelINS0_14default_configENS1_25partition_config_selectorILNS1_17partition_subalgoE8EtNS0_10empty_typeEbEEZZNS1_14partition_implILS5_8ELb0ES3_jPKtPS6_PKS6_NS0_5tupleIJPtS6_EEENSE_IJSB_SB_EEENS0_18inequality_wrapperIN6hipcub16HIPCUB_304000_NS8EqualityEEEPlJS6_EEE10hipError_tPvRmT3_T4_T5_T6_T7_T9_mT8_P12ihipStream_tbDpT10_ENKUlT_T0_E_clISt17integral_constantIbLb1EES17_EEDaS12_S13_EUlS12_E_NS1_11comp_targetILNS1_3genE3ELNS1_11target_archE908ELNS1_3gpuE7ELNS1_3repE0EEENS1_30default_config_static_selectorELNS0_4arch9wavefront6targetE0EEEvT1_
                                        ; -- End function
	.set _ZN7rocprim17ROCPRIM_400000_NS6detail17trampoline_kernelINS0_14default_configENS1_25partition_config_selectorILNS1_17partition_subalgoE8EtNS0_10empty_typeEbEEZZNS1_14partition_implILS5_8ELb0ES3_jPKtPS6_PKS6_NS0_5tupleIJPtS6_EEENSE_IJSB_SB_EEENS0_18inequality_wrapperIN6hipcub16HIPCUB_304000_NS8EqualityEEEPlJS6_EEE10hipError_tPvRmT3_T4_T5_T6_T7_T9_mT8_P12ihipStream_tbDpT10_ENKUlT_T0_E_clISt17integral_constantIbLb1EES17_EEDaS12_S13_EUlS12_E_NS1_11comp_targetILNS1_3genE3ELNS1_11target_archE908ELNS1_3gpuE7ELNS1_3repE0EEENS1_30default_config_static_selectorELNS0_4arch9wavefront6targetE0EEEvT1_.num_vgpr, 0
	.set _ZN7rocprim17ROCPRIM_400000_NS6detail17trampoline_kernelINS0_14default_configENS1_25partition_config_selectorILNS1_17partition_subalgoE8EtNS0_10empty_typeEbEEZZNS1_14partition_implILS5_8ELb0ES3_jPKtPS6_PKS6_NS0_5tupleIJPtS6_EEENSE_IJSB_SB_EEENS0_18inequality_wrapperIN6hipcub16HIPCUB_304000_NS8EqualityEEEPlJS6_EEE10hipError_tPvRmT3_T4_T5_T6_T7_T9_mT8_P12ihipStream_tbDpT10_ENKUlT_T0_E_clISt17integral_constantIbLb1EES17_EEDaS12_S13_EUlS12_E_NS1_11comp_targetILNS1_3genE3ELNS1_11target_archE908ELNS1_3gpuE7ELNS1_3repE0EEENS1_30default_config_static_selectorELNS0_4arch9wavefront6targetE0EEEvT1_.num_agpr, 0
	.set _ZN7rocprim17ROCPRIM_400000_NS6detail17trampoline_kernelINS0_14default_configENS1_25partition_config_selectorILNS1_17partition_subalgoE8EtNS0_10empty_typeEbEEZZNS1_14partition_implILS5_8ELb0ES3_jPKtPS6_PKS6_NS0_5tupleIJPtS6_EEENSE_IJSB_SB_EEENS0_18inequality_wrapperIN6hipcub16HIPCUB_304000_NS8EqualityEEEPlJS6_EEE10hipError_tPvRmT3_T4_T5_T6_T7_T9_mT8_P12ihipStream_tbDpT10_ENKUlT_T0_E_clISt17integral_constantIbLb1EES17_EEDaS12_S13_EUlS12_E_NS1_11comp_targetILNS1_3genE3ELNS1_11target_archE908ELNS1_3gpuE7ELNS1_3repE0EEENS1_30default_config_static_selectorELNS0_4arch9wavefront6targetE0EEEvT1_.numbered_sgpr, 0
	.set _ZN7rocprim17ROCPRIM_400000_NS6detail17trampoline_kernelINS0_14default_configENS1_25partition_config_selectorILNS1_17partition_subalgoE8EtNS0_10empty_typeEbEEZZNS1_14partition_implILS5_8ELb0ES3_jPKtPS6_PKS6_NS0_5tupleIJPtS6_EEENSE_IJSB_SB_EEENS0_18inequality_wrapperIN6hipcub16HIPCUB_304000_NS8EqualityEEEPlJS6_EEE10hipError_tPvRmT3_T4_T5_T6_T7_T9_mT8_P12ihipStream_tbDpT10_ENKUlT_T0_E_clISt17integral_constantIbLb1EES17_EEDaS12_S13_EUlS12_E_NS1_11comp_targetILNS1_3genE3ELNS1_11target_archE908ELNS1_3gpuE7ELNS1_3repE0EEENS1_30default_config_static_selectorELNS0_4arch9wavefront6targetE0EEEvT1_.num_named_barrier, 0
	.set _ZN7rocprim17ROCPRIM_400000_NS6detail17trampoline_kernelINS0_14default_configENS1_25partition_config_selectorILNS1_17partition_subalgoE8EtNS0_10empty_typeEbEEZZNS1_14partition_implILS5_8ELb0ES3_jPKtPS6_PKS6_NS0_5tupleIJPtS6_EEENSE_IJSB_SB_EEENS0_18inequality_wrapperIN6hipcub16HIPCUB_304000_NS8EqualityEEEPlJS6_EEE10hipError_tPvRmT3_T4_T5_T6_T7_T9_mT8_P12ihipStream_tbDpT10_ENKUlT_T0_E_clISt17integral_constantIbLb1EES17_EEDaS12_S13_EUlS12_E_NS1_11comp_targetILNS1_3genE3ELNS1_11target_archE908ELNS1_3gpuE7ELNS1_3repE0EEENS1_30default_config_static_selectorELNS0_4arch9wavefront6targetE0EEEvT1_.private_seg_size, 0
	.set _ZN7rocprim17ROCPRIM_400000_NS6detail17trampoline_kernelINS0_14default_configENS1_25partition_config_selectorILNS1_17partition_subalgoE8EtNS0_10empty_typeEbEEZZNS1_14partition_implILS5_8ELb0ES3_jPKtPS6_PKS6_NS0_5tupleIJPtS6_EEENSE_IJSB_SB_EEENS0_18inequality_wrapperIN6hipcub16HIPCUB_304000_NS8EqualityEEEPlJS6_EEE10hipError_tPvRmT3_T4_T5_T6_T7_T9_mT8_P12ihipStream_tbDpT10_ENKUlT_T0_E_clISt17integral_constantIbLb1EES17_EEDaS12_S13_EUlS12_E_NS1_11comp_targetILNS1_3genE3ELNS1_11target_archE908ELNS1_3gpuE7ELNS1_3repE0EEENS1_30default_config_static_selectorELNS0_4arch9wavefront6targetE0EEEvT1_.uses_vcc, 0
	.set _ZN7rocprim17ROCPRIM_400000_NS6detail17trampoline_kernelINS0_14default_configENS1_25partition_config_selectorILNS1_17partition_subalgoE8EtNS0_10empty_typeEbEEZZNS1_14partition_implILS5_8ELb0ES3_jPKtPS6_PKS6_NS0_5tupleIJPtS6_EEENSE_IJSB_SB_EEENS0_18inequality_wrapperIN6hipcub16HIPCUB_304000_NS8EqualityEEEPlJS6_EEE10hipError_tPvRmT3_T4_T5_T6_T7_T9_mT8_P12ihipStream_tbDpT10_ENKUlT_T0_E_clISt17integral_constantIbLb1EES17_EEDaS12_S13_EUlS12_E_NS1_11comp_targetILNS1_3genE3ELNS1_11target_archE908ELNS1_3gpuE7ELNS1_3repE0EEENS1_30default_config_static_selectorELNS0_4arch9wavefront6targetE0EEEvT1_.uses_flat_scratch, 0
	.set _ZN7rocprim17ROCPRIM_400000_NS6detail17trampoline_kernelINS0_14default_configENS1_25partition_config_selectorILNS1_17partition_subalgoE8EtNS0_10empty_typeEbEEZZNS1_14partition_implILS5_8ELb0ES3_jPKtPS6_PKS6_NS0_5tupleIJPtS6_EEENSE_IJSB_SB_EEENS0_18inequality_wrapperIN6hipcub16HIPCUB_304000_NS8EqualityEEEPlJS6_EEE10hipError_tPvRmT3_T4_T5_T6_T7_T9_mT8_P12ihipStream_tbDpT10_ENKUlT_T0_E_clISt17integral_constantIbLb1EES17_EEDaS12_S13_EUlS12_E_NS1_11comp_targetILNS1_3genE3ELNS1_11target_archE908ELNS1_3gpuE7ELNS1_3repE0EEENS1_30default_config_static_selectorELNS0_4arch9wavefront6targetE0EEEvT1_.has_dyn_sized_stack, 0
	.set _ZN7rocprim17ROCPRIM_400000_NS6detail17trampoline_kernelINS0_14default_configENS1_25partition_config_selectorILNS1_17partition_subalgoE8EtNS0_10empty_typeEbEEZZNS1_14partition_implILS5_8ELb0ES3_jPKtPS6_PKS6_NS0_5tupleIJPtS6_EEENSE_IJSB_SB_EEENS0_18inequality_wrapperIN6hipcub16HIPCUB_304000_NS8EqualityEEEPlJS6_EEE10hipError_tPvRmT3_T4_T5_T6_T7_T9_mT8_P12ihipStream_tbDpT10_ENKUlT_T0_E_clISt17integral_constantIbLb1EES17_EEDaS12_S13_EUlS12_E_NS1_11comp_targetILNS1_3genE3ELNS1_11target_archE908ELNS1_3gpuE7ELNS1_3repE0EEENS1_30default_config_static_selectorELNS0_4arch9wavefront6targetE0EEEvT1_.has_recursion, 0
	.set _ZN7rocprim17ROCPRIM_400000_NS6detail17trampoline_kernelINS0_14default_configENS1_25partition_config_selectorILNS1_17partition_subalgoE8EtNS0_10empty_typeEbEEZZNS1_14partition_implILS5_8ELb0ES3_jPKtPS6_PKS6_NS0_5tupleIJPtS6_EEENSE_IJSB_SB_EEENS0_18inequality_wrapperIN6hipcub16HIPCUB_304000_NS8EqualityEEEPlJS6_EEE10hipError_tPvRmT3_T4_T5_T6_T7_T9_mT8_P12ihipStream_tbDpT10_ENKUlT_T0_E_clISt17integral_constantIbLb1EES17_EEDaS12_S13_EUlS12_E_NS1_11comp_targetILNS1_3genE3ELNS1_11target_archE908ELNS1_3gpuE7ELNS1_3repE0EEENS1_30default_config_static_selectorELNS0_4arch9wavefront6targetE0EEEvT1_.has_indirect_call, 0
	.section	.AMDGPU.csdata,"",@progbits
; Kernel info:
; codeLenInByte = 0
; TotalNumSgprs: 0
; NumVgprs: 0
; ScratchSize: 0
; MemoryBound: 0
; FloatMode: 240
; IeeeMode: 1
; LDSByteSize: 0 bytes/workgroup (compile time only)
; SGPRBlocks: 0
; VGPRBlocks: 0
; NumSGPRsForWavesPerEU: 1
; NumVGPRsForWavesPerEU: 1
; NamedBarCnt: 0
; Occupancy: 16
; WaveLimiterHint : 0
; COMPUTE_PGM_RSRC2:SCRATCH_EN: 0
; COMPUTE_PGM_RSRC2:USER_SGPR: 2
; COMPUTE_PGM_RSRC2:TRAP_HANDLER: 0
; COMPUTE_PGM_RSRC2:TGID_X_EN: 1
; COMPUTE_PGM_RSRC2:TGID_Y_EN: 0
; COMPUTE_PGM_RSRC2:TGID_Z_EN: 0
; COMPUTE_PGM_RSRC2:TIDIG_COMP_CNT: 0
	.section	.text._ZN7rocprim17ROCPRIM_400000_NS6detail17trampoline_kernelINS0_14default_configENS1_25partition_config_selectorILNS1_17partition_subalgoE8EtNS0_10empty_typeEbEEZZNS1_14partition_implILS5_8ELb0ES3_jPKtPS6_PKS6_NS0_5tupleIJPtS6_EEENSE_IJSB_SB_EEENS0_18inequality_wrapperIN6hipcub16HIPCUB_304000_NS8EqualityEEEPlJS6_EEE10hipError_tPvRmT3_T4_T5_T6_T7_T9_mT8_P12ihipStream_tbDpT10_ENKUlT_T0_E_clISt17integral_constantIbLb1EES17_EEDaS12_S13_EUlS12_E_NS1_11comp_targetILNS1_3genE2ELNS1_11target_archE906ELNS1_3gpuE6ELNS1_3repE0EEENS1_30default_config_static_selectorELNS0_4arch9wavefront6targetE0EEEvT1_,"axG",@progbits,_ZN7rocprim17ROCPRIM_400000_NS6detail17trampoline_kernelINS0_14default_configENS1_25partition_config_selectorILNS1_17partition_subalgoE8EtNS0_10empty_typeEbEEZZNS1_14partition_implILS5_8ELb0ES3_jPKtPS6_PKS6_NS0_5tupleIJPtS6_EEENSE_IJSB_SB_EEENS0_18inequality_wrapperIN6hipcub16HIPCUB_304000_NS8EqualityEEEPlJS6_EEE10hipError_tPvRmT3_T4_T5_T6_T7_T9_mT8_P12ihipStream_tbDpT10_ENKUlT_T0_E_clISt17integral_constantIbLb1EES17_EEDaS12_S13_EUlS12_E_NS1_11comp_targetILNS1_3genE2ELNS1_11target_archE906ELNS1_3gpuE6ELNS1_3repE0EEENS1_30default_config_static_selectorELNS0_4arch9wavefront6targetE0EEEvT1_,comdat
	.protected	_ZN7rocprim17ROCPRIM_400000_NS6detail17trampoline_kernelINS0_14default_configENS1_25partition_config_selectorILNS1_17partition_subalgoE8EtNS0_10empty_typeEbEEZZNS1_14partition_implILS5_8ELb0ES3_jPKtPS6_PKS6_NS0_5tupleIJPtS6_EEENSE_IJSB_SB_EEENS0_18inequality_wrapperIN6hipcub16HIPCUB_304000_NS8EqualityEEEPlJS6_EEE10hipError_tPvRmT3_T4_T5_T6_T7_T9_mT8_P12ihipStream_tbDpT10_ENKUlT_T0_E_clISt17integral_constantIbLb1EES17_EEDaS12_S13_EUlS12_E_NS1_11comp_targetILNS1_3genE2ELNS1_11target_archE906ELNS1_3gpuE6ELNS1_3repE0EEENS1_30default_config_static_selectorELNS0_4arch9wavefront6targetE0EEEvT1_ ; -- Begin function _ZN7rocprim17ROCPRIM_400000_NS6detail17trampoline_kernelINS0_14default_configENS1_25partition_config_selectorILNS1_17partition_subalgoE8EtNS0_10empty_typeEbEEZZNS1_14partition_implILS5_8ELb0ES3_jPKtPS6_PKS6_NS0_5tupleIJPtS6_EEENSE_IJSB_SB_EEENS0_18inequality_wrapperIN6hipcub16HIPCUB_304000_NS8EqualityEEEPlJS6_EEE10hipError_tPvRmT3_T4_T5_T6_T7_T9_mT8_P12ihipStream_tbDpT10_ENKUlT_T0_E_clISt17integral_constantIbLb1EES17_EEDaS12_S13_EUlS12_E_NS1_11comp_targetILNS1_3genE2ELNS1_11target_archE906ELNS1_3gpuE6ELNS1_3repE0EEENS1_30default_config_static_selectorELNS0_4arch9wavefront6targetE0EEEvT1_
	.globl	_ZN7rocprim17ROCPRIM_400000_NS6detail17trampoline_kernelINS0_14default_configENS1_25partition_config_selectorILNS1_17partition_subalgoE8EtNS0_10empty_typeEbEEZZNS1_14partition_implILS5_8ELb0ES3_jPKtPS6_PKS6_NS0_5tupleIJPtS6_EEENSE_IJSB_SB_EEENS0_18inequality_wrapperIN6hipcub16HIPCUB_304000_NS8EqualityEEEPlJS6_EEE10hipError_tPvRmT3_T4_T5_T6_T7_T9_mT8_P12ihipStream_tbDpT10_ENKUlT_T0_E_clISt17integral_constantIbLb1EES17_EEDaS12_S13_EUlS12_E_NS1_11comp_targetILNS1_3genE2ELNS1_11target_archE906ELNS1_3gpuE6ELNS1_3repE0EEENS1_30default_config_static_selectorELNS0_4arch9wavefront6targetE0EEEvT1_
	.p2align	8
	.type	_ZN7rocprim17ROCPRIM_400000_NS6detail17trampoline_kernelINS0_14default_configENS1_25partition_config_selectorILNS1_17partition_subalgoE8EtNS0_10empty_typeEbEEZZNS1_14partition_implILS5_8ELb0ES3_jPKtPS6_PKS6_NS0_5tupleIJPtS6_EEENSE_IJSB_SB_EEENS0_18inequality_wrapperIN6hipcub16HIPCUB_304000_NS8EqualityEEEPlJS6_EEE10hipError_tPvRmT3_T4_T5_T6_T7_T9_mT8_P12ihipStream_tbDpT10_ENKUlT_T0_E_clISt17integral_constantIbLb1EES17_EEDaS12_S13_EUlS12_E_NS1_11comp_targetILNS1_3genE2ELNS1_11target_archE906ELNS1_3gpuE6ELNS1_3repE0EEENS1_30default_config_static_selectorELNS0_4arch9wavefront6targetE0EEEvT1_,@function
_ZN7rocprim17ROCPRIM_400000_NS6detail17trampoline_kernelINS0_14default_configENS1_25partition_config_selectorILNS1_17partition_subalgoE8EtNS0_10empty_typeEbEEZZNS1_14partition_implILS5_8ELb0ES3_jPKtPS6_PKS6_NS0_5tupleIJPtS6_EEENSE_IJSB_SB_EEENS0_18inequality_wrapperIN6hipcub16HIPCUB_304000_NS8EqualityEEEPlJS6_EEE10hipError_tPvRmT3_T4_T5_T6_T7_T9_mT8_P12ihipStream_tbDpT10_ENKUlT_T0_E_clISt17integral_constantIbLb1EES17_EEDaS12_S13_EUlS12_E_NS1_11comp_targetILNS1_3genE2ELNS1_11target_archE906ELNS1_3gpuE6ELNS1_3repE0EEENS1_30default_config_static_selectorELNS0_4arch9wavefront6targetE0EEEvT1_: ; @_ZN7rocprim17ROCPRIM_400000_NS6detail17trampoline_kernelINS0_14default_configENS1_25partition_config_selectorILNS1_17partition_subalgoE8EtNS0_10empty_typeEbEEZZNS1_14partition_implILS5_8ELb0ES3_jPKtPS6_PKS6_NS0_5tupleIJPtS6_EEENSE_IJSB_SB_EEENS0_18inequality_wrapperIN6hipcub16HIPCUB_304000_NS8EqualityEEEPlJS6_EEE10hipError_tPvRmT3_T4_T5_T6_T7_T9_mT8_P12ihipStream_tbDpT10_ENKUlT_T0_E_clISt17integral_constantIbLb1EES17_EEDaS12_S13_EUlS12_E_NS1_11comp_targetILNS1_3genE2ELNS1_11target_archE906ELNS1_3gpuE6ELNS1_3repE0EEENS1_30default_config_static_selectorELNS0_4arch9wavefront6targetE0EEEvT1_
; %bb.0:
	.section	.rodata,"a",@progbits
	.p2align	6, 0x0
	.amdhsa_kernel _ZN7rocprim17ROCPRIM_400000_NS6detail17trampoline_kernelINS0_14default_configENS1_25partition_config_selectorILNS1_17partition_subalgoE8EtNS0_10empty_typeEbEEZZNS1_14partition_implILS5_8ELb0ES3_jPKtPS6_PKS6_NS0_5tupleIJPtS6_EEENSE_IJSB_SB_EEENS0_18inequality_wrapperIN6hipcub16HIPCUB_304000_NS8EqualityEEEPlJS6_EEE10hipError_tPvRmT3_T4_T5_T6_T7_T9_mT8_P12ihipStream_tbDpT10_ENKUlT_T0_E_clISt17integral_constantIbLb1EES17_EEDaS12_S13_EUlS12_E_NS1_11comp_targetILNS1_3genE2ELNS1_11target_archE906ELNS1_3gpuE6ELNS1_3repE0EEENS1_30default_config_static_selectorELNS0_4arch9wavefront6targetE0EEEvT1_
		.amdhsa_group_segment_fixed_size 0
		.amdhsa_private_segment_fixed_size 0
		.amdhsa_kernarg_size 128
		.amdhsa_user_sgpr_count 2
		.amdhsa_user_sgpr_dispatch_ptr 0
		.amdhsa_user_sgpr_queue_ptr 0
		.amdhsa_user_sgpr_kernarg_segment_ptr 1
		.amdhsa_user_sgpr_dispatch_id 0
		.amdhsa_user_sgpr_kernarg_preload_length 0
		.amdhsa_user_sgpr_kernarg_preload_offset 0
		.amdhsa_user_sgpr_private_segment_size 0
		.amdhsa_wavefront_size32 1
		.amdhsa_uses_dynamic_stack 0
		.amdhsa_enable_private_segment 0
		.amdhsa_system_sgpr_workgroup_id_x 1
		.amdhsa_system_sgpr_workgroup_id_y 0
		.amdhsa_system_sgpr_workgroup_id_z 0
		.amdhsa_system_sgpr_workgroup_info 0
		.amdhsa_system_vgpr_workitem_id 0
		.amdhsa_next_free_vgpr 1
		.amdhsa_next_free_sgpr 1
		.amdhsa_named_barrier_count 0
		.amdhsa_reserve_vcc 0
		.amdhsa_float_round_mode_32 0
		.amdhsa_float_round_mode_16_64 0
		.amdhsa_float_denorm_mode_32 3
		.amdhsa_float_denorm_mode_16_64 3
		.amdhsa_fp16_overflow 0
		.amdhsa_memory_ordered 1
		.amdhsa_forward_progress 1
		.amdhsa_inst_pref_size 0
		.amdhsa_round_robin_scheduling 0
		.amdhsa_exception_fp_ieee_invalid_op 0
		.amdhsa_exception_fp_denorm_src 0
		.amdhsa_exception_fp_ieee_div_zero 0
		.amdhsa_exception_fp_ieee_overflow 0
		.amdhsa_exception_fp_ieee_underflow 0
		.amdhsa_exception_fp_ieee_inexact 0
		.amdhsa_exception_int_div_zero 0
	.end_amdhsa_kernel
	.section	.text._ZN7rocprim17ROCPRIM_400000_NS6detail17trampoline_kernelINS0_14default_configENS1_25partition_config_selectorILNS1_17partition_subalgoE8EtNS0_10empty_typeEbEEZZNS1_14partition_implILS5_8ELb0ES3_jPKtPS6_PKS6_NS0_5tupleIJPtS6_EEENSE_IJSB_SB_EEENS0_18inequality_wrapperIN6hipcub16HIPCUB_304000_NS8EqualityEEEPlJS6_EEE10hipError_tPvRmT3_T4_T5_T6_T7_T9_mT8_P12ihipStream_tbDpT10_ENKUlT_T0_E_clISt17integral_constantIbLb1EES17_EEDaS12_S13_EUlS12_E_NS1_11comp_targetILNS1_3genE2ELNS1_11target_archE906ELNS1_3gpuE6ELNS1_3repE0EEENS1_30default_config_static_selectorELNS0_4arch9wavefront6targetE0EEEvT1_,"axG",@progbits,_ZN7rocprim17ROCPRIM_400000_NS6detail17trampoline_kernelINS0_14default_configENS1_25partition_config_selectorILNS1_17partition_subalgoE8EtNS0_10empty_typeEbEEZZNS1_14partition_implILS5_8ELb0ES3_jPKtPS6_PKS6_NS0_5tupleIJPtS6_EEENSE_IJSB_SB_EEENS0_18inequality_wrapperIN6hipcub16HIPCUB_304000_NS8EqualityEEEPlJS6_EEE10hipError_tPvRmT3_T4_T5_T6_T7_T9_mT8_P12ihipStream_tbDpT10_ENKUlT_T0_E_clISt17integral_constantIbLb1EES17_EEDaS12_S13_EUlS12_E_NS1_11comp_targetILNS1_3genE2ELNS1_11target_archE906ELNS1_3gpuE6ELNS1_3repE0EEENS1_30default_config_static_selectorELNS0_4arch9wavefront6targetE0EEEvT1_,comdat
.Lfunc_end767:
	.size	_ZN7rocprim17ROCPRIM_400000_NS6detail17trampoline_kernelINS0_14default_configENS1_25partition_config_selectorILNS1_17partition_subalgoE8EtNS0_10empty_typeEbEEZZNS1_14partition_implILS5_8ELb0ES3_jPKtPS6_PKS6_NS0_5tupleIJPtS6_EEENSE_IJSB_SB_EEENS0_18inequality_wrapperIN6hipcub16HIPCUB_304000_NS8EqualityEEEPlJS6_EEE10hipError_tPvRmT3_T4_T5_T6_T7_T9_mT8_P12ihipStream_tbDpT10_ENKUlT_T0_E_clISt17integral_constantIbLb1EES17_EEDaS12_S13_EUlS12_E_NS1_11comp_targetILNS1_3genE2ELNS1_11target_archE906ELNS1_3gpuE6ELNS1_3repE0EEENS1_30default_config_static_selectorELNS0_4arch9wavefront6targetE0EEEvT1_, .Lfunc_end767-_ZN7rocprim17ROCPRIM_400000_NS6detail17trampoline_kernelINS0_14default_configENS1_25partition_config_selectorILNS1_17partition_subalgoE8EtNS0_10empty_typeEbEEZZNS1_14partition_implILS5_8ELb0ES3_jPKtPS6_PKS6_NS0_5tupleIJPtS6_EEENSE_IJSB_SB_EEENS0_18inequality_wrapperIN6hipcub16HIPCUB_304000_NS8EqualityEEEPlJS6_EEE10hipError_tPvRmT3_T4_T5_T6_T7_T9_mT8_P12ihipStream_tbDpT10_ENKUlT_T0_E_clISt17integral_constantIbLb1EES17_EEDaS12_S13_EUlS12_E_NS1_11comp_targetILNS1_3genE2ELNS1_11target_archE906ELNS1_3gpuE6ELNS1_3repE0EEENS1_30default_config_static_selectorELNS0_4arch9wavefront6targetE0EEEvT1_
                                        ; -- End function
	.set _ZN7rocprim17ROCPRIM_400000_NS6detail17trampoline_kernelINS0_14default_configENS1_25partition_config_selectorILNS1_17partition_subalgoE8EtNS0_10empty_typeEbEEZZNS1_14partition_implILS5_8ELb0ES3_jPKtPS6_PKS6_NS0_5tupleIJPtS6_EEENSE_IJSB_SB_EEENS0_18inequality_wrapperIN6hipcub16HIPCUB_304000_NS8EqualityEEEPlJS6_EEE10hipError_tPvRmT3_T4_T5_T6_T7_T9_mT8_P12ihipStream_tbDpT10_ENKUlT_T0_E_clISt17integral_constantIbLb1EES17_EEDaS12_S13_EUlS12_E_NS1_11comp_targetILNS1_3genE2ELNS1_11target_archE906ELNS1_3gpuE6ELNS1_3repE0EEENS1_30default_config_static_selectorELNS0_4arch9wavefront6targetE0EEEvT1_.num_vgpr, 0
	.set _ZN7rocprim17ROCPRIM_400000_NS6detail17trampoline_kernelINS0_14default_configENS1_25partition_config_selectorILNS1_17partition_subalgoE8EtNS0_10empty_typeEbEEZZNS1_14partition_implILS5_8ELb0ES3_jPKtPS6_PKS6_NS0_5tupleIJPtS6_EEENSE_IJSB_SB_EEENS0_18inequality_wrapperIN6hipcub16HIPCUB_304000_NS8EqualityEEEPlJS6_EEE10hipError_tPvRmT3_T4_T5_T6_T7_T9_mT8_P12ihipStream_tbDpT10_ENKUlT_T0_E_clISt17integral_constantIbLb1EES17_EEDaS12_S13_EUlS12_E_NS1_11comp_targetILNS1_3genE2ELNS1_11target_archE906ELNS1_3gpuE6ELNS1_3repE0EEENS1_30default_config_static_selectorELNS0_4arch9wavefront6targetE0EEEvT1_.num_agpr, 0
	.set _ZN7rocprim17ROCPRIM_400000_NS6detail17trampoline_kernelINS0_14default_configENS1_25partition_config_selectorILNS1_17partition_subalgoE8EtNS0_10empty_typeEbEEZZNS1_14partition_implILS5_8ELb0ES3_jPKtPS6_PKS6_NS0_5tupleIJPtS6_EEENSE_IJSB_SB_EEENS0_18inequality_wrapperIN6hipcub16HIPCUB_304000_NS8EqualityEEEPlJS6_EEE10hipError_tPvRmT3_T4_T5_T6_T7_T9_mT8_P12ihipStream_tbDpT10_ENKUlT_T0_E_clISt17integral_constantIbLb1EES17_EEDaS12_S13_EUlS12_E_NS1_11comp_targetILNS1_3genE2ELNS1_11target_archE906ELNS1_3gpuE6ELNS1_3repE0EEENS1_30default_config_static_selectorELNS0_4arch9wavefront6targetE0EEEvT1_.numbered_sgpr, 0
	.set _ZN7rocprim17ROCPRIM_400000_NS6detail17trampoline_kernelINS0_14default_configENS1_25partition_config_selectorILNS1_17partition_subalgoE8EtNS0_10empty_typeEbEEZZNS1_14partition_implILS5_8ELb0ES3_jPKtPS6_PKS6_NS0_5tupleIJPtS6_EEENSE_IJSB_SB_EEENS0_18inequality_wrapperIN6hipcub16HIPCUB_304000_NS8EqualityEEEPlJS6_EEE10hipError_tPvRmT3_T4_T5_T6_T7_T9_mT8_P12ihipStream_tbDpT10_ENKUlT_T0_E_clISt17integral_constantIbLb1EES17_EEDaS12_S13_EUlS12_E_NS1_11comp_targetILNS1_3genE2ELNS1_11target_archE906ELNS1_3gpuE6ELNS1_3repE0EEENS1_30default_config_static_selectorELNS0_4arch9wavefront6targetE0EEEvT1_.num_named_barrier, 0
	.set _ZN7rocprim17ROCPRIM_400000_NS6detail17trampoline_kernelINS0_14default_configENS1_25partition_config_selectorILNS1_17partition_subalgoE8EtNS0_10empty_typeEbEEZZNS1_14partition_implILS5_8ELb0ES3_jPKtPS6_PKS6_NS0_5tupleIJPtS6_EEENSE_IJSB_SB_EEENS0_18inequality_wrapperIN6hipcub16HIPCUB_304000_NS8EqualityEEEPlJS6_EEE10hipError_tPvRmT3_T4_T5_T6_T7_T9_mT8_P12ihipStream_tbDpT10_ENKUlT_T0_E_clISt17integral_constantIbLb1EES17_EEDaS12_S13_EUlS12_E_NS1_11comp_targetILNS1_3genE2ELNS1_11target_archE906ELNS1_3gpuE6ELNS1_3repE0EEENS1_30default_config_static_selectorELNS0_4arch9wavefront6targetE0EEEvT1_.private_seg_size, 0
	.set _ZN7rocprim17ROCPRIM_400000_NS6detail17trampoline_kernelINS0_14default_configENS1_25partition_config_selectorILNS1_17partition_subalgoE8EtNS0_10empty_typeEbEEZZNS1_14partition_implILS5_8ELb0ES3_jPKtPS6_PKS6_NS0_5tupleIJPtS6_EEENSE_IJSB_SB_EEENS0_18inequality_wrapperIN6hipcub16HIPCUB_304000_NS8EqualityEEEPlJS6_EEE10hipError_tPvRmT3_T4_T5_T6_T7_T9_mT8_P12ihipStream_tbDpT10_ENKUlT_T0_E_clISt17integral_constantIbLb1EES17_EEDaS12_S13_EUlS12_E_NS1_11comp_targetILNS1_3genE2ELNS1_11target_archE906ELNS1_3gpuE6ELNS1_3repE0EEENS1_30default_config_static_selectorELNS0_4arch9wavefront6targetE0EEEvT1_.uses_vcc, 0
	.set _ZN7rocprim17ROCPRIM_400000_NS6detail17trampoline_kernelINS0_14default_configENS1_25partition_config_selectorILNS1_17partition_subalgoE8EtNS0_10empty_typeEbEEZZNS1_14partition_implILS5_8ELb0ES3_jPKtPS6_PKS6_NS0_5tupleIJPtS6_EEENSE_IJSB_SB_EEENS0_18inequality_wrapperIN6hipcub16HIPCUB_304000_NS8EqualityEEEPlJS6_EEE10hipError_tPvRmT3_T4_T5_T6_T7_T9_mT8_P12ihipStream_tbDpT10_ENKUlT_T0_E_clISt17integral_constantIbLb1EES17_EEDaS12_S13_EUlS12_E_NS1_11comp_targetILNS1_3genE2ELNS1_11target_archE906ELNS1_3gpuE6ELNS1_3repE0EEENS1_30default_config_static_selectorELNS0_4arch9wavefront6targetE0EEEvT1_.uses_flat_scratch, 0
	.set _ZN7rocprim17ROCPRIM_400000_NS6detail17trampoline_kernelINS0_14default_configENS1_25partition_config_selectorILNS1_17partition_subalgoE8EtNS0_10empty_typeEbEEZZNS1_14partition_implILS5_8ELb0ES3_jPKtPS6_PKS6_NS0_5tupleIJPtS6_EEENSE_IJSB_SB_EEENS0_18inequality_wrapperIN6hipcub16HIPCUB_304000_NS8EqualityEEEPlJS6_EEE10hipError_tPvRmT3_T4_T5_T6_T7_T9_mT8_P12ihipStream_tbDpT10_ENKUlT_T0_E_clISt17integral_constantIbLb1EES17_EEDaS12_S13_EUlS12_E_NS1_11comp_targetILNS1_3genE2ELNS1_11target_archE906ELNS1_3gpuE6ELNS1_3repE0EEENS1_30default_config_static_selectorELNS0_4arch9wavefront6targetE0EEEvT1_.has_dyn_sized_stack, 0
	.set _ZN7rocprim17ROCPRIM_400000_NS6detail17trampoline_kernelINS0_14default_configENS1_25partition_config_selectorILNS1_17partition_subalgoE8EtNS0_10empty_typeEbEEZZNS1_14partition_implILS5_8ELb0ES3_jPKtPS6_PKS6_NS0_5tupleIJPtS6_EEENSE_IJSB_SB_EEENS0_18inequality_wrapperIN6hipcub16HIPCUB_304000_NS8EqualityEEEPlJS6_EEE10hipError_tPvRmT3_T4_T5_T6_T7_T9_mT8_P12ihipStream_tbDpT10_ENKUlT_T0_E_clISt17integral_constantIbLb1EES17_EEDaS12_S13_EUlS12_E_NS1_11comp_targetILNS1_3genE2ELNS1_11target_archE906ELNS1_3gpuE6ELNS1_3repE0EEENS1_30default_config_static_selectorELNS0_4arch9wavefront6targetE0EEEvT1_.has_recursion, 0
	.set _ZN7rocprim17ROCPRIM_400000_NS6detail17trampoline_kernelINS0_14default_configENS1_25partition_config_selectorILNS1_17partition_subalgoE8EtNS0_10empty_typeEbEEZZNS1_14partition_implILS5_8ELb0ES3_jPKtPS6_PKS6_NS0_5tupleIJPtS6_EEENSE_IJSB_SB_EEENS0_18inequality_wrapperIN6hipcub16HIPCUB_304000_NS8EqualityEEEPlJS6_EEE10hipError_tPvRmT3_T4_T5_T6_T7_T9_mT8_P12ihipStream_tbDpT10_ENKUlT_T0_E_clISt17integral_constantIbLb1EES17_EEDaS12_S13_EUlS12_E_NS1_11comp_targetILNS1_3genE2ELNS1_11target_archE906ELNS1_3gpuE6ELNS1_3repE0EEENS1_30default_config_static_selectorELNS0_4arch9wavefront6targetE0EEEvT1_.has_indirect_call, 0
	.section	.AMDGPU.csdata,"",@progbits
; Kernel info:
; codeLenInByte = 0
; TotalNumSgprs: 0
; NumVgprs: 0
; ScratchSize: 0
; MemoryBound: 0
; FloatMode: 240
; IeeeMode: 1
; LDSByteSize: 0 bytes/workgroup (compile time only)
; SGPRBlocks: 0
; VGPRBlocks: 0
; NumSGPRsForWavesPerEU: 1
; NumVGPRsForWavesPerEU: 1
; NamedBarCnt: 0
; Occupancy: 16
; WaveLimiterHint : 0
; COMPUTE_PGM_RSRC2:SCRATCH_EN: 0
; COMPUTE_PGM_RSRC2:USER_SGPR: 2
; COMPUTE_PGM_RSRC2:TRAP_HANDLER: 0
; COMPUTE_PGM_RSRC2:TGID_X_EN: 1
; COMPUTE_PGM_RSRC2:TGID_Y_EN: 0
; COMPUTE_PGM_RSRC2:TGID_Z_EN: 0
; COMPUTE_PGM_RSRC2:TIDIG_COMP_CNT: 0
	.section	.text._ZN7rocprim17ROCPRIM_400000_NS6detail17trampoline_kernelINS0_14default_configENS1_25partition_config_selectorILNS1_17partition_subalgoE8EtNS0_10empty_typeEbEEZZNS1_14partition_implILS5_8ELb0ES3_jPKtPS6_PKS6_NS0_5tupleIJPtS6_EEENSE_IJSB_SB_EEENS0_18inequality_wrapperIN6hipcub16HIPCUB_304000_NS8EqualityEEEPlJS6_EEE10hipError_tPvRmT3_T4_T5_T6_T7_T9_mT8_P12ihipStream_tbDpT10_ENKUlT_T0_E_clISt17integral_constantIbLb1EES17_EEDaS12_S13_EUlS12_E_NS1_11comp_targetILNS1_3genE10ELNS1_11target_archE1200ELNS1_3gpuE4ELNS1_3repE0EEENS1_30default_config_static_selectorELNS0_4arch9wavefront6targetE0EEEvT1_,"axG",@progbits,_ZN7rocprim17ROCPRIM_400000_NS6detail17trampoline_kernelINS0_14default_configENS1_25partition_config_selectorILNS1_17partition_subalgoE8EtNS0_10empty_typeEbEEZZNS1_14partition_implILS5_8ELb0ES3_jPKtPS6_PKS6_NS0_5tupleIJPtS6_EEENSE_IJSB_SB_EEENS0_18inequality_wrapperIN6hipcub16HIPCUB_304000_NS8EqualityEEEPlJS6_EEE10hipError_tPvRmT3_T4_T5_T6_T7_T9_mT8_P12ihipStream_tbDpT10_ENKUlT_T0_E_clISt17integral_constantIbLb1EES17_EEDaS12_S13_EUlS12_E_NS1_11comp_targetILNS1_3genE10ELNS1_11target_archE1200ELNS1_3gpuE4ELNS1_3repE0EEENS1_30default_config_static_selectorELNS0_4arch9wavefront6targetE0EEEvT1_,comdat
	.protected	_ZN7rocprim17ROCPRIM_400000_NS6detail17trampoline_kernelINS0_14default_configENS1_25partition_config_selectorILNS1_17partition_subalgoE8EtNS0_10empty_typeEbEEZZNS1_14partition_implILS5_8ELb0ES3_jPKtPS6_PKS6_NS0_5tupleIJPtS6_EEENSE_IJSB_SB_EEENS0_18inequality_wrapperIN6hipcub16HIPCUB_304000_NS8EqualityEEEPlJS6_EEE10hipError_tPvRmT3_T4_T5_T6_T7_T9_mT8_P12ihipStream_tbDpT10_ENKUlT_T0_E_clISt17integral_constantIbLb1EES17_EEDaS12_S13_EUlS12_E_NS1_11comp_targetILNS1_3genE10ELNS1_11target_archE1200ELNS1_3gpuE4ELNS1_3repE0EEENS1_30default_config_static_selectorELNS0_4arch9wavefront6targetE0EEEvT1_ ; -- Begin function _ZN7rocprim17ROCPRIM_400000_NS6detail17trampoline_kernelINS0_14default_configENS1_25partition_config_selectorILNS1_17partition_subalgoE8EtNS0_10empty_typeEbEEZZNS1_14partition_implILS5_8ELb0ES3_jPKtPS6_PKS6_NS0_5tupleIJPtS6_EEENSE_IJSB_SB_EEENS0_18inequality_wrapperIN6hipcub16HIPCUB_304000_NS8EqualityEEEPlJS6_EEE10hipError_tPvRmT3_T4_T5_T6_T7_T9_mT8_P12ihipStream_tbDpT10_ENKUlT_T0_E_clISt17integral_constantIbLb1EES17_EEDaS12_S13_EUlS12_E_NS1_11comp_targetILNS1_3genE10ELNS1_11target_archE1200ELNS1_3gpuE4ELNS1_3repE0EEENS1_30default_config_static_selectorELNS0_4arch9wavefront6targetE0EEEvT1_
	.globl	_ZN7rocprim17ROCPRIM_400000_NS6detail17trampoline_kernelINS0_14default_configENS1_25partition_config_selectorILNS1_17partition_subalgoE8EtNS0_10empty_typeEbEEZZNS1_14partition_implILS5_8ELb0ES3_jPKtPS6_PKS6_NS0_5tupleIJPtS6_EEENSE_IJSB_SB_EEENS0_18inequality_wrapperIN6hipcub16HIPCUB_304000_NS8EqualityEEEPlJS6_EEE10hipError_tPvRmT3_T4_T5_T6_T7_T9_mT8_P12ihipStream_tbDpT10_ENKUlT_T0_E_clISt17integral_constantIbLb1EES17_EEDaS12_S13_EUlS12_E_NS1_11comp_targetILNS1_3genE10ELNS1_11target_archE1200ELNS1_3gpuE4ELNS1_3repE0EEENS1_30default_config_static_selectorELNS0_4arch9wavefront6targetE0EEEvT1_
	.p2align	8
	.type	_ZN7rocprim17ROCPRIM_400000_NS6detail17trampoline_kernelINS0_14default_configENS1_25partition_config_selectorILNS1_17partition_subalgoE8EtNS0_10empty_typeEbEEZZNS1_14partition_implILS5_8ELb0ES3_jPKtPS6_PKS6_NS0_5tupleIJPtS6_EEENSE_IJSB_SB_EEENS0_18inequality_wrapperIN6hipcub16HIPCUB_304000_NS8EqualityEEEPlJS6_EEE10hipError_tPvRmT3_T4_T5_T6_T7_T9_mT8_P12ihipStream_tbDpT10_ENKUlT_T0_E_clISt17integral_constantIbLb1EES17_EEDaS12_S13_EUlS12_E_NS1_11comp_targetILNS1_3genE10ELNS1_11target_archE1200ELNS1_3gpuE4ELNS1_3repE0EEENS1_30default_config_static_selectorELNS0_4arch9wavefront6targetE0EEEvT1_,@function
_ZN7rocprim17ROCPRIM_400000_NS6detail17trampoline_kernelINS0_14default_configENS1_25partition_config_selectorILNS1_17partition_subalgoE8EtNS0_10empty_typeEbEEZZNS1_14partition_implILS5_8ELb0ES3_jPKtPS6_PKS6_NS0_5tupleIJPtS6_EEENSE_IJSB_SB_EEENS0_18inequality_wrapperIN6hipcub16HIPCUB_304000_NS8EqualityEEEPlJS6_EEE10hipError_tPvRmT3_T4_T5_T6_T7_T9_mT8_P12ihipStream_tbDpT10_ENKUlT_T0_E_clISt17integral_constantIbLb1EES17_EEDaS12_S13_EUlS12_E_NS1_11comp_targetILNS1_3genE10ELNS1_11target_archE1200ELNS1_3gpuE4ELNS1_3repE0EEENS1_30default_config_static_selectorELNS0_4arch9wavefront6targetE0EEEvT1_: ; @_ZN7rocprim17ROCPRIM_400000_NS6detail17trampoline_kernelINS0_14default_configENS1_25partition_config_selectorILNS1_17partition_subalgoE8EtNS0_10empty_typeEbEEZZNS1_14partition_implILS5_8ELb0ES3_jPKtPS6_PKS6_NS0_5tupleIJPtS6_EEENSE_IJSB_SB_EEENS0_18inequality_wrapperIN6hipcub16HIPCUB_304000_NS8EqualityEEEPlJS6_EEE10hipError_tPvRmT3_T4_T5_T6_T7_T9_mT8_P12ihipStream_tbDpT10_ENKUlT_T0_E_clISt17integral_constantIbLb1EES17_EEDaS12_S13_EUlS12_E_NS1_11comp_targetILNS1_3genE10ELNS1_11target_archE1200ELNS1_3gpuE4ELNS1_3repE0EEENS1_30default_config_static_selectorELNS0_4arch9wavefront6targetE0EEEvT1_
; %bb.0:
	.section	.rodata,"a",@progbits
	.p2align	6, 0x0
	.amdhsa_kernel _ZN7rocprim17ROCPRIM_400000_NS6detail17trampoline_kernelINS0_14default_configENS1_25partition_config_selectorILNS1_17partition_subalgoE8EtNS0_10empty_typeEbEEZZNS1_14partition_implILS5_8ELb0ES3_jPKtPS6_PKS6_NS0_5tupleIJPtS6_EEENSE_IJSB_SB_EEENS0_18inequality_wrapperIN6hipcub16HIPCUB_304000_NS8EqualityEEEPlJS6_EEE10hipError_tPvRmT3_T4_T5_T6_T7_T9_mT8_P12ihipStream_tbDpT10_ENKUlT_T0_E_clISt17integral_constantIbLb1EES17_EEDaS12_S13_EUlS12_E_NS1_11comp_targetILNS1_3genE10ELNS1_11target_archE1200ELNS1_3gpuE4ELNS1_3repE0EEENS1_30default_config_static_selectorELNS0_4arch9wavefront6targetE0EEEvT1_
		.amdhsa_group_segment_fixed_size 0
		.amdhsa_private_segment_fixed_size 0
		.amdhsa_kernarg_size 128
		.amdhsa_user_sgpr_count 2
		.amdhsa_user_sgpr_dispatch_ptr 0
		.amdhsa_user_sgpr_queue_ptr 0
		.amdhsa_user_sgpr_kernarg_segment_ptr 1
		.amdhsa_user_sgpr_dispatch_id 0
		.amdhsa_user_sgpr_kernarg_preload_length 0
		.amdhsa_user_sgpr_kernarg_preload_offset 0
		.amdhsa_user_sgpr_private_segment_size 0
		.amdhsa_wavefront_size32 1
		.amdhsa_uses_dynamic_stack 0
		.amdhsa_enable_private_segment 0
		.amdhsa_system_sgpr_workgroup_id_x 1
		.amdhsa_system_sgpr_workgroup_id_y 0
		.amdhsa_system_sgpr_workgroup_id_z 0
		.amdhsa_system_sgpr_workgroup_info 0
		.amdhsa_system_vgpr_workitem_id 0
		.amdhsa_next_free_vgpr 1
		.amdhsa_next_free_sgpr 1
		.amdhsa_named_barrier_count 0
		.amdhsa_reserve_vcc 0
		.amdhsa_float_round_mode_32 0
		.amdhsa_float_round_mode_16_64 0
		.amdhsa_float_denorm_mode_32 3
		.amdhsa_float_denorm_mode_16_64 3
		.amdhsa_fp16_overflow 0
		.amdhsa_memory_ordered 1
		.amdhsa_forward_progress 1
		.amdhsa_inst_pref_size 0
		.amdhsa_round_robin_scheduling 0
		.amdhsa_exception_fp_ieee_invalid_op 0
		.amdhsa_exception_fp_denorm_src 0
		.amdhsa_exception_fp_ieee_div_zero 0
		.amdhsa_exception_fp_ieee_overflow 0
		.amdhsa_exception_fp_ieee_underflow 0
		.amdhsa_exception_fp_ieee_inexact 0
		.amdhsa_exception_int_div_zero 0
	.end_amdhsa_kernel
	.section	.text._ZN7rocprim17ROCPRIM_400000_NS6detail17trampoline_kernelINS0_14default_configENS1_25partition_config_selectorILNS1_17partition_subalgoE8EtNS0_10empty_typeEbEEZZNS1_14partition_implILS5_8ELb0ES3_jPKtPS6_PKS6_NS0_5tupleIJPtS6_EEENSE_IJSB_SB_EEENS0_18inequality_wrapperIN6hipcub16HIPCUB_304000_NS8EqualityEEEPlJS6_EEE10hipError_tPvRmT3_T4_T5_T6_T7_T9_mT8_P12ihipStream_tbDpT10_ENKUlT_T0_E_clISt17integral_constantIbLb1EES17_EEDaS12_S13_EUlS12_E_NS1_11comp_targetILNS1_3genE10ELNS1_11target_archE1200ELNS1_3gpuE4ELNS1_3repE0EEENS1_30default_config_static_selectorELNS0_4arch9wavefront6targetE0EEEvT1_,"axG",@progbits,_ZN7rocprim17ROCPRIM_400000_NS6detail17trampoline_kernelINS0_14default_configENS1_25partition_config_selectorILNS1_17partition_subalgoE8EtNS0_10empty_typeEbEEZZNS1_14partition_implILS5_8ELb0ES3_jPKtPS6_PKS6_NS0_5tupleIJPtS6_EEENSE_IJSB_SB_EEENS0_18inequality_wrapperIN6hipcub16HIPCUB_304000_NS8EqualityEEEPlJS6_EEE10hipError_tPvRmT3_T4_T5_T6_T7_T9_mT8_P12ihipStream_tbDpT10_ENKUlT_T0_E_clISt17integral_constantIbLb1EES17_EEDaS12_S13_EUlS12_E_NS1_11comp_targetILNS1_3genE10ELNS1_11target_archE1200ELNS1_3gpuE4ELNS1_3repE0EEENS1_30default_config_static_selectorELNS0_4arch9wavefront6targetE0EEEvT1_,comdat
.Lfunc_end768:
	.size	_ZN7rocprim17ROCPRIM_400000_NS6detail17trampoline_kernelINS0_14default_configENS1_25partition_config_selectorILNS1_17partition_subalgoE8EtNS0_10empty_typeEbEEZZNS1_14partition_implILS5_8ELb0ES3_jPKtPS6_PKS6_NS0_5tupleIJPtS6_EEENSE_IJSB_SB_EEENS0_18inequality_wrapperIN6hipcub16HIPCUB_304000_NS8EqualityEEEPlJS6_EEE10hipError_tPvRmT3_T4_T5_T6_T7_T9_mT8_P12ihipStream_tbDpT10_ENKUlT_T0_E_clISt17integral_constantIbLb1EES17_EEDaS12_S13_EUlS12_E_NS1_11comp_targetILNS1_3genE10ELNS1_11target_archE1200ELNS1_3gpuE4ELNS1_3repE0EEENS1_30default_config_static_selectorELNS0_4arch9wavefront6targetE0EEEvT1_, .Lfunc_end768-_ZN7rocprim17ROCPRIM_400000_NS6detail17trampoline_kernelINS0_14default_configENS1_25partition_config_selectorILNS1_17partition_subalgoE8EtNS0_10empty_typeEbEEZZNS1_14partition_implILS5_8ELb0ES3_jPKtPS6_PKS6_NS0_5tupleIJPtS6_EEENSE_IJSB_SB_EEENS0_18inequality_wrapperIN6hipcub16HIPCUB_304000_NS8EqualityEEEPlJS6_EEE10hipError_tPvRmT3_T4_T5_T6_T7_T9_mT8_P12ihipStream_tbDpT10_ENKUlT_T0_E_clISt17integral_constantIbLb1EES17_EEDaS12_S13_EUlS12_E_NS1_11comp_targetILNS1_3genE10ELNS1_11target_archE1200ELNS1_3gpuE4ELNS1_3repE0EEENS1_30default_config_static_selectorELNS0_4arch9wavefront6targetE0EEEvT1_
                                        ; -- End function
	.set _ZN7rocprim17ROCPRIM_400000_NS6detail17trampoline_kernelINS0_14default_configENS1_25partition_config_selectorILNS1_17partition_subalgoE8EtNS0_10empty_typeEbEEZZNS1_14partition_implILS5_8ELb0ES3_jPKtPS6_PKS6_NS0_5tupleIJPtS6_EEENSE_IJSB_SB_EEENS0_18inequality_wrapperIN6hipcub16HIPCUB_304000_NS8EqualityEEEPlJS6_EEE10hipError_tPvRmT3_T4_T5_T6_T7_T9_mT8_P12ihipStream_tbDpT10_ENKUlT_T0_E_clISt17integral_constantIbLb1EES17_EEDaS12_S13_EUlS12_E_NS1_11comp_targetILNS1_3genE10ELNS1_11target_archE1200ELNS1_3gpuE4ELNS1_3repE0EEENS1_30default_config_static_selectorELNS0_4arch9wavefront6targetE0EEEvT1_.num_vgpr, 0
	.set _ZN7rocprim17ROCPRIM_400000_NS6detail17trampoline_kernelINS0_14default_configENS1_25partition_config_selectorILNS1_17partition_subalgoE8EtNS0_10empty_typeEbEEZZNS1_14partition_implILS5_8ELb0ES3_jPKtPS6_PKS6_NS0_5tupleIJPtS6_EEENSE_IJSB_SB_EEENS0_18inequality_wrapperIN6hipcub16HIPCUB_304000_NS8EqualityEEEPlJS6_EEE10hipError_tPvRmT3_T4_T5_T6_T7_T9_mT8_P12ihipStream_tbDpT10_ENKUlT_T0_E_clISt17integral_constantIbLb1EES17_EEDaS12_S13_EUlS12_E_NS1_11comp_targetILNS1_3genE10ELNS1_11target_archE1200ELNS1_3gpuE4ELNS1_3repE0EEENS1_30default_config_static_selectorELNS0_4arch9wavefront6targetE0EEEvT1_.num_agpr, 0
	.set _ZN7rocprim17ROCPRIM_400000_NS6detail17trampoline_kernelINS0_14default_configENS1_25partition_config_selectorILNS1_17partition_subalgoE8EtNS0_10empty_typeEbEEZZNS1_14partition_implILS5_8ELb0ES3_jPKtPS6_PKS6_NS0_5tupleIJPtS6_EEENSE_IJSB_SB_EEENS0_18inequality_wrapperIN6hipcub16HIPCUB_304000_NS8EqualityEEEPlJS6_EEE10hipError_tPvRmT3_T4_T5_T6_T7_T9_mT8_P12ihipStream_tbDpT10_ENKUlT_T0_E_clISt17integral_constantIbLb1EES17_EEDaS12_S13_EUlS12_E_NS1_11comp_targetILNS1_3genE10ELNS1_11target_archE1200ELNS1_3gpuE4ELNS1_3repE0EEENS1_30default_config_static_selectorELNS0_4arch9wavefront6targetE0EEEvT1_.numbered_sgpr, 0
	.set _ZN7rocprim17ROCPRIM_400000_NS6detail17trampoline_kernelINS0_14default_configENS1_25partition_config_selectorILNS1_17partition_subalgoE8EtNS0_10empty_typeEbEEZZNS1_14partition_implILS5_8ELb0ES3_jPKtPS6_PKS6_NS0_5tupleIJPtS6_EEENSE_IJSB_SB_EEENS0_18inequality_wrapperIN6hipcub16HIPCUB_304000_NS8EqualityEEEPlJS6_EEE10hipError_tPvRmT3_T4_T5_T6_T7_T9_mT8_P12ihipStream_tbDpT10_ENKUlT_T0_E_clISt17integral_constantIbLb1EES17_EEDaS12_S13_EUlS12_E_NS1_11comp_targetILNS1_3genE10ELNS1_11target_archE1200ELNS1_3gpuE4ELNS1_3repE0EEENS1_30default_config_static_selectorELNS0_4arch9wavefront6targetE0EEEvT1_.num_named_barrier, 0
	.set _ZN7rocprim17ROCPRIM_400000_NS6detail17trampoline_kernelINS0_14default_configENS1_25partition_config_selectorILNS1_17partition_subalgoE8EtNS0_10empty_typeEbEEZZNS1_14partition_implILS5_8ELb0ES3_jPKtPS6_PKS6_NS0_5tupleIJPtS6_EEENSE_IJSB_SB_EEENS0_18inequality_wrapperIN6hipcub16HIPCUB_304000_NS8EqualityEEEPlJS6_EEE10hipError_tPvRmT3_T4_T5_T6_T7_T9_mT8_P12ihipStream_tbDpT10_ENKUlT_T0_E_clISt17integral_constantIbLb1EES17_EEDaS12_S13_EUlS12_E_NS1_11comp_targetILNS1_3genE10ELNS1_11target_archE1200ELNS1_3gpuE4ELNS1_3repE0EEENS1_30default_config_static_selectorELNS0_4arch9wavefront6targetE0EEEvT1_.private_seg_size, 0
	.set _ZN7rocprim17ROCPRIM_400000_NS6detail17trampoline_kernelINS0_14default_configENS1_25partition_config_selectorILNS1_17partition_subalgoE8EtNS0_10empty_typeEbEEZZNS1_14partition_implILS5_8ELb0ES3_jPKtPS6_PKS6_NS0_5tupleIJPtS6_EEENSE_IJSB_SB_EEENS0_18inequality_wrapperIN6hipcub16HIPCUB_304000_NS8EqualityEEEPlJS6_EEE10hipError_tPvRmT3_T4_T5_T6_T7_T9_mT8_P12ihipStream_tbDpT10_ENKUlT_T0_E_clISt17integral_constantIbLb1EES17_EEDaS12_S13_EUlS12_E_NS1_11comp_targetILNS1_3genE10ELNS1_11target_archE1200ELNS1_3gpuE4ELNS1_3repE0EEENS1_30default_config_static_selectorELNS0_4arch9wavefront6targetE0EEEvT1_.uses_vcc, 0
	.set _ZN7rocprim17ROCPRIM_400000_NS6detail17trampoline_kernelINS0_14default_configENS1_25partition_config_selectorILNS1_17partition_subalgoE8EtNS0_10empty_typeEbEEZZNS1_14partition_implILS5_8ELb0ES3_jPKtPS6_PKS6_NS0_5tupleIJPtS6_EEENSE_IJSB_SB_EEENS0_18inequality_wrapperIN6hipcub16HIPCUB_304000_NS8EqualityEEEPlJS6_EEE10hipError_tPvRmT3_T4_T5_T6_T7_T9_mT8_P12ihipStream_tbDpT10_ENKUlT_T0_E_clISt17integral_constantIbLb1EES17_EEDaS12_S13_EUlS12_E_NS1_11comp_targetILNS1_3genE10ELNS1_11target_archE1200ELNS1_3gpuE4ELNS1_3repE0EEENS1_30default_config_static_selectorELNS0_4arch9wavefront6targetE0EEEvT1_.uses_flat_scratch, 0
	.set _ZN7rocprim17ROCPRIM_400000_NS6detail17trampoline_kernelINS0_14default_configENS1_25partition_config_selectorILNS1_17partition_subalgoE8EtNS0_10empty_typeEbEEZZNS1_14partition_implILS5_8ELb0ES3_jPKtPS6_PKS6_NS0_5tupleIJPtS6_EEENSE_IJSB_SB_EEENS0_18inequality_wrapperIN6hipcub16HIPCUB_304000_NS8EqualityEEEPlJS6_EEE10hipError_tPvRmT3_T4_T5_T6_T7_T9_mT8_P12ihipStream_tbDpT10_ENKUlT_T0_E_clISt17integral_constantIbLb1EES17_EEDaS12_S13_EUlS12_E_NS1_11comp_targetILNS1_3genE10ELNS1_11target_archE1200ELNS1_3gpuE4ELNS1_3repE0EEENS1_30default_config_static_selectorELNS0_4arch9wavefront6targetE0EEEvT1_.has_dyn_sized_stack, 0
	.set _ZN7rocprim17ROCPRIM_400000_NS6detail17trampoline_kernelINS0_14default_configENS1_25partition_config_selectorILNS1_17partition_subalgoE8EtNS0_10empty_typeEbEEZZNS1_14partition_implILS5_8ELb0ES3_jPKtPS6_PKS6_NS0_5tupleIJPtS6_EEENSE_IJSB_SB_EEENS0_18inequality_wrapperIN6hipcub16HIPCUB_304000_NS8EqualityEEEPlJS6_EEE10hipError_tPvRmT3_T4_T5_T6_T7_T9_mT8_P12ihipStream_tbDpT10_ENKUlT_T0_E_clISt17integral_constantIbLb1EES17_EEDaS12_S13_EUlS12_E_NS1_11comp_targetILNS1_3genE10ELNS1_11target_archE1200ELNS1_3gpuE4ELNS1_3repE0EEENS1_30default_config_static_selectorELNS0_4arch9wavefront6targetE0EEEvT1_.has_recursion, 0
	.set _ZN7rocprim17ROCPRIM_400000_NS6detail17trampoline_kernelINS0_14default_configENS1_25partition_config_selectorILNS1_17partition_subalgoE8EtNS0_10empty_typeEbEEZZNS1_14partition_implILS5_8ELb0ES3_jPKtPS6_PKS6_NS0_5tupleIJPtS6_EEENSE_IJSB_SB_EEENS0_18inequality_wrapperIN6hipcub16HIPCUB_304000_NS8EqualityEEEPlJS6_EEE10hipError_tPvRmT3_T4_T5_T6_T7_T9_mT8_P12ihipStream_tbDpT10_ENKUlT_T0_E_clISt17integral_constantIbLb1EES17_EEDaS12_S13_EUlS12_E_NS1_11comp_targetILNS1_3genE10ELNS1_11target_archE1200ELNS1_3gpuE4ELNS1_3repE0EEENS1_30default_config_static_selectorELNS0_4arch9wavefront6targetE0EEEvT1_.has_indirect_call, 0
	.section	.AMDGPU.csdata,"",@progbits
; Kernel info:
; codeLenInByte = 0
; TotalNumSgprs: 0
; NumVgprs: 0
; ScratchSize: 0
; MemoryBound: 0
; FloatMode: 240
; IeeeMode: 1
; LDSByteSize: 0 bytes/workgroup (compile time only)
; SGPRBlocks: 0
; VGPRBlocks: 0
; NumSGPRsForWavesPerEU: 1
; NumVGPRsForWavesPerEU: 1
; NamedBarCnt: 0
; Occupancy: 16
; WaveLimiterHint : 0
; COMPUTE_PGM_RSRC2:SCRATCH_EN: 0
; COMPUTE_PGM_RSRC2:USER_SGPR: 2
; COMPUTE_PGM_RSRC2:TRAP_HANDLER: 0
; COMPUTE_PGM_RSRC2:TGID_X_EN: 1
; COMPUTE_PGM_RSRC2:TGID_Y_EN: 0
; COMPUTE_PGM_RSRC2:TGID_Z_EN: 0
; COMPUTE_PGM_RSRC2:TIDIG_COMP_CNT: 0
	.section	.text._ZN7rocprim17ROCPRIM_400000_NS6detail17trampoline_kernelINS0_14default_configENS1_25partition_config_selectorILNS1_17partition_subalgoE8EtNS0_10empty_typeEbEEZZNS1_14partition_implILS5_8ELb0ES3_jPKtPS6_PKS6_NS0_5tupleIJPtS6_EEENSE_IJSB_SB_EEENS0_18inequality_wrapperIN6hipcub16HIPCUB_304000_NS8EqualityEEEPlJS6_EEE10hipError_tPvRmT3_T4_T5_T6_T7_T9_mT8_P12ihipStream_tbDpT10_ENKUlT_T0_E_clISt17integral_constantIbLb1EES17_EEDaS12_S13_EUlS12_E_NS1_11comp_targetILNS1_3genE9ELNS1_11target_archE1100ELNS1_3gpuE3ELNS1_3repE0EEENS1_30default_config_static_selectorELNS0_4arch9wavefront6targetE0EEEvT1_,"axG",@progbits,_ZN7rocprim17ROCPRIM_400000_NS6detail17trampoline_kernelINS0_14default_configENS1_25partition_config_selectorILNS1_17partition_subalgoE8EtNS0_10empty_typeEbEEZZNS1_14partition_implILS5_8ELb0ES3_jPKtPS6_PKS6_NS0_5tupleIJPtS6_EEENSE_IJSB_SB_EEENS0_18inequality_wrapperIN6hipcub16HIPCUB_304000_NS8EqualityEEEPlJS6_EEE10hipError_tPvRmT3_T4_T5_T6_T7_T9_mT8_P12ihipStream_tbDpT10_ENKUlT_T0_E_clISt17integral_constantIbLb1EES17_EEDaS12_S13_EUlS12_E_NS1_11comp_targetILNS1_3genE9ELNS1_11target_archE1100ELNS1_3gpuE3ELNS1_3repE0EEENS1_30default_config_static_selectorELNS0_4arch9wavefront6targetE0EEEvT1_,comdat
	.protected	_ZN7rocprim17ROCPRIM_400000_NS6detail17trampoline_kernelINS0_14default_configENS1_25partition_config_selectorILNS1_17partition_subalgoE8EtNS0_10empty_typeEbEEZZNS1_14partition_implILS5_8ELb0ES3_jPKtPS6_PKS6_NS0_5tupleIJPtS6_EEENSE_IJSB_SB_EEENS0_18inequality_wrapperIN6hipcub16HIPCUB_304000_NS8EqualityEEEPlJS6_EEE10hipError_tPvRmT3_T4_T5_T6_T7_T9_mT8_P12ihipStream_tbDpT10_ENKUlT_T0_E_clISt17integral_constantIbLb1EES17_EEDaS12_S13_EUlS12_E_NS1_11comp_targetILNS1_3genE9ELNS1_11target_archE1100ELNS1_3gpuE3ELNS1_3repE0EEENS1_30default_config_static_selectorELNS0_4arch9wavefront6targetE0EEEvT1_ ; -- Begin function _ZN7rocprim17ROCPRIM_400000_NS6detail17trampoline_kernelINS0_14default_configENS1_25partition_config_selectorILNS1_17partition_subalgoE8EtNS0_10empty_typeEbEEZZNS1_14partition_implILS5_8ELb0ES3_jPKtPS6_PKS6_NS0_5tupleIJPtS6_EEENSE_IJSB_SB_EEENS0_18inequality_wrapperIN6hipcub16HIPCUB_304000_NS8EqualityEEEPlJS6_EEE10hipError_tPvRmT3_T4_T5_T6_T7_T9_mT8_P12ihipStream_tbDpT10_ENKUlT_T0_E_clISt17integral_constantIbLb1EES17_EEDaS12_S13_EUlS12_E_NS1_11comp_targetILNS1_3genE9ELNS1_11target_archE1100ELNS1_3gpuE3ELNS1_3repE0EEENS1_30default_config_static_selectorELNS0_4arch9wavefront6targetE0EEEvT1_
	.globl	_ZN7rocprim17ROCPRIM_400000_NS6detail17trampoline_kernelINS0_14default_configENS1_25partition_config_selectorILNS1_17partition_subalgoE8EtNS0_10empty_typeEbEEZZNS1_14partition_implILS5_8ELb0ES3_jPKtPS6_PKS6_NS0_5tupleIJPtS6_EEENSE_IJSB_SB_EEENS0_18inequality_wrapperIN6hipcub16HIPCUB_304000_NS8EqualityEEEPlJS6_EEE10hipError_tPvRmT3_T4_T5_T6_T7_T9_mT8_P12ihipStream_tbDpT10_ENKUlT_T0_E_clISt17integral_constantIbLb1EES17_EEDaS12_S13_EUlS12_E_NS1_11comp_targetILNS1_3genE9ELNS1_11target_archE1100ELNS1_3gpuE3ELNS1_3repE0EEENS1_30default_config_static_selectorELNS0_4arch9wavefront6targetE0EEEvT1_
	.p2align	8
	.type	_ZN7rocprim17ROCPRIM_400000_NS6detail17trampoline_kernelINS0_14default_configENS1_25partition_config_selectorILNS1_17partition_subalgoE8EtNS0_10empty_typeEbEEZZNS1_14partition_implILS5_8ELb0ES3_jPKtPS6_PKS6_NS0_5tupleIJPtS6_EEENSE_IJSB_SB_EEENS0_18inequality_wrapperIN6hipcub16HIPCUB_304000_NS8EqualityEEEPlJS6_EEE10hipError_tPvRmT3_T4_T5_T6_T7_T9_mT8_P12ihipStream_tbDpT10_ENKUlT_T0_E_clISt17integral_constantIbLb1EES17_EEDaS12_S13_EUlS12_E_NS1_11comp_targetILNS1_3genE9ELNS1_11target_archE1100ELNS1_3gpuE3ELNS1_3repE0EEENS1_30default_config_static_selectorELNS0_4arch9wavefront6targetE0EEEvT1_,@function
_ZN7rocprim17ROCPRIM_400000_NS6detail17trampoline_kernelINS0_14default_configENS1_25partition_config_selectorILNS1_17partition_subalgoE8EtNS0_10empty_typeEbEEZZNS1_14partition_implILS5_8ELb0ES3_jPKtPS6_PKS6_NS0_5tupleIJPtS6_EEENSE_IJSB_SB_EEENS0_18inequality_wrapperIN6hipcub16HIPCUB_304000_NS8EqualityEEEPlJS6_EEE10hipError_tPvRmT3_T4_T5_T6_T7_T9_mT8_P12ihipStream_tbDpT10_ENKUlT_T0_E_clISt17integral_constantIbLb1EES17_EEDaS12_S13_EUlS12_E_NS1_11comp_targetILNS1_3genE9ELNS1_11target_archE1100ELNS1_3gpuE3ELNS1_3repE0EEENS1_30default_config_static_selectorELNS0_4arch9wavefront6targetE0EEEvT1_: ; @_ZN7rocprim17ROCPRIM_400000_NS6detail17trampoline_kernelINS0_14default_configENS1_25partition_config_selectorILNS1_17partition_subalgoE8EtNS0_10empty_typeEbEEZZNS1_14partition_implILS5_8ELb0ES3_jPKtPS6_PKS6_NS0_5tupleIJPtS6_EEENSE_IJSB_SB_EEENS0_18inequality_wrapperIN6hipcub16HIPCUB_304000_NS8EqualityEEEPlJS6_EEE10hipError_tPvRmT3_T4_T5_T6_T7_T9_mT8_P12ihipStream_tbDpT10_ENKUlT_T0_E_clISt17integral_constantIbLb1EES17_EEDaS12_S13_EUlS12_E_NS1_11comp_targetILNS1_3genE9ELNS1_11target_archE1100ELNS1_3gpuE3ELNS1_3repE0EEENS1_30default_config_static_selectorELNS0_4arch9wavefront6targetE0EEEvT1_
; %bb.0:
	.section	.rodata,"a",@progbits
	.p2align	6, 0x0
	.amdhsa_kernel _ZN7rocprim17ROCPRIM_400000_NS6detail17trampoline_kernelINS0_14default_configENS1_25partition_config_selectorILNS1_17partition_subalgoE8EtNS0_10empty_typeEbEEZZNS1_14partition_implILS5_8ELb0ES3_jPKtPS6_PKS6_NS0_5tupleIJPtS6_EEENSE_IJSB_SB_EEENS0_18inequality_wrapperIN6hipcub16HIPCUB_304000_NS8EqualityEEEPlJS6_EEE10hipError_tPvRmT3_T4_T5_T6_T7_T9_mT8_P12ihipStream_tbDpT10_ENKUlT_T0_E_clISt17integral_constantIbLb1EES17_EEDaS12_S13_EUlS12_E_NS1_11comp_targetILNS1_3genE9ELNS1_11target_archE1100ELNS1_3gpuE3ELNS1_3repE0EEENS1_30default_config_static_selectorELNS0_4arch9wavefront6targetE0EEEvT1_
		.amdhsa_group_segment_fixed_size 0
		.amdhsa_private_segment_fixed_size 0
		.amdhsa_kernarg_size 128
		.amdhsa_user_sgpr_count 2
		.amdhsa_user_sgpr_dispatch_ptr 0
		.amdhsa_user_sgpr_queue_ptr 0
		.amdhsa_user_sgpr_kernarg_segment_ptr 1
		.amdhsa_user_sgpr_dispatch_id 0
		.amdhsa_user_sgpr_kernarg_preload_length 0
		.amdhsa_user_sgpr_kernarg_preload_offset 0
		.amdhsa_user_sgpr_private_segment_size 0
		.amdhsa_wavefront_size32 1
		.amdhsa_uses_dynamic_stack 0
		.amdhsa_enable_private_segment 0
		.amdhsa_system_sgpr_workgroup_id_x 1
		.amdhsa_system_sgpr_workgroup_id_y 0
		.amdhsa_system_sgpr_workgroup_id_z 0
		.amdhsa_system_sgpr_workgroup_info 0
		.amdhsa_system_vgpr_workitem_id 0
		.amdhsa_next_free_vgpr 1
		.amdhsa_next_free_sgpr 1
		.amdhsa_named_barrier_count 0
		.amdhsa_reserve_vcc 0
		.amdhsa_float_round_mode_32 0
		.amdhsa_float_round_mode_16_64 0
		.amdhsa_float_denorm_mode_32 3
		.amdhsa_float_denorm_mode_16_64 3
		.amdhsa_fp16_overflow 0
		.amdhsa_memory_ordered 1
		.amdhsa_forward_progress 1
		.amdhsa_inst_pref_size 0
		.amdhsa_round_robin_scheduling 0
		.amdhsa_exception_fp_ieee_invalid_op 0
		.amdhsa_exception_fp_denorm_src 0
		.amdhsa_exception_fp_ieee_div_zero 0
		.amdhsa_exception_fp_ieee_overflow 0
		.amdhsa_exception_fp_ieee_underflow 0
		.amdhsa_exception_fp_ieee_inexact 0
		.amdhsa_exception_int_div_zero 0
	.end_amdhsa_kernel
	.section	.text._ZN7rocprim17ROCPRIM_400000_NS6detail17trampoline_kernelINS0_14default_configENS1_25partition_config_selectorILNS1_17partition_subalgoE8EtNS0_10empty_typeEbEEZZNS1_14partition_implILS5_8ELb0ES3_jPKtPS6_PKS6_NS0_5tupleIJPtS6_EEENSE_IJSB_SB_EEENS0_18inequality_wrapperIN6hipcub16HIPCUB_304000_NS8EqualityEEEPlJS6_EEE10hipError_tPvRmT3_T4_T5_T6_T7_T9_mT8_P12ihipStream_tbDpT10_ENKUlT_T0_E_clISt17integral_constantIbLb1EES17_EEDaS12_S13_EUlS12_E_NS1_11comp_targetILNS1_3genE9ELNS1_11target_archE1100ELNS1_3gpuE3ELNS1_3repE0EEENS1_30default_config_static_selectorELNS0_4arch9wavefront6targetE0EEEvT1_,"axG",@progbits,_ZN7rocprim17ROCPRIM_400000_NS6detail17trampoline_kernelINS0_14default_configENS1_25partition_config_selectorILNS1_17partition_subalgoE8EtNS0_10empty_typeEbEEZZNS1_14partition_implILS5_8ELb0ES3_jPKtPS6_PKS6_NS0_5tupleIJPtS6_EEENSE_IJSB_SB_EEENS0_18inequality_wrapperIN6hipcub16HIPCUB_304000_NS8EqualityEEEPlJS6_EEE10hipError_tPvRmT3_T4_T5_T6_T7_T9_mT8_P12ihipStream_tbDpT10_ENKUlT_T0_E_clISt17integral_constantIbLb1EES17_EEDaS12_S13_EUlS12_E_NS1_11comp_targetILNS1_3genE9ELNS1_11target_archE1100ELNS1_3gpuE3ELNS1_3repE0EEENS1_30default_config_static_selectorELNS0_4arch9wavefront6targetE0EEEvT1_,comdat
.Lfunc_end769:
	.size	_ZN7rocprim17ROCPRIM_400000_NS6detail17trampoline_kernelINS0_14default_configENS1_25partition_config_selectorILNS1_17partition_subalgoE8EtNS0_10empty_typeEbEEZZNS1_14partition_implILS5_8ELb0ES3_jPKtPS6_PKS6_NS0_5tupleIJPtS6_EEENSE_IJSB_SB_EEENS0_18inequality_wrapperIN6hipcub16HIPCUB_304000_NS8EqualityEEEPlJS6_EEE10hipError_tPvRmT3_T4_T5_T6_T7_T9_mT8_P12ihipStream_tbDpT10_ENKUlT_T0_E_clISt17integral_constantIbLb1EES17_EEDaS12_S13_EUlS12_E_NS1_11comp_targetILNS1_3genE9ELNS1_11target_archE1100ELNS1_3gpuE3ELNS1_3repE0EEENS1_30default_config_static_selectorELNS0_4arch9wavefront6targetE0EEEvT1_, .Lfunc_end769-_ZN7rocprim17ROCPRIM_400000_NS6detail17trampoline_kernelINS0_14default_configENS1_25partition_config_selectorILNS1_17partition_subalgoE8EtNS0_10empty_typeEbEEZZNS1_14partition_implILS5_8ELb0ES3_jPKtPS6_PKS6_NS0_5tupleIJPtS6_EEENSE_IJSB_SB_EEENS0_18inequality_wrapperIN6hipcub16HIPCUB_304000_NS8EqualityEEEPlJS6_EEE10hipError_tPvRmT3_T4_T5_T6_T7_T9_mT8_P12ihipStream_tbDpT10_ENKUlT_T0_E_clISt17integral_constantIbLb1EES17_EEDaS12_S13_EUlS12_E_NS1_11comp_targetILNS1_3genE9ELNS1_11target_archE1100ELNS1_3gpuE3ELNS1_3repE0EEENS1_30default_config_static_selectorELNS0_4arch9wavefront6targetE0EEEvT1_
                                        ; -- End function
	.set _ZN7rocprim17ROCPRIM_400000_NS6detail17trampoline_kernelINS0_14default_configENS1_25partition_config_selectorILNS1_17partition_subalgoE8EtNS0_10empty_typeEbEEZZNS1_14partition_implILS5_8ELb0ES3_jPKtPS6_PKS6_NS0_5tupleIJPtS6_EEENSE_IJSB_SB_EEENS0_18inequality_wrapperIN6hipcub16HIPCUB_304000_NS8EqualityEEEPlJS6_EEE10hipError_tPvRmT3_T4_T5_T6_T7_T9_mT8_P12ihipStream_tbDpT10_ENKUlT_T0_E_clISt17integral_constantIbLb1EES17_EEDaS12_S13_EUlS12_E_NS1_11comp_targetILNS1_3genE9ELNS1_11target_archE1100ELNS1_3gpuE3ELNS1_3repE0EEENS1_30default_config_static_selectorELNS0_4arch9wavefront6targetE0EEEvT1_.num_vgpr, 0
	.set _ZN7rocprim17ROCPRIM_400000_NS6detail17trampoline_kernelINS0_14default_configENS1_25partition_config_selectorILNS1_17partition_subalgoE8EtNS0_10empty_typeEbEEZZNS1_14partition_implILS5_8ELb0ES3_jPKtPS6_PKS6_NS0_5tupleIJPtS6_EEENSE_IJSB_SB_EEENS0_18inequality_wrapperIN6hipcub16HIPCUB_304000_NS8EqualityEEEPlJS6_EEE10hipError_tPvRmT3_T4_T5_T6_T7_T9_mT8_P12ihipStream_tbDpT10_ENKUlT_T0_E_clISt17integral_constantIbLb1EES17_EEDaS12_S13_EUlS12_E_NS1_11comp_targetILNS1_3genE9ELNS1_11target_archE1100ELNS1_3gpuE3ELNS1_3repE0EEENS1_30default_config_static_selectorELNS0_4arch9wavefront6targetE0EEEvT1_.num_agpr, 0
	.set _ZN7rocprim17ROCPRIM_400000_NS6detail17trampoline_kernelINS0_14default_configENS1_25partition_config_selectorILNS1_17partition_subalgoE8EtNS0_10empty_typeEbEEZZNS1_14partition_implILS5_8ELb0ES3_jPKtPS6_PKS6_NS0_5tupleIJPtS6_EEENSE_IJSB_SB_EEENS0_18inequality_wrapperIN6hipcub16HIPCUB_304000_NS8EqualityEEEPlJS6_EEE10hipError_tPvRmT3_T4_T5_T6_T7_T9_mT8_P12ihipStream_tbDpT10_ENKUlT_T0_E_clISt17integral_constantIbLb1EES17_EEDaS12_S13_EUlS12_E_NS1_11comp_targetILNS1_3genE9ELNS1_11target_archE1100ELNS1_3gpuE3ELNS1_3repE0EEENS1_30default_config_static_selectorELNS0_4arch9wavefront6targetE0EEEvT1_.numbered_sgpr, 0
	.set _ZN7rocprim17ROCPRIM_400000_NS6detail17trampoline_kernelINS0_14default_configENS1_25partition_config_selectorILNS1_17partition_subalgoE8EtNS0_10empty_typeEbEEZZNS1_14partition_implILS5_8ELb0ES3_jPKtPS6_PKS6_NS0_5tupleIJPtS6_EEENSE_IJSB_SB_EEENS0_18inequality_wrapperIN6hipcub16HIPCUB_304000_NS8EqualityEEEPlJS6_EEE10hipError_tPvRmT3_T4_T5_T6_T7_T9_mT8_P12ihipStream_tbDpT10_ENKUlT_T0_E_clISt17integral_constantIbLb1EES17_EEDaS12_S13_EUlS12_E_NS1_11comp_targetILNS1_3genE9ELNS1_11target_archE1100ELNS1_3gpuE3ELNS1_3repE0EEENS1_30default_config_static_selectorELNS0_4arch9wavefront6targetE0EEEvT1_.num_named_barrier, 0
	.set _ZN7rocprim17ROCPRIM_400000_NS6detail17trampoline_kernelINS0_14default_configENS1_25partition_config_selectorILNS1_17partition_subalgoE8EtNS0_10empty_typeEbEEZZNS1_14partition_implILS5_8ELb0ES3_jPKtPS6_PKS6_NS0_5tupleIJPtS6_EEENSE_IJSB_SB_EEENS0_18inequality_wrapperIN6hipcub16HIPCUB_304000_NS8EqualityEEEPlJS6_EEE10hipError_tPvRmT3_T4_T5_T6_T7_T9_mT8_P12ihipStream_tbDpT10_ENKUlT_T0_E_clISt17integral_constantIbLb1EES17_EEDaS12_S13_EUlS12_E_NS1_11comp_targetILNS1_3genE9ELNS1_11target_archE1100ELNS1_3gpuE3ELNS1_3repE0EEENS1_30default_config_static_selectorELNS0_4arch9wavefront6targetE0EEEvT1_.private_seg_size, 0
	.set _ZN7rocprim17ROCPRIM_400000_NS6detail17trampoline_kernelINS0_14default_configENS1_25partition_config_selectorILNS1_17partition_subalgoE8EtNS0_10empty_typeEbEEZZNS1_14partition_implILS5_8ELb0ES3_jPKtPS6_PKS6_NS0_5tupleIJPtS6_EEENSE_IJSB_SB_EEENS0_18inequality_wrapperIN6hipcub16HIPCUB_304000_NS8EqualityEEEPlJS6_EEE10hipError_tPvRmT3_T4_T5_T6_T7_T9_mT8_P12ihipStream_tbDpT10_ENKUlT_T0_E_clISt17integral_constantIbLb1EES17_EEDaS12_S13_EUlS12_E_NS1_11comp_targetILNS1_3genE9ELNS1_11target_archE1100ELNS1_3gpuE3ELNS1_3repE0EEENS1_30default_config_static_selectorELNS0_4arch9wavefront6targetE0EEEvT1_.uses_vcc, 0
	.set _ZN7rocprim17ROCPRIM_400000_NS6detail17trampoline_kernelINS0_14default_configENS1_25partition_config_selectorILNS1_17partition_subalgoE8EtNS0_10empty_typeEbEEZZNS1_14partition_implILS5_8ELb0ES3_jPKtPS6_PKS6_NS0_5tupleIJPtS6_EEENSE_IJSB_SB_EEENS0_18inequality_wrapperIN6hipcub16HIPCUB_304000_NS8EqualityEEEPlJS6_EEE10hipError_tPvRmT3_T4_T5_T6_T7_T9_mT8_P12ihipStream_tbDpT10_ENKUlT_T0_E_clISt17integral_constantIbLb1EES17_EEDaS12_S13_EUlS12_E_NS1_11comp_targetILNS1_3genE9ELNS1_11target_archE1100ELNS1_3gpuE3ELNS1_3repE0EEENS1_30default_config_static_selectorELNS0_4arch9wavefront6targetE0EEEvT1_.uses_flat_scratch, 0
	.set _ZN7rocprim17ROCPRIM_400000_NS6detail17trampoline_kernelINS0_14default_configENS1_25partition_config_selectorILNS1_17partition_subalgoE8EtNS0_10empty_typeEbEEZZNS1_14partition_implILS5_8ELb0ES3_jPKtPS6_PKS6_NS0_5tupleIJPtS6_EEENSE_IJSB_SB_EEENS0_18inequality_wrapperIN6hipcub16HIPCUB_304000_NS8EqualityEEEPlJS6_EEE10hipError_tPvRmT3_T4_T5_T6_T7_T9_mT8_P12ihipStream_tbDpT10_ENKUlT_T0_E_clISt17integral_constantIbLb1EES17_EEDaS12_S13_EUlS12_E_NS1_11comp_targetILNS1_3genE9ELNS1_11target_archE1100ELNS1_3gpuE3ELNS1_3repE0EEENS1_30default_config_static_selectorELNS0_4arch9wavefront6targetE0EEEvT1_.has_dyn_sized_stack, 0
	.set _ZN7rocprim17ROCPRIM_400000_NS6detail17trampoline_kernelINS0_14default_configENS1_25partition_config_selectorILNS1_17partition_subalgoE8EtNS0_10empty_typeEbEEZZNS1_14partition_implILS5_8ELb0ES3_jPKtPS6_PKS6_NS0_5tupleIJPtS6_EEENSE_IJSB_SB_EEENS0_18inequality_wrapperIN6hipcub16HIPCUB_304000_NS8EqualityEEEPlJS6_EEE10hipError_tPvRmT3_T4_T5_T6_T7_T9_mT8_P12ihipStream_tbDpT10_ENKUlT_T0_E_clISt17integral_constantIbLb1EES17_EEDaS12_S13_EUlS12_E_NS1_11comp_targetILNS1_3genE9ELNS1_11target_archE1100ELNS1_3gpuE3ELNS1_3repE0EEENS1_30default_config_static_selectorELNS0_4arch9wavefront6targetE0EEEvT1_.has_recursion, 0
	.set _ZN7rocprim17ROCPRIM_400000_NS6detail17trampoline_kernelINS0_14default_configENS1_25partition_config_selectorILNS1_17partition_subalgoE8EtNS0_10empty_typeEbEEZZNS1_14partition_implILS5_8ELb0ES3_jPKtPS6_PKS6_NS0_5tupleIJPtS6_EEENSE_IJSB_SB_EEENS0_18inequality_wrapperIN6hipcub16HIPCUB_304000_NS8EqualityEEEPlJS6_EEE10hipError_tPvRmT3_T4_T5_T6_T7_T9_mT8_P12ihipStream_tbDpT10_ENKUlT_T0_E_clISt17integral_constantIbLb1EES17_EEDaS12_S13_EUlS12_E_NS1_11comp_targetILNS1_3genE9ELNS1_11target_archE1100ELNS1_3gpuE3ELNS1_3repE0EEENS1_30default_config_static_selectorELNS0_4arch9wavefront6targetE0EEEvT1_.has_indirect_call, 0
	.section	.AMDGPU.csdata,"",@progbits
; Kernel info:
; codeLenInByte = 0
; TotalNumSgprs: 0
; NumVgprs: 0
; ScratchSize: 0
; MemoryBound: 0
; FloatMode: 240
; IeeeMode: 1
; LDSByteSize: 0 bytes/workgroup (compile time only)
; SGPRBlocks: 0
; VGPRBlocks: 0
; NumSGPRsForWavesPerEU: 1
; NumVGPRsForWavesPerEU: 1
; NamedBarCnt: 0
; Occupancy: 16
; WaveLimiterHint : 0
; COMPUTE_PGM_RSRC2:SCRATCH_EN: 0
; COMPUTE_PGM_RSRC2:USER_SGPR: 2
; COMPUTE_PGM_RSRC2:TRAP_HANDLER: 0
; COMPUTE_PGM_RSRC2:TGID_X_EN: 1
; COMPUTE_PGM_RSRC2:TGID_Y_EN: 0
; COMPUTE_PGM_RSRC2:TGID_Z_EN: 0
; COMPUTE_PGM_RSRC2:TIDIG_COMP_CNT: 0
	.section	.text._ZN7rocprim17ROCPRIM_400000_NS6detail17trampoline_kernelINS0_14default_configENS1_25partition_config_selectorILNS1_17partition_subalgoE8EtNS0_10empty_typeEbEEZZNS1_14partition_implILS5_8ELb0ES3_jPKtPS6_PKS6_NS0_5tupleIJPtS6_EEENSE_IJSB_SB_EEENS0_18inequality_wrapperIN6hipcub16HIPCUB_304000_NS8EqualityEEEPlJS6_EEE10hipError_tPvRmT3_T4_T5_T6_T7_T9_mT8_P12ihipStream_tbDpT10_ENKUlT_T0_E_clISt17integral_constantIbLb1EES17_EEDaS12_S13_EUlS12_E_NS1_11comp_targetILNS1_3genE8ELNS1_11target_archE1030ELNS1_3gpuE2ELNS1_3repE0EEENS1_30default_config_static_selectorELNS0_4arch9wavefront6targetE0EEEvT1_,"axG",@progbits,_ZN7rocprim17ROCPRIM_400000_NS6detail17trampoline_kernelINS0_14default_configENS1_25partition_config_selectorILNS1_17partition_subalgoE8EtNS0_10empty_typeEbEEZZNS1_14partition_implILS5_8ELb0ES3_jPKtPS6_PKS6_NS0_5tupleIJPtS6_EEENSE_IJSB_SB_EEENS0_18inequality_wrapperIN6hipcub16HIPCUB_304000_NS8EqualityEEEPlJS6_EEE10hipError_tPvRmT3_T4_T5_T6_T7_T9_mT8_P12ihipStream_tbDpT10_ENKUlT_T0_E_clISt17integral_constantIbLb1EES17_EEDaS12_S13_EUlS12_E_NS1_11comp_targetILNS1_3genE8ELNS1_11target_archE1030ELNS1_3gpuE2ELNS1_3repE0EEENS1_30default_config_static_selectorELNS0_4arch9wavefront6targetE0EEEvT1_,comdat
	.protected	_ZN7rocprim17ROCPRIM_400000_NS6detail17trampoline_kernelINS0_14default_configENS1_25partition_config_selectorILNS1_17partition_subalgoE8EtNS0_10empty_typeEbEEZZNS1_14partition_implILS5_8ELb0ES3_jPKtPS6_PKS6_NS0_5tupleIJPtS6_EEENSE_IJSB_SB_EEENS0_18inequality_wrapperIN6hipcub16HIPCUB_304000_NS8EqualityEEEPlJS6_EEE10hipError_tPvRmT3_T4_T5_T6_T7_T9_mT8_P12ihipStream_tbDpT10_ENKUlT_T0_E_clISt17integral_constantIbLb1EES17_EEDaS12_S13_EUlS12_E_NS1_11comp_targetILNS1_3genE8ELNS1_11target_archE1030ELNS1_3gpuE2ELNS1_3repE0EEENS1_30default_config_static_selectorELNS0_4arch9wavefront6targetE0EEEvT1_ ; -- Begin function _ZN7rocprim17ROCPRIM_400000_NS6detail17trampoline_kernelINS0_14default_configENS1_25partition_config_selectorILNS1_17partition_subalgoE8EtNS0_10empty_typeEbEEZZNS1_14partition_implILS5_8ELb0ES3_jPKtPS6_PKS6_NS0_5tupleIJPtS6_EEENSE_IJSB_SB_EEENS0_18inequality_wrapperIN6hipcub16HIPCUB_304000_NS8EqualityEEEPlJS6_EEE10hipError_tPvRmT3_T4_T5_T6_T7_T9_mT8_P12ihipStream_tbDpT10_ENKUlT_T0_E_clISt17integral_constantIbLb1EES17_EEDaS12_S13_EUlS12_E_NS1_11comp_targetILNS1_3genE8ELNS1_11target_archE1030ELNS1_3gpuE2ELNS1_3repE0EEENS1_30default_config_static_selectorELNS0_4arch9wavefront6targetE0EEEvT1_
	.globl	_ZN7rocprim17ROCPRIM_400000_NS6detail17trampoline_kernelINS0_14default_configENS1_25partition_config_selectorILNS1_17partition_subalgoE8EtNS0_10empty_typeEbEEZZNS1_14partition_implILS5_8ELb0ES3_jPKtPS6_PKS6_NS0_5tupleIJPtS6_EEENSE_IJSB_SB_EEENS0_18inequality_wrapperIN6hipcub16HIPCUB_304000_NS8EqualityEEEPlJS6_EEE10hipError_tPvRmT3_T4_T5_T6_T7_T9_mT8_P12ihipStream_tbDpT10_ENKUlT_T0_E_clISt17integral_constantIbLb1EES17_EEDaS12_S13_EUlS12_E_NS1_11comp_targetILNS1_3genE8ELNS1_11target_archE1030ELNS1_3gpuE2ELNS1_3repE0EEENS1_30default_config_static_selectorELNS0_4arch9wavefront6targetE0EEEvT1_
	.p2align	8
	.type	_ZN7rocprim17ROCPRIM_400000_NS6detail17trampoline_kernelINS0_14default_configENS1_25partition_config_selectorILNS1_17partition_subalgoE8EtNS0_10empty_typeEbEEZZNS1_14partition_implILS5_8ELb0ES3_jPKtPS6_PKS6_NS0_5tupleIJPtS6_EEENSE_IJSB_SB_EEENS0_18inequality_wrapperIN6hipcub16HIPCUB_304000_NS8EqualityEEEPlJS6_EEE10hipError_tPvRmT3_T4_T5_T6_T7_T9_mT8_P12ihipStream_tbDpT10_ENKUlT_T0_E_clISt17integral_constantIbLb1EES17_EEDaS12_S13_EUlS12_E_NS1_11comp_targetILNS1_3genE8ELNS1_11target_archE1030ELNS1_3gpuE2ELNS1_3repE0EEENS1_30default_config_static_selectorELNS0_4arch9wavefront6targetE0EEEvT1_,@function
_ZN7rocprim17ROCPRIM_400000_NS6detail17trampoline_kernelINS0_14default_configENS1_25partition_config_selectorILNS1_17partition_subalgoE8EtNS0_10empty_typeEbEEZZNS1_14partition_implILS5_8ELb0ES3_jPKtPS6_PKS6_NS0_5tupleIJPtS6_EEENSE_IJSB_SB_EEENS0_18inequality_wrapperIN6hipcub16HIPCUB_304000_NS8EqualityEEEPlJS6_EEE10hipError_tPvRmT3_T4_T5_T6_T7_T9_mT8_P12ihipStream_tbDpT10_ENKUlT_T0_E_clISt17integral_constantIbLb1EES17_EEDaS12_S13_EUlS12_E_NS1_11comp_targetILNS1_3genE8ELNS1_11target_archE1030ELNS1_3gpuE2ELNS1_3repE0EEENS1_30default_config_static_selectorELNS0_4arch9wavefront6targetE0EEEvT1_: ; @_ZN7rocprim17ROCPRIM_400000_NS6detail17trampoline_kernelINS0_14default_configENS1_25partition_config_selectorILNS1_17partition_subalgoE8EtNS0_10empty_typeEbEEZZNS1_14partition_implILS5_8ELb0ES3_jPKtPS6_PKS6_NS0_5tupleIJPtS6_EEENSE_IJSB_SB_EEENS0_18inequality_wrapperIN6hipcub16HIPCUB_304000_NS8EqualityEEEPlJS6_EEE10hipError_tPvRmT3_T4_T5_T6_T7_T9_mT8_P12ihipStream_tbDpT10_ENKUlT_T0_E_clISt17integral_constantIbLb1EES17_EEDaS12_S13_EUlS12_E_NS1_11comp_targetILNS1_3genE8ELNS1_11target_archE1030ELNS1_3gpuE2ELNS1_3repE0EEENS1_30default_config_static_selectorELNS0_4arch9wavefront6targetE0EEEvT1_
; %bb.0:
	.section	.rodata,"a",@progbits
	.p2align	6, 0x0
	.amdhsa_kernel _ZN7rocprim17ROCPRIM_400000_NS6detail17trampoline_kernelINS0_14default_configENS1_25partition_config_selectorILNS1_17partition_subalgoE8EtNS0_10empty_typeEbEEZZNS1_14partition_implILS5_8ELb0ES3_jPKtPS6_PKS6_NS0_5tupleIJPtS6_EEENSE_IJSB_SB_EEENS0_18inequality_wrapperIN6hipcub16HIPCUB_304000_NS8EqualityEEEPlJS6_EEE10hipError_tPvRmT3_T4_T5_T6_T7_T9_mT8_P12ihipStream_tbDpT10_ENKUlT_T0_E_clISt17integral_constantIbLb1EES17_EEDaS12_S13_EUlS12_E_NS1_11comp_targetILNS1_3genE8ELNS1_11target_archE1030ELNS1_3gpuE2ELNS1_3repE0EEENS1_30default_config_static_selectorELNS0_4arch9wavefront6targetE0EEEvT1_
		.amdhsa_group_segment_fixed_size 0
		.amdhsa_private_segment_fixed_size 0
		.amdhsa_kernarg_size 128
		.amdhsa_user_sgpr_count 2
		.amdhsa_user_sgpr_dispatch_ptr 0
		.amdhsa_user_sgpr_queue_ptr 0
		.amdhsa_user_sgpr_kernarg_segment_ptr 1
		.amdhsa_user_sgpr_dispatch_id 0
		.amdhsa_user_sgpr_kernarg_preload_length 0
		.amdhsa_user_sgpr_kernarg_preload_offset 0
		.amdhsa_user_sgpr_private_segment_size 0
		.amdhsa_wavefront_size32 1
		.amdhsa_uses_dynamic_stack 0
		.amdhsa_enable_private_segment 0
		.amdhsa_system_sgpr_workgroup_id_x 1
		.amdhsa_system_sgpr_workgroup_id_y 0
		.amdhsa_system_sgpr_workgroup_id_z 0
		.amdhsa_system_sgpr_workgroup_info 0
		.amdhsa_system_vgpr_workitem_id 0
		.amdhsa_next_free_vgpr 1
		.amdhsa_next_free_sgpr 1
		.amdhsa_named_barrier_count 0
		.amdhsa_reserve_vcc 0
		.amdhsa_float_round_mode_32 0
		.amdhsa_float_round_mode_16_64 0
		.amdhsa_float_denorm_mode_32 3
		.amdhsa_float_denorm_mode_16_64 3
		.amdhsa_fp16_overflow 0
		.amdhsa_memory_ordered 1
		.amdhsa_forward_progress 1
		.amdhsa_inst_pref_size 0
		.amdhsa_round_robin_scheduling 0
		.amdhsa_exception_fp_ieee_invalid_op 0
		.amdhsa_exception_fp_denorm_src 0
		.amdhsa_exception_fp_ieee_div_zero 0
		.amdhsa_exception_fp_ieee_overflow 0
		.amdhsa_exception_fp_ieee_underflow 0
		.amdhsa_exception_fp_ieee_inexact 0
		.amdhsa_exception_int_div_zero 0
	.end_amdhsa_kernel
	.section	.text._ZN7rocprim17ROCPRIM_400000_NS6detail17trampoline_kernelINS0_14default_configENS1_25partition_config_selectorILNS1_17partition_subalgoE8EtNS0_10empty_typeEbEEZZNS1_14partition_implILS5_8ELb0ES3_jPKtPS6_PKS6_NS0_5tupleIJPtS6_EEENSE_IJSB_SB_EEENS0_18inequality_wrapperIN6hipcub16HIPCUB_304000_NS8EqualityEEEPlJS6_EEE10hipError_tPvRmT3_T4_T5_T6_T7_T9_mT8_P12ihipStream_tbDpT10_ENKUlT_T0_E_clISt17integral_constantIbLb1EES17_EEDaS12_S13_EUlS12_E_NS1_11comp_targetILNS1_3genE8ELNS1_11target_archE1030ELNS1_3gpuE2ELNS1_3repE0EEENS1_30default_config_static_selectorELNS0_4arch9wavefront6targetE0EEEvT1_,"axG",@progbits,_ZN7rocprim17ROCPRIM_400000_NS6detail17trampoline_kernelINS0_14default_configENS1_25partition_config_selectorILNS1_17partition_subalgoE8EtNS0_10empty_typeEbEEZZNS1_14partition_implILS5_8ELb0ES3_jPKtPS6_PKS6_NS0_5tupleIJPtS6_EEENSE_IJSB_SB_EEENS0_18inequality_wrapperIN6hipcub16HIPCUB_304000_NS8EqualityEEEPlJS6_EEE10hipError_tPvRmT3_T4_T5_T6_T7_T9_mT8_P12ihipStream_tbDpT10_ENKUlT_T0_E_clISt17integral_constantIbLb1EES17_EEDaS12_S13_EUlS12_E_NS1_11comp_targetILNS1_3genE8ELNS1_11target_archE1030ELNS1_3gpuE2ELNS1_3repE0EEENS1_30default_config_static_selectorELNS0_4arch9wavefront6targetE0EEEvT1_,comdat
.Lfunc_end770:
	.size	_ZN7rocprim17ROCPRIM_400000_NS6detail17trampoline_kernelINS0_14default_configENS1_25partition_config_selectorILNS1_17partition_subalgoE8EtNS0_10empty_typeEbEEZZNS1_14partition_implILS5_8ELb0ES3_jPKtPS6_PKS6_NS0_5tupleIJPtS6_EEENSE_IJSB_SB_EEENS0_18inequality_wrapperIN6hipcub16HIPCUB_304000_NS8EqualityEEEPlJS6_EEE10hipError_tPvRmT3_T4_T5_T6_T7_T9_mT8_P12ihipStream_tbDpT10_ENKUlT_T0_E_clISt17integral_constantIbLb1EES17_EEDaS12_S13_EUlS12_E_NS1_11comp_targetILNS1_3genE8ELNS1_11target_archE1030ELNS1_3gpuE2ELNS1_3repE0EEENS1_30default_config_static_selectorELNS0_4arch9wavefront6targetE0EEEvT1_, .Lfunc_end770-_ZN7rocprim17ROCPRIM_400000_NS6detail17trampoline_kernelINS0_14default_configENS1_25partition_config_selectorILNS1_17partition_subalgoE8EtNS0_10empty_typeEbEEZZNS1_14partition_implILS5_8ELb0ES3_jPKtPS6_PKS6_NS0_5tupleIJPtS6_EEENSE_IJSB_SB_EEENS0_18inequality_wrapperIN6hipcub16HIPCUB_304000_NS8EqualityEEEPlJS6_EEE10hipError_tPvRmT3_T4_T5_T6_T7_T9_mT8_P12ihipStream_tbDpT10_ENKUlT_T0_E_clISt17integral_constantIbLb1EES17_EEDaS12_S13_EUlS12_E_NS1_11comp_targetILNS1_3genE8ELNS1_11target_archE1030ELNS1_3gpuE2ELNS1_3repE0EEENS1_30default_config_static_selectorELNS0_4arch9wavefront6targetE0EEEvT1_
                                        ; -- End function
	.set _ZN7rocprim17ROCPRIM_400000_NS6detail17trampoline_kernelINS0_14default_configENS1_25partition_config_selectorILNS1_17partition_subalgoE8EtNS0_10empty_typeEbEEZZNS1_14partition_implILS5_8ELb0ES3_jPKtPS6_PKS6_NS0_5tupleIJPtS6_EEENSE_IJSB_SB_EEENS0_18inequality_wrapperIN6hipcub16HIPCUB_304000_NS8EqualityEEEPlJS6_EEE10hipError_tPvRmT3_T4_T5_T6_T7_T9_mT8_P12ihipStream_tbDpT10_ENKUlT_T0_E_clISt17integral_constantIbLb1EES17_EEDaS12_S13_EUlS12_E_NS1_11comp_targetILNS1_3genE8ELNS1_11target_archE1030ELNS1_3gpuE2ELNS1_3repE0EEENS1_30default_config_static_selectorELNS0_4arch9wavefront6targetE0EEEvT1_.num_vgpr, 0
	.set _ZN7rocprim17ROCPRIM_400000_NS6detail17trampoline_kernelINS0_14default_configENS1_25partition_config_selectorILNS1_17partition_subalgoE8EtNS0_10empty_typeEbEEZZNS1_14partition_implILS5_8ELb0ES3_jPKtPS6_PKS6_NS0_5tupleIJPtS6_EEENSE_IJSB_SB_EEENS0_18inequality_wrapperIN6hipcub16HIPCUB_304000_NS8EqualityEEEPlJS6_EEE10hipError_tPvRmT3_T4_T5_T6_T7_T9_mT8_P12ihipStream_tbDpT10_ENKUlT_T0_E_clISt17integral_constantIbLb1EES17_EEDaS12_S13_EUlS12_E_NS1_11comp_targetILNS1_3genE8ELNS1_11target_archE1030ELNS1_3gpuE2ELNS1_3repE0EEENS1_30default_config_static_selectorELNS0_4arch9wavefront6targetE0EEEvT1_.num_agpr, 0
	.set _ZN7rocprim17ROCPRIM_400000_NS6detail17trampoline_kernelINS0_14default_configENS1_25partition_config_selectorILNS1_17partition_subalgoE8EtNS0_10empty_typeEbEEZZNS1_14partition_implILS5_8ELb0ES3_jPKtPS6_PKS6_NS0_5tupleIJPtS6_EEENSE_IJSB_SB_EEENS0_18inequality_wrapperIN6hipcub16HIPCUB_304000_NS8EqualityEEEPlJS6_EEE10hipError_tPvRmT3_T4_T5_T6_T7_T9_mT8_P12ihipStream_tbDpT10_ENKUlT_T0_E_clISt17integral_constantIbLb1EES17_EEDaS12_S13_EUlS12_E_NS1_11comp_targetILNS1_3genE8ELNS1_11target_archE1030ELNS1_3gpuE2ELNS1_3repE0EEENS1_30default_config_static_selectorELNS0_4arch9wavefront6targetE0EEEvT1_.numbered_sgpr, 0
	.set _ZN7rocprim17ROCPRIM_400000_NS6detail17trampoline_kernelINS0_14default_configENS1_25partition_config_selectorILNS1_17partition_subalgoE8EtNS0_10empty_typeEbEEZZNS1_14partition_implILS5_8ELb0ES3_jPKtPS6_PKS6_NS0_5tupleIJPtS6_EEENSE_IJSB_SB_EEENS0_18inequality_wrapperIN6hipcub16HIPCUB_304000_NS8EqualityEEEPlJS6_EEE10hipError_tPvRmT3_T4_T5_T6_T7_T9_mT8_P12ihipStream_tbDpT10_ENKUlT_T0_E_clISt17integral_constantIbLb1EES17_EEDaS12_S13_EUlS12_E_NS1_11comp_targetILNS1_3genE8ELNS1_11target_archE1030ELNS1_3gpuE2ELNS1_3repE0EEENS1_30default_config_static_selectorELNS0_4arch9wavefront6targetE0EEEvT1_.num_named_barrier, 0
	.set _ZN7rocprim17ROCPRIM_400000_NS6detail17trampoline_kernelINS0_14default_configENS1_25partition_config_selectorILNS1_17partition_subalgoE8EtNS0_10empty_typeEbEEZZNS1_14partition_implILS5_8ELb0ES3_jPKtPS6_PKS6_NS0_5tupleIJPtS6_EEENSE_IJSB_SB_EEENS0_18inequality_wrapperIN6hipcub16HIPCUB_304000_NS8EqualityEEEPlJS6_EEE10hipError_tPvRmT3_T4_T5_T6_T7_T9_mT8_P12ihipStream_tbDpT10_ENKUlT_T0_E_clISt17integral_constantIbLb1EES17_EEDaS12_S13_EUlS12_E_NS1_11comp_targetILNS1_3genE8ELNS1_11target_archE1030ELNS1_3gpuE2ELNS1_3repE0EEENS1_30default_config_static_selectorELNS0_4arch9wavefront6targetE0EEEvT1_.private_seg_size, 0
	.set _ZN7rocprim17ROCPRIM_400000_NS6detail17trampoline_kernelINS0_14default_configENS1_25partition_config_selectorILNS1_17partition_subalgoE8EtNS0_10empty_typeEbEEZZNS1_14partition_implILS5_8ELb0ES3_jPKtPS6_PKS6_NS0_5tupleIJPtS6_EEENSE_IJSB_SB_EEENS0_18inequality_wrapperIN6hipcub16HIPCUB_304000_NS8EqualityEEEPlJS6_EEE10hipError_tPvRmT3_T4_T5_T6_T7_T9_mT8_P12ihipStream_tbDpT10_ENKUlT_T0_E_clISt17integral_constantIbLb1EES17_EEDaS12_S13_EUlS12_E_NS1_11comp_targetILNS1_3genE8ELNS1_11target_archE1030ELNS1_3gpuE2ELNS1_3repE0EEENS1_30default_config_static_selectorELNS0_4arch9wavefront6targetE0EEEvT1_.uses_vcc, 0
	.set _ZN7rocprim17ROCPRIM_400000_NS6detail17trampoline_kernelINS0_14default_configENS1_25partition_config_selectorILNS1_17partition_subalgoE8EtNS0_10empty_typeEbEEZZNS1_14partition_implILS5_8ELb0ES3_jPKtPS6_PKS6_NS0_5tupleIJPtS6_EEENSE_IJSB_SB_EEENS0_18inequality_wrapperIN6hipcub16HIPCUB_304000_NS8EqualityEEEPlJS6_EEE10hipError_tPvRmT3_T4_T5_T6_T7_T9_mT8_P12ihipStream_tbDpT10_ENKUlT_T0_E_clISt17integral_constantIbLb1EES17_EEDaS12_S13_EUlS12_E_NS1_11comp_targetILNS1_3genE8ELNS1_11target_archE1030ELNS1_3gpuE2ELNS1_3repE0EEENS1_30default_config_static_selectorELNS0_4arch9wavefront6targetE0EEEvT1_.uses_flat_scratch, 0
	.set _ZN7rocprim17ROCPRIM_400000_NS6detail17trampoline_kernelINS0_14default_configENS1_25partition_config_selectorILNS1_17partition_subalgoE8EtNS0_10empty_typeEbEEZZNS1_14partition_implILS5_8ELb0ES3_jPKtPS6_PKS6_NS0_5tupleIJPtS6_EEENSE_IJSB_SB_EEENS0_18inequality_wrapperIN6hipcub16HIPCUB_304000_NS8EqualityEEEPlJS6_EEE10hipError_tPvRmT3_T4_T5_T6_T7_T9_mT8_P12ihipStream_tbDpT10_ENKUlT_T0_E_clISt17integral_constantIbLb1EES17_EEDaS12_S13_EUlS12_E_NS1_11comp_targetILNS1_3genE8ELNS1_11target_archE1030ELNS1_3gpuE2ELNS1_3repE0EEENS1_30default_config_static_selectorELNS0_4arch9wavefront6targetE0EEEvT1_.has_dyn_sized_stack, 0
	.set _ZN7rocprim17ROCPRIM_400000_NS6detail17trampoline_kernelINS0_14default_configENS1_25partition_config_selectorILNS1_17partition_subalgoE8EtNS0_10empty_typeEbEEZZNS1_14partition_implILS5_8ELb0ES3_jPKtPS6_PKS6_NS0_5tupleIJPtS6_EEENSE_IJSB_SB_EEENS0_18inequality_wrapperIN6hipcub16HIPCUB_304000_NS8EqualityEEEPlJS6_EEE10hipError_tPvRmT3_T4_T5_T6_T7_T9_mT8_P12ihipStream_tbDpT10_ENKUlT_T0_E_clISt17integral_constantIbLb1EES17_EEDaS12_S13_EUlS12_E_NS1_11comp_targetILNS1_3genE8ELNS1_11target_archE1030ELNS1_3gpuE2ELNS1_3repE0EEENS1_30default_config_static_selectorELNS0_4arch9wavefront6targetE0EEEvT1_.has_recursion, 0
	.set _ZN7rocprim17ROCPRIM_400000_NS6detail17trampoline_kernelINS0_14default_configENS1_25partition_config_selectorILNS1_17partition_subalgoE8EtNS0_10empty_typeEbEEZZNS1_14partition_implILS5_8ELb0ES3_jPKtPS6_PKS6_NS0_5tupleIJPtS6_EEENSE_IJSB_SB_EEENS0_18inequality_wrapperIN6hipcub16HIPCUB_304000_NS8EqualityEEEPlJS6_EEE10hipError_tPvRmT3_T4_T5_T6_T7_T9_mT8_P12ihipStream_tbDpT10_ENKUlT_T0_E_clISt17integral_constantIbLb1EES17_EEDaS12_S13_EUlS12_E_NS1_11comp_targetILNS1_3genE8ELNS1_11target_archE1030ELNS1_3gpuE2ELNS1_3repE0EEENS1_30default_config_static_selectorELNS0_4arch9wavefront6targetE0EEEvT1_.has_indirect_call, 0
	.section	.AMDGPU.csdata,"",@progbits
; Kernel info:
; codeLenInByte = 0
; TotalNumSgprs: 0
; NumVgprs: 0
; ScratchSize: 0
; MemoryBound: 0
; FloatMode: 240
; IeeeMode: 1
; LDSByteSize: 0 bytes/workgroup (compile time only)
; SGPRBlocks: 0
; VGPRBlocks: 0
; NumSGPRsForWavesPerEU: 1
; NumVGPRsForWavesPerEU: 1
; NamedBarCnt: 0
; Occupancy: 16
; WaveLimiterHint : 0
; COMPUTE_PGM_RSRC2:SCRATCH_EN: 0
; COMPUTE_PGM_RSRC2:USER_SGPR: 2
; COMPUTE_PGM_RSRC2:TRAP_HANDLER: 0
; COMPUTE_PGM_RSRC2:TGID_X_EN: 1
; COMPUTE_PGM_RSRC2:TGID_Y_EN: 0
; COMPUTE_PGM_RSRC2:TGID_Z_EN: 0
; COMPUTE_PGM_RSRC2:TIDIG_COMP_CNT: 0
	.section	.text._ZN7rocprim17ROCPRIM_400000_NS6detail17trampoline_kernelINS0_14default_configENS1_25partition_config_selectorILNS1_17partition_subalgoE8EtNS0_10empty_typeEbEEZZNS1_14partition_implILS5_8ELb0ES3_jPKtPS6_PKS6_NS0_5tupleIJPtS6_EEENSE_IJSB_SB_EEENS0_18inequality_wrapperIN6hipcub16HIPCUB_304000_NS8EqualityEEEPlJS6_EEE10hipError_tPvRmT3_T4_T5_T6_T7_T9_mT8_P12ihipStream_tbDpT10_ENKUlT_T0_E_clISt17integral_constantIbLb1EES16_IbLb0EEEEDaS12_S13_EUlS12_E_NS1_11comp_targetILNS1_3genE0ELNS1_11target_archE4294967295ELNS1_3gpuE0ELNS1_3repE0EEENS1_30default_config_static_selectorELNS0_4arch9wavefront6targetE0EEEvT1_,"axG",@progbits,_ZN7rocprim17ROCPRIM_400000_NS6detail17trampoline_kernelINS0_14default_configENS1_25partition_config_selectorILNS1_17partition_subalgoE8EtNS0_10empty_typeEbEEZZNS1_14partition_implILS5_8ELb0ES3_jPKtPS6_PKS6_NS0_5tupleIJPtS6_EEENSE_IJSB_SB_EEENS0_18inequality_wrapperIN6hipcub16HIPCUB_304000_NS8EqualityEEEPlJS6_EEE10hipError_tPvRmT3_T4_T5_T6_T7_T9_mT8_P12ihipStream_tbDpT10_ENKUlT_T0_E_clISt17integral_constantIbLb1EES16_IbLb0EEEEDaS12_S13_EUlS12_E_NS1_11comp_targetILNS1_3genE0ELNS1_11target_archE4294967295ELNS1_3gpuE0ELNS1_3repE0EEENS1_30default_config_static_selectorELNS0_4arch9wavefront6targetE0EEEvT1_,comdat
	.protected	_ZN7rocprim17ROCPRIM_400000_NS6detail17trampoline_kernelINS0_14default_configENS1_25partition_config_selectorILNS1_17partition_subalgoE8EtNS0_10empty_typeEbEEZZNS1_14partition_implILS5_8ELb0ES3_jPKtPS6_PKS6_NS0_5tupleIJPtS6_EEENSE_IJSB_SB_EEENS0_18inequality_wrapperIN6hipcub16HIPCUB_304000_NS8EqualityEEEPlJS6_EEE10hipError_tPvRmT3_T4_T5_T6_T7_T9_mT8_P12ihipStream_tbDpT10_ENKUlT_T0_E_clISt17integral_constantIbLb1EES16_IbLb0EEEEDaS12_S13_EUlS12_E_NS1_11comp_targetILNS1_3genE0ELNS1_11target_archE4294967295ELNS1_3gpuE0ELNS1_3repE0EEENS1_30default_config_static_selectorELNS0_4arch9wavefront6targetE0EEEvT1_ ; -- Begin function _ZN7rocprim17ROCPRIM_400000_NS6detail17trampoline_kernelINS0_14default_configENS1_25partition_config_selectorILNS1_17partition_subalgoE8EtNS0_10empty_typeEbEEZZNS1_14partition_implILS5_8ELb0ES3_jPKtPS6_PKS6_NS0_5tupleIJPtS6_EEENSE_IJSB_SB_EEENS0_18inequality_wrapperIN6hipcub16HIPCUB_304000_NS8EqualityEEEPlJS6_EEE10hipError_tPvRmT3_T4_T5_T6_T7_T9_mT8_P12ihipStream_tbDpT10_ENKUlT_T0_E_clISt17integral_constantIbLb1EES16_IbLb0EEEEDaS12_S13_EUlS12_E_NS1_11comp_targetILNS1_3genE0ELNS1_11target_archE4294967295ELNS1_3gpuE0ELNS1_3repE0EEENS1_30default_config_static_selectorELNS0_4arch9wavefront6targetE0EEEvT1_
	.globl	_ZN7rocprim17ROCPRIM_400000_NS6detail17trampoline_kernelINS0_14default_configENS1_25partition_config_selectorILNS1_17partition_subalgoE8EtNS0_10empty_typeEbEEZZNS1_14partition_implILS5_8ELb0ES3_jPKtPS6_PKS6_NS0_5tupleIJPtS6_EEENSE_IJSB_SB_EEENS0_18inequality_wrapperIN6hipcub16HIPCUB_304000_NS8EqualityEEEPlJS6_EEE10hipError_tPvRmT3_T4_T5_T6_T7_T9_mT8_P12ihipStream_tbDpT10_ENKUlT_T0_E_clISt17integral_constantIbLb1EES16_IbLb0EEEEDaS12_S13_EUlS12_E_NS1_11comp_targetILNS1_3genE0ELNS1_11target_archE4294967295ELNS1_3gpuE0ELNS1_3repE0EEENS1_30default_config_static_selectorELNS0_4arch9wavefront6targetE0EEEvT1_
	.p2align	8
	.type	_ZN7rocprim17ROCPRIM_400000_NS6detail17trampoline_kernelINS0_14default_configENS1_25partition_config_selectorILNS1_17partition_subalgoE8EtNS0_10empty_typeEbEEZZNS1_14partition_implILS5_8ELb0ES3_jPKtPS6_PKS6_NS0_5tupleIJPtS6_EEENSE_IJSB_SB_EEENS0_18inequality_wrapperIN6hipcub16HIPCUB_304000_NS8EqualityEEEPlJS6_EEE10hipError_tPvRmT3_T4_T5_T6_T7_T9_mT8_P12ihipStream_tbDpT10_ENKUlT_T0_E_clISt17integral_constantIbLb1EES16_IbLb0EEEEDaS12_S13_EUlS12_E_NS1_11comp_targetILNS1_3genE0ELNS1_11target_archE4294967295ELNS1_3gpuE0ELNS1_3repE0EEENS1_30default_config_static_selectorELNS0_4arch9wavefront6targetE0EEEvT1_,@function
_ZN7rocprim17ROCPRIM_400000_NS6detail17trampoline_kernelINS0_14default_configENS1_25partition_config_selectorILNS1_17partition_subalgoE8EtNS0_10empty_typeEbEEZZNS1_14partition_implILS5_8ELb0ES3_jPKtPS6_PKS6_NS0_5tupleIJPtS6_EEENSE_IJSB_SB_EEENS0_18inequality_wrapperIN6hipcub16HIPCUB_304000_NS8EqualityEEEPlJS6_EEE10hipError_tPvRmT3_T4_T5_T6_T7_T9_mT8_P12ihipStream_tbDpT10_ENKUlT_T0_E_clISt17integral_constantIbLb1EES16_IbLb0EEEEDaS12_S13_EUlS12_E_NS1_11comp_targetILNS1_3genE0ELNS1_11target_archE4294967295ELNS1_3gpuE0ELNS1_3repE0EEENS1_30default_config_static_selectorELNS0_4arch9wavefront6targetE0EEEvT1_: ; @_ZN7rocprim17ROCPRIM_400000_NS6detail17trampoline_kernelINS0_14default_configENS1_25partition_config_selectorILNS1_17partition_subalgoE8EtNS0_10empty_typeEbEEZZNS1_14partition_implILS5_8ELb0ES3_jPKtPS6_PKS6_NS0_5tupleIJPtS6_EEENSE_IJSB_SB_EEENS0_18inequality_wrapperIN6hipcub16HIPCUB_304000_NS8EqualityEEEPlJS6_EEE10hipError_tPvRmT3_T4_T5_T6_T7_T9_mT8_P12ihipStream_tbDpT10_ENKUlT_T0_E_clISt17integral_constantIbLb1EES16_IbLb0EEEEDaS12_S13_EUlS12_E_NS1_11comp_targetILNS1_3genE0ELNS1_11target_archE4294967295ELNS1_3gpuE0ELNS1_3repE0EEENS1_30default_config_static_selectorELNS0_4arch9wavefront6targetE0EEEvT1_
; %bb.0:
	s_endpgm
	.section	.rodata,"a",@progbits
	.p2align	6, 0x0
	.amdhsa_kernel _ZN7rocprim17ROCPRIM_400000_NS6detail17trampoline_kernelINS0_14default_configENS1_25partition_config_selectorILNS1_17partition_subalgoE8EtNS0_10empty_typeEbEEZZNS1_14partition_implILS5_8ELb0ES3_jPKtPS6_PKS6_NS0_5tupleIJPtS6_EEENSE_IJSB_SB_EEENS0_18inequality_wrapperIN6hipcub16HIPCUB_304000_NS8EqualityEEEPlJS6_EEE10hipError_tPvRmT3_T4_T5_T6_T7_T9_mT8_P12ihipStream_tbDpT10_ENKUlT_T0_E_clISt17integral_constantIbLb1EES16_IbLb0EEEEDaS12_S13_EUlS12_E_NS1_11comp_targetILNS1_3genE0ELNS1_11target_archE4294967295ELNS1_3gpuE0ELNS1_3repE0EEENS1_30default_config_static_selectorELNS0_4arch9wavefront6targetE0EEEvT1_
		.amdhsa_group_segment_fixed_size 0
		.amdhsa_private_segment_fixed_size 0
		.amdhsa_kernarg_size 112
		.amdhsa_user_sgpr_count 2
		.amdhsa_user_sgpr_dispatch_ptr 0
		.amdhsa_user_sgpr_queue_ptr 0
		.amdhsa_user_sgpr_kernarg_segment_ptr 1
		.amdhsa_user_sgpr_dispatch_id 0
		.amdhsa_user_sgpr_kernarg_preload_length 0
		.amdhsa_user_sgpr_kernarg_preload_offset 0
		.amdhsa_user_sgpr_private_segment_size 0
		.amdhsa_wavefront_size32 1
		.amdhsa_uses_dynamic_stack 0
		.amdhsa_enable_private_segment 0
		.amdhsa_system_sgpr_workgroup_id_x 1
		.amdhsa_system_sgpr_workgroup_id_y 0
		.amdhsa_system_sgpr_workgroup_id_z 0
		.amdhsa_system_sgpr_workgroup_info 0
		.amdhsa_system_vgpr_workitem_id 0
		.amdhsa_next_free_vgpr 1
		.amdhsa_next_free_sgpr 1
		.amdhsa_named_barrier_count 0
		.amdhsa_reserve_vcc 0
		.amdhsa_float_round_mode_32 0
		.amdhsa_float_round_mode_16_64 0
		.amdhsa_float_denorm_mode_32 3
		.amdhsa_float_denorm_mode_16_64 3
		.amdhsa_fp16_overflow 0
		.amdhsa_memory_ordered 1
		.amdhsa_forward_progress 1
		.amdhsa_inst_pref_size 1
		.amdhsa_round_robin_scheduling 0
		.amdhsa_exception_fp_ieee_invalid_op 0
		.amdhsa_exception_fp_denorm_src 0
		.amdhsa_exception_fp_ieee_div_zero 0
		.amdhsa_exception_fp_ieee_overflow 0
		.amdhsa_exception_fp_ieee_underflow 0
		.amdhsa_exception_fp_ieee_inexact 0
		.amdhsa_exception_int_div_zero 0
	.end_amdhsa_kernel
	.section	.text._ZN7rocprim17ROCPRIM_400000_NS6detail17trampoline_kernelINS0_14default_configENS1_25partition_config_selectorILNS1_17partition_subalgoE8EtNS0_10empty_typeEbEEZZNS1_14partition_implILS5_8ELb0ES3_jPKtPS6_PKS6_NS0_5tupleIJPtS6_EEENSE_IJSB_SB_EEENS0_18inequality_wrapperIN6hipcub16HIPCUB_304000_NS8EqualityEEEPlJS6_EEE10hipError_tPvRmT3_T4_T5_T6_T7_T9_mT8_P12ihipStream_tbDpT10_ENKUlT_T0_E_clISt17integral_constantIbLb1EES16_IbLb0EEEEDaS12_S13_EUlS12_E_NS1_11comp_targetILNS1_3genE0ELNS1_11target_archE4294967295ELNS1_3gpuE0ELNS1_3repE0EEENS1_30default_config_static_selectorELNS0_4arch9wavefront6targetE0EEEvT1_,"axG",@progbits,_ZN7rocprim17ROCPRIM_400000_NS6detail17trampoline_kernelINS0_14default_configENS1_25partition_config_selectorILNS1_17partition_subalgoE8EtNS0_10empty_typeEbEEZZNS1_14partition_implILS5_8ELb0ES3_jPKtPS6_PKS6_NS0_5tupleIJPtS6_EEENSE_IJSB_SB_EEENS0_18inequality_wrapperIN6hipcub16HIPCUB_304000_NS8EqualityEEEPlJS6_EEE10hipError_tPvRmT3_T4_T5_T6_T7_T9_mT8_P12ihipStream_tbDpT10_ENKUlT_T0_E_clISt17integral_constantIbLb1EES16_IbLb0EEEEDaS12_S13_EUlS12_E_NS1_11comp_targetILNS1_3genE0ELNS1_11target_archE4294967295ELNS1_3gpuE0ELNS1_3repE0EEENS1_30default_config_static_selectorELNS0_4arch9wavefront6targetE0EEEvT1_,comdat
.Lfunc_end771:
	.size	_ZN7rocprim17ROCPRIM_400000_NS6detail17trampoline_kernelINS0_14default_configENS1_25partition_config_selectorILNS1_17partition_subalgoE8EtNS0_10empty_typeEbEEZZNS1_14partition_implILS5_8ELb0ES3_jPKtPS6_PKS6_NS0_5tupleIJPtS6_EEENSE_IJSB_SB_EEENS0_18inequality_wrapperIN6hipcub16HIPCUB_304000_NS8EqualityEEEPlJS6_EEE10hipError_tPvRmT3_T4_T5_T6_T7_T9_mT8_P12ihipStream_tbDpT10_ENKUlT_T0_E_clISt17integral_constantIbLb1EES16_IbLb0EEEEDaS12_S13_EUlS12_E_NS1_11comp_targetILNS1_3genE0ELNS1_11target_archE4294967295ELNS1_3gpuE0ELNS1_3repE0EEENS1_30default_config_static_selectorELNS0_4arch9wavefront6targetE0EEEvT1_, .Lfunc_end771-_ZN7rocprim17ROCPRIM_400000_NS6detail17trampoline_kernelINS0_14default_configENS1_25partition_config_selectorILNS1_17partition_subalgoE8EtNS0_10empty_typeEbEEZZNS1_14partition_implILS5_8ELb0ES3_jPKtPS6_PKS6_NS0_5tupleIJPtS6_EEENSE_IJSB_SB_EEENS0_18inequality_wrapperIN6hipcub16HIPCUB_304000_NS8EqualityEEEPlJS6_EEE10hipError_tPvRmT3_T4_T5_T6_T7_T9_mT8_P12ihipStream_tbDpT10_ENKUlT_T0_E_clISt17integral_constantIbLb1EES16_IbLb0EEEEDaS12_S13_EUlS12_E_NS1_11comp_targetILNS1_3genE0ELNS1_11target_archE4294967295ELNS1_3gpuE0ELNS1_3repE0EEENS1_30default_config_static_selectorELNS0_4arch9wavefront6targetE0EEEvT1_
                                        ; -- End function
	.set _ZN7rocprim17ROCPRIM_400000_NS6detail17trampoline_kernelINS0_14default_configENS1_25partition_config_selectorILNS1_17partition_subalgoE8EtNS0_10empty_typeEbEEZZNS1_14partition_implILS5_8ELb0ES3_jPKtPS6_PKS6_NS0_5tupleIJPtS6_EEENSE_IJSB_SB_EEENS0_18inequality_wrapperIN6hipcub16HIPCUB_304000_NS8EqualityEEEPlJS6_EEE10hipError_tPvRmT3_T4_T5_T6_T7_T9_mT8_P12ihipStream_tbDpT10_ENKUlT_T0_E_clISt17integral_constantIbLb1EES16_IbLb0EEEEDaS12_S13_EUlS12_E_NS1_11comp_targetILNS1_3genE0ELNS1_11target_archE4294967295ELNS1_3gpuE0ELNS1_3repE0EEENS1_30default_config_static_selectorELNS0_4arch9wavefront6targetE0EEEvT1_.num_vgpr, 0
	.set _ZN7rocprim17ROCPRIM_400000_NS6detail17trampoline_kernelINS0_14default_configENS1_25partition_config_selectorILNS1_17partition_subalgoE8EtNS0_10empty_typeEbEEZZNS1_14partition_implILS5_8ELb0ES3_jPKtPS6_PKS6_NS0_5tupleIJPtS6_EEENSE_IJSB_SB_EEENS0_18inequality_wrapperIN6hipcub16HIPCUB_304000_NS8EqualityEEEPlJS6_EEE10hipError_tPvRmT3_T4_T5_T6_T7_T9_mT8_P12ihipStream_tbDpT10_ENKUlT_T0_E_clISt17integral_constantIbLb1EES16_IbLb0EEEEDaS12_S13_EUlS12_E_NS1_11comp_targetILNS1_3genE0ELNS1_11target_archE4294967295ELNS1_3gpuE0ELNS1_3repE0EEENS1_30default_config_static_selectorELNS0_4arch9wavefront6targetE0EEEvT1_.num_agpr, 0
	.set _ZN7rocprim17ROCPRIM_400000_NS6detail17trampoline_kernelINS0_14default_configENS1_25partition_config_selectorILNS1_17partition_subalgoE8EtNS0_10empty_typeEbEEZZNS1_14partition_implILS5_8ELb0ES3_jPKtPS6_PKS6_NS0_5tupleIJPtS6_EEENSE_IJSB_SB_EEENS0_18inequality_wrapperIN6hipcub16HIPCUB_304000_NS8EqualityEEEPlJS6_EEE10hipError_tPvRmT3_T4_T5_T6_T7_T9_mT8_P12ihipStream_tbDpT10_ENKUlT_T0_E_clISt17integral_constantIbLb1EES16_IbLb0EEEEDaS12_S13_EUlS12_E_NS1_11comp_targetILNS1_3genE0ELNS1_11target_archE4294967295ELNS1_3gpuE0ELNS1_3repE0EEENS1_30default_config_static_selectorELNS0_4arch9wavefront6targetE0EEEvT1_.numbered_sgpr, 0
	.set _ZN7rocprim17ROCPRIM_400000_NS6detail17trampoline_kernelINS0_14default_configENS1_25partition_config_selectorILNS1_17partition_subalgoE8EtNS0_10empty_typeEbEEZZNS1_14partition_implILS5_8ELb0ES3_jPKtPS6_PKS6_NS0_5tupleIJPtS6_EEENSE_IJSB_SB_EEENS0_18inequality_wrapperIN6hipcub16HIPCUB_304000_NS8EqualityEEEPlJS6_EEE10hipError_tPvRmT3_T4_T5_T6_T7_T9_mT8_P12ihipStream_tbDpT10_ENKUlT_T0_E_clISt17integral_constantIbLb1EES16_IbLb0EEEEDaS12_S13_EUlS12_E_NS1_11comp_targetILNS1_3genE0ELNS1_11target_archE4294967295ELNS1_3gpuE0ELNS1_3repE0EEENS1_30default_config_static_selectorELNS0_4arch9wavefront6targetE0EEEvT1_.num_named_barrier, 0
	.set _ZN7rocprim17ROCPRIM_400000_NS6detail17trampoline_kernelINS0_14default_configENS1_25partition_config_selectorILNS1_17partition_subalgoE8EtNS0_10empty_typeEbEEZZNS1_14partition_implILS5_8ELb0ES3_jPKtPS6_PKS6_NS0_5tupleIJPtS6_EEENSE_IJSB_SB_EEENS0_18inequality_wrapperIN6hipcub16HIPCUB_304000_NS8EqualityEEEPlJS6_EEE10hipError_tPvRmT3_T4_T5_T6_T7_T9_mT8_P12ihipStream_tbDpT10_ENKUlT_T0_E_clISt17integral_constantIbLb1EES16_IbLb0EEEEDaS12_S13_EUlS12_E_NS1_11comp_targetILNS1_3genE0ELNS1_11target_archE4294967295ELNS1_3gpuE0ELNS1_3repE0EEENS1_30default_config_static_selectorELNS0_4arch9wavefront6targetE0EEEvT1_.private_seg_size, 0
	.set _ZN7rocprim17ROCPRIM_400000_NS6detail17trampoline_kernelINS0_14default_configENS1_25partition_config_selectorILNS1_17partition_subalgoE8EtNS0_10empty_typeEbEEZZNS1_14partition_implILS5_8ELb0ES3_jPKtPS6_PKS6_NS0_5tupleIJPtS6_EEENSE_IJSB_SB_EEENS0_18inequality_wrapperIN6hipcub16HIPCUB_304000_NS8EqualityEEEPlJS6_EEE10hipError_tPvRmT3_T4_T5_T6_T7_T9_mT8_P12ihipStream_tbDpT10_ENKUlT_T0_E_clISt17integral_constantIbLb1EES16_IbLb0EEEEDaS12_S13_EUlS12_E_NS1_11comp_targetILNS1_3genE0ELNS1_11target_archE4294967295ELNS1_3gpuE0ELNS1_3repE0EEENS1_30default_config_static_selectorELNS0_4arch9wavefront6targetE0EEEvT1_.uses_vcc, 0
	.set _ZN7rocprim17ROCPRIM_400000_NS6detail17trampoline_kernelINS0_14default_configENS1_25partition_config_selectorILNS1_17partition_subalgoE8EtNS0_10empty_typeEbEEZZNS1_14partition_implILS5_8ELb0ES3_jPKtPS6_PKS6_NS0_5tupleIJPtS6_EEENSE_IJSB_SB_EEENS0_18inequality_wrapperIN6hipcub16HIPCUB_304000_NS8EqualityEEEPlJS6_EEE10hipError_tPvRmT3_T4_T5_T6_T7_T9_mT8_P12ihipStream_tbDpT10_ENKUlT_T0_E_clISt17integral_constantIbLb1EES16_IbLb0EEEEDaS12_S13_EUlS12_E_NS1_11comp_targetILNS1_3genE0ELNS1_11target_archE4294967295ELNS1_3gpuE0ELNS1_3repE0EEENS1_30default_config_static_selectorELNS0_4arch9wavefront6targetE0EEEvT1_.uses_flat_scratch, 0
	.set _ZN7rocprim17ROCPRIM_400000_NS6detail17trampoline_kernelINS0_14default_configENS1_25partition_config_selectorILNS1_17partition_subalgoE8EtNS0_10empty_typeEbEEZZNS1_14partition_implILS5_8ELb0ES3_jPKtPS6_PKS6_NS0_5tupleIJPtS6_EEENSE_IJSB_SB_EEENS0_18inequality_wrapperIN6hipcub16HIPCUB_304000_NS8EqualityEEEPlJS6_EEE10hipError_tPvRmT3_T4_T5_T6_T7_T9_mT8_P12ihipStream_tbDpT10_ENKUlT_T0_E_clISt17integral_constantIbLb1EES16_IbLb0EEEEDaS12_S13_EUlS12_E_NS1_11comp_targetILNS1_3genE0ELNS1_11target_archE4294967295ELNS1_3gpuE0ELNS1_3repE0EEENS1_30default_config_static_selectorELNS0_4arch9wavefront6targetE0EEEvT1_.has_dyn_sized_stack, 0
	.set _ZN7rocprim17ROCPRIM_400000_NS6detail17trampoline_kernelINS0_14default_configENS1_25partition_config_selectorILNS1_17partition_subalgoE8EtNS0_10empty_typeEbEEZZNS1_14partition_implILS5_8ELb0ES3_jPKtPS6_PKS6_NS0_5tupleIJPtS6_EEENSE_IJSB_SB_EEENS0_18inequality_wrapperIN6hipcub16HIPCUB_304000_NS8EqualityEEEPlJS6_EEE10hipError_tPvRmT3_T4_T5_T6_T7_T9_mT8_P12ihipStream_tbDpT10_ENKUlT_T0_E_clISt17integral_constantIbLb1EES16_IbLb0EEEEDaS12_S13_EUlS12_E_NS1_11comp_targetILNS1_3genE0ELNS1_11target_archE4294967295ELNS1_3gpuE0ELNS1_3repE0EEENS1_30default_config_static_selectorELNS0_4arch9wavefront6targetE0EEEvT1_.has_recursion, 0
	.set _ZN7rocprim17ROCPRIM_400000_NS6detail17trampoline_kernelINS0_14default_configENS1_25partition_config_selectorILNS1_17partition_subalgoE8EtNS0_10empty_typeEbEEZZNS1_14partition_implILS5_8ELb0ES3_jPKtPS6_PKS6_NS0_5tupleIJPtS6_EEENSE_IJSB_SB_EEENS0_18inequality_wrapperIN6hipcub16HIPCUB_304000_NS8EqualityEEEPlJS6_EEE10hipError_tPvRmT3_T4_T5_T6_T7_T9_mT8_P12ihipStream_tbDpT10_ENKUlT_T0_E_clISt17integral_constantIbLb1EES16_IbLb0EEEEDaS12_S13_EUlS12_E_NS1_11comp_targetILNS1_3genE0ELNS1_11target_archE4294967295ELNS1_3gpuE0ELNS1_3repE0EEENS1_30default_config_static_selectorELNS0_4arch9wavefront6targetE0EEEvT1_.has_indirect_call, 0
	.section	.AMDGPU.csdata,"",@progbits
; Kernel info:
; codeLenInByte = 4
; TotalNumSgprs: 0
; NumVgprs: 0
; ScratchSize: 0
; MemoryBound: 0
; FloatMode: 240
; IeeeMode: 1
; LDSByteSize: 0 bytes/workgroup (compile time only)
; SGPRBlocks: 0
; VGPRBlocks: 0
; NumSGPRsForWavesPerEU: 1
; NumVGPRsForWavesPerEU: 1
; NamedBarCnt: 0
; Occupancy: 16
; WaveLimiterHint : 0
; COMPUTE_PGM_RSRC2:SCRATCH_EN: 0
; COMPUTE_PGM_RSRC2:USER_SGPR: 2
; COMPUTE_PGM_RSRC2:TRAP_HANDLER: 0
; COMPUTE_PGM_RSRC2:TGID_X_EN: 1
; COMPUTE_PGM_RSRC2:TGID_Y_EN: 0
; COMPUTE_PGM_RSRC2:TGID_Z_EN: 0
; COMPUTE_PGM_RSRC2:TIDIG_COMP_CNT: 0
	.section	.text._ZN7rocprim17ROCPRIM_400000_NS6detail17trampoline_kernelINS0_14default_configENS1_25partition_config_selectorILNS1_17partition_subalgoE8EtNS0_10empty_typeEbEEZZNS1_14partition_implILS5_8ELb0ES3_jPKtPS6_PKS6_NS0_5tupleIJPtS6_EEENSE_IJSB_SB_EEENS0_18inequality_wrapperIN6hipcub16HIPCUB_304000_NS8EqualityEEEPlJS6_EEE10hipError_tPvRmT3_T4_T5_T6_T7_T9_mT8_P12ihipStream_tbDpT10_ENKUlT_T0_E_clISt17integral_constantIbLb1EES16_IbLb0EEEEDaS12_S13_EUlS12_E_NS1_11comp_targetILNS1_3genE5ELNS1_11target_archE942ELNS1_3gpuE9ELNS1_3repE0EEENS1_30default_config_static_selectorELNS0_4arch9wavefront6targetE0EEEvT1_,"axG",@progbits,_ZN7rocprim17ROCPRIM_400000_NS6detail17trampoline_kernelINS0_14default_configENS1_25partition_config_selectorILNS1_17partition_subalgoE8EtNS0_10empty_typeEbEEZZNS1_14partition_implILS5_8ELb0ES3_jPKtPS6_PKS6_NS0_5tupleIJPtS6_EEENSE_IJSB_SB_EEENS0_18inequality_wrapperIN6hipcub16HIPCUB_304000_NS8EqualityEEEPlJS6_EEE10hipError_tPvRmT3_T4_T5_T6_T7_T9_mT8_P12ihipStream_tbDpT10_ENKUlT_T0_E_clISt17integral_constantIbLb1EES16_IbLb0EEEEDaS12_S13_EUlS12_E_NS1_11comp_targetILNS1_3genE5ELNS1_11target_archE942ELNS1_3gpuE9ELNS1_3repE0EEENS1_30default_config_static_selectorELNS0_4arch9wavefront6targetE0EEEvT1_,comdat
	.protected	_ZN7rocprim17ROCPRIM_400000_NS6detail17trampoline_kernelINS0_14default_configENS1_25partition_config_selectorILNS1_17partition_subalgoE8EtNS0_10empty_typeEbEEZZNS1_14partition_implILS5_8ELb0ES3_jPKtPS6_PKS6_NS0_5tupleIJPtS6_EEENSE_IJSB_SB_EEENS0_18inequality_wrapperIN6hipcub16HIPCUB_304000_NS8EqualityEEEPlJS6_EEE10hipError_tPvRmT3_T4_T5_T6_T7_T9_mT8_P12ihipStream_tbDpT10_ENKUlT_T0_E_clISt17integral_constantIbLb1EES16_IbLb0EEEEDaS12_S13_EUlS12_E_NS1_11comp_targetILNS1_3genE5ELNS1_11target_archE942ELNS1_3gpuE9ELNS1_3repE0EEENS1_30default_config_static_selectorELNS0_4arch9wavefront6targetE0EEEvT1_ ; -- Begin function _ZN7rocprim17ROCPRIM_400000_NS6detail17trampoline_kernelINS0_14default_configENS1_25partition_config_selectorILNS1_17partition_subalgoE8EtNS0_10empty_typeEbEEZZNS1_14partition_implILS5_8ELb0ES3_jPKtPS6_PKS6_NS0_5tupleIJPtS6_EEENSE_IJSB_SB_EEENS0_18inequality_wrapperIN6hipcub16HIPCUB_304000_NS8EqualityEEEPlJS6_EEE10hipError_tPvRmT3_T4_T5_T6_T7_T9_mT8_P12ihipStream_tbDpT10_ENKUlT_T0_E_clISt17integral_constantIbLb1EES16_IbLb0EEEEDaS12_S13_EUlS12_E_NS1_11comp_targetILNS1_3genE5ELNS1_11target_archE942ELNS1_3gpuE9ELNS1_3repE0EEENS1_30default_config_static_selectorELNS0_4arch9wavefront6targetE0EEEvT1_
	.globl	_ZN7rocprim17ROCPRIM_400000_NS6detail17trampoline_kernelINS0_14default_configENS1_25partition_config_selectorILNS1_17partition_subalgoE8EtNS0_10empty_typeEbEEZZNS1_14partition_implILS5_8ELb0ES3_jPKtPS6_PKS6_NS0_5tupleIJPtS6_EEENSE_IJSB_SB_EEENS0_18inequality_wrapperIN6hipcub16HIPCUB_304000_NS8EqualityEEEPlJS6_EEE10hipError_tPvRmT3_T4_T5_T6_T7_T9_mT8_P12ihipStream_tbDpT10_ENKUlT_T0_E_clISt17integral_constantIbLb1EES16_IbLb0EEEEDaS12_S13_EUlS12_E_NS1_11comp_targetILNS1_3genE5ELNS1_11target_archE942ELNS1_3gpuE9ELNS1_3repE0EEENS1_30default_config_static_selectorELNS0_4arch9wavefront6targetE0EEEvT1_
	.p2align	8
	.type	_ZN7rocprim17ROCPRIM_400000_NS6detail17trampoline_kernelINS0_14default_configENS1_25partition_config_selectorILNS1_17partition_subalgoE8EtNS0_10empty_typeEbEEZZNS1_14partition_implILS5_8ELb0ES3_jPKtPS6_PKS6_NS0_5tupleIJPtS6_EEENSE_IJSB_SB_EEENS0_18inequality_wrapperIN6hipcub16HIPCUB_304000_NS8EqualityEEEPlJS6_EEE10hipError_tPvRmT3_T4_T5_T6_T7_T9_mT8_P12ihipStream_tbDpT10_ENKUlT_T0_E_clISt17integral_constantIbLb1EES16_IbLb0EEEEDaS12_S13_EUlS12_E_NS1_11comp_targetILNS1_3genE5ELNS1_11target_archE942ELNS1_3gpuE9ELNS1_3repE0EEENS1_30default_config_static_selectorELNS0_4arch9wavefront6targetE0EEEvT1_,@function
_ZN7rocprim17ROCPRIM_400000_NS6detail17trampoline_kernelINS0_14default_configENS1_25partition_config_selectorILNS1_17partition_subalgoE8EtNS0_10empty_typeEbEEZZNS1_14partition_implILS5_8ELb0ES3_jPKtPS6_PKS6_NS0_5tupleIJPtS6_EEENSE_IJSB_SB_EEENS0_18inequality_wrapperIN6hipcub16HIPCUB_304000_NS8EqualityEEEPlJS6_EEE10hipError_tPvRmT3_T4_T5_T6_T7_T9_mT8_P12ihipStream_tbDpT10_ENKUlT_T0_E_clISt17integral_constantIbLb1EES16_IbLb0EEEEDaS12_S13_EUlS12_E_NS1_11comp_targetILNS1_3genE5ELNS1_11target_archE942ELNS1_3gpuE9ELNS1_3repE0EEENS1_30default_config_static_selectorELNS0_4arch9wavefront6targetE0EEEvT1_: ; @_ZN7rocprim17ROCPRIM_400000_NS6detail17trampoline_kernelINS0_14default_configENS1_25partition_config_selectorILNS1_17partition_subalgoE8EtNS0_10empty_typeEbEEZZNS1_14partition_implILS5_8ELb0ES3_jPKtPS6_PKS6_NS0_5tupleIJPtS6_EEENSE_IJSB_SB_EEENS0_18inequality_wrapperIN6hipcub16HIPCUB_304000_NS8EqualityEEEPlJS6_EEE10hipError_tPvRmT3_T4_T5_T6_T7_T9_mT8_P12ihipStream_tbDpT10_ENKUlT_T0_E_clISt17integral_constantIbLb1EES16_IbLb0EEEEDaS12_S13_EUlS12_E_NS1_11comp_targetILNS1_3genE5ELNS1_11target_archE942ELNS1_3gpuE9ELNS1_3repE0EEENS1_30default_config_static_selectorELNS0_4arch9wavefront6targetE0EEEvT1_
; %bb.0:
	.section	.rodata,"a",@progbits
	.p2align	6, 0x0
	.amdhsa_kernel _ZN7rocprim17ROCPRIM_400000_NS6detail17trampoline_kernelINS0_14default_configENS1_25partition_config_selectorILNS1_17partition_subalgoE8EtNS0_10empty_typeEbEEZZNS1_14partition_implILS5_8ELb0ES3_jPKtPS6_PKS6_NS0_5tupleIJPtS6_EEENSE_IJSB_SB_EEENS0_18inequality_wrapperIN6hipcub16HIPCUB_304000_NS8EqualityEEEPlJS6_EEE10hipError_tPvRmT3_T4_T5_T6_T7_T9_mT8_P12ihipStream_tbDpT10_ENKUlT_T0_E_clISt17integral_constantIbLb1EES16_IbLb0EEEEDaS12_S13_EUlS12_E_NS1_11comp_targetILNS1_3genE5ELNS1_11target_archE942ELNS1_3gpuE9ELNS1_3repE0EEENS1_30default_config_static_selectorELNS0_4arch9wavefront6targetE0EEEvT1_
		.amdhsa_group_segment_fixed_size 0
		.amdhsa_private_segment_fixed_size 0
		.amdhsa_kernarg_size 112
		.amdhsa_user_sgpr_count 2
		.amdhsa_user_sgpr_dispatch_ptr 0
		.amdhsa_user_sgpr_queue_ptr 0
		.amdhsa_user_sgpr_kernarg_segment_ptr 1
		.amdhsa_user_sgpr_dispatch_id 0
		.amdhsa_user_sgpr_kernarg_preload_length 0
		.amdhsa_user_sgpr_kernarg_preload_offset 0
		.amdhsa_user_sgpr_private_segment_size 0
		.amdhsa_wavefront_size32 1
		.amdhsa_uses_dynamic_stack 0
		.amdhsa_enable_private_segment 0
		.amdhsa_system_sgpr_workgroup_id_x 1
		.amdhsa_system_sgpr_workgroup_id_y 0
		.amdhsa_system_sgpr_workgroup_id_z 0
		.amdhsa_system_sgpr_workgroup_info 0
		.amdhsa_system_vgpr_workitem_id 0
		.amdhsa_next_free_vgpr 1
		.amdhsa_next_free_sgpr 1
		.amdhsa_named_barrier_count 0
		.amdhsa_reserve_vcc 0
		.amdhsa_float_round_mode_32 0
		.amdhsa_float_round_mode_16_64 0
		.amdhsa_float_denorm_mode_32 3
		.amdhsa_float_denorm_mode_16_64 3
		.amdhsa_fp16_overflow 0
		.amdhsa_memory_ordered 1
		.amdhsa_forward_progress 1
		.amdhsa_inst_pref_size 0
		.amdhsa_round_robin_scheduling 0
		.amdhsa_exception_fp_ieee_invalid_op 0
		.amdhsa_exception_fp_denorm_src 0
		.amdhsa_exception_fp_ieee_div_zero 0
		.amdhsa_exception_fp_ieee_overflow 0
		.amdhsa_exception_fp_ieee_underflow 0
		.amdhsa_exception_fp_ieee_inexact 0
		.amdhsa_exception_int_div_zero 0
	.end_amdhsa_kernel
	.section	.text._ZN7rocprim17ROCPRIM_400000_NS6detail17trampoline_kernelINS0_14default_configENS1_25partition_config_selectorILNS1_17partition_subalgoE8EtNS0_10empty_typeEbEEZZNS1_14partition_implILS5_8ELb0ES3_jPKtPS6_PKS6_NS0_5tupleIJPtS6_EEENSE_IJSB_SB_EEENS0_18inequality_wrapperIN6hipcub16HIPCUB_304000_NS8EqualityEEEPlJS6_EEE10hipError_tPvRmT3_T4_T5_T6_T7_T9_mT8_P12ihipStream_tbDpT10_ENKUlT_T0_E_clISt17integral_constantIbLb1EES16_IbLb0EEEEDaS12_S13_EUlS12_E_NS1_11comp_targetILNS1_3genE5ELNS1_11target_archE942ELNS1_3gpuE9ELNS1_3repE0EEENS1_30default_config_static_selectorELNS0_4arch9wavefront6targetE0EEEvT1_,"axG",@progbits,_ZN7rocprim17ROCPRIM_400000_NS6detail17trampoline_kernelINS0_14default_configENS1_25partition_config_selectorILNS1_17partition_subalgoE8EtNS0_10empty_typeEbEEZZNS1_14partition_implILS5_8ELb0ES3_jPKtPS6_PKS6_NS0_5tupleIJPtS6_EEENSE_IJSB_SB_EEENS0_18inequality_wrapperIN6hipcub16HIPCUB_304000_NS8EqualityEEEPlJS6_EEE10hipError_tPvRmT3_T4_T5_T6_T7_T9_mT8_P12ihipStream_tbDpT10_ENKUlT_T0_E_clISt17integral_constantIbLb1EES16_IbLb0EEEEDaS12_S13_EUlS12_E_NS1_11comp_targetILNS1_3genE5ELNS1_11target_archE942ELNS1_3gpuE9ELNS1_3repE0EEENS1_30default_config_static_selectorELNS0_4arch9wavefront6targetE0EEEvT1_,comdat
.Lfunc_end772:
	.size	_ZN7rocprim17ROCPRIM_400000_NS6detail17trampoline_kernelINS0_14default_configENS1_25partition_config_selectorILNS1_17partition_subalgoE8EtNS0_10empty_typeEbEEZZNS1_14partition_implILS5_8ELb0ES3_jPKtPS6_PKS6_NS0_5tupleIJPtS6_EEENSE_IJSB_SB_EEENS0_18inequality_wrapperIN6hipcub16HIPCUB_304000_NS8EqualityEEEPlJS6_EEE10hipError_tPvRmT3_T4_T5_T6_T7_T9_mT8_P12ihipStream_tbDpT10_ENKUlT_T0_E_clISt17integral_constantIbLb1EES16_IbLb0EEEEDaS12_S13_EUlS12_E_NS1_11comp_targetILNS1_3genE5ELNS1_11target_archE942ELNS1_3gpuE9ELNS1_3repE0EEENS1_30default_config_static_selectorELNS0_4arch9wavefront6targetE0EEEvT1_, .Lfunc_end772-_ZN7rocprim17ROCPRIM_400000_NS6detail17trampoline_kernelINS0_14default_configENS1_25partition_config_selectorILNS1_17partition_subalgoE8EtNS0_10empty_typeEbEEZZNS1_14partition_implILS5_8ELb0ES3_jPKtPS6_PKS6_NS0_5tupleIJPtS6_EEENSE_IJSB_SB_EEENS0_18inequality_wrapperIN6hipcub16HIPCUB_304000_NS8EqualityEEEPlJS6_EEE10hipError_tPvRmT3_T4_T5_T6_T7_T9_mT8_P12ihipStream_tbDpT10_ENKUlT_T0_E_clISt17integral_constantIbLb1EES16_IbLb0EEEEDaS12_S13_EUlS12_E_NS1_11comp_targetILNS1_3genE5ELNS1_11target_archE942ELNS1_3gpuE9ELNS1_3repE0EEENS1_30default_config_static_selectorELNS0_4arch9wavefront6targetE0EEEvT1_
                                        ; -- End function
	.set _ZN7rocprim17ROCPRIM_400000_NS6detail17trampoline_kernelINS0_14default_configENS1_25partition_config_selectorILNS1_17partition_subalgoE8EtNS0_10empty_typeEbEEZZNS1_14partition_implILS5_8ELb0ES3_jPKtPS6_PKS6_NS0_5tupleIJPtS6_EEENSE_IJSB_SB_EEENS0_18inequality_wrapperIN6hipcub16HIPCUB_304000_NS8EqualityEEEPlJS6_EEE10hipError_tPvRmT3_T4_T5_T6_T7_T9_mT8_P12ihipStream_tbDpT10_ENKUlT_T0_E_clISt17integral_constantIbLb1EES16_IbLb0EEEEDaS12_S13_EUlS12_E_NS1_11comp_targetILNS1_3genE5ELNS1_11target_archE942ELNS1_3gpuE9ELNS1_3repE0EEENS1_30default_config_static_selectorELNS0_4arch9wavefront6targetE0EEEvT1_.num_vgpr, 0
	.set _ZN7rocprim17ROCPRIM_400000_NS6detail17trampoline_kernelINS0_14default_configENS1_25partition_config_selectorILNS1_17partition_subalgoE8EtNS0_10empty_typeEbEEZZNS1_14partition_implILS5_8ELb0ES3_jPKtPS6_PKS6_NS0_5tupleIJPtS6_EEENSE_IJSB_SB_EEENS0_18inequality_wrapperIN6hipcub16HIPCUB_304000_NS8EqualityEEEPlJS6_EEE10hipError_tPvRmT3_T4_T5_T6_T7_T9_mT8_P12ihipStream_tbDpT10_ENKUlT_T0_E_clISt17integral_constantIbLb1EES16_IbLb0EEEEDaS12_S13_EUlS12_E_NS1_11comp_targetILNS1_3genE5ELNS1_11target_archE942ELNS1_3gpuE9ELNS1_3repE0EEENS1_30default_config_static_selectorELNS0_4arch9wavefront6targetE0EEEvT1_.num_agpr, 0
	.set _ZN7rocprim17ROCPRIM_400000_NS6detail17trampoline_kernelINS0_14default_configENS1_25partition_config_selectorILNS1_17partition_subalgoE8EtNS0_10empty_typeEbEEZZNS1_14partition_implILS5_8ELb0ES3_jPKtPS6_PKS6_NS0_5tupleIJPtS6_EEENSE_IJSB_SB_EEENS0_18inequality_wrapperIN6hipcub16HIPCUB_304000_NS8EqualityEEEPlJS6_EEE10hipError_tPvRmT3_T4_T5_T6_T7_T9_mT8_P12ihipStream_tbDpT10_ENKUlT_T0_E_clISt17integral_constantIbLb1EES16_IbLb0EEEEDaS12_S13_EUlS12_E_NS1_11comp_targetILNS1_3genE5ELNS1_11target_archE942ELNS1_3gpuE9ELNS1_3repE0EEENS1_30default_config_static_selectorELNS0_4arch9wavefront6targetE0EEEvT1_.numbered_sgpr, 0
	.set _ZN7rocprim17ROCPRIM_400000_NS6detail17trampoline_kernelINS0_14default_configENS1_25partition_config_selectorILNS1_17partition_subalgoE8EtNS0_10empty_typeEbEEZZNS1_14partition_implILS5_8ELb0ES3_jPKtPS6_PKS6_NS0_5tupleIJPtS6_EEENSE_IJSB_SB_EEENS0_18inequality_wrapperIN6hipcub16HIPCUB_304000_NS8EqualityEEEPlJS6_EEE10hipError_tPvRmT3_T4_T5_T6_T7_T9_mT8_P12ihipStream_tbDpT10_ENKUlT_T0_E_clISt17integral_constantIbLb1EES16_IbLb0EEEEDaS12_S13_EUlS12_E_NS1_11comp_targetILNS1_3genE5ELNS1_11target_archE942ELNS1_3gpuE9ELNS1_3repE0EEENS1_30default_config_static_selectorELNS0_4arch9wavefront6targetE0EEEvT1_.num_named_barrier, 0
	.set _ZN7rocprim17ROCPRIM_400000_NS6detail17trampoline_kernelINS0_14default_configENS1_25partition_config_selectorILNS1_17partition_subalgoE8EtNS0_10empty_typeEbEEZZNS1_14partition_implILS5_8ELb0ES3_jPKtPS6_PKS6_NS0_5tupleIJPtS6_EEENSE_IJSB_SB_EEENS0_18inequality_wrapperIN6hipcub16HIPCUB_304000_NS8EqualityEEEPlJS6_EEE10hipError_tPvRmT3_T4_T5_T6_T7_T9_mT8_P12ihipStream_tbDpT10_ENKUlT_T0_E_clISt17integral_constantIbLb1EES16_IbLb0EEEEDaS12_S13_EUlS12_E_NS1_11comp_targetILNS1_3genE5ELNS1_11target_archE942ELNS1_3gpuE9ELNS1_3repE0EEENS1_30default_config_static_selectorELNS0_4arch9wavefront6targetE0EEEvT1_.private_seg_size, 0
	.set _ZN7rocprim17ROCPRIM_400000_NS6detail17trampoline_kernelINS0_14default_configENS1_25partition_config_selectorILNS1_17partition_subalgoE8EtNS0_10empty_typeEbEEZZNS1_14partition_implILS5_8ELb0ES3_jPKtPS6_PKS6_NS0_5tupleIJPtS6_EEENSE_IJSB_SB_EEENS0_18inequality_wrapperIN6hipcub16HIPCUB_304000_NS8EqualityEEEPlJS6_EEE10hipError_tPvRmT3_T4_T5_T6_T7_T9_mT8_P12ihipStream_tbDpT10_ENKUlT_T0_E_clISt17integral_constantIbLb1EES16_IbLb0EEEEDaS12_S13_EUlS12_E_NS1_11comp_targetILNS1_3genE5ELNS1_11target_archE942ELNS1_3gpuE9ELNS1_3repE0EEENS1_30default_config_static_selectorELNS0_4arch9wavefront6targetE0EEEvT1_.uses_vcc, 0
	.set _ZN7rocprim17ROCPRIM_400000_NS6detail17trampoline_kernelINS0_14default_configENS1_25partition_config_selectorILNS1_17partition_subalgoE8EtNS0_10empty_typeEbEEZZNS1_14partition_implILS5_8ELb0ES3_jPKtPS6_PKS6_NS0_5tupleIJPtS6_EEENSE_IJSB_SB_EEENS0_18inequality_wrapperIN6hipcub16HIPCUB_304000_NS8EqualityEEEPlJS6_EEE10hipError_tPvRmT3_T4_T5_T6_T7_T9_mT8_P12ihipStream_tbDpT10_ENKUlT_T0_E_clISt17integral_constantIbLb1EES16_IbLb0EEEEDaS12_S13_EUlS12_E_NS1_11comp_targetILNS1_3genE5ELNS1_11target_archE942ELNS1_3gpuE9ELNS1_3repE0EEENS1_30default_config_static_selectorELNS0_4arch9wavefront6targetE0EEEvT1_.uses_flat_scratch, 0
	.set _ZN7rocprim17ROCPRIM_400000_NS6detail17trampoline_kernelINS0_14default_configENS1_25partition_config_selectorILNS1_17partition_subalgoE8EtNS0_10empty_typeEbEEZZNS1_14partition_implILS5_8ELb0ES3_jPKtPS6_PKS6_NS0_5tupleIJPtS6_EEENSE_IJSB_SB_EEENS0_18inequality_wrapperIN6hipcub16HIPCUB_304000_NS8EqualityEEEPlJS6_EEE10hipError_tPvRmT3_T4_T5_T6_T7_T9_mT8_P12ihipStream_tbDpT10_ENKUlT_T0_E_clISt17integral_constantIbLb1EES16_IbLb0EEEEDaS12_S13_EUlS12_E_NS1_11comp_targetILNS1_3genE5ELNS1_11target_archE942ELNS1_3gpuE9ELNS1_3repE0EEENS1_30default_config_static_selectorELNS0_4arch9wavefront6targetE0EEEvT1_.has_dyn_sized_stack, 0
	.set _ZN7rocprim17ROCPRIM_400000_NS6detail17trampoline_kernelINS0_14default_configENS1_25partition_config_selectorILNS1_17partition_subalgoE8EtNS0_10empty_typeEbEEZZNS1_14partition_implILS5_8ELb0ES3_jPKtPS6_PKS6_NS0_5tupleIJPtS6_EEENSE_IJSB_SB_EEENS0_18inequality_wrapperIN6hipcub16HIPCUB_304000_NS8EqualityEEEPlJS6_EEE10hipError_tPvRmT3_T4_T5_T6_T7_T9_mT8_P12ihipStream_tbDpT10_ENKUlT_T0_E_clISt17integral_constantIbLb1EES16_IbLb0EEEEDaS12_S13_EUlS12_E_NS1_11comp_targetILNS1_3genE5ELNS1_11target_archE942ELNS1_3gpuE9ELNS1_3repE0EEENS1_30default_config_static_selectorELNS0_4arch9wavefront6targetE0EEEvT1_.has_recursion, 0
	.set _ZN7rocprim17ROCPRIM_400000_NS6detail17trampoline_kernelINS0_14default_configENS1_25partition_config_selectorILNS1_17partition_subalgoE8EtNS0_10empty_typeEbEEZZNS1_14partition_implILS5_8ELb0ES3_jPKtPS6_PKS6_NS0_5tupleIJPtS6_EEENSE_IJSB_SB_EEENS0_18inequality_wrapperIN6hipcub16HIPCUB_304000_NS8EqualityEEEPlJS6_EEE10hipError_tPvRmT3_T4_T5_T6_T7_T9_mT8_P12ihipStream_tbDpT10_ENKUlT_T0_E_clISt17integral_constantIbLb1EES16_IbLb0EEEEDaS12_S13_EUlS12_E_NS1_11comp_targetILNS1_3genE5ELNS1_11target_archE942ELNS1_3gpuE9ELNS1_3repE0EEENS1_30default_config_static_selectorELNS0_4arch9wavefront6targetE0EEEvT1_.has_indirect_call, 0
	.section	.AMDGPU.csdata,"",@progbits
; Kernel info:
; codeLenInByte = 0
; TotalNumSgprs: 0
; NumVgprs: 0
; ScratchSize: 0
; MemoryBound: 0
; FloatMode: 240
; IeeeMode: 1
; LDSByteSize: 0 bytes/workgroup (compile time only)
; SGPRBlocks: 0
; VGPRBlocks: 0
; NumSGPRsForWavesPerEU: 1
; NumVGPRsForWavesPerEU: 1
; NamedBarCnt: 0
; Occupancy: 16
; WaveLimiterHint : 0
; COMPUTE_PGM_RSRC2:SCRATCH_EN: 0
; COMPUTE_PGM_RSRC2:USER_SGPR: 2
; COMPUTE_PGM_RSRC2:TRAP_HANDLER: 0
; COMPUTE_PGM_RSRC2:TGID_X_EN: 1
; COMPUTE_PGM_RSRC2:TGID_Y_EN: 0
; COMPUTE_PGM_RSRC2:TGID_Z_EN: 0
; COMPUTE_PGM_RSRC2:TIDIG_COMP_CNT: 0
	.section	.text._ZN7rocprim17ROCPRIM_400000_NS6detail17trampoline_kernelINS0_14default_configENS1_25partition_config_selectorILNS1_17partition_subalgoE8EtNS0_10empty_typeEbEEZZNS1_14partition_implILS5_8ELb0ES3_jPKtPS6_PKS6_NS0_5tupleIJPtS6_EEENSE_IJSB_SB_EEENS0_18inequality_wrapperIN6hipcub16HIPCUB_304000_NS8EqualityEEEPlJS6_EEE10hipError_tPvRmT3_T4_T5_T6_T7_T9_mT8_P12ihipStream_tbDpT10_ENKUlT_T0_E_clISt17integral_constantIbLb1EES16_IbLb0EEEEDaS12_S13_EUlS12_E_NS1_11comp_targetILNS1_3genE4ELNS1_11target_archE910ELNS1_3gpuE8ELNS1_3repE0EEENS1_30default_config_static_selectorELNS0_4arch9wavefront6targetE0EEEvT1_,"axG",@progbits,_ZN7rocprim17ROCPRIM_400000_NS6detail17trampoline_kernelINS0_14default_configENS1_25partition_config_selectorILNS1_17partition_subalgoE8EtNS0_10empty_typeEbEEZZNS1_14partition_implILS5_8ELb0ES3_jPKtPS6_PKS6_NS0_5tupleIJPtS6_EEENSE_IJSB_SB_EEENS0_18inequality_wrapperIN6hipcub16HIPCUB_304000_NS8EqualityEEEPlJS6_EEE10hipError_tPvRmT3_T4_T5_T6_T7_T9_mT8_P12ihipStream_tbDpT10_ENKUlT_T0_E_clISt17integral_constantIbLb1EES16_IbLb0EEEEDaS12_S13_EUlS12_E_NS1_11comp_targetILNS1_3genE4ELNS1_11target_archE910ELNS1_3gpuE8ELNS1_3repE0EEENS1_30default_config_static_selectorELNS0_4arch9wavefront6targetE0EEEvT1_,comdat
	.protected	_ZN7rocprim17ROCPRIM_400000_NS6detail17trampoline_kernelINS0_14default_configENS1_25partition_config_selectorILNS1_17partition_subalgoE8EtNS0_10empty_typeEbEEZZNS1_14partition_implILS5_8ELb0ES3_jPKtPS6_PKS6_NS0_5tupleIJPtS6_EEENSE_IJSB_SB_EEENS0_18inequality_wrapperIN6hipcub16HIPCUB_304000_NS8EqualityEEEPlJS6_EEE10hipError_tPvRmT3_T4_T5_T6_T7_T9_mT8_P12ihipStream_tbDpT10_ENKUlT_T0_E_clISt17integral_constantIbLb1EES16_IbLb0EEEEDaS12_S13_EUlS12_E_NS1_11comp_targetILNS1_3genE4ELNS1_11target_archE910ELNS1_3gpuE8ELNS1_3repE0EEENS1_30default_config_static_selectorELNS0_4arch9wavefront6targetE0EEEvT1_ ; -- Begin function _ZN7rocprim17ROCPRIM_400000_NS6detail17trampoline_kernelINS0_14default_configENS1_25partition_config_selectorILNS1_17partition_subalgoE8EtNS0_10empty_typeEbEEZZNS1_14partition_implILS5_8ELb0ES3_jPKtPS6_PKS6_NS0_5tupleIJPtS6_EEENSE_IJSB_SB_EEENS0_18inequality_wrapperIN6hipcub16HIPCUB_304000_NS8EqualityEEEPlJS6_EEE10hipError_tPvRmT3_T4_T5_T6_T7_T9_mT8_P12ihipStream_tbDpT10_ENKUlT_T0_E_clISt17integral_constantIbLb1EES16_IbLb0EEEEDaS12_S13_EUlS12_E_NS1_11comp_targetILNS1_3genE4ELNS1_11target_archE910ELNS1_3gpuE8ELNS1_3repE0EEENS1_30default_config_static_selectorELNS0_4arch9wavefront6targetE0EEEvT1_
	.globl	_ZN7rocprim17ROCPRIM_400000_NS6detail17trampoline_kernelINS0_14default_configENS1_25partition_config_selectorILNS1_17partition_subalgoE8EtNS0_10empty_typeEbEEZZNS1_14partition_implILS5_8ELb0ES3_jPKtPS6_PKS6_NS0_5tupleIJPtS6_EEENSE_IJSB_SB_EEENS0_18inequality_wrapperIN6hipcub16HIPCUB_304000_NS8EqualityEEEPlJS6_EEE10hipError_tPvRmT3_T4_T5_T6_T7_T9_mT8_P12ihipStream_tbDpT10_ENKUlT_T0_E_clISt17integral_constantIbLb1EES16_IbLb0EEEEDaS12_S13_EUlS12_E_NS1_11comp_targetILNS1_3genE4ELNS1_11target_archE910ELNS1_3gpuE8ELNS1_3repE0EEENS1_30default_config_static_selectorELNS0_4arch9wavefront6targetE0EEEvT1_
	.p2align	8
	.type	_ZN7rocprim17ROCPRIM_400000_NS6detail17trampoline_kernelINS0_14default_configENS1_25partition_config_selectorILNS1_17partition_subalgoE8EtNS0_10empty_typeEbEEZZNS1_14partition_implILS5_8ELb0ES3_jPKtPS6_PKS6_NS0_5tupleIJPtS6_EEENSE_IJSB_SB_EEENS0_18inequality_wrapperIN6hipcub16HIPCUB_304000_NS8EqualityEEEPlJS6_EEE10hipError_tPvRmT3_T4_T5_T6_T7_T9_mT8_P12ihipStream_tbDpT10_ENKUlT_T0_E_clISt17integral_constantIbLb1EES16_IbLb0EEEEDaS12_S13_EUlS12_E_NS1_11comp_targetILNS1_3genE4ELNS1_11target_archE910ELNS1_3gpuE8ELNS1_3repE0EEENS1_30default_config_static_selectorELNS0_4arch9wavefront6targetE0EEEvT1_,@function
_ZN7rocprim17ROCPRIM_400000_NS6detail17trampoline_kernelINS0_14default_configENS1_25partition_config_selectorILNS1_17partition_subalgoE8EtNS0_10empty_typeEbEEZZNS1_14partition_implILS5_8ELb0ES3_jPKtPS6_PKS6_NS0_5tupleIJPtS6_EEENSE_IJSB_SB_EEENS0_18inequality_wrapperIN6hipcub16HIPCUB_304000_NS8EqualityEEEPlJS6_EEE10hipError_tPvRmT3_T4_T5_T6_T7_T9_mT8_P12ihipStream_tbDpT10_ENKUlT_T0_E_clISt17integral_constantIbLb1EES16_IbLb0EEEEDaS12_S13_EUlS12_E_NS1_11comp_targetILNS1_3genE4ELNS1_11target_archE910ELNS1_3gpuE8ELNS1_3repE0EEENS1_30default_config_static_selectorELNS0_4arch9wavefront6targetE0EEEvT1_: ; @_ZN7rocprim17ROCPRIM_400000_NS6detail17trampoline_kernelINS0_14default_configENS1_25partition_config_selectorILNS1_17partition_subalgoE8EtNS0_10empty_typeEbEEZZNS1_14partition_implILS5_8ELb0ES3_jPKtPS6_PKS6_NS0_5tupleIJPtS6_EEENSE_IJSB_SB_EEENS0_18inequality_wrapperIN6hipcub16HIPCUB_304000_NS8EqualityEEEPlJS6_EEE10hipError_tPvRmT3_T4_T5_T6_T7_T9_mT8_P12ihipStream_tbDpT10_ENKUlT_T0_E_clISt17integral_constantIbLb1EES16_IbLb0EEEEDaS12_S13_EUlS12_E_NS1_11comp_targetILNS1_3genE4ELNS1_11target_archE910ELNS1_3gpuE8ELNS1_3repE0EEENS1_30default_config_static_selectorELNS0_4arch9wavefront6targetE0EEEvT1_
; %bb.0:
	.section	.rodata,"a",@progbits
	.p2align	6, 0x0
	.amdhsa_kernel _ZN7rocprim17ROCPRIM_400000_NS6detail17trampoline_kernelINS0_14default_configENS1_25partition_config_selectorILNS1_17partition_subalgoE8EtNS0_10empty_typeEbEEZZNS1_14partition_implILS5_8ELb0ES3_jPKtPS6_PKS6_NS0_5tupleIJPtS6_EEENSE_IJSB_SB_EEENS0_18inequality_wrapperIN6hipcub16HIPCUB_304000_NS8EqualityEEEPlJS6_EEE10hipError_tPvRmT3_T4_T5_T6_T7_T9_mT8_P12ihipStream_tbDpT10_ENKUlT_T0_E_clISt17integral_constantIbLb1EES16_IbLb0EEEEDaS12_S13_EUlS12_E_NS1_11comp_targetILNS1_3genE4ELNS1_11target_archE910ELNS1_3gpuE8ELNS1_3repE0EEENS1_30default_config_static_selectorELNS0_4arch9wavefront6targetE0EEEvT1_
		.amdhsa_group_segment_fixed_size 0
		.amdhsa_private_segment_fixed_size 0
		.amdhsa_kernarg_size 112
		.amdhsa_user_sgpr_count 2
		.amdhsa_user_sgpr_dispatch_ptr 0
		.amdhsa_user_sgpr_queue_ptr 0
		.amdhsa_user_sgpr_kernarg_segment_ptr 1
		.amdhsa_user_sgpr_dispatch_id 0
		.amdhsa_user_sgpr_kernarg_preload_length 0
		.amdhsa_user_sgpr_kernarg_preload_offset 0
		.amdhsa_user_sgpr_private_segment_size 0
		.amdhsa_wavefront_size32 1
		.amdhsa_uses_dynamic_stack 0
		.amdhsa_enable_private_segment 0
		.amdhsa_system_sgpr_workgroup_id_x 1
		.amdhsa_system_sgpr_workgroup_id_y 0
		.amdhsa_system_sgpr_workgroup_id_z 0
		.amdhsa_system_sgpr_workgroup_info 0
		.amdhsa_system_vgpr_workitem_id 0
		.amdhsa_next_free_vgpr 1
		.amdhsa_next_free_sgpr 1
		.amdhsa_named_barrier_count 0
		.amdhsa_reserve_vcc 0
		.amdhsa_float_round_mode_32 0
		.amdhsa_float_round_mode_16_64 0
		.amdhsa_float_denorm_mode_32 3
		.amdhsa_float_denorm_mode_16_64 3
		.amdhsa_fp16_overflow 0
		.amdhsa_memory_ordered 1
		.amdhsa_forward_progress 1
		.amdhsa_inst_pref_size 0
		.amdhsa_round_robin_scheduling 0
		.amdhsa_exception_fp_ieee_invalid_op 0
		.amdhsa_exception_fp_denorm_src 0
		.amdhsa_exception_fp_ieee_div_zero 0
		.amdhsa_exception_fp_ieee_overflow 0
		.amdhsa_exception_fp_ieee_underflow 0
		.amdhsa_exception_fp_ieee_inexact 0
		.amdhsa_exception_int_div_zero 0
	.end_amdhsa_kernel
	.section	.text._ZN7rocprim17ROCPRIM_400000_NS6detail17trampoline_kernelINS0_14default_configENS1_25partition_config_selectorILNS1_17partition_subalgoE8EtNS0_10empty_typeEbEEZZNS1_14partition_implILS5_8ELb0ES3_jPKtPS6_PKS6_NS0_5tupleIJPtS6_EEENSE_IJSB_SB_EEENS0_18inequality_wrapperIN6hipcub16HIPCUB_304000_NS8EqualityEEEPlJS6_EEE10hipError_tPvRmT3_T4_T5_T6_T7_T9_mT8_P12ihipStream_tbDpT10_ENKUlT_T0_E_clISt17integral_constantIbLb1EES16_IbLb0EEEEDaS12_S13_EUlS12_E_NS1_11comp_targetILNS1_3genE4ELNS1_11target_archE910ELNS1_3gpuE8ELNS1_3repE0EEENS1_30default_config_static_selectorELNS0_4arch9wavefront6targetE0EEEvT1_,"axG",@progbits,_ZN7rocprim17ROCPRIM_400000_NS6detail17trampoline_kernelINS0_14default_configENS1_25partition_config_selectorILNS1_17partition_subalgoE8EtNS0_10empty_typeEbEEZZNS1_14partition_implILS5_8ELb0ES3_jPKtPS6_PKS6_NS0_5tupleIJPtS6_EEENSE_IJSB_SB_EEENS0_18inequality_wrapperIN6hipcub16HIPCUB_304000_NS8EqualityEEEPlJS6_EEE10hipError_tPvRmT3_T4_T5_T6_T7_T9_mT8_P12ihipStream_tbDpT10_ENKUlT_T0_E_clISt17integral_constantIbLb1EES16_IbLb0EEEEDaS12_S13_EUlS12_E_NS1_11comp_targetILNS1_3genE4ELNS1_11target_archE910ELNS1_3gpuE8ELNS1_3repE0EEENS1_30default_config_static_selectorELNS0_4arch9wavefront6targetE0EEEvT1_,comdat
.Lfunc_end773:
	.size	_ZN7rocprim17ROCPRIM_400000_NS6detail17trampoline_kernelINS0_14default_configENS1_25partition_config_selectorILNS1_17partition_subalgoE8EtNS0_10empty_typeEbEEZZNS1_14partition_implILS5_8ELb0ES3_jPKtPS6_PKS6_NS0_5tupleIJPtS6_EEENSE_IJSB_SB_EEENS0_18inequality_wrapperIN6hipcub16HIPCUB_304000_NS8EqualityEEEPlJS6_EEE10hipError_tPvRmT3_T4_T5_T6_T7_T9_mT8_P12ihipStream_tbDpT10_ENKUlT_T0_E_clISt17integral_constantIbLb1EES16_IbLb0EEEEDaS12_S13_EUlS12_E_NS1_11comp_targetILNS1_3genE4ELNS1_11target_archE910ELNS1_3gpuE8ELNS1_3repE0EEENS1_30default_config_static_selectorELNS0_4arch9wavefront6targetE0EEEvT1_, .Lfunc_end773-_ZN7rocprim17ROCPRIM_400000_NS6detail17trampoline_kernelINS0_14default_configENS1_25partition_config_selectorILNS1_17partition_subalgoE8EtNS0_10empty_typeEbEEZZNS1_14partition_implILS5_8ELb0ES3_jPKtPS6_PKS6_NS0_5tupleIJPtS6_EEENSE_IJSB_SB_EEENS0_18inequality_wrapperIN6hipcub16HIPCUB_304000_NS8EqualityEEEPlJS6_EEE10hipError_tPvRmT3_T4_T5_T6_T7_T9_mT8_P12ihipStream_tbDpT10_ENKUlT_T0_E_clISt17integral_constantIbLb1EES16_IbLb0EEEEDaS12_S13_EUlS12_E_NS1_11comp_targetILNS1_3genE4ELNS1_11target_archE910ELNS1_3gpuE8ELNS1_3repE0EEENS1_30default_config_static_selectorELNS0_4arch9wavefront6targetE0EEEvT1_
                                        ; -- End function
	.set _ZN7rocprim17ROCPRIM_400000_NS6detail17trampoline_kernelINS0_14default_configENS1_25partition_config_selectorILNS1_17partition_subalgoE8EtNS0_10empty_typeEbEEZZNS1_14partition_implILS5_8ELb0ES3_jPKtPS6_PKS6_NS0_5tupleIJPtS6_EEENSE_IJSB_SB_EEENS0_18inequality_wrapperIN6hipcub16HIPCUB_304000_NS8EqualityEEEPlJS6_EEE10hipError_tPvRmT3_T4_T5_T6_T7_T9_mT8_P12ihipStream_tbDpT10_ENKUlT_T0_E_clISt17integral_constantIbLb1EES16_IbLb0EEEEDaS12_S13_EUlS12_E_NS1_11comp_targetILNS1_3genE4ELNS1_11target_archE910ELNS1_3gpuE8ELNS1_3repE0EEENS1_30default_config_static_selectorELNS0_4arch9wavefront6targetE0EEEvT1_.num_vgpr, 0
	.set _ZN7rocprim17ROCPRIM_400000_NS6detail17trampoline_kernelINS0_14default_configENS1_25partition_config_selectorILNS1_17partition_subalgoE8EtNS0_10empty_typeEbEEZZNS1_14partition_implILS5_8ELb0ES3_jPKtPS6_PKS6_NS0_5tupleIJPtS6_EEENSE_IJSB_SB_EEENS0_18inequality_wrapperIN6hipcub16HIPCUB_304000_NS8EqualityEEEPlJS6_EEE10hipError_tPvRmT3_T4_T5_T6_T7_T9_mT8_P12ihipStream_tbDpT10_ENKUlT_T0_E_clISt17integral_constantIbLb1EES16_IbLb0EEEEDaS12_S13_EUlS12_E_NS1_11comp_targetILNS1_3genE4ELNS1_11target_archE910ELNS1_3gpuE8ELNS1_3repE0EEENS1_30default_config_static_selectorELNS0_4arch9wavefront6targetE0EEEvT1_.num_agpr, 0
	.set _ZN7rocprim17ROCPRIM_400000_NS6detail17trampoline_kernelINS0_14default_configENS1_25partition_config_selectorILNS1_17partition_subalgoE8EtNS0_10empty_typeEbEEZZNS1_14partition_implILS5_8ELb0ES3_jPKtPS6_PKS6_NS0_5tupleIJPtS6_EEENSE_IJSB_SB_EEENS0_18inequality_wrapperIN6hipcub16HIPCUB_304000_NS8EqualityEEEPlJS6_EEE10hipError_tPvRmT3_T4_T5_T6_T7_T9_mT8_P12ihipStream_tbDpT10_ENKUlT_T0_E_clISt17integral_constantIbLb1EES16_IbLb0EEEEDaS12_S13_EUlS12_E_NS1_11comp_targetILNS1_3genE4ELNS1_11target_archE910ELNS1_3gpuE8ELNS1_3repE0EEENS1_30default_config_static_selectorELNS0_4arch9wavefront6targetE0EEEvT1_.numbered_sgpr, 0
	.set _ZN7rocprim17ROCPRIM_400000_NS6detail17trampoline_kernelINS0_14default_configENS1_25partition_config_selectorILNS1_17partition_subalgoE8EtNS0_10empty_typeEbEEZZNS1_14partition_implILS5_8ELb0ES3_jPKtPS6_PKS6_NS0_5tupleIJPtS6_EEENSE_IJSB_SB_EEENS0_18inequality_wrapperIN6hipcub16HIPCUB_304000_NS8EqualityEEEPlJS6_EEE10hipError_tPvRmT3_T4_T5_T6_T7_T9_mT8_P12ihipStream_tbDpT10_ENKUlT_T0_E_clISt17integral_constantIbLb1EES16_IbLb0EEEEDaS12_S13_EUlS12_E_NS1_11comp_targetILNS1_3genE4ELNS1_11target_archE910ELNS1_3gpuE8ELNS1_3repE0EEENS1_30default_config_static_selectorELNS0_4arch9wavefront6targetE0EEEvT1_.num_named_barrier, 0
	.set _ZN7rocprim17ROCPRIM_400000_NS6detail17trampoline_kernelINS0_14default_configENS1_25partition_config_selectorILNS1_17partition_subalgoE8EtNS0_10empty_typeEbEEZZNS1_14partition_implILS5_8ELb0ES3_jPKtPS6_PKS6_NS0_5tupleIJPtS6_EEENSE_IJSB_SB_EEENS0_18inequality_wrapperIN6hipcub16HIPCUB_304000_NS8EqualityEEEPlJS6_EEE10hipError_tPvRmT3_T4_T5_T6_T7_T9_mT8_P12ihipStream_tbDpT10_ENKUlT_T0_E_clISt17integral_constantIbLb1EES16_IbLb0EEEEDaS12_S13_EUlS12_E_NS1_11comp_targetILNS1_3genE4ELNS1_11target_archE910ELNS1_3gpuE8ELNS1_3repE0EEENS1_30default_config_static_selectorELNS0_4arch9wavefront6targetE0EEEvT1_.private_seg_size, 0
	.set _ZN7rocprim17ROCPRIM_400000_NS6detail17trampoline_kernelINS0_14default_configENS1_25partition_config_selectorILNS1_17partition_subalgoE8EtNS0_10empty_typeEbEEZZNS1_14partition_implILS5_8ELb0ES3_jPKtPS6_PKS6_NS0_5tupleIJPtS6_EEENSE_IJSB_SB_EEENS0_18inequality_wrapperIN6hipcub16HIPCUB_304000_NS8EqualityEEEPlJS6_EEE10hipError_tPvRmT3_T4_T5_T6_T7_T9_mT8_P12ihipStream_tbDpT10_ENKUlT_T0_E_clISt17integral_constantIbLb1EES16_IbLb0EEEEDaS12_S13_EUlS12_E_NS1_11comp_targetILNS1_3genE4ELNS1_11target_archE910ELNS1_3gpuE8ELNS1_3repE0EEENS1_30default_config_static_selectorELNS0_4arch9wavefront6targetE0EEEvT1_.uses_vcc, 0
	.set _ZN7rocprim17ROCPRIM_400000_NS6detail17trampoline_kernelINS0_14default_configENS1_25partition_config_selectorILNS1_17partition_subalgoE8EtNS0_10empty_typeEbEEZZNS1_14partition_implILS5_8ELb0ES3_jPKtPS6_PKS6_NS0_5tupleIJPtS6_EEENSE_IJSB_SB_EEENS0_18inequality_wrapperIN6hipcub16HIPCUB_304000_NS8EqualityEEEPlJS6_EEE10hipError_tPvRmT3_T4_T5_T6_T7_T9_mT8_P12ihipStream_tbDpT10_ENKUlT_T0_E_clISt17integral_constantIbLb1EES16_IbLb0EEEEDaS12_S13_EUlS12_E_NS1_11comp_targetILNS1_3genE4ELNS1_11target_archE910ELNS1_3gpuE8ELNS1_3repE0EEENS1_30default_config_static_selectorELNS0_4arch9wavefront6targetE0EEEvT1_.uses_flat_scratch, 0
	.set _ZN7rocprim17ROCPRIM_400000_NS6detail17trampoline_kernelINS0_14default_configENS1_25partition_config_selectorILNS1_17partition_subalgoE8EtNS0_10empty_typeEbEEZZNS1_14partition_implILS5_8ELb0ES3_jPKtPS6_PKS6_NS0_5tupleIJPtS6_EEENSE_IJSB_SB_EEENS0_18inequality_wrapperIN6hipcub16HIPCUB_304000_NS8EqualityEEEPlJS6_EEE10hipError_tPvRmT3_T4_T5_T6_T7_T9_mT8_P12ihipStream_tbDpT10_ENKUlT_T0_E_clISt17integral_constantIbLb1EES16_IbLb0EEEEDaS12_S13_EUlS12_E_NS1_11comp_targetILNS1_3genE4ELNS1_11target_archE910ELNS1_3gpuE8ELNS1_3repE0EEENS1_30default_config_static_selectorELNS0_4arch9wavefront6targetE0EEEvT1_.has_dyn_sized_stack, 0
	.set _ZN7rocprim17ROCPRIM_400000_NS6detail17trampoline_kernelINS0_14default_configENS1_25partition_config_selectorILNS1_17partition_subalgoE8EtNS0_10empty_typeEbEEZZNS1_14partition_implILS5_8ELb0ES3_jPKtPS6_PKS6_NS0_5tupleIJPtS6_EEENSE_IJSB_SB_EEENS0_18inequality_wrapperIN6hipcub16HIPCUB_304000_NS8EqualityEEEPlJS6_EEE10hipError_tPvRmT3_T4_T5_T6_T7_T9_mT8_P12ihipStream_tbDpT10_ENKUlT_T0_E_clISt17integral_constantIbLb1EES16_IbLb0EEEEDaS12_S13_EUlS12_E_NS1_11comp_targetILNS1_3genE4ELNS1_11target_archE910ELNS1_3gpuE8ELNS1_3repE0EEENS1_30default_config_static_selectorELNS0_4arch9wavefront6targetE0EEEvT1_.has_recursion, 0
	.set _ZN7rocprim17ROCPRIM_400000_NS6detail17trampoline_kernelINS0_14default_configENS1_25partition_config_selectorILNS1_17partition_subalgoE8EtNS0_10empty_typeEbEEZZNS1_14partition_implILS5_8ELb0ES3_jPKtPS6_PKS6_NS0_5tupleIJPtS6_EEENSE_IJSB_SB_EEENS0_18inequality_wrapperIN6hipcub16HIPCUB_304000_NS8EqualityEEEPlJS6_EEE10hipError_tPvRmT3_T4_T5_T6_T7_T9_mT8_P12ihipStream_tbDpT10_ENKUlT_T0_E_clISt17integral_constantIbLb1EES16_IbLb0EEEEDaS12_S13_EUlS12_E_NS1_11comp_targetILNS1_3genE4ELNS1_11target_archE910ELNS1_3gpuE8ELNS1_3repE0EEENS1_30default_config_static_selectorELNS0_4arch9wavefront6targetE0EEEvT1_.has_indirect_call, 0
	.section	.AMDGPU.csdata,"",@progbits
; Kernel info:
; codeLenInByte = 0
; TotalNumSgprs: 0
; NumVgprs: 0
; ScratchSize: 0
; MemoryBound: 0
; FloatMode: 240
; IeeeMode: 1
; LDSByteSize: 0 bytes/workgroup (compile time only)
; SGPRBlocks: 0
; VGPRBlocks: 0
; NumSGPRsForWavesPerEU: 1
; NumVGPRsForWavesPerEU: 1
; NamedBarCnt: 0
; Occupancy: 16
; WaveLimiterHint : 0
; COMPUTE_PGM_RSRC2:SCRATCH_EN: 0
; COMPUTE_PGM_RSRC2:USER_SGPR: 2
; COMPUTE_PGM_RSRC2:TRAP_HANDLER: 0
; COMPUTE_PGM_RSRC2:TGID_X_EN: 1
; COMPUTE_PGM_RSRC2:TGID_Y_EN: 0
; COMPUTE_PGM_RSRC2:TGID_Z_EN: 0
; COMPUTE_PGM_RSRC2:TIDIG_COMP_CNT: 0
	.section	.text._ZN7rocprim17ROCPRIM_400000_NS6detail17trampoline_kernelINS0_14default_configENS1_25partition_config_selectorILNS1_17partition_subalgoE8EtNS0_10empty_typeEbEEZZNS1_14partition_implILS5_8ELb0ES3_jPKtPS6_PKS6_NS0_5tupleIJPtS6_EEENSE_IJSB_SB_EEENS0_18inequality_wrapperIN6hipcub16HIPCUB_304000_NS8EqualityEEEPlJS6_EEE10hipError_tPvRmT3_T4_T5_T6_T7_T9_mT8_P12ihipStream_tbDpT10_ENKUlT_T0_E_clISt17integral_constantIbLb1EES16_IbLb0EEEEDaS12_S13_EUlS12_E_NS1_11comp_targetILNS1_3genE3ELNS1_11target_archE908ELNS1_3gpuE7ELNS1_3repE0EEENS1_30default_config_static_selectorELNS0_4arch9wavefront6targetE0EEEvT1_,"axG",@progbits,_ZN7rocprim17ROCPRIM_400000_NS6detail17trampoline_kernelINS0_14default_configENS1_25partition_config_selectorILNS1_17partition_subalgoE8EtNS0_10empty_typeEbEEZZNS1_14partition_implILS5_8ELb0ES3_jPKtPS6_PKS6_NS0_5tupleIJPtS6_EEENSE_IJSB_SB_EEENS0_18inequality_wrapperIN6hipcub16HIPCUB_304000_NS8EqualityEEEPlJS6_EEE10hipError_tPvRmT3_T4_T5_T6_T7_T9_mT8_P12ihipStream_tbDpT10_ENKUlT_T0_E_clISt17integral_constantIbLb1EES16_IbLb0EEEEDaS12_S13_EUlS12_E_NS1_11comp_targetILNS1_3genE3ELNS1_11target_archE908ELNS1_3gpuE7ELNS1_3repE0EEENS1_30default_config_static_selectorELNS0_4arch9wavefront6targetE0EEEvT1_,comdat
	.protected	_ZN7rocprim17ROCPRIM_400000_NS6detail17trampoline_kernelINS0_14default_configENS1_25partition_config_selectorILNS1_17partition_subalgoE8EtNS0_10empty_typeEbEEZZNS1_14partition_implILS5_8ELb0ES3_jPKtPS6_PKS6_NS0_5tupleIJPtS6_EEENSE_IJSB_SB_EEENS0_18inequality_wrapperIN6hipcub16HIPCUB_304000_NS8EqualityEEEPlJS6_EEE10hipError_tPvRmT3_T4_T5_T6_T7_T9_mT8_P12ihipStream_tbDpT10_ENKUlT_T0_E_clISt17integral_constantIbLb1EES16_IbLb0EEEEDaS12_S13_EUlS12_E_NS1_11comp_targetILNS1_3genE3ELNS1_11target_archE908ELNS1_3gpuE7ELNS1_3repE0EEENS1_30default_config_static_selectorELNS0_4arch9wavefront6targetE0EEEvT1_ ; -- Begin function _ZN7rocprim17ROCPRIM_400000_NS6detail17trampoline_kernelINS0_14default_configENS1_25partition_config_selectorILNS1_17partition_subalgoE8EtNS0_10empty_typeEbEEZZNS1_14partition_implILS5_8ELb0ES3_jPKtPS6_PKS6_NS0_5tupleIJPtS6_EEENSE_IJSB_SB_EEENS0_18inequality_wrapperIN6hipcub16HIPCUB_304000_NS8EqualityEEEPlJS6_EEE10hipError_tPvRmT3_T4_T5_T6_T7_T9_mT8_P12ihipStream_tbDpT10_ENKUlT_T0_E_clISt17integral_constantIbLb1EES16_IbLb0EEEEDaS12_S13_EUlS12_E_NS1_11comp_targetILNS1_3genE3ELNS1_11target_archE908ELNS1_3gpuE7ELNS1_3repE0EEENS1_30default_config_static_selectorELNS0_4arch9wavefront6targetE0EEEvT1_
	.globl	_ZN7rocprim17ROCPRIM_400000_NS6detail17trampoline_kernelINS0_14default_configENS1_25partition_config_selectorILNS1_17partition_subalgoE8EtNS0_10empty_typeEbEEZZNS1_14partition_implILS5_8ELb0ES3_jPKtPS6_PKS6_NS0_5tupleIJPtS6_EEENSE_IJSB_SB_EEENS0_18inequality_wrapperIN6hipcub16HIPCUB_304000_NS8EqualityEEEPlJS6_EEE10hipError_tPvRmT3_T4_T5_T6_T7_T9_mT8_P12ihipStream_tbDpT10_ENKUlT_T0_E_clISt17integral_constantIbLb1EES16_IbLb0EEEEDaS12_S13_EUlS12_E_NS1_11comp_targetILNS1_3genE3ELNS1_11target_archE908ELNS1_3gpuE7ELNS1_3repE0EEENS1_30default_config_static_selectorELNS0_4arch9wavefront6targetE0EEEvT1_
	.p2align	8
	.type	_ZN7rocprim17ROCPRIM_400000_NS6detail17trampoline_kernelINS0_14default_configENS1_25partition_config_selectorILNS1_17partition_subalgoE8EtNS0_10empty_typeEbEEZZNS1_14partition_implILS5_8ELb0ES3_jPKtPS6_PKS6_NS0_5tupleIJPtS6_EEENSE_IJSB_SB_EEENS0_18inequality_wrapperIN6hipcub16HIPCUB_304000_NS8EqualityEEEPlJS6_EEE10hipError_tPvRmT3_T4_T5_T6_T7_T9_mT8_P12ihipStream_tbDpT10_ENKUlT_T0_E_clISt17integral_constantIbLb1EES16_IbLb0EEEEDaS12_S13_EUlS12_E_NS1_11comp_targetILNS1_3genE3ELNS1_11target_archE908ELNS1_3gpuE7ELNS1_3repE0EEENS1_30default_config_static_selectorELNS0_4arch9wavefront6targetE0EEEvT1_,@function
_ZN7rocprim17ROCPRIM_400000_NS6detail17trampoline_kernelINS0_14default_configENS1_25partition_config_selectorILNS1_17partition_subalgoE8EtNS0_10empty_typeEbEEZZNS1_14partition_implILS5_8ELb0ES3_jPKtPS6_PKS6_NS0_5tupleIJPtS6_EEENSE_IJSB_SB_EEENS0_18inequality_wrapperIN6hipcub16HIPCUB_304000_NS8EqualityEEEPlJS6_EEE10hipError_tPvRmT3_T4_T5_T6_T7_T9_mT8_P12ihipStream_tbDpT10_ENKUlT_T0_E_clISt17integral_constantIbLb1EES16_IbLb0EEEEDaS12_S13_EUlS12_E_NS1_11comp_targetILNS1_3genE3ELNS1_11target_archE908ELNS1_3gpuE7ELNS1_3repE0EEENS1_30default_config_static_selectorELNS0_4arch9wavefront6targetE0EEEvT1_: ; @_ZN7rocprim17ROCPRIM_400000_NS6detail17trampoline_kernelINS0_14default_configENS1_25partition_config_selectorILNS1_17partition_subalgoE8EtNS0_10empty_typeEbEEZZNS1_14partition_implILS5_8ELb0ES3_jPKtPS6_PKS6_NS0_5tupleIJPtS6_EEENSE_IJSB_SB_EEENS0_18inequality_wrapperIN6hipcub16HIPCUB_304000_NS8EqualityEEEPlJS6_EEE10hipError_tPvRmT3_T4_T5_T6_T7_T9_mT8_P12ihipStream_tbDpT10_ENKUlT_T0_E_clISt17integral_constantIbLb1EES16_IbLb0EEEEDaS12_S13_EUlS12_E_NS1_11comp_targetILNS1_3genE3ELNS1_11target_archE908ELNS1_3gpuE7ELNS1_3repE0EEENS1_30default_config_static_selectorELNS0_4arch9wavefront6targetE0EEEvT1_
; %bb.0:
	.section	.rodata,"a",@progbits
	.p2align	6, 0x0
	.amdhsa_kernel _ZN7rocprim17ROCPRIM_400000_NS6detail17trampoline_kernelINS0_14default_configENS1_25partition_config_selectorILNS1_17partition_subalgoE8EtNS0_10empty_typeEbEEZZNS1_14partition_implILS5_8ELb0ES3_jPKtPS6_PKS6_NS0_5tupleIJPtS6_EEENSE_IJSB_SB_EEENS0_18inequality_wrapperIN6hipcub16HIPCUB_304000_NS8EqualityEEEPlJS6_EEE10hipError_tPvRmT3_T4_T5_T6_T7_T9_mT8_P12ihipStream_tbDpT10_ENKUlT_T0_E_clISt17integral_constantIbLb1EES16_IbLb0EEEEDaS12_S13_EUlS12_E_NS1_11comp_targetILNS1_3genE3ELNS1_11target_archE908ELNS1_3gpuE7ELNS1_3repE0EEENS1_30default_config_static_selectorELNS0_4arch9wavefront6targetE0EEEvT1_
		.amdhsa_group_segment_fixed_size 0
		.amdhsa_private_segment_fixed_size 0
		.amdhsa_kernarg_size 112
		.amdhsa_user_sgpr_count 2
		.amdhsa_user_sgpr_dispatch_ptr 0
		.amdhsa_user_sgpr_queue_ptr 0
		.amdhsa_user_sgpr_kernarg_segment_ptr 1
		.amdhsa_user_sgpr_dispatch_id 0
		.amdhsa_user_sgpr_kernarg_preload_length 0
		.amdhsa_user_sgpr_kernarg_preload_offset 0
		.amdhsa_user_sgpr_private_segment_size 0
		.amdhsa_wavefront_size32 1
		.amdhsa_uses_dynamic_stack 0
		.amdhsa_enable_private_segment 0
		.amdhsa_system_sgpr_workgroup_id_x 1
		.amdhsa_system_sgpr_workgroup_id_y 0
		.amdhsa_system_sgpr_workgroup_id_z 0
		.amdhsa_system_sgpr_workgroup_info 0
		.amdhsa_system_vgpr_workitem_id 0
		.amdhsa_next_free_vgpr 1
		.amdhsa_next_free_sgpr 1
		.amdhsa_named_barrier_count 0
		.amdhsa_reserve_vcc 0
		.amdhsa_float_round_mode_32 0
		.amdhsa_float_round_mode_16_64 0
		.amdhsa_float_denorm_mode_32 3
		.amdhsa_float_denorm_mode_16_64 3
		.amdhsa_fp16_overflow 0
		.amdhsa_memory_ordered 1
		.amdhsa_forward_progress 1
		.amdhsa_inst_pref_size 0
		.amdhsa_round_robin_scheduling 0
		.amdhsa_exception_fp_ieee_invalid_op 0
		.amdhsa_exception_fp_denorm_src 0
		.amdhsa_exception_fp_ieee_div_zero 0
		.amdhsa_exception_fp_ieee_overflow 0
		.amdhsa_exception_fp_ieee_underflow 0
		.amdhsa_exception_fp_ieee_inexact 0
		.amdhsa_exception_int_div_zero 0
	.end_amdhsa_kernel
	.section	.text._ZN7rocprim17ROCPRIM_400000_NS6detail17trampoline_kernelINS0_14default_configENS1_25partition_config_selectorILNS1_17partition_subalgoE8EtNS0_10empty_typeEbEEZZNS1_14partition_implILS5_8ELb0ES3_jPKtPS6_PKS6_NS0_5tupleIJPtS6_EEENSE_IJSB_SB_EEENS0_18inequality_wrapperIN6hipcub16HIPCUB_304000_NS8EqualityEEEPlJS6_EEE10hipError_tPvRmT3_T4_T5_T6_T7_T9_mT8_P12ihipStream_tbDpT10_ENKUlT_T0_E_clISt17integral_constantIbLb1EES16_IbLb0EEEEDaS12_S13_EUlS12_E_NS1_11comp_targetILNS1_3genE3ELNS1_11target_archE908ELNS1_3gpuE7ELNS1_3repE0EEENS1_30default_config_static_selectorELNS0_4arch9wavefront6targetE0EEEvT1_,"axG",@progbits,_ZN7rocprim17ROCPRIM_400000_NS6detail17trampoline_kernelINS0_14default_configENS1_25partition_config_selectorILNS1_17partition_subalgoE8EtNS0_10empty_typeEbEEZZNS1_14partition_implILS5_8ELb0ES3_jPKtPS6_PKS6_NS0_5tupleIJPtS6_EEENSE_IJSB_SB_EEENS0_18inequality_wrapperIN6hipcub16HIPCUB_304000_NS8EqualityEEEPlJS6_EEE10hipError_tPvRmT3_T4_T5_T6_T7_T9_mT8_P12ihipStream_tbDpT10_ENKUlT_T0_E_clISt17integral_constantIbLb1EES16_IbLb0EEEEDaS12_S13_EUlS12_E_NS1_11comp_targetILNS1_3genE3ELNS1_11target_archE908ELNS1_3gpuE7ELNS1_3repE0EEENS1_30default_config_static_selectorELNS0_4arch9wavefront6targetE0EEEvT1_,comdat
.Lfunc_end774:
	.size	_ZN7rocprim17ROCPRIM_400000_NS6detail17trampoline_kernelINS0_14default_configENS1_25partition_config_selectorILNS1_17partition_subalgoE8EtNS0_10empty_typeEbEEZZNS1_14partition_implILS5_8ELb0ES3_jPKtPS6_PKS6_NS0_5tupleIJPtS6_EEENSE_IJSB_SB_EEENS0_18inequality_wrapperIN6hipcub16HIPCUB_304000_NS8EqualityEEEPlJS6_EEE10hipError_tPvRmT3_T4_T5_T6_T7_T9_mT8_P12ihipStream_tbDpT10_ENKUlT_T0_E_clISt17integral_constantIbLb1EES16_IbLb0EEEEDaS12_S13_EUlS12_E_NS1_11comp_targetILNS1_3genE3ELNS1_11target_archE908ELNS1_3gpuE7ELNS1_3repE0EEENS1_30default_config_static_selectorELNS0_4arch9wavefront6targetE0EEEvT1_, .Lfunc_end774-_ZN7rocprim17ROCPRIM_400000_NS6detail17trampoline_kernelINS0_14default_configENS1_25partition_config_selectorILNS1_17partition_subalgoE8EtNS0_10empty_typeEbEEZZNS1_14partition_implILS5_8ELb0ES3_jPKtPS6_PKS6_NS0_5tupleIJPtS6_EEENSE_IJSB_SB_EEENS0_18inequality_wrapperIN6hipcub16HIPCUB_304000_NS8EqualityEEEPlJS6_EEE10hipError_tPvRmT3_T4_T5_T6_T7_T9_mT8_P12ihipStream_tbDpT10_ENKUlT_T0_E_clISt17integral_constantIbLb1EES16_IbLb0EEEEDaS12_S13_EUlS12_E_NS1_11comp_targetILNS1_3genE3ELNS1_11target_archE908ELNS1_3gpuE7ELNS1_3repE0EEENS1_30default_config_static_selectorELNS0_4arch9wavefront6targetE0EEEvT1_
                                        ; -- End function
	.set _ZN7rocprim17ROCPRIM_400000_NS6detail17trampoline_kernelINS0_14default_configENS1_25partition_config_selectorILNS1_17partition_subalgoE8EtNS0_10empty_typeEbEEZZNS1_14partition_implILS5_8ELb0ES3_jPKtPS6_PKS6_NS0_5tupleIJPtS6_EEENSE_IJSB_SB_EEENS0_18inequality_wrapperIN6hipcub16HIPCUB_304000_NS8EqualityEEEPlJS6_EEE10hipError_tPvRmT3_T4_T5_T6_T7_T9_mT8_P12ihipStream_tbDpT10_ENKUlT_T0_E_clISt17integral_constantIbLb1EES16_IbLb0EEEEDaS12_S13_EUlS12_E_NS1_11comp_targetILNS1_3genE3ELNS1_11target_archE908ELNS1_3gpuE7ELNS1_3repE0EEENS1_30default_config_static_selectorELNS0_4arch9wavefront6targetE0EEEvT1_.num_vgpr, 0
	.set _ZN7rocprim17ROCPRIM_400000_NS6detail17trampoline_kernelINS0_14default_configENS1_25partition_config_selectorILNS1_17partition_subalgoE8EtNS0_10empty_typeEbEEZZNS1_14partition_implILS5_8ELb0ES3_jPKtPS6_PKS6_NS0_5tupleIJPtS6_EEENSE_IJSB_SB_EEENS0_18inequality_wrapperIN6hipcub16HIPCUB_304000_NS8EqualityEEEPlJS6_EEE10hipError_tPvRmT3_T4_T5_T6_T7_T9_mT8_P12ihipStream_tbDpT10_ENKUlT_T0_E_clISt17integral_constantIbLb1EES16_IbLb0EEEEDaS12_S13_EUlS12_E_NS1_11comp_targetILNS1_3genE3ELNS1_11target_archE908ELNS1_3gpuE7ELNS1_3repE0EEENS1_30default_config_static_selectorELNS0_4arch9wavefront6targetE0EEEvT1_.num_agpr, 0
	.set _ZN7rocprim17ROCPRIM_400000_NS6detail17trampoline_kernelINS0_14default_configENS1_25partition_config_selectorILNS1_17partition_subalgoE8EtNS0_10empty_typeEbEEZZNS1_14partition_implILS5_8ELb0ES3_jPKtPS6_PKS6_NS0_5tupleIJPtS6_EEENSE_IJSB_SB_EEENS0_18inequality_wrapperIN6hipcub16HIPCUB_304000_NS8EqualityEEEPlJS6_EEE10hipError_tPvRmT3_T4_T5_T6_T7_T9_mT8_P12ihipStream_tbDpT10_ENKUlT_T0_E_clISt17integral_constantIbLb1EES16_IbLb0EEEEDaS12_S13_EUlS12_E_NS1_11comp_targetILNS1_3genE3ELNS1_11target_archE908ELNS1_3gpuE7ELNS1_3repE0EEENS1_30default_config_static_selectorELNS0_4arch9wavefront6targetE0EEEvT1_.numbered_sgpr, 0
	.set _ZN7rocprim17ROCPRIM_400000_NS6detail17trampoline_kernelINS0_14default_configENS1_25partition_config_selectorILNS1_17partition_subalgoE8EtNS0_10empty_typeEbEEZZNS1_14partition_implILS5_8ELb0ES3_jPKtPS6_PKS6_NS0_5tupleIJPtS6_EEENSE_IJSB_SB_EEENS0_18inequality_wrapperIN6hipcub16HIPCUB_304000_NS8EqualityEEEPlJS6_EEE10hipError_tPvRmT3_T4_T5_T6_T7_T9_mT8_P12ihipStream_tbDpT10_ENKUlT_T0_E_clISt17integral_constantIbLb1EES16_IbLb0EEEEDaS12_S13_EUlS12_E_NS1_11comp_targetILNS1_3genE3ELNS1_11target_archE908ELNS1_3gpuE7ELNS1_3repE0EEENS1_30default_config_static_selectorELNS0_4arch9wavefront6targetE0EEEvT1_.num_named_barrier, 0
	.set _ZN7rocprim17ROCPRIM_400000_NS6detail17trampoline_kernelINS0_14default_configENS1_25partition_config_selectorILNS1_17partition_subalgoE8EtNS0_10empty_typeEbEEZZNS1_14partition_implILS5_8ELb0ES3_jPKtPS6_PKS6_NS0_5tupleIJPtS6_EEENSE_IJSB_SB_EEENS0_18inequality_wrapperIN6hipcub16HIPCUB_304000_NS8EqualityEEEPlJS6_EEE10hipError_tPvRmT3_T4_T5_T6_T7_T9_mT8_P12ihipStream_tbDpT10_ENKUlT_T0_E_clISt17integral_constantIbLb1EES16_IbLb0EEEEDaS12_S13_EUlS12_E_NS1_11comp_targetILNS1_3genE3ELNS1_11target_archE908ELNS1_3gpuE7ELNS1_3repE0EEENS1_30default_config_static_selectorELNS0_4arch9wavefront6targetE0EEEvT1_.private_seg_size, 0
	.set _ZN7rocprim17ROCPRIM_400000_NS6detail17trampoline_kernelINS0_14default_configENS1_25partition_config_selectorILNS1_17partition_subalgoE8EtNS0_10empty_typeEbEEZZNS1_14partition_implILS5_8ELb0ES3_jPKtPS6_PKS6_NS0_5tupleIJPtS6_EEENSE_IJSB_SB_EEENS0_18inequality_wrapperIN6hipcub16HIPCUB_304000_NS8EqualityEEEPlJS6_EEE10hipError_tPvRmT3_T4_T5_T6_T7_T9_mT8_P12ihipStream_tbDpT10_ENKUlT_T0_E_clISt17integral_constantIbLb1EES16_IbLb0EEEEDaS12_S13_EUlS12_E_NS1_11comp_targetILNS1_3genE3ELNS1_11target_archE908ELNS1_3gpuE7ELNS1_3repE0EEENS1_30default_config_static_selectorELNS0_4arch9wavefront6targetE0EEEvT1_.uses_vcc, 0
	.set _ZN7rocprim17ROCPRIM_400000_NS6detail17trampoline_kernelINS0_14default_configENS1_25partition_config_selectorILNS1_17partition_subalgoE8EtNS0_10empty_typeEbEEZZNS1_14partition_implILS5_8ELb0ES3_jPKtPS6_PKS6_NS0_5tupleIJPtS6_EEENSE_IJSB_SB_EEENS0_18inequality_wrapperIN6hipcub16HIPCUB_304000_NS8EqualityEEEPlJS6_EEE10hipError_tPvRmT3_T4_T5_T6_T7_T9_mT8_P12ihipStream_tbDpT10_ENKUlT_T0_E_clISt17integral_constantIbLb1EES16_IbLb0EEEEDaS12_S13_EUlS12_E_NS1_11comp_targetILNS1_3genE3ELNS1_11target_archE908ELNS1_3gpuE7ELNS1_3repE0EEENS1_30default_config_static_selectorELNS0_4arch9wavefront6targetE0EEEvT1_.uses_flat_scratch, 0
	.set _ZN7rocprim17ROCPRIM_400000_NS6detail17trampoline_kernelINS0_14default_configENS1_25partition_config_selectorILNS1_17partition_subalgoE8EtNS0_10empty_typeEbEEZZNS1_14partition_implILS5_8ELb0ES3_jPKtPS6_PKS6_NS0_5tupleIJPtS6_EEENSE_IJSB_SB_EEENS0_18inequality_wrapperIN6hipcub16HIPCUB_304000_NS8EqualityEEEPlJS6_EEE10hipError_tPvRmT3_T4_T5_T6_T7_T9_mT8_P12ihipStream_tbDpT10_ENKUlT_T0_E_clISt17integral_constantIbLb1EES16_IbLb0EEEEDaS12_S13_EUlS12_E_NS1_11comp_targetILNS1_3genE3ELNS1_11target_archE908ELNS1_3gpuE7ELNS1_3repE0EEENS1_30default_config_static_selectorELNS0_4arch9wavefront6targetE0EEEvT1_.has_dyn_sized_stack, 0
	.set _ZN7rocprim17ROCPRIM_400000_NS6detail17trampoline_kernelINS0_14default_configENS1_25partition_config_selectorILNS1_17partition_subalgoE8EtNS0_10empty_typeEbEEZZNS1_14partition_implILS5_8ELb0ES3_jPKtPS6_PKS6_NS0_5tupleIJPtS6_EEENSE_IJSB_SB_EEENS0_18inequality_wrapperIN6hipcub16HIPCUB_304000_NS8EqualityEEEPlJS6_EEE10hipError_tPvRmT3_T4_T5_T6_T7_T9_mT8_P12ihipStream_tbDpT10_ENKUlT_T0_E_clISt17integral_constantIbLb1EES16_IbLb0EEEEDaS12_S13_EUlS12_E_NS1_11comp_targetILNS1_3genE3ELNS1_11target_archE908ELNS1_3gpuE7ELNS1_3repE0EEENS1_30default_config_static_selectorELNS0_4arch9wavefront6targetE0EEEvT1_.has_recursion, 0
	.set _ZN7rocprim17ROCPRIM_400000_NS6detail17trampoline_kernelINS0_14default_configENS1_25partition_config_selectorILNS1_17partition_subalgoE8EtNS0_10empty_typeEbEEZZNS1_14partition_implILS5_8ELb0ES3_jPKtPS6_PKS6_NS0_5tupleIJPtS6_EEENSE_IJSB_SB_EEENS0_18inequality_wrapperIN6hipcub16HIPCUB_304000_NS8EqualityEEEPlJS6_EEE10hipError_tPvRmT3_T4_T5_T6_T7_T9_mT8_P12ihipStream_tbDpT10_ENKUlT_T0_E_clISt17integral_constantIbLb1EES16_IbLb0EEEEDaS12_S13_EUlS12_E_NS1_11comp_targetILNS1_3genE3ELNS1_11target_archE908ELNS1_3gpuE7ELNS1_3repE0EEENS1_30default_config_static_selectorELNS0_4arch9wavefront6targetE0EEEvT1_.has_indirect_call, 0
	.section	.AMDGPU.csdata,"",@progbits
; Kernel info:
; codeLenInByte = 0
; TotalNumSgprs: 0
; NumVgprs: 0
; ScratchSize: 0
; MemoryBound: 0
; FloatMode: 240
; IeeeMode: 1
; LDSByteSize: 0 bytes/workgroup (compile time only)
; SGPRBlocks: 0
; VGPRBlocks: 0
; NumSGPRsForWavesPerEU: 1
; NumVGPRsForWavesPerEU: 1
; NamedBarCnt: 0
; Occupancy: 16
; WaveLimiterHint : 0
; COMPUTE_PGM_RSRC2:SCRATCH_EN: 0
; COMPUTE_PGM_RSRC2:USER_SGPR: 2
; COMPUTE_PGM_RSRC2:TRAP_HANDLER: 0
; COMPUTE_PGM_RSRC2:TGID_X_EN: 1
; COMPUTE_PGM_RSRC2:TGID_Y_EN: 0
; COMPUTE_PGM_RSRC2:TGID_Z_EN: 0
; COMPUTE_PGM_RSRC2:TIDIG_COMP_CNT: 0
	.section	.text._ZN7rocprim17ROCPRIM_400000_NS6detail17trampoline_kernelINS0_14default_configENS1_25partition_config_selectorILNS1_17partition_subalgoE8EtNS0_10empty_typeEbEEZZNS1_14partition_implILS5_8ELb0ES3_jPKtPS6_PKS6_NS0_5tupleIJPtS6_EEENSE_IJSB_SB_EEENS0_18inequality_wrapperIN6hipcub16HIPCUB_304000_NS8EqualityEEEPlJS6_EEE10hipError_tPvRmT3_T4_T5_T6_T7_T9_mT8_P12ihipStream_tbDpT10_ENKUlT_T0_E_clISt17integral_constantIbLb1EES16_IbLb0EEEEDaS12_S13_EUlS12_E_NS1_11comp_targetILNS1_3genE2ELNS1_11target_archE906ELNS1_3gpuE6ELNS1_3repE0EEENS1_30default_config_static_selectorELNS0_4arch9wavefront6targetE0EEEvT1_,"axG",@progbits,_ZN7rocprim17ROCPRIM_400000_NS6detail17trampoline_kernelINS0_14default_configENS1_25partition_config_selectorILNS1_17partition_subalgoE8EtNS0_10empty_typeEbEEZZNS1_14partition_implILS5_8ELb0ES3_jPKtPS6_PKS6_NS0_5tupleIJPtS6_EEENSE_IJSB_SB_EEENS0_18inequality_wrapperIN6hipcub16HIPCUB_304000_NS8EqualityEEEPlJS6_EEE10hipError_tPvRmT3_T4_T5_T6_T7_T9_mT8_P12ihipStream_tbDpT10_ENKUlT_T0_E_clISt17integral_constantIbLb1EES16_IbLb0EEEEDaS12_S13_EUlS12_E_NS1_11comp_targetILNS1_3genE2ELNS1_11target_archE906ELNS1_3gpuE6ELNS1_3repE0EEENS1_30default_config_static_selectorELNS0_4arch9wavefront6targetE0EEEvT1_,comdat
	.protected	_ZN7rocprim17ROCPRIM_400000_NS6detail17trampoline_kernelINS0_14default_configENS1_25partition_config_selectorILNS1_17partition_subalgoE8EtNS0_10empty_typeEbEEZZNS1_14partition_implILS5_8ELb0ES3_jPKtPS6_PKS6_NS0_5tupleIJPtS6_EEENSE_IJSB_SB_EEENS0_18inequality_wrapperIN6hipcub16HIPCUB_304000_NS8EqualityEEEPlJS6_EEE10hipError_tPvRmT3_T4_T5_T6_T7_T9_mT8_P12ihipStream_tbDpT10_ENKUlT_T0_E_clISt17integral_constantIbLb1EES16_IbLb0EEEEDaS12_S13_EUlS12_E_NS1_11comp_targetILNS1_3genE2ELNS1_11target_archE906ELNS1_3gpuE6ELNS1_3repE0EEENS1_30default_config_static_selectorELNS0_4arch9wavefront6targetE0EEEvT1_ ; -- Begin function _ZN7rocprim17ROCPRIM_400000_NS6detail17trampoline_kernelINS0_14default_configENS1_25partition_config_selectorILNS1_17partition_subalgoE8EtNS0_10empty_typeEbEEZZNS1_14partition_implILS5_8ELb0ES3_jPKtPS6_PKS6_NS0_5tupleIJPtS6_EEENSE_IJSB_SB_EEENS0_18inequality_wrapperIN6hipcub16HIPCUB_304000_NS8EqualityEEEPlJS6_EEE10hipError_tPvRmT3_T4_T5_T6_T7_T9_mT8_P12ihipStream_tbDpT10_ENKUlT_T0_E_clISt17integral_constantIbLb1EES16_IbLb0EEEEDaS12_S13_EUlS12_E_NS1_11comp_targetILNS1_3genE2ELNS1_11target_archE906ELNS1_3gpuE6ELNS1_3repE0EEENS1_30default_config_static_selectorELNS0_4arch9wavefront6targetE0EEEvT1_
	.globl	_ZN7rocprim17ROCPRIM_400000_NS6detail17trampoline_kernelINS0_14default_configENS1_25partition_config_selectorILNS1_17partition_subalgoE8EtNS0_10empty_typeEbEEZZNS1_14partition_implILS5_8ELb0ES3_jPKtPS6_PKS6_NS0_5tupleIJPtS6_EEENSE_IJSB_SB_EEENS0_18inequality_wrapperIN6hipcub16HIPCUB_304000_NS8EqualityEEEPlJS6_EEE10hipError_tPvRmT3_T4_T5_T6_T7_T9_mT8_P12ihipStream_tbDpT10_ENKUlT_T0_E_clISt17integral_constantIbLb1EES16_IbLb0EEEEDaS12_S13_EUlS12_E_NS1_11comp_targetILNS1_3genE2ELNS1_11target_archE906ELNS1_3gpuE6ELNS1_3repE0EEENS1_30default_config_static_selectorELNS0_4arch9wavefront6targetE0EEEvT1_
	.p2align	8
	.type	_ZN7rocprim17ROCPRIM_400000_NS6detail17trampoline_kernelINS0_14default_configENS1_25partition_config_selectorILNS1_17partition_subalgoE8EtNS0_10empty_typeEbEEZZNS1_14partition_implILS5_8ELb0ES3_jPKtPS6_PKS6_NS0_5tupleIJPtS6_EEENSE_IJSB_SB_EEENS0_18inequality_wrapperIN6hipcub16HIPCUB_304000_NS8EqualityEEEPlJS6_EEE10hipError_tPvRmT3_T4_T5_T6_T7_T9_mT8_P12ihipStream_tbDpT10_ENKUlT_T0_E_clISt17integral_constantIbLb1EES16_IbLb0EEEEDaS12_S13_EUlS12_E_NS1_11comp_targetILNS1_3genE2ELNS1_11target_archE906ELNS1_3gpuE6ELNS1_3repE0EEENS1_30default_config_static_selectorELNS0_4arch9wavefront6targetE0EEEvT1_,@function
_ZN7rocprim17ROCPRIM_400000_NS6detail17trampoline_kernelINS0_14default_configENS1_25partition_config_selectorILNS1_17partition_subalgoE8EtNS0_10empty_typeEbEEZZNS1_14partition_implILS5_8ELb0ES3_jPKtPS6_PKS6_NS0_5tupleIJPtS6_EEENSE_IJSB_SB_EEENS0_18inequality_wrapperIN6hipcub16HIPCUB_304000_NS8EqualityEEEPlJS6_EEE10hipError_tPvRmT3_T4_T5_T6_T7_T9_mT8_P12ihipStream_tbDpT10_ENKUlT_T0_E_clISt17integral_constantIbLb1EES16_IbLb0EEEEDaS12_S13_EUlS12_E_NS1_11comp_targetILNS1_3genE2ELNS1_11target_archE906ELNS1_3gpuE6ELNS1_3repE0EEENS1_30default_config_static_selectorELNS0_4arch9wavefront6targetE0EEEvT1_: ; @_ZN7rocprim17ROCPRIM_400000_NS6detail17trampoline_kernelINS0_14default_configENS1_25partition_config_selectorILNS1_17partition_subalgoE8EtNS0_10empty_typeEbEEZZNS1_14partition_implILS5_8ELb0ES3_jPKtPS6_PKS6_NS0_5tupleIJPtS6_EEENSE_IJSB_SB_EEENS0_18inequality_wrapperIN6hipcub16HIPCUB_304000_NS8EqualityEEEPlJS6_EEE10hipError_tPvRmT3_T4_T5_T6_T7_T9_mT8_P12ihipStream_tbDpT10_ENKUlT_T0_E_clISt17integral_constantIbLb1EES16_IbLb0EEEEDaS12_S13_EUlS12_E_NS1_11comp_targetILNS1_3genE2ELNS1_11target_archE906ELNS1_3gpuE6ELNS1_3repE0EEENS1_30default_config_static_selectorELNS0_4arch9wavefront6targetE0EEEvT1_
; %bb.0:
	.section	.rodata,"a",@progbits
	.p2align	6, 0x0
	.amdhsa_kernel _ZN7rocprim17ROCPRIM_400000_NS6detail17trampoline_kernelINS0_14default_configENS1_25partition_config_selectorILNS1_17partition_subalgoE8EtNS0_10empty_typeEbEEZZNS1_14partition_implILS5_8ELb0ES3_jPKtPS6_PKS6_NS0_5tupleIJPtS6_EEENSE_IJSB_SB_EEENS0_18inequality_wrapperIN6hipcub16HIPCUB_304000_NS8EqualityEEEPlJS6_EEE10hipError_tPvRmT3_T4_T5_T6_T7_T9_mT8_P12ihipStream_tbDpT10_ENKUlT_T0_E_clISt17integral_constantIbLb1EES16_IbLb0EEEEDaS12_S13_EUlS12_E_NS1_11comp_targetILNS1_3genE2ELNS1_11target_archE906ELNS1_3gpuE6ELNS1_3repE0EEENS1_30default_config_static_selectorELNS0_4arch9wavefront6targetE0EEEvT1_
		.amdhsa_group_segment_fixed_size 0
		.amdhsa_private_segment_fixed_size 0
		.amdhsa_kernarg_size 112
		.amdhsa_user_sgpr_count 2
		.amdhsa_user_sgpr_dispatch_ptr 0
		.amdhsa_user_sgpr_queue_ptr 0
		.amdhsa_user_sgpr_kernarg_segment_ptr 1
		.amdhsa_user_sgpr_dispatch_id 0
		.amdhsa_user_sgpr_kernarg_preload_length 0
		.amdhsa_user_sgpr_kernarg_preload_offset 0
		.amdhsa_user_sgpr_private_segment_size 0
		.amdhsa_wavefront_size32 1
		.amdhsa_uses_dynamic_stack 0
		.amdhsa_enable_private_segment 0
		.amdhsa_system_sgpr_workgroup_id_x 1
		.amdhsa_system_sgpr_workgroup_id_y 0
		.amdhsa_system_sgpr_workgroup_id_z 0
		.amdhsa_system_sgpr_workgroup_info 0
		.amdhsa_system_vgpr_workitem_id 0
		.amdhsa_next_free_vgpr 1
		.amdhsa_next_free_sgpr 1
		.amdhsa_named_barrier_count 0
		.amdhsa_reserve_vcc 0
		.amdhsa_float_round_mode_32 0
		.amdhsa_float_round_mode_16_64 0
		.amdhsa_float_denorm_mode_32 3
		.amdhsa_float_denorm_mode_16_64 3
		.amdhsa_fp16_overflow 0
		.amdhsa_memory_ordered 1
		.amdhsa_forward_progress 1
		.amdhsa_inst_pref_size 0
		.amdhsa_round_robin_scheduling 0
		.amdhsa_exception_fp_ieee_invalid_op 0
		.amdhsa_exception_fp_denorm_src 0
		.amdhsa_exception_fp_ieee_div_zero 0
		.amdhsa_exception_fp_ieee_overflow 0
		.amdhsa_exception_fp_ieee_underflow 0
		.amdhsa_exception_fp_ieee_inexact 0
		.amdhsa_exception_int_div_zero 0
	.end_amdhsa_kernel
	.section	.text._ZN7rocprim17ROCPRIM_400000_NS6detail17trampoline_kernelINS0_14default_configENS1_25partition_config_selectorILNS1_17partition_subalgoE8EtNS0_10empty_typeEbEEZZNS1_14partition_implILS5_8ELb0ES3_jPKtPS6_PKS6_NS0_5tupleIJPtS6_EEENSE_IJSB_SB_EEENS0_18inequality_wrapperIN6hipcub16HIPCUB_304000_NS8EqualityEEEPlJS6_EEE10hipError_tPvRmT3_T4_T5_T6_T7_T9_mT8_P12ihipStream_tbDpT10_ENKUlT_T0_E_clISt17integral_constantIbLb1EES16_IbLb0EEEEDaS12_S13_EUlS12_E_NS1_11comp_targetILNS1_3genE2ELNS1_11target_archE906ELNS1_3gpuE6ELNS1_3repE0EEENS1_30default_config_static_selectorELNS0_4arch9wavefront6targetE0EEEvT1_,"axG",@progbits,_ZN7rocprim17ROCPRIM_400000_NS6detail17trampoline_kernelINS0_14default_configENS1_25partition_config_selectorILNS1_17partition_subalgoE8EtNS0_10empty_typeEbEEZZNS1_14partition_implILS5_8ELb0ES3_jPKtPS6_PKS6_NS0_5tupleIJPtS6_EEENSE_IJSB_SB_EEENS0_18inequality_wrapperIN6hipcub16HIPCUB_304000_NS8EqualityEEEPlJS6_EEE10hipError_tPvRmT3_T4_T5_T6_T7_T9_mT8_P12ihipStream_tbDpT10_ENKUlT_T0_E_clISt17integral_constantIbLb1EES16_IbLb0EEEEDaS12_S13_EUlS12_E_NS1_11comp_targetILNS1_3genE2ELNS1_11target_archE906ELNS1_3gpuE6ELNS1_3repE0EEENS1_30default_config_static_selectorELNS0_4arch9wavefront6targetE0EEEvT1_,comdat
.Lfunc_end775:
	.size	_ZN7rocprim17ROCPRIM_400000_NS6detail17trampoline_kernelINS0_14default_configENS1_25partition_config_selectorILNS1_17partition_subalgoE8EtNS0_10empty_typeEbEEZZNS1_14partition_implILS5_8ELb0ES3_jPKtPS6_PKS6_NS0_5tupleIJPtS6_EEENSE_IJSB_SB_EEENS0_18inequality_wrapperIN6hipcub16HIPCUB_304000_NS8EqualityEEEPlJS6_EEE10hipError_tPvRmT3_T4_T5_T6_T7_T9_mT8_P12ihipStream_tbDpT10_ENKUlT_T0_E_clISt17integral_constantIbLb1EES16_IbLb0EEEEDaS12_S13_EUlS12_E_NS1_11comp_targetILNS1_3genE2ELNS1_11target_archE906ELNS1_3gpuE6ELNS1_3repE0EEENS1_30default_config_static_selectorELNS0_4arch9wavefront6targetE0EEEvT1_, .Lfunc_end775-_ZN7rocprim17ROCPRIM_400000_NS6detail17trampoline_kernelINS0_14default_configENS1_25partition_config_selectorILNS1_17partition_subalgoE8EtNS0_10empty_typeEbEEZZNS1_14partition_implILS5_8ELb0ES3_jPKtPS6_PKS6_NS0_5tupleIJPtS6_EEENSE_IJSB_SB_EEENS0_18inequality_wrapperIN6hipcub16HIPCUB_304000_NS8EqualityEEEPlJS6_EEE10hipError_tPvRmT3_T4_T5_T6_T7_T9_mT8_P12ihipStream_tbDpT10_ENKUlT_T0_E_clISt17integral_constantIbLb1EES16_IbLb0EEEEDaS12_S13_EUlS12_E_NS1_11comp_targetILNS1_3genE2ELNS1_11target_archE906ELNS1_3gpuE6ELNS1_3repE0EEENS1_30default_config_static_selectorELNS0_4arch9wavefront6targetE0EEEvT1_
                                        ; -- End function
	.set _ZN7rocprim17ROCPRIM_400000_NS6detail17trampoline_kernelINS0_14default_configENS1_25partition_config_selectorILNS1_17partition_subalgoE8EtNS0_10empty_typeEbEEZZNS1_14partition_implILS5_8ELb0ES3_jPKtPS6_PKS6_NS0_5tupleIJPtS6_EEENSE_IJSB_SB_EEENS0_18inequality_wrapperIN6hipcub16HIPCUB_304000_NS8EqualityEEEPlJS6_EEE10hipError_tPvRmT3_T4_T5_T6_T7_T9_mT8_P12ihipStream_tbDpT10_ENKUlT_T0_E_clISt17integral_constantIbLb1EES16_IbLb0EEEEDaS12_S13_EUlS12_E_NS1_11comp_targetILNS1_3genE2ELNS1_11target_archE906ELNS1_3gpuE6ELNS1_3repE0EEENS1_30default_config_static_selectorELNS0_4arch9wavefront6targetE0EEEvT1_.num_vgpr, 0
	.set _ZN7rocprim17ROCPRIM_400000_NS6detail17trampoline_kernelINS0_14default_configENS1_25partition_config_selectorILNS1_17partition_subalgoE8EtNS0_10empty_typeEbEEZZNS1_14partition_implILS5_8ELb0ES3_jPKtPS6_PKS6_NS0_5tupleIJPtS6_EEENSE_IJSB_SB_EEENS0_18inequality_wrapperIN6hipcub16HIPCUB_304000_NS8EqualityEEEPlJS6_EEE10hipError_tPvRmT3_T4_T5_T6_T7_T9_mT8_P12ihipStream_tbDpT10_ENKUlT_T0_E_clISt17integral_constantIbLb1EES16_IbLb0EEEEDaS12_S13_EUlS12_E_NS1_11comp_targetILNS1_3genE2ELNS1_11target_archE906ELNS1_3gpuE6ELNS1_3repE0EEENS1_30default_config_static_selectorELNS0_4arch9wavefront6targetE0EEEvT1_.num_agpr, 0
	.set _ZN7rocprim17ROCPRIM_400000_NS6detail17trampoline_kernelINS0_14default_configENS1_25partition_config_selectorILNS1_17partition_subalgoE8EtNS0_10empty_typeEbEEZZNS1_14partition_implILS5_8ELb0ES3_jPKtPS6_PKS6_NS0_5tupleIJPtS6_EEENSE_IJSB_SB_EEENS0_18inequality_wrapperIN6hipcub16HIPCUB_304000_NS8EqualityEEEPlJS6_EEE10hipError_tPvRmT3_T4_T5_T6_T7_T9_mT8_P12ihipStream_tbDpT10_ENKUlT_T0_E_clISt17integral_constantIbLb1EES16_IbLb0EEEEDaS12_S13_EUlS12_E_NS1_11comp_targetILNS1_3genE2ELNS1_11target_archE906ELNS1_3gpuE6ELNS1_3repE0EEENS1_30default_config_static_selectorELNS0_4arch9wavefront6targetE0EEEvT1_.numbered_sgpr, 0
	.set _ZN7rocprim17ROCPRIM_400000_NS6detail17trampoline_kernelINS0_14default_configENS1_25partition_config_selectorILNS1_17partition_subalgoE8EtNS0_10empty_typeEbEEZZNS1_14partition_implILS5_8ELb0ES3_jPKtPS6_PKS6_NS0_5tupleIJPtS6_EEENSE_IJSB_SB_EEENS0_18inequality_wrapperIN6hipcub16HIPCUB_304000_NS8EqualityEEEPlJS6_EEE10hipError_tPvRmT3_T4_T5_T6_T7_T9_mT8_P12ihipStream_tbDpT10_ENKUlT_T0_E_clISt17integral_constantIbLb1EES16_IbLb0EEEEDaS12_S13_EUlS12_E_NS1_11comp_targetILNS1_3genE2ELNS1_11target_archE906ELNS1_3gpuE6ELNS1_3repE0EEENS1_30default_config_static_selectorELNS0_4arch9wavefront6targetE0EEEvT1_.num_named_barrier, 0
	.set _ZN7rocprim17ROCPRIM_400000_NS6detail17trampoline_kernelINS0_14default_configENS1_25partition_config_selectorILNS1_17partition_subalgoE8EtNS0_10empty_typeEbEEZZNS1_14partition_implILS5_8ELb0ES3_jPKtPS6_PKS6_NS0_5tupleIJPtS6_EEENSE_IJSB_SB_EEENS0_18inequality_wrapperIN6hipcub16HIPCUB_304000_NS8EqualityEEEPlJS6_EEE10hipError_tPvRmT3_T4_T5_T6_T7_T9_mT8_P12ihipStream_tbDpT10_ENKUlT_T0_E_clISt17integral_constantIbLb1EES16_IbLb0EEEEDaS12_S13_EUlS12_E_NS1_11comp_targetILNS1_3genE2ELNS1_11target_archE906ELNS1_3gpuE6ELNS1_3repE0EEENS1_30default_config_static_selectorELNS0_4arch9wavefront6targetE0EEEvT1_.private_seg_size, 0
	.set _ZN7rocprim17ROCPRIM_400000_NS6detail17trampoline_kernelINS0_14default_configENS1_25partition_config_selectorILNS1_17partition_subalgoE8EtNS0_10empty_typeEbEEZZNS1_14partition_implILS5_8ELb0ES3_jPKtPS6_PKS6_NS0_5tupleIJPtS6_EEENSE_IJSB_SB_EEENS0_18inequality_wrapperIN6hipcub16HIPCUB_304000_NS8EqualityEEEPlJS6_EEE10hipError_tPvRmT3_T4_T5_T6_T7_T9_mT8_P12ihipStream_tbDpT10_ENKUlT_T0_E_clISt17integral_constantIbLb1EES16_IbLb0EEEEDaS12_S13_EUlS12_E_NS1_11comp_targetILNS1_3genE2ELNS1_11target_archE906ELNS1_3gpuE6ELNS1_3repE0EEENS1_30default_config_static_selectorELNS0_4arch9wavefront6targetE0EEEvT1_.uses_vcc, 0
	.set _ZN7rocprim17ROCPRIM_400000_NS6detail17trampoline_kernelINS0_14default_configENS1_25partition_config_selectorILNS1_17partition_subalgoE8EtNS0_10empty_typeEbEEZZNS1_14partition_implILS5_8ELb0ES3_jPKtPS6_PKS6_NS0_5tupleIJPtS6_EEENSE_IJSB_SB_EEENS0_18inequality_wrapperIN6hipcub16HIPCUB_304000_NS8EqualityEEEPlJS6_EEE10hipError_tPvRmT3_T4_T5_T6_T7_T9_mT8_P12ihipStream_tbDpT10_ENKUlT_T0_E_clISt17integral_constantIbLb1EES16_IbLb0EEEEDaS12_S13_EUlS12_E_NS1_11comp_targetILNS1_3genE2ELNS1_11target_archE906ELNS1_3gpuE6ELNS1_3repE0EEENS1_30default_config_static_selectorELNS0_4arch9wavefront6targetE0EEEvT1_.uses_flat_scratch, 0
	.set _ZN7rocprim17ROCPRIM_400000_NS6detail17trampoline_kernelINS0_14default_configENS1_25partition_config_selectorILNS1_17partition_subalgoE8EtNS0_10empty_typeEbEEZZNS1_14partition_implILS5_8ELb0ES3_jPKtPS6_PKS6_NS0_5tupleIJPtS6_EEENSE_IJSB_SB_EEENS0_18inequality_wrapperIN6hipcub16HIPCUB_304000_NS8EqualityEEEPlJS6_EEE10hipError_tPvRmT3_T4_T5_T6_T7_T9_mT8_P12ihipStream_tbDpT10_ENKUlT_T0_E_clISt17integral_constantIbLb1EES16_IbLb0EEEEDaS12_S13_EUlS12_E_NS1_11comp_targetILNS1_3genE2ELNS1_11target_archE906ELNS1_3gpuE6ELNS1_3repE0EEENS1_30default_config_static_selectorELNS0_4arch9wavefront6targetE0EEEvT1_.has_dyn_sized_stack, 0
	.set _ZN7rocprim17ROCPRIM_400000_NS6detail17trampoline_kernelINS0_14default_configENS1_25partition_config_selectorILNS1_17partition_subalgoE8EtNS0_10empty_typeEbEEZZNS1_14partition_implILS5_8ELb0ES3_jPKtPS6_PKS6_NS0_5tupleIJPtS6_EEENSE_IJSB_SB_EEENS0_18inequality_wrapperIN6hipcub16HIPCUB_304000_NS8EqualityEEEPlJS6_EEE10hipError_tPvRmT3_T4_T5_T6_T7_T9_mT8_P12ihipStream_tbDpT10_ENKUlT_T0_E_clISt17integral_constantIbLb1EES16_IbLb0EEEEDaS12_S13_EUlS12_E_NS1_11comp_targetILNS1_3genE2ELNS1_11target_archE906ELNS1_3gpuE6ELNS1_3repE0EEENS1_30default_config_static_selectorELNS0_4arch9wavefront6targetE0EEEvT1_.has_recursion, 0
	.set _ZN7rocprim17ROCPRIM_400000_NS6detail17trampoline_kernelINS0_14default_configENS1_25partition_config_selectorILNS1_17partition_subalgoE8EtNS0_10empty_typeEbEEZZNS1_14partition_implILS5_8ELb0ES3_jPKtPS6_PKS6_NS0_5tupleIJPtS6_EEENSE_IJSB_SB_EEENS0_18inequality_wrapperIN6hipcub16HIPCUB_304000_NS8EqualityEEEPlJS6_EEE10hipError_tPvRmT3_T4_T5_T6_T7_T9_mT8_P12ihipStream_tbDpT10_ENKUlT_T0_E_clISt17integral_constantIbLb1EES16_IbLb0EEEEDaS12_S13_EUlS12_E_NS1_11comp_targetILNS1_3genE2ELNS1_11target_archE906ELNS1_3gpuE6ELNS1_3repE0EEENS1_30default_config_static_selectorELNS0_4arch9wavefront6targetE0EEEvT1_.has_indirect_call, 0
	.section	.AMDGPU.csdata,"",@progbits
; Kernel info:
; codeLenInByte = 0
; TotalNumSgprs: 0
; NumVgprs: 0
; ScratchSize: 0
; MemoryBound: 0
; FloatMode: 240
; IeeeMode: 1
; LDSByteSize: 0 bytes/workgroup (compile time only)
; SGPRBlocks: 0
; VGPRBlocks: 0
; NumSGPRsForWavesPerEU: 1
; NumVGPRsForWavesPerEU: 1
; NamedBarCnt: 0
; Occupancy: 16
; WaveLimiterHint : 0
; COMPUTE_PGM_RSRC2:SCRATCH_EN: 0
; COMPUTE_PGM_RSRC2:USER_SGPR: 2
; COMPUTE_PGM_RSRC2:TRAP_HANDLER: 0
; COMPUTE_PGM_RSRC2:TGID_X_EN: 1
; COMPUTE_PGM_RSRC2:TGID_Y_EN: 0
; COMPUTE_PGM_RSRC2:TGID_Z_EN: 0
; COMPUTE_PGM_RSRC2:TIDIG_COMP_CNT: 0
	.section	.text._ZN7rocprim17ROCPRIM_400000_NS6detail17trampoline_kernelINS0_14default_configENS1_25partition_config_selectorILNS1_17partition_subalgoE8EtNS0_10empty_typeEbEEZZNS1_14partition_implILS5_8ELb0ES3_jPKtPS6_PKS6_NS0_5tupleIJPtS6_EEENSE_IJSB_SB_EEENS0_18inequality_wrapperIN6hipcub16HIPCUB_304000_NS8EqualityEEEPlJS6_EEE10hipError_tPvRmT3_T4_T5_T6_T7_T9_mT8_P12ihipStream_tbDpT10_ENKUlT_T0_E_clISt17integral_constantIbLb1EES16_IbLb0EEEEDaS12_S13_EUlS12_E_NS1_11comp_targetILNS1_3genE10ELNS1_11target_archE1200ELNS1_3gpuE4ELNS1_3repE0EEENS1_30default_config_static_selectorELNS0_4arch9wavefront6targetE0EEEvT1_,"axG",@progbits,_ZN7rocprim17ROCPRIM_400000_NS6detail17trampoline_kernelINS0_14default_configENS1_25partition_config_selectorILNS1_17partition_subalgoE8EtNS0_10empty_typeEbEEZZNS1_14partition_implILS5_8ELb0ES3_jPKtPS6_PKS6_NS0_5tupleIJPtS6_EEENSE_IJSB_SB_EEENS0_18inequality_wrapperIN6hipcub16HIPCUB_304000_NS8EqualityEEEPlJS6_EEE10hipError_tPvRmT3_T4_T5_T6_T7_T9_mT8_P12ihipStream_tbDpT10_ENKUlT_T0_E_clISt17integral_constantIbLb1EES16_IbLb0EEEEDaS12_S13_EUlS12_E_NS1_11comp_targetILNS1_3genE10ELNS1_11target_archE1200ELNS1_3gpuE4ELNS1_3repE0EEENS1_30default_config_static_selectorELNS0_4arch9wavefront6targetE0EEEvT1_,comdat
	.protected	_ZN7rocprim17ROCPRIM_400000_NS6detail17trampoline_kernelINS0_14default_configENS1_25partition_config_selectorILNS1_17partition_subalgoE8EtNS0_10empty_typeEbEEZZNS1_14partition_implILS5_8ELb0ES3_jPKtPS6_PKS6_NS0_5tupleIJPtS6_EEENSE_IJSB_SB_EEENS0_18inequality_wrapperIN6hipcub16HIPCUB_304000_NS8EqualityEEEPlJS6_EEE10hipError_tPvRmT3_T4_T5_T6_T7_T9_mT8_P12ihipStream_tbDpT10_ENKUlT_T0_E_clISt17integral_constantIbLb1EES16_IbLb0EEEEDaS12_S13_EUlS12_E_NS1_11comp_targetILNS1_3genE10ELNS1_11target_archE1200ELNS1_3gpuE4ELNS1_3repE0EEENS1_30default_config_static_selectorELNS0_4arch9wavefront6targetE0EEEvT1_ ; -- Begin function _ZN7rocprim17ROCPRIM_400000_NS6detail17trampoline_kernelINS0_14default_configENS1_25partition_config_selectorILNS1_17partition_subalgoE8EtNS0_10empty_typeEbEEZZNS1_14partition_implILS5_8ELb0ES3_jPKtPS6_PKS6_NS0_5tupleIJPtS6_EEENSE_IJSB_SB_EEENS0_18inequality_wrapperIN6hipcub16HIPCUB_304000_NS8EqualityEEEPlJS6_EEE10hipError_tPvRmT3_T4_T5_T6_T7_T9_mT8_P12ihipStream_tbDpT10_ENKUlT_T0_E_clISt17integral_constantIbLb1EES16_IbLb0EEEEDaS12_S13_EUlS12_E_NS1_11comp_targetILNS1_3genE10ELNS1_11target_archE1200ELNS1_3gpuE4ELNS1_3repE0EEENS1_30default_config_static_selectorELNS0_4arch9wavefront6targetE0EEEvT1_
	.globl	_ZN7rocprim17ROCPRIM_400000_NS6detail17trampoline_kernelINS0_14default_configENS1_25partition_config_selectorILNS1_17partition_subalgoE8EtNS0_10empty_typeEbEEZZNS1_14partition_implILS5_8ELb0ES3_jPKtPS6_PKS6_NS0_5tupleIJPtS6_EEENSE_IJSB_SB_EEENS0_18inequality_wrapperIN6hipcub16HIPCUB_304000_NS8EqualityEEEPlJS6_EEE10hipError_tPvRmT3_T4_T5_T6_T7_T9_mT8_P12ihipStream_tbDpT10_ENKUlT_T0_E_clISt17integral_constantIbLb1EES16_IbLb0EEEEDaS12_S13_EUlS12_E_NS1_11comp_targetILNS1_3genE10ELNS1_11target_archE1200ELNS1_3gpuE4ELNS1_3repE0EEENS1_30default_config_static_selectorELNS0_4arch9wavefront6targetE0EEEvT1_
	.p2align	8
	.type	_ZN7rocprim17ROCPRIM_400000_NS6detail17trampoline_kernelINS0_14default_configENS1_25partition_config_selectorILNS1_17partition_subalgoE8EtNS0_10empty_typeEbEEZZNS1_14partition_implILS5_8ELb0ES3_jPKtPS6_PKS6_NS0_5tupleIJPtS6_EEENSE_IJSB_SB_EEENS0_18inequality_wrapperIN6hipcub16HIPCUB_304000_NS8EqualityEEEPlJS6_EEE10hipError_tPvRmT3_T4_T5_T6_T7_T9_mT8_P12ihipStream_tbDpT10_ENKUlT_T0_E_clISt17integral_constantIbLb1EES16_IbLb0EEEEDaS12_S13_EUlS12_E_NS1_11comp_targetILNS1_3genE10ELNS1_11target_archE1200ELNS1_3gpuE4ELNS1_3repE0EEENS1_30default_config_static_selectorELNS0_4arch9wavefront6targetE0EEEvT1_,@function
_ZN7rocprim17ROCPRIM_400000_NS6detail17trampoline_kernelINS0_14default_configENS1_25partition_config_selectorILNS1_17partition_subalgoE8EtNS0_10empty_typeEbEEZZNS1_14partition_implILS5_8ELb0ES3_jPKtPS6_PKS6_NS0_5tupleIJPtS6_EEENSE_IJSB_SB_EEENS0_18inequality_wrapperIN6hipcub16HIPCUB_304000_NS8EqualityEEEPlJS6_EEE10hipError_tPvRmT3_T4_T5_T6_T7_T9_mT8_P12ihipStream_tbDpT10_ENKUlT_T0_E_clISt17integral_constantIbLb1EES16_IbLb0EEEEDaS12_S13_EUlS12_E_NS1_11comp_targetILNS1_3genE10ELNS1_11target_archE1200ELNS1_3gpuE4ELNS1_3repE0EEENS1_30default_config_static_selectorELNS0_4arch9wavefront6targetE0EEEvT1_: ; @_ZN7rocprim17ROCPRIM_400000_NS6detail17trampoline_kernelINS0_14default_configENS1_25partition_config_selectorILNS1_17partition_subalgoE8EtNS0_10empty_typeEbEEZZNS1_14partition_implILS5_8ELb0ES3_jPKtPS6_PKS6_NS0_5tupleIJPtS6_EEENSE_IJSB_SB_EEENS0_18inequality_wrapperIN6hipcub16HIPCUB_304000_NS8EqualityEEEPlJS6_EEE10hipError_tPvRmT3_T4_T5_T6_T7_T9_mT8_P12ihipStream_tbDpT10_ENKUlT_T0_E_clISt17integral_constantIbLb1EES16_IbLb0EEEEDaS12_S13_EUlS12_E_NS1_11comp_targetILNS1_3genE10ELNS1_11target_archE1200ELNS1_3gpuE4ELNS1_3repE0EEENS1_30default_config_static_selectorELNS0_4arch9wavefront6targetE0EEEvT1_
; %bb.0:
	.section	.rodata,"a",@progbits
	.p2align	6, 0x0
	.amdhsa_kernel _ZN7rocprim17ROCPRIM_400000_NS6detail17trampoline_kernelINS0_14default_configENS1_25partition_config_selectorILNS1_17partition_subalgoE8EtNS0_10empty_typeEbEEZZNS1_14partition_implILS5_8ELb0ES3_jPKtPS6_PKS6_NS0_5tupleIJPtS6_EEENSE_IJSB_SB_EEENS0_18inequality_wrapperIN6hipcub16HIPCUB_304000_NS8EqualityEEEPlJS6_EEE10hipError_tPvRmT3_T4_T5_T6_T7_T9_mT8_P12ihipStream_tbDpT10_ENKUlT_T0_E_clISt17integral_constantIbLb1EES16_IbLb0EEEEDaS12_S13_EUlS12_E_NS1_11comp_targetILNS1_3genE10ELNS1_11target_archE1200ELNS1_3gpuE4ELNS1_3repE0EEENS1_30default_config_static_selectorELNS0_4arch9wavefront6targetE0EEEvT1_
		.amdhsa_group_segment_fixed_size 0
		.amdhsa_private_segment_fixed_size 0
		.amdhsa_kernarg_size 112
		.amdhsa_user_sgpr_count 2
		.amdhsa_user_sgpr_dispatch_ptr 0
		.amdhsa_user_sgpr_queue_ptr 0
		.amdhsa_user_sgpr_kernarg_segment_ptr 1
		.amdhsa_user_sgpr_dispatch_id 0
		.amdhsa_user_sgpr_kernarg_preload_length 0
		.amdhsa_user_sgpr_kernarg_preload_offset 0
		.amdhsa_user_sgpr_private_segment_size 0
		.amdhsa_wavefront_size32 1
		.amdhsa_uses_dynamic_stack 0
		.amdhsa_enable_private_segment 0
		.amdhsa_system_sgpr_workgroup_id_x 1
		.amdhsa_system_sgpr_workgroup_id_y 0
		.amdhsa_system_sgpr_workgroup_id_z 0
		.amdhsa_system_sgpr_workgroup_info 0
		.amdhsa_system_vgpr_workitem_id 0
		.amdhsa_next_free_vgpr 1
		.amdhsa_next_free_sgpr 1
		.amdhsa_named_barrier_count 0
		.amdhsa_reserve_vcc 0
		.amdhsa_float_round_mode_32 0
		.amdhsa_float_round_mode_16_64 0
		.amdhsa_float_denorm_mode_32 3
		.amdhsa_float_denorm_mode_16_64 3
		.amdhsa_fp16_overflow 0
		.amdhsa_memory_ordered 1
		.amdhsa_forward_progress 1
		.amdhsa_inst_pref_size 0
		.amdhsa_round_robin_scheduling 0
		.amdhsa_exception_fp_ieee_invalid_op 0
		.amdhsa_exception_fp_denorm_src 0
		.amdhsa_exception_fp_ieee_div_zero 0
		.amdhsa_exception_fp_ieee_overflow 0
		.amdhsa_exception_fp_ieee_underflow 0
		.amdhsa_exception_fp_ieee_inexact 0
		.amdhsa_exception_int_div_zero 0
	.end_amdhsa_kernel
	.section	.text._ZN7rocprim17ROCPRIM_400000_NS6detail17trampoline_kernelINS0_14default_configENS1_25partition_config_selectorILNS1_17partition_subalgoE8EtNS0_10empty_typeEbEEZZNS1_14partition_implILS5_8ELb0ES3_jPKtPS6_PKS6_NS0_5tupleIJPtS6_EEENSE_IJSB_SB_EEENS0_18inequality_wrapperIN6hipcub16HIPCUB_304000_NS8EqualityEEEPlJS6_EEE10hipError_tPvRmT3_T4_T5_T6_T7_T9_mT8_P12ihipStream_tbDpT10_ENKUlT_T0_E_clISt17integral_constantIbLb1EES16_IbLb0EEEEDaS12_S13_EUlS12_E_NS1_11comp_targetILNS1_3genE10ELNS1_11target_archE1200ELNS1_3gpuE4ELNS1_3repE0EEENS1_30default_config_static_selectorELNS0_4arch9wavefront6targetE0EEEvT1_,"axG",@progbits,_ZN7rocprim17ROCPRIM_400000_NS6detail17trampoline_kernelINS0_14default_configENS1_25partition_config_selectorILNS1_17partition_subalgoE8EtNS0_10empty_typeEbEEZZNS1_14partition_implILS5_8ELb0ES3_jPKtPS6_PKS6_NS0_5tupleIJPtS6_EEENSE_IJSB_SB_EEENS0_18inequality_wrapperIN6hipcub16HIPCUB_304000_NS8EqualityEEEPlJS6_EEE10hipError_tPvRmT3_T4_T5_T6_T7_T9_mT8_P12ihipStream_tbDpT10_ENKUlT_T0_E_clISt17integral_constantIbLb1EES16_IbLb0EEEEDaS12_S13_EUlS12_E_NS1_11comp_targetILNS1_3genE10ELNS1_11target_archE1200ELNS1_3gpuE4ELNS1_3repE0EEENS1_30default_config_static_selectorELNS0_4arch9wavefront6targetE0EEEvT1_,comdat
.Lfunc_end776:
	.size	_ZN7rocprim17ROCPRIM_400000_NS6detail17trampoline_kernelINS0_14default_configENS1_25partition_config_selectorILNS1_17partition_subalgoE8EtNS0_10empty_typeEbEEZZNS1_14partition_implILS5_8ELb0ES3_jPKtPS6_PKS6_NS0_5tupleIJPtS6_EEENSE_IJSB_SB_EEENS0_18inequality_wrapperIN6hipcub16HIPCUB_304000_NS8EqualityEEEPlJS6_EEE10hipError_tPvRmT3_T4_T5_T6_T7_T9_mT8_P12ihipStream_tbDpT10_ENKUlT_T0_E_clISt17integral_constantIbLb1EES16_IbLb0EEEEDaS12_S13_EUlS12_E_NS1_11comp_targetILNS1_3genE10ELNS1_11target_archE1200ELNS1_3gpuE4ELNS1_3repE0EEENS1_30default_config_static_selectorELNS0_4arch9wavefront6targetE0EEEvT1_, .Lfunc_end776-_ZN7rocprim17ROCPRIM_400000_NS6detail17trampoline_kernelINS0_14default_configENS1_25partition_config_selectorILNS1_17partition_subalgoE8EtNS0_10empty_typeEbEEZZNS1_14partition_implILS5_8ELb0ES3_jPKtPS6_PKS6_NS0_5tupleIJPtS6_EEENSE_IJSB_SB_EEENS0_18inequality_wrapperIN6hipcub16HIPCUB_304000_NS8EqualityEEEPlJS6_EEE10hipError_tPvRmT3_T4_T5_T6_T7_T9_mT8_P12ihipStream_tbDpT10_ENKUlT_T0_E_clISt17integral_constantIbLb1EES16_IbLb0EEEEDaS12_S13_EUlS12_E_NS1_11comp_targetILNS1_3genE10ELNS1_11target_archE1200ELNS1_3gpuE4ELNS1_3repE0EEENS1_30default_config_static_selectorELNS0_4arch9wavefront6targetE0EEEvT1_
                                        ; -- End function
	.set _ZN7rocprim17ROCPRIM_400000_NS6detail17trampoline_kernelINS0_14default_configENS1_25partition_config_selectorILNS1_17partition_subalgoE8EtNS0_10empty_typeEbEEZZNS1_14partition_implILS5_8ELb0ES3_jPKtPS6_PKS6_NS0_5tupleIJPtS6_EEENSE_IJSB_SB_EEENS0_18inequality_wrapperIN6hipcub16HIPCUB_304000_NS8EqualityEEEPlJS6_EEE10hipError_tPvRmT3_T4_T5_T6_T7_T9_mT8_P12ihipStream_tbDpT10_ENKUlT_T0_E_clISt17integral_constantIbLb1EES16_IbLb0EEEEDaS12_S13_EUlS12_E_NS1_11comp_targetILNS1_3genE10ELNS1_11target_archE1200ELNS1_3gpuE4ELNS1_3repE0EEENS1_30default_config_static_selectorELNS0_4arch9wavefront6targetE0EEEvT1_.num_vgpr, 0
	.set _ZN7rocprim17ROCPRIM_400000_NS6detail17trampoline_kernelINS0_14default_configENS1_25partition_config_selectorILNS1_17partition_subalgoE8EtNS0_10empty_typeEbEEZZNS1_14partition_implILS5_8ELb0ES3_jPKtPS6_PKS6_NS0_5tupleIJPtS6_EEENSE_IJSB_SB_EEENS0_18inequality_wrapperIN6hipcub16HIPCUB_304000_NS8EqualityEEEPlJS6_EEE10hipError_tPvRmT3_T4_T5_T6_T7_T9_mT8_P12ihipStream_tbDpT10_ENKUlT_T0_E_clISt17integral_constantIbLb1EES16_IbLb0EEEEDaS12_S13_EUlS12_E_NS1_11comp_targetILNS1_3genE10ELNS1_11target_archE1200ELNS1_3gpuE4ELNS1_3repE0EEENS1_30default_config_static_selectorELNS0_4arch9wavefront6targetE0EEEvT1_.num_agpr, 0
	.set _ZN7rocprim17ROCPRIM_400000_NS6detail17trampoline_kernelINS0_14default_configENS1_25partition_config_selectorILNS1_17partition_subalgoE8EtNS0_10empty_typeEbEEZZNS1_14partition_implILS5_8ELb0ES3_jPKtPS6_PKS6_NS0_5tupleIJPtS6_EEENSE_IJSB_SB_EEENS0_18inequality_wrapperIN6hipcub16HIPCUB_304000_NS8EqualityEEEPlJS6_EEE10hipError_tPvRmT3_T4_T5_T6_T7_T9_mT8_P12ihipStream_tbDpT10_ENKUlT_T0_E_clISt17integral_constantIbLb1EES16_IbLb0EEEEDaS12_S13_EUlS12_E_NS1_11comp_targetILNS1_3genE10ELNS1_11target_archE1200ELNS1_3gpuE4ELNS1_3repE0EEENS1_30default_config_static_selectorELNS0_4arch9wavefront6targetE0EEEvT1_.numbered_sgpr, 0
	.set _ZN7rocprim17ROCPRIM_400000_NS6detail17trampoline_kernelINS0_14default_configENS1_25partition_config_selectorILNS1_17partition_subalgoE8EtNS0_10empty_typeEbEEZZNS1_14partition_implILS5_8ELb0ES3_jPKtPS6_PKS6_NS0_5tupleIJPtS6_EEENSE_IJSB_SB_EEENS0_18inequality_wrapperIN6hipcub16HIPCUB_304000_NS8EqualityEEEPlJS6_EEE10hipError_tPvRmT3_T4_T5_T6_T7_T9_mT8_P12ihipStream_tbDpT10_ENKUlT_T0_E_clISt17integral_constantIbLb1EES16_IbLb0EEEEDaS12_S13_EUlS12_E_NS1_11comp_targetILNS1_3genE10ELNS1_11target_archE1200ELNS1_3gpuE4ELNS1_3repE0EEENS1_30default_config_static_selectorELNS0_4arch9wavefront6targetE0EEEvT1_.num_named_barrier, 0
	.set _ZN7rocprim17ROCPRIM_400000_NS6detail17trampoline_kernelINS0_14default_configENS1_25partition_config_selectorILNS1_17partition_subalgoE8EtNS0_10empty_typeEbEEZZNS1_14partition_implILS5_8ELb0ES3_jPKtPS6_PKS6_NS0_5tupleIJPtS6_EEENSE_IJSB_SB_EEENS0_18inequality_wrapperIN6hipcub16HIPCUB_304000_NS8EqualityEEEPlJS6_EEE10hipError_tPvRmT3_T4_T5_T6_T7_T9_mT8_P12ihipStream_tbDpT10_ENKUlT_T0_E_clISt17integral_constantIbLb1EES16_IbLb0EEEEDaS12_S13_EUlS12_E_NS1_11comp_targetILNS1_3genE10ELNS1_11target_archE1200ELNS1_3gpuE4ELNS1_3repE0EEENS1_30default_config_static_selectorELNS0_4arch9wavefront6targetE0EEEvT1_.private_seg_size, 0
	.set _ZN7rocprim17ROCPRIM_400000_NS6detail17trampoline_kernelINS0_14default_configENS1_25partition_config_selectorILNS1_17partition_subalgoE8EtNS0_10empty_typeEbEEZZNS1_14partition_implILS5_8ELb0ES3_jPKtPS6_PKS6_NS0_5tupleIJPtS6_EEENSE_IJSB_SB_EEENS0_18inequality_wrapperIN6hipcub16HIPCUB_304000_NS8EqualityEEEPlJS6_EEE10hipError_tPvRmT3_T4_T5_T6_T7_T9_mT8_P12ihipStream_tbDpT10_ENKUlT_T0_E_clISt17integral_constantIbLb1EES16_IbLb0EEEEDaS12_S13_EUlS12_E_NS1_11comp_targetILNS1_3genE10ELNS1_11target_archE1200ELNS1_3gpuE4ELNS1_3repE0EEENS1_30default_config_static_selectorELNS0_4arch9wavefront6targetE0EEEvT1_.uses_vcc, 0
	.set _ZN7rocprim17ROCPRIM_400000_NS6detail17trampoline_kernelINS0_14default_configENS1_25partition_config_selectorILNS1_17partition_subalgoE8EtNS0_10empty_typeEbEEZZNS1_14partition_implILS5_8ELb0ES3_jPKtPS6_PKS6_NS0_5tupleIJPtS6_EEENSE_IJSB_SB_EEENS0_18inequality_wrapperIN6hipcub16HIPCUB_304000_NS8EqualityEEEPlJS6_EEE10hipError_tPvRmT3_T4_T5_T6_T7_T9_mT8_P12ihipStream_tbDpT10_ENKUlT_T0_E_clISt17integral_constantIbLb1EES16_IbLb0EEEEDaS12_S13_EUlS12_E_NS1_11comp_targetILNS1_3genE10ELNS1_11target_archE1200ELNS1_3gpuE4ELNS1_3repE0EEENS1_30default_config_static_selectorELNS0_4arch9wavefront6targetE0EEEvT1_.uses_flat_scratch, 0
	.set _ZN7rocprim17ROCPRIM_400000_NS6detail17trampoline_kernelINS0_14default_configENS1_25partition_config_selectorILNS1_17partition_subalgoE8EtNS0_10empty_typeEbEEZZNS1_14partition_implILS5_8ELb0ES3_jPKtPS6_PKS6_NS0_5tupleIJPtS6_EEENSE_IJSB_SB_EEENS0_18inequality_wrapperIN6hipcub16HIPCUB_304000_NS8EqualityEEEPlJS6_EEE10hipError_tPvRmT3_T4_T5_T6_T7_T9_mT8_P12ihipStream_tbDpT10_ENKUlT_T0_E_clISt17integral_constantIbLb1EES16_IbLb0EEEEDaS12_S13_EUlS12_E_NS1_11comp_targetILNS1_3genE10ELNS1_11target_archE1200ELNS1_3gpuE4ELNS1_3repE0EEENS1_30default_config_static_selectorELNS0_4arch9wavefront6targetE0EEEvT1_.has_dyn_sized_stack, 0
	.set _ZN7rocprim17ROCPRIM_400000_NS6detail17trampoline_kernelINS0_14default_configENS1_25partition_config_selectorILNS1_17partition_subalgoE8EtNS0_10empty_typeEbEEZZNS1_14partition_implILS5_8ELb0ES3_jPKtPS6_PKS6_NS0_5tupleIJPtS6_EEENSE_IJSB_SB_EEENS0_18inequality_wrapperIN6hipcub16HIPCUB_304000_NS8EqualityEEEPlJS6_EEE10hipError_tPvRmT3_T4_T5_T6_T7_T9_mT8_P12ihipStream_tbDpT10_ENKUlT_T0_E_clISt17integral_constantIbLb1EES16_IbLb0EEEEDaS12_S13_EUlS12_E_NS1_11comp_targetILNS1_3genE10ELNS1_11target_archE1200ELNS1_3gpuE4ELNS1_3repE0EEENS1_30default_config_static_selectorELNS0_4arch9wavefront6targetE0EEEvT1_.has_recursion, 0
	.set _ZN7rocprim17ROCPRIM_400000_NS6detail17trampoline_kernelINS0_14default_configENS1_25partition_config_selectorILNS1_17partition_subalgoE8EtNS0_10empty_typeEbEEZZNS1_14partition_implILS5_8ELb0ES3_jPKtPS6_PKS6_NS0_5tupleIJPtS6_EEENSE_IJSB_SB_EEENS0_18inequality_wrapperIN6hipcub16HIPCUB_304000_NS8EqualityEEEPlJS6_EEE10hipError_tPvRmT3_T4_T5_T6_T7_T9_mT8_P12ihipStream_tbDpT10_ENKUlT_T0_E_clISt17integral_constantIbLb1EES16_IbLb0EEEEDaS12_S13_EUlS12_E_NS1_11comp_targetILNS1_3genE10ELNS1_11target_archE1200ELNS1_3gpuE4ELNS1_3repE0EEENS1_30default_config_static_selectorELNS0_4arch9wavefront6targetE0EEEvT1_.has_indirect_call, 0
	.section	.AMDGPU.csdata,"",@progbits
; Kernel info:
; codeLenInByte = 0
; TotalNumSgprs: 0
; NumVgprs: 0
; ScratchSize: 0
; MemoryBound: 0
; FloatMode: 240
; IeeeMode: 1
; LDSByteSize: 0 bytes/workgroup (compile time only)
; SGPRBlocks: 0
; VGPRBlocks: 0
; NumSGPRsForWavesPerEU: 1
; NumVGPRsForWavesPerEU: 1
; NamedBarCnt: 0
; Occupancy: 16
; WaveLimiterHint : 0
; COMPUTE_PGM_RSRC2:SCRATCH_EN: 0
; COMPUTE_PGM_RSRC2:USER_SGPR: 2
; COMPUTE_PGM_RSRC2:TRAP_HANDLER: 0
; COMPUTE_PGM_RSRC2:TGID_X_EN: 1
; COMPUTE_PGM_RSRC2:TGID_Y_EN: 0
; COMPUTE_PGM_RSRC2:TGID_Z_EN: 0
; COMPUTE_PGM_RSRC2:TIDIG_COMP_CNT: 0
	.section	.text._ZN7rocprim17ROCPRIM_400000_NS6detail17trampoline_kernelINS0_14default_configENS1_25partition_config_selectorILNS1_17partition_subalgoE8EtNS0_10empty_typeEbEEZZNS1_14partition_implILS5_8ELb0ES3_jPKtPS6_PKS6_NS0_5tupleIJPtS6_EEENSE_IJSB_SB_EEENS0_18inequality_wrapperIN6hipcub16HIPCUB_304000_NS8EqualityEEEPlJS6_EEE10hipError_tPvRmT3_T4_T5_T6_T7_T9_mT8_P12ihipStream_tbDpT10_ENKUlT_T0_E_clISt17integral_constantIbLb1EES16_IbLb0EEEEDaS12_S13_EUlS12_E_NS1_11comp_targetILNS1_3genE9ELNS1_11target_archE1100ELNS1_3gpuE3ELNS1_3repE0EEENS1_30default_config_static_selectorELNS0_4arch9wavefront6targetE0EEEvT1_,"axG",@progbits,_ZN7rocprim17ROCPRIM_400000_NS6detail17trampoline_kernelINS0_14default_configENS1_25partition_config_selectorILNS1_17partition_subalgoE8EtNS0_10empty_typeEbEEZZNS1_14partition_implILS5_8ELb0ES3_jPKtPS6_PKS6_NS0_5tupleIJPtS6_EEENSE_IJSB_SB_EEENS0_18inequality_wrapperIN6hipcub16HIPCUB_304000_NS8EqualityEEEPlJS6_EEE10hipError_tPvRmT3_T4_T5_T6_T7_T9_mT8_P12ihipStream_tbDpT10_ENKUlT_T0_E_clISt17integral_constantIbLb1EES16_IbLb0EEEEDaS12_S13_EUlS12_E_NS1_11comp_targetILNS1_3genE9ELNS1_11target_archE1100ELNS1_3gpuE3ELNS1_3repE0EEENS1_30default_config_static_selectorELNS0_4arch9wavefront6targetE0EEEvT1_,comdat
	.protected	_ZN7rocprim17ROCPRIM_400000_NS6detail17trampoline_kernelINS0_14default_configENS1_25partition_config_selectorILNS1_17partition_subalgoE8EtNS0_10empty_typeEbEEZZNS1_14partition_implILS5_8ELb0ES3_jPKtPS6_PKS6_NS0_5tupleIJPtS6_EEENSE_IJSB_SB_EEENS0_18inequality_wrapperIN6hipcub16HIPCUB_304000_NS8EqualityEEEPlJS6_EEE10hipError_tPvRmT3_T4_T5_T6_T7_T9_mT8_P12ihipStream_tbDpT10_ENKUlT_T0_E_clISt17integral_constantIbLb1EES16_IbLb0EEEEDaS12_S13_EUlS12_E_NS1_11comp_targetILNS1_3genE9ELNS1_11target_archE1100ELNS1_3gpuE3ELNS1_3repE0EEENS1_30default_config_static_selectorELNS0_4arch9wavefront6targetE0EEEvT1_ ; -- Begin function _ZN7rocprim17ROCPRIM_400000_NS6detail17trampoline_kernelINS0_14default_configENS1_25partition_config_selectorILNS1_17partition_subalgoE8EtNS0_10empty_typeEbEEZZNS1_14partition_implILS5_8ELb0ES3_jPKtPS6_PKS6_NS0_5tupleIJPtS6_EEENSE_IJSB_SB_EEENS0_18inequality_wrapperIN6hipcub16HIPCUB_304000_NS8EqualityEEEPlJS6_EEE10hipError_tPvRmT3_T4_T5_T6_T7_T9_mT8_P12ihipStream_tbDpT10_ENKUlT_T0_E_clISt17integral_constantIbLb1EES16_IbLb0EEEEDaS12_S13_EUlS12_E_NS1_11comp_targetILNS1_3genE9ELNS1_11target_archE1100ELNS1_3gpuE3ELNS1_3repE0EEENS1_30default_config_static_selectorELNS0_4arch9wavefront6targetE0EEEvT1_
	.globl	_ZN7rocprim17ROCPRIM_400000_NS6detail17trampoline_kernelINS0_14default_configENS1_25partition_config_selectorILNS1_17partition_subalgoE8EtNS0_10empty_typeEbEEZZNS1_14partition_implILS5_8ELb0ES3_jPKtPS6_PKS6_NS0_5tupleIJPtS6_EEENSE_IJSB_SB_EEENS0_18inequality_wrapperIN6hipcub16HIPCUB_304000_NS8EqualityEEEPlJS6_EEE10hipError_tPvRmT3_T4_T5_T6_T7_T9_mT8_P12ihipStream_tbDpT10_ENKUlT_T0_E_clISt17integral_constantIbLb1EES16_IbLb0EEEEDaS12_S13_EUlS12_E_NS1_11comp_targetILNS1_3genE9ELNS1_11target_archE1100ELNS1_3gpuE3ELNS1_3repE0EEENS1_30default_config_static_selectorELNS0_4arch9wavefront6targetE0EEEvT1_
	.p2align	8
	.type	_ZN7rocprim17ROCPRIM_400000_NS6detail17trampoline_kernelINS0_14default_configENS1_25partition_config_selectorILNS1_17partition_subalgoE8EtNS0_10empty_typeEbEEZZNS1_14partition_implILS5_8ELb0ES3_jPKtPS6_PKS6_NS0_5tupleIJPtS6_EEENSE_IJSB_SB_EEENS0_18inequality_wrapperIN6hipcub16HIPCUB_304000_NS8EqualityEEEPlJS6_EEE10hipError_tPvRmT3_T4_T5_T6_T7_T9_mT8_P12ihipStream_tbDpT10_ENKUlT_T0_E_clISt17integral_constantIbLb1EES16_IbLb0EEEEDaS12_S13_EUlS12_E_NS1_11comp_targetILNS1_3genE9ELNS1_11target_archE1100ELNS1_3gpuE3ELNS1_3repE0EEENS1_30default_config_static_selectorELNS0_4arch9wavefront6targetE0EEEvT1_,@function
_ZN7rocprim17ROCPRIM_400000_NS6detail17trampoline_kernelINS0_14default_configENS1_25partition_config_selectorILNS1_17partition_subalgoE8EtNS0_10empty_typeEbEEZZNS1_14partition_implILS5_8ELb0ES3_jPKtPS6_PKS6_NS0_5tupleIJPtS6_EEENSE_IJSB_SB_EEENS0_18inequality_wrapperIN6hipcub16HIPCUB_304000_NS8EqualityEEEPlJS6_EEE10hipError_tPvRmT3_T4_T5_T6_T7_T9_mT8_P12ihipStream_tbDpT10_ENKUlT_T0_E_clISt17integral_constantIbLb1EES16_IbLb0EEEEDaS12_S13_EUlS12_E_NS1_11comp_targetILNS1_3genE9ELNS1_11target_archE1100ELNS1_3gpuE3ELNS1_3repE0EEENS1_30default_config_static_selectorELNS0_4arch9wavefront6targetE0EEEvT1_: ; @_ZN7rocprim17ROCPRIM_400000_NS6detail17trampoline_kernelINS0_14default_configENS1_25partition_config_selectorILNS1_17partition_subalgoE8EtNS0_10empty_typeEbEEZZNS1_14partition_implILS5_8ELb0ES3_jPKtPS6_PKS6_NS0_5tupleIJPtS6_EEENSE_IJSB_SB_EEENS0_18inequality_wrapperIN6hipcub16HIPCUB_304000_NS8EqualityEEEPlJS6_EEE10hipError_tPvRmT3_T4_T5_T6_T7_T9_mT8_P12ihipStream_tbDpT10_ENKUlT_T0_E_clISt17integral_constantIbLb1EES16_IbLb0EEEEDaS12_S13_EUlS12_E_NS1_11comp_targetILNS1_3genE9ELNS1_11target_archE1100ELNS1_3gpuE3ELNS1_3repE0EEENS1_30default_config_static_selectorELNS0_4arch9wavefront6targetE0EEEvT1_
; %bb.0:
	.section	.rodata,"a",@progbits
	.p2align	6, 0x0
	.amdhsa_kernel _ZN7rocprim17ROCPRIM_400000_NS6detail17trampoline_kernelINS0_14default_configENS1_25partition_config_selectorILNS1_17partition_subalgoE8EtNS0_10empty_typeEbEEZZNS1_14partition_implILS5_8ELb0ES3_jPKtPS6_PKS6_NS0_5tupleIJPtS6_EEENSE_IJSB_SB_EEENS0_18inequality_wrapperIN6hipcub16HIPCUB_304000_NS8EqualityEEEPlJS6_EEE10hipError_tPvRmT3_T4_T5_T6_T7_T9_mT8_P12ihipStream_tbDpT10_ENKUlT_T0_E_clISt17integral_constantIbLb1EES16_IbLb0EEEEDaS12_S13_EUlS12_E_NS1_11comp_targetILNS1_3genE9ELNS1_11target_archE1100ELNS1_3gpuE3ELNS1_3repE0EEENS1_30default_config_static_selectorELNS0_4arch9wavefront6targetE0EEEvT1_
		.amdhsa_group_segment_fixed_size 0
		.amdhsa_private_segment_fixed_size 0
		.amdhsa_kernarg_size 112
		.amdhsa_user_sgpr_count 2
		.amdhsa_user_sgpr_dispatch_ptr 0
		.amdhsa_user_sgpr_queue_ptr 0
		.amdhsa_user_sgpr_kernarg_segment_ptr 1
		.amdhsa_user_sgpr_dispatch_id 0
		.amdhsa_user_sgpr_kernarg_preload_length 0
		.amdhsa_user_sgpr_kernarg_preload_offset 0
		.amdhsa_user_sgpr_private_segment_size 0
		.amdhsa_wavefront_size32 1
		.amdhsa_uses_dynamic_stack 0
		.amdhsa_enable_private_segment 0
		.amdhsa_system_sgpr_workgroup_id_x 1
		.amdhsa_system_sgpr_workgroup_id_y 0
		.amdhsa_system_sgpr_workgroup_id_z 0
		.amdhsa_system_sgpr_workgroup_info 0
		.amdhsa_system_vgpr_workitem_id 0
		.amdhsa_next_free_vgpr 1
		.amdhsa_next_free_sgpr 1
		.amdhsa_named_barrier_count 0
		.amdhsa_reserve_vcc 0
		.amdhsa_float_round_mode_32 0
		.amdhsa_float_round_mode_16_64 0
		.amdhsa_float_denorm_mode_32 3
		.amdhsa_float_denorm_mode_16_64 3
		.amdhsa_fp16_overflow 0
		.amdhsa_memory_ordered 1
		.amdhsa_forward_progress 1
		.amdhsa_inst_pref_size 0
		.amdhsa_round_robin_scheduling 0
		.amdhsa_exception_fp_ieee_invalid_op 0
		.amdhsa_exception_fp_denorm_src 0
		.amdhsa_exception_fp_ieee_div_zero 0
		.amdhsa_exception_fp_ieee_overflow 0
		.amdhsa_exception_fp_ieee_underflow 0
		.amdhsa_exception_fp_ieee_inexact 0
		.amdhsa_exception_int_div_zero 0
	.end_amdhsa_kernel
	.section	.text._ZN7rocprim17ROCPRIM_400000_NS6detail17trampoline_kernelINS0_14default_configENS1_25partition_config_selectorILNS1_17partition_subalgoE8EtNS0_10empty_typeEbEEZZNS1_14partition_implILS5_8ELb0ES3_jPKtPS6_PKS6_NS0_5tupleIJPtS6_EEENSE_IJSB_SB_EEENS0_18inequality_wrapperIN6hipcub16HIPCUB_304000_NS8EqualityEEEPlJS6_EEE10hipError_tPvRmT3_T4_T5_T6_T7_T9_mT8_P12ihipStream_tbDpT10_ENKUlT_T0_E_clISt17integral_constantIbLb1EES16_IbLb0EEEEDaS12_S13_EUlS12_E_NS1_11comp_targetILNS1_3genE9ELNS1_11target_archE1100ELNS1_3gpuE3ELNS1_3repE0EEENS1_30default_config_static_selectorELNS0_4arch9wavefront6targetE0EEEvT1_,"axG",@progbits,_ZN7rocprim17ROCPRIM_400000_NS6detail17trampoline_kernelINS0_14default_configENS1_25partition_config_selectorILNS1_17partition_subalgoE8EtNS0_10empty_typeEbEEZZNS1_14partition_implILS5_8ELb0ES3_jPKtPS6_PKS6_NS0_5tupleIJPtS6_EEENSE_IJSB_SB_EEENS0_18inequality_wrapperIN6hipcub16HIPCUB_304000_NS8EqualityEEEPlJS6_EEE10hipError_tPvRmT3_T4_T5_T6_T7_T9_mT8_P12ihipStream_tbDpT10_ENKUlT_T0_E_clISt17integral_constantIbLb1EES16_IbLb0EEEEDaS12_S13_EUlS12_E_NS1_11comp_targetILNS1_3genE9ELNS1_11target_archE1100ELNS1_3gpuE3ELNS1_3repE0EEENS1_30default_config_static_selectorELNS0_4arch9wavefront6targetE0EEEvT1_,comdat
.Lfunc_end777:
	.size	_ZN7rocprim17ROCPRIM_400000_NS6detail17trampoline_kernelINS0_14default_configENS1_25partition_config_selectorILNS1_17partition_subalgoE8EtNS0_10empty_typeEbEEZZNS1_14partition_implILS5_8ELb0ES3_jPKtPS6_PKS6_NS0_5tupleIJPtS6_EEENSE_IJSB_SB_EEENS0_18inequality_wrapperIN6hipcub16HIPCUB_304000_NS8EqualityEEEPlJS6_EEE10hipError_tPvRmT3_T4_T5_T6_T7_T9_mT8_P12ihipStream_tbDpT10_ENKUlT_T0_E_clISt17integral_constantIbLb1EES16_IbLb0EEEEDaS12_S13_EUlS12_E_NS1_11comp_targetILNS1_3genE9ELNS1_11target_archE1100ELNS1_3gpuE3ELNS1_3repE0EEENS1_30default_config_static_selectorELNS0_4arch9wavefront6targetE0EEEvT1_, .Lfunc_end777-_ZN7rocprim17ROCPRIM_400000_NS6detail17trampoline_kernelINS0_14default_configENS1_25partition_config_selectorILNS1_17partition_subalgoE8EtNS0_10empty_typeEbEEZZNS1_14partition_implILS5_8ELb0ES3_jPKtPS6_PKS6_NS0_5tupleIJPtS6_EEENSE_IJSB_SB_EEENS0_18inequality_wrapperIN6hipcub16HIPCUB_304000_NS8EqualityEEEPlJS6_EEE10hipError_tPvRmT3_T4_T5_T6_T7_T9_mT8_P12ihipStream_tbDpT10_ENKUlT_T0_E_clISt17integral_constantIbLb1EES16_IbLb0EEEEDaS12_S13_EUlS12_E_NS1_11comp_targetILNS1_3genE9ELNS1_11target_archE1100ELNS1_3gpuE3ELNS1_3repE0EEENS1_30default_config_static_selectorELNS0_4arch9wavefront6targetE0EEEvT1_
                                        ; -- End function
	.set _ZN7rocprim17ROCPRIM_400000_NS6detail17trampoline_kernelINS0_14default_configENS1_25partition_config_selectorILNS1_17partition_subalgoE8EtNS0_10empty_typeEbEEZZNS1_14partition_implILS5_8ELb0ES3_jPKtPS6_PKS6_NS0_5tupleIJPtS6_EEENSE_IJSB_SB_EEENS0_18inequality_wrapperIN6hipcub16HIPCUB_304000_NS8EqualityEEEPlJS6_EEE10hipError_tPvRmT3_T4_T5_T6_T7_T9_mT8_P12ihipStream_tbDpT10_ENKUlT_T0_E_clISt17integral_constantIbLb1EES16_IbLb0EEEEDaS12_S13_EUlS12_E_NS1_11comp_targetILNS1_3genE9ELNS1_11target_archE1100ELNS1_3gpuE3ELNS1_3repE0EEENS1_30default_config_static_selectorELNS0_4arch9wavefront6targetE0EEEvT1_.num_vgpr, 0
	.set _ZN7rocprim17ROCPRIM_400000_NS6detail17trampoline_kernelINS0_14default_configENS1_25partition_config_selectorILNS1_17partition_subalgoE8EtNS0_10empty_typeEbEEZZNS1_14partition_implILS5_8ELb0ES3_jPKtPS6_PKS6_NS0_5tupleIJPtS6_EEENSE_IJSB_SB_EEENS0_18inequality_wrapperIN6hipcub16HIPCUB_304000_NS8EqualityEEEPlJS6_EEE10hipError_tPvRmT3_T4_T5_T6_T7_T9_mT8_P12ihipStream_tbDpT10_ENKUlT_T0_E_clISt17integral_constantIbLb1EES16_IbLb0EEEEDaS12_S13_EUlS12_E_NS1_11comp_targetILNS1_3genE9ELNS1_11target_archE1100ELNS1_3gpuE3ELNS1_3repE0EEENS1_30default_config_static_selectorELNS0_4arch9wavefront6targetE0EEEvT1_.num_agpr, 0
	.set _ZN7rocprim17ROCPRIM_400000_NS6detail17trampoline_kernelINS0_14default_configENS1_25partition_config_selectorILNS1_17partition_subalgoE8EtNS0_10empty_typeEbEEZZNS1_14partition_implILS5_8ELb0ES3_jPKtPS6_PKS6_NS0_5tupleIJPtS6_EEENSE_IJSB_SB_EEENS0_18inequality_wrapperIN6hipcub16HIPCUB_304000_NS8EqualityEEEPlJS6_EEE10hipError_tPvRmT3_T4_T5_T6_T7_T9_mT8_P12ihipStream_tbDpT10_ENKUlT_T0_E_clISt17integral_constantIbLb1EES16_IbLb0EEEEDaS12_S13_EUlS12_E_NS1_11comp_targetILNS1_3genE9ELNS1_11target_archE1100ELNS1_3gpuE3ELNS1_3repE0EEENS1_30default_config_static_selectorELNS0_4arch9wavefront6targetE0EEEvT1_.numbered_sgpr, 0
	.set _ZN7rocprim17ROCPRIM_400000_NS6detail17trampoline_kernelINS0_14default_configENS1_25partition_config_selectorILNS1_17partition_subalgoE8EtNS0_10empty_typeEbEEZZNS1_14partition_implILS5_8ELb0ES3_jPKtPS6_PKS6_NS0_5tupleIJPtS6_EEENSE_IJSB_SB_EEENS0_18inequality_wrapperIN6hipcub16HIPCUB_304000_NS8EqualityEEEPlJS6_EEE10hipError_tPvRmT3_T4_T5_T6_T7_T9_mT8_P12ihipStream_tbDpT10_ENKUlT_T0_E_clISt17integral_constantIbLb1EES16_IbLb0EEEEDaS12_S13_EUlS12_E_NS1_11comp_targetILNS1_3genE9ELNS1_11target_archE1100ELNS1_3gpuE3ELNS1_3repE0EEENS1_30default_config_static_selectorELNS0_4arch9wavefront6targetE0EEEvT1_.num_named_barrier, 0
	.set _ZN7rocprim17ROCPRIM_400000_NS6detail17trampoline_kernelINS0_14default_configENS1_25partition_config_selectorILNS1_17partition_subalgoE8EtNS0_10empty_typeEbEEZZNS1_14partition_implILS5_8ELb0ES3_jPKtPS6_PKS6_NS0_5tupleIJPtS6_EEENSE_IJSB_SB_EEENS0_18inequality_wrapperIN6hipcub16HIPCUB_304000_NS8EqualityEEEPlJS6_EEE10hipError_tPvRmT3_T4_T5_T6_T7_T9_mT8_P12ihipStream_tbDpT10_ENKUlT_T0_E_clISt17integral_constantIbLb1EES16_IbLb0EEEEDaS12_S13_EUlS12_E_NS1_11comp_targetILNS1_3genE9ELNS1_11target_archE1100ELNS1_3gpuE3ELNS1_3repE0EEENS1_30default_config_static_selectorELNS0_4arch9wavefront6targetE0EEEvT1_.private_seg_size, 0
	.set _ZN7rocprim17ROCPRIM_400000_NS6detail17trampoline_kernelINS0_14default_configENS1_25partition_config_selectorILNS1_17partition_subalgoE8EtNS0_10empty_typeEbEEZZNS1_14partition_implILS5_8ELb0ES3_jPKtPS6_PKS6_NS0_5tupleIJPtS6_EEENSE_IJSB_SB_EEENS0_18inequality_wrapperIN6hipcub16HIPCUB_304000_NS8EqualityEEEPlJS6_EEE10hipError_tPvRmT3_T4_T5_T6_T7_T9_mT8_P12ihipStream_tbDpT10_ENKUlT_T0_E_clISt17integral_constantIbLb1EES16_IbLb0EEEEDaS12_S13_EUlS12_E_NS1_11comp_targetILNS1_3genE9ELNS1_11target_archE1100ELNS1_3gpuE3ELNS1_3repE0EEENS1_30default_config_static_selectorELNS0_4arch9wavefront6targetE0EEEvT1_.uses_vcc, 0
	.set _ZN7rocprim17ROCPRIM_400000_NS6detail17trampoline_kernelINS0_14default_configENS1_25partition_config_selectorILNS1_17partition_subalgoE8EtNS0_10empty_typeEbEEZZNS1_14partition_implILS5_8ELb0ES3_jPKtPS6_PKS6_NS0_5tupleIJPtS6_EEENSE_IJSB_SB_EEENS0_18inequality_wrapperIN6hipcub16HIPCUB_304000_NS8EqualityEEEPlJS6_EEE10hipError_tPvRmT3_T4_T5_T6_T7_T9_mT8_P12ihipStream_tbDpT10_ENKUlT_T0_E_clISt17integral_constantIbLb1EES16_IbLb0EEEEDaS12_S13_EUlS12_E_NS1_11comp_targetILNS1_3genE9ELNS1_11target_archE1100ELNS1_3gpuE3ELNS1_3repE0EEENS1_30default_config_static_selectorELNS0_4arch9wavefront6targetE0EEEvT1_.uses_flat_scratch, 0
	.set _ZN7rocprim17ROCPRIM_400000_NS6detail17trampoline_kernelINS0_14default_configENS1_25partition_config_selectorILNS1_17partition_subalgoE8EtNS0_10empty_typeEbEEZZNS1_14partition_implILS5_8ELb0ES3_jPKtPS6_PKS6_NS0_5tupleIJPtS6_EEENSE_IJSB_SB_EEENS0_18inequality_wrapperIN6hipcub16HIPCUB_304000_NS8EqualityEEEPlJS6_EEE10hipError_tPvRmT3_T4_T5_T6_T7_T9_mT8_P12ihipStream_tbDpT10_ENKUlT_T0_E_clISt17integral_constantIbLb1EES16_IbLb0EEEEDaS12_S13_EUlS12_E_NS1_11comp_targetILNS1_3genE9ELNS1_11target_archE1100ELNS1_3gpuE3ELNS1_3repE0EEENS1_30default_config_static_selectorELNS0_4arch9wavefront6targetE0EEEvT1_.has_dyn_sized_stack, 0
	.set _ZN7rocprim17ROCPRIM_400000_NS6detail17trampoline_kernelINS0_14default_configENS1_25partition_config_selectorILNS1_17partition_subalgoE8EtNS0_10empty_typeEbEEZZNS1_14partition_implILS5_8ELb0ES3_jPKtPS6_PKS6_NS0_5tupleIJPtS6_EEENSE_IJSB_SB_EEENS0_18inequality_wrapperIN6hipcub16HIPCUB_304000_NS8EqualityEEEPlJS6_EEE10hipError_tPvRmT3_T4_T5_T6_T7_T9_mT8_P12ihipStream_tbDpT10_ENKUlT_T0_E_clISt17integral_constantIbLb1EES16_IbLb0EEEEDaS12_S13_EUlS12_E_NS1_11comp_targetILNS1_3genE9ELNS1_11target_archE1100ELNS1_3gpuE3ELNS1_3repE0EEENS1_30default_config_static_selectorELNS0_4arch9wavefront6targetE0EEEvT1_.has_recursion, 0
	.set _ZN7rocprim17ROCPRIM_400000_NS6detail17trampoline_kernelINS0_14default_configENS1_25partition_config_selectorILNS1_17partition_subalgoE8EtNS0_10empty_typeEbEEZZNS1_14partition_implILS5_8ELb0ES3_jPKtPS6_PKS6_NS0_5tupleIJPtS6_EEENSE_IJSB_SB_EEENS0_18inequality_wrapperIN6hipcub16HIPCUB_304000_NS8EqualityEEEPlJS6_EEE10hipError_tPvRmT3_T4_T5_T6_T7_T9_mT8_P12ihipStream_tbDpT10_ENKUlT_T0_E_clISt17integral_constantIbLb1EES16_IbLb0EEEEDaS12_S13_EUlS12_E_NS1_11comp_targetILNS1_3genE9ELNS1_11target_archE1100ELNS1_3gpuE3ELNS1_3repE0EEENS1_30default_config_static_selectorELNS0_4arch9wavefront6targetE0EEEvT1_.has_indirect_call, 0
	.section	.AMDGPU.csdata,"",@progbits
; Kernel info:
; codeLenInByte = 0
; TotalNumSgprs: 0
; NumVgprs: 0
; ScratchSize: 0
; MemoryBound: 0
; FloatMode: 240
; IeeeMode: 1
; LDSByteSize: 0 bytes/workgroup (compile time only)
; SGPRBlocks: 0
; VGPRBlocks: 0
; NumSGPRsForWavesPerEU: 1
; NumVGPRsForWavesPerEU: 1
; NamedBarCnt: 0
; Occupancy: 16
; WaveLimiterHint : 0
; COMPUTE_PGM_RSRC2:SCRATCH_EN: 0
; COMPUTE_PGM_RSRC2:USER_SGPR: 2
; COMPUTE_PGM_RSRC2:TRAP_HANDLER: 0
; COMPUTE_PGM_RSRC2:TGID_X_EN: 1
; COMPUTE_PGM_RSRC2:TGID_Y_EN: 0
; COMPUTE_PGM_RSRC2:TGID_Z_EN: 0
; COMPUTE_PGM_RSRC2:TIDIG_COMP_CNT: 0
	.section	.text._ZN7rocprim17ROCPRIM_400000_NS6detail17trampoline_kernelINS0_14default_configENS1_25partition_config_selectorILNS1_17partition_subalgoE8EtNS0_10empty_typeEbEEZZNS1_14partition_implILS5_8ELb0ES3_jPKtPS6_PKS6_NS0_5tupleIJPtS6_EEENSE_IJSB_SB_EEENS0_18inequality_wrapperIN6hipcub16HIPCUB_304000_NS8EqualityEEEPlJS6_EEE10hipError_tPvRmT3_T4_T5_T6_T7_T9_mT8_P12ihipStream_tbDpT10_ENKUlT_T0_E_clISt17integral_constantIbLb1EES16_IbLb0EEEEDaS12_S13_EUlS12_E_NS1_11comp_targetILNS1_3genE8ELNS1_11target_archE1030ELNS1_3gpuE2ELNS1_3repE0EEENS1_30default_config_static_selectorELNS0_4arch9wavefront6targetE0EEEvT1_,"axG",@progbits,_ZN7rocprim17ROCPRIM_400000_NS6detail17trampoline_kernelINS0_14default_configENS1_25partition_config_selectorILNS1_17partition_subalgoE8EtNS0_10empty_typeEbEEZZNS1_14partition_implILS5_8ELb0ES3_jPKtPS6_PKS6_NS0_5tupleIJPtS6_EEENSE_IJSB_SB_EEENS0_18inequality_wrapperIN6hipcub16HIPCUB_304000_NS8EqualityEEEPlJS6_EEE10hipError_tPvRmT3_T4_T5_T6_T7_T9_mT8_P12ihipStream_tbDpT10_ENKUlT_T0_E_clISt17integral_constantIbLb1EES16_IbLb0EEEEDaS12_S13_EUlS12_E_NS1_11comp_targetILNS1_3genE8ELNS1_11target_archE1030ELNS1_3gpuE2ELNS1_3repE0EEENS1_30default_config_static_selectorELNS0_4arch9wavefront6targetE0EEEvT1_,comdat
	.protected	_ZN7rocprim17ROCPRIM_400000_NS6detail17trampoline_kernelINS0_14default_configENS1_25partition_config_selectorILNS1_17partition_subalgoE8EtNS0_10empty_typeEbEEZZNS1_14partition_implILS5_8ELb0ES3_jPKtPS6_PKS6_NS0_5tupleIJPtS6_EEENSE_IJSB_SB_EEENS0_18inequality_wrapperIN6hipcub16HIPCUB_304000_NS8EqualityEEEPlJS6_EEE10hipError_tPvRmT3_T4_T5_T6_T7_T9_mT8_P12ihipStream_tbDpT10_ENKUlT_T0_E_clISt17integral_constantIbLb1EES16_IbLb0EEEEDaS12_S13_EUlS12_E_NS1_11comp_targetILNS1_3genE8ELNS1_11target_archE1030ELNS1_3gpuE2ELNS1_3repE0EEENS1_30default_config_static_selectorELNS0_4arch9wavefront6targetE0EEEvT1_ ; -- Begin function _ZN7rocprim17ROCPRIM_400000_NS6detail17trampoline_kernelINS0_14default_configENS1_25partition_config_selectorILNS1_17partition_subalgoE8EtNS0_10empty_typeEbEEZZNS1_14partition_implILS5_8ELb0ES3_jPKtPS6_PKS6_NS0_5tupleIJPtS6_EEENSE_IJSB_SB_EEENS0_18inequality_wrapperIN6hipcub16HIPCUB_304000_NS8EqualityEEEPlJS6_EEE10hipError_tPvRmT3_T4_T5_T6_T7_T9_mT8_P12ihipStream_tbDpT10_ENKUlT_T0_E_clISt17integral_constantIbLb1EES16_IbLb0EEEEDaS12_S13_EUlS12_E_NS1_11comp_targetILNS1_3genE8ELNS1_11target_archE1030ELNS1_3gpuE2ELNS1_3repE0EEENS1_30default_config_static_selectorELNS0_4arch9wavefront6targetE0EEEvT1_
	.globl	_ZN7rocprim17ROCPRIM_400000_NS6detail17trampoline_kernelINS0_14default_configENS1_25partition_config_selectorILNS1_17partition_subalgoE8EtNS0_10empty_typeEbEEZZNS1_14partition_implILS5_8ELb0ES3_jPKtPS6_PKS6_NS0_5tupleIJPtS6_EEENSE_IJSB_SB_EEENS0_18inequality_wrapperIN6hipcub16HIPCUB_304000_NS8EqualityEEEPlJS6_EEE10hipError_tPvRmT3_T4_T5_T6_T7_T9_mT8_P12ihipStream_tbDpT10_ENKUlT_T0_E_clISt17integral_constantIbLb1EES16_IbLb0EEEEDaS12_S13_EUlS12_E_NS1_11comp_targetILNS1_3genE8ELNS1_11target_archE1030ELNS1_3gpuE2ELNS1_3repE0EEENS1_30default_config_static_selectorELNS0_4arch9wavefront6targetE0EEEvT1_
	.p2align	8
	.type	_ZN7rocprim17ROCPRIM_400000_NS6detail17trampoline_kernelINS0_14default_configENS1_25partition_config_selectorILNS1_17partition_subalgoE8EtNS0_10empty_typeEbEEZZNS1_14partition_implILS5_8ELb0ES3_jPKtPS6_PKS6_NS0_5tupleIJPtS6_EEENSE_IJSB_SB_EEENS0_18inequality_wrapperIN6hipcub16HIPCUB_304000_NS8EqualityEEEPlJS6_EEE10hipError_tPvRmT3_T4_T5_T6_T7_T9_mT8_P12ihipStream_tbDpT10_ENKUlT_T0_E_clISt17integral_constantIbLb1EES16_IbLb0EEEEDaS12_S13_EUlS12_E_NS1_11comp_targetILNS1_3genE8ELNS1_11target_archE1030ELNS1_3gpuE2ELNS1_3repE0EEENS1_30default_config_static_selectorELNS0_4arch9wavefront6targetE0EEEvT1_,@function
_ZN7rocprim17ROCPRIM_400000_NS6detail17trampoline_kernelINS0_14default_configENS1_25partition_config_selectorILNS1_17partition_subalgoE8EtNS0_10empty_typeEbEEZZNS1_14partition_implILS5_8ELb0ES3_jPKtPS6_PKS6_NS0_5tupleIJPtS6_EEENSE_IJSB_SB_EEENS0_18inequality_wrapperIN6hipcub16HIPCUB_304000_NS8EqualityEEEPlJS6_EEE10hipError_tPvRmT3_T4_T5_T6_T7_T9_mT8_P12ihipStream_tbDpT10_ENKUlT_T0_E_clISt17integral_constantIbLb1EES16_IbLb0EEEEDaS12_S13_EUlS12_E_NS1_11comp_targetILNS1_3genE8ELNS1_11target_archE1030ELNS1_3gpuE2ELNS1_3repE0EEENS1_30default_config_static_selectorELNS0_4arch9wavefront6targetE0EEEvT1_: ; @_ZN7rocprim17ROCPRIM_400000_NS6detail17trampoline_kernelINS0_14default_configENS1_25partition_config_selectorILNS1_17partition_subalgoE8EtNS0_10empty_typeEbEEZZNS1_14partition_implILS5_8ELb0ES3_jPKtPS6_PKS6_NS0_5tupleIJPtS6_EEENSE_IJSB_SB_EEENS0_18inequality_wrapperIN6hipcub16HIPCUB_304000_NS8EqualityEEEPlJS6_EEE10hipError_tPvRmT3_T4_T5_T6_T7_T9_mT8_P12ihipStream_tbDpT10_ENKUlT_T0_E_clISt17integral_constantIbLb1EES16_IbLb0EEEEDaS12_S13_EUlS12_E_NS1_11comp_targetILNS1_3genE8ELNS1_11target_archE1030ELNS1_3gpuE2ELNS1_3repE0EEENS1_30default_config_static_selectorELNS0_4arch9wavefront6targetE0EEEvT1_
; %bb.0:
	.section	.rodata,"a",@progbits
	.p2align	6, 0x0
	.amdhsa_kernel _ZN7rocprim17ROCPRIM_400000_NS6detail17trampoline_kernelINS0_14default_configENS1_25partition_config_selectorILNS1_17partition_subalgoE8EtNS0_10empty_typeEbEEZZNS1_14partition_implILS5_8ELb0ES3_jPKtPS6_PKS6_NS0_5tupleIJPtS6_EEENSE_IJSB_SB_EEENS0_18inequality_wrapperIN6hipcub16HIPCUB_304000_NS8EqualityEEEPlJS6_EEE10hipError_tPvRmT3_T4_T5_T6_T7_T9_mT8_P12ihipStream_tbDpT10_ENKUlT_T0_E_clISt17integral_constantIbLb1EES16_IbLb0EEEEDaS12_S13_EUlS12_E_NS1_11comp_targetILNS1_3genE8ELNS1_11target_archE1030ELNS1_3gpuE2ELNS1_3repE0EEENS1_30default_config_static_selectorELNS0_4arch9wavefront6targetE0EEEvT1_
		.amdhsa_group_segment_fixed_size 0
		.amdhsa_private_segment_fixed_size 0
		.amdhsa_kernarg_size 112
		.amdhsa_user_sgpr_count 2
		.amdhsa_user_sgpr_dispatch_ptr 0
		.amdhsa_user_sgpr_queue_ptr 0
		.amdhsa_user_sgpr_kernarg_segment_ptr 1
		.amdhsa_user_sgpr_dispatch_id 0
		.amdhsa_user_sgpr_kernarg_preload_length 0
		.amdhsa_user_sgpr_kernarg_preload_offset 0
		.amdhsa_user_sgpr_private_segment_size 0
		.amdhsa_wavefront_size32 1
		.amdhsa_uses_dynamic_stack 0
		.amdhsa_enable_private_segment 0
		.amdhsa_system_sgpr_workgroup_id_x 1
		.amdhsa_system_sgpr_workgroup_id_y 0
		.amdhsa_system_sgpr_workgroup_id_z 0
		.amdhsa_system_sgpr_workgroup_info 0
		.amdhsa_system_vgpr_workitem_id 0
		.amdhsa_next_free_vgpr 1
		.amdhsa_next_free_sgpr 1
		.amdhsa_named_barrier_count 0
		.amdhsa_reserve_vcc 0
		.amdhsa_float_round_mode_32 0
		.amdhsa_float_round_mode_16_64 0
		.amdhsa_float_denorm_mode_32 3
		.amdhsa_float_denorm_mode_16_64 3
		.amdhsa_fp16_overflow 0
		.amdhsa_memory_ordered 1
		.amdhsa_forward_progress 1
		.amdhsa_inst_pref_size 0
		.amdhsa_round_robin_scheduling 0
		.amdhsa_exception_fp_ieee_invalid_op 0
		.amdhsa_exception_fp_denorm_src 0
		.amdhsa_exception_fp_ieee_div_zero 0
		.amdhsa_exception_fp_ieee_overflow 0
		.amdhsa_exception_fp_ieee_underflow 0
		.amdhsa_exception_fp_ieee_inexact 0
		.amdhsa_exception_int_div_zero 0
	.end_amdhsa_kernel
	.section	.text._ZN7rocprim17ROCPRIM_400000_NS6detail17trampoline_kernelINS0_14default_configENS1_25partition_config_selectorILNS1_17partition_subalgoE8EtNS0_10empty_typeEbEEZZNS1_14partition_implILS5_8ELb0ES3_jPKtPS6_PKS6_NS0_5tupleIJPtS6_EEENSE_IJSB_SB_EEENS0_18inequality_wrapperIN6hipcub16HIPCUB_304000_NS8EqualityEEEPlJS6_EEE10hipError_tPvRmT3_T4_T5_T6_T7_T9_mT8_P12ihipStream_tbDpT10_ENKUlT_T0_E_clISt17integral_constantIbLb1EES16_IbLb0EEEEDaS12_S13_EUlS12_E_NS1_11comp_targetILNS1_3genE8ELNS1_11target_archE1030ELNS1_3gpuE2ELNS1_3repE0EEENS1_30default_config_static_selectorELNS0_4arch9wavefront6targetE0EEEvT1_,"axG",@progbits,_ZN7rocprim17ROCPRIM_400000_NS6detail17trampoline_kernelINS0_14default_configENS1_25partition_config_selectorILNS1_17partition_subalgoE8EtNS0_10empty_typeEbEEZZNS1_14partition_implILS5_8ELb0ES3_jPKtPS6_PKS6_NS0_5tupleIJPtS6_EEENSE_IJSB_SB_EEENS0_18inequality_wrapperIN6hipcub16HIPCUB_304000_NS8EqualityEEEPlJS6_EEE10hipError_tPvRmT3_T4_T5_T6_T7_T9_mT8_P12ihipStream_tbDpT10_ENKUlT_T0_E_clISt17integral_constantIbLb1EES16_IbLb0EEEEDaS12_S13_EUlS12_E_NS1_11comp_targetILNS1_3genE8ELNS1_11target_archE1030ELNS1_3gpuE2ELNS1_3repE0EEENS1_30default_config_static_selectorELNS0_4arch9wavefront6targetE0EEEvT1_,comdat
.Lfunc_end778:
	.size	_ZN7rocprim17ROCPRIM_400000_NS6detail17trampoline_kernelINS0_14default_configENS1_25partition_config_selectorILNS1_17partition_subalgoE8EtNS0_10empty_typeEbEEZZNS1_14partition_implILS5_8ELb0ES3_jPKtPS6_PKS6_NS0_5tupleIJPtS6_EEENSE_IJSB_SB_EEENS0_18inequality_wrapperIN6hipcub16HIPCUB_304000_NS8EqualityEEEPlJS6_EEE10hipError_tPvRmT3_T4_T5_T6_T7_T9_mT8_P12ihipStream_tbDpT10_ENKUlT_T0_E_clISt17integral_constantIbLb1EES16_IbLb0EEEEDaS12_S13_EUlS12_E_NS1_11comp_targetILNS1_3genE8ELNS1_11target_archE1030ELNS1_3gpuE2ELNS1_3repE0EEENS1_30default_config_static_selectorELNS0_4arch9wavefront6targetE0EEEvT1_, .Lfunc_end778-_ZN7rocprim17ROCPRIM_400000_NS6detail17trampoline_kernelINS0_14default_configENS1_25partition_config_selectorILNS1_17partition_subalgoE8EtNS0_10empty_typeEbEEZZNS1_14partition_implILS5_8ELb0ES3_jPKtPS6_PKS6_NS0_5tupleIJPtS6_EEENSE_IJSB_SB_EEENS0_18inequality_wrapperIN6hipcub16HIPCUB_304000_NS8EqualityEEEPlJS6_EEE10hipError_tPvRmT3_T4_T5_T6_T7_T9_mT8_P12ihipStream_tbDpT10_ENKUlT_T0_E_clISt17integral_constantIbLb1EES16_IbLb0EEEEDaS12_S13_EUlS12_E_NS1_11comp_targetILNS1_3genE8ELNS1_11target_archE1030ELNS1_3gpuE2ELNS1_3repE0EEENS1_30default_config_static_selectorELNS0_4arch9wavefront6targetE0EEEvT1_
                                        ; -- End function
	.set _ZN7rocprim17ROCPRIM_400000_NS6detail17trampoline_kernelINS0_14default_configENS1_25partition_config_selectorILNS1_17partition_subalgoE8EtNS0_10empty_typeEbEEZZNS1_14partition_implILS5_8ELb0ES3_jPKtPS6_PKS6_NS0_5tupleIJPtS6_EEENSE_IJSB_SB_EEENS0_18inequality_wrapperIN6hipcub16HIPCUB_304000_NS8EqualityEEEPlJS6_EEE10hipError_tPvRmT3_T4_T5_T6_T7_T9_mT8_P12ihipStream_tbDpT10_ENKUlT_T0_E_clISt17integral_constantIbLb1EES16_IbLb0EEEEDaS12_S13_EUlS12_E_NS1_11comp_targetILNS1_3genE8ELNS1_11target_archE1030ELNS1_3gpuE2ELNS1_3repE0EEENS1_30default_config_static_selectorELNS0_4arch9wavefront6targetE0EEEvT1_.num_vgpr, 0
	.set _ZN7rocprim17ROCPRIM_400000_NS6detail17trampoline_kernelINS0_14default_configENS1_25partition_config_selectorILNS1_17partition_subalgoE8EtNS0_10empty_typeEbEEZZNS1_14partition_implILS5_8ELb0ES3_jPKtPS6_PKS6_NS0_5tupleIJPtS6_EEENSE_IJSB_SB_EEENS0_18inequality_wrapperIN6hipcub16HIPCUB_304000_NS8EqualityEEEPlJS6_EEE10hipError_tPvRmT3_T4_T5_T6_T7_T9_mT8_P12ihipStream_tbDpT10_ENKUlT_T0_E_clISt17integral_constantIbLb1EES16_IbLb0EEEEDaS12_S13_EUlS12_E_NS1_11comp_targetILNS1_3genE8ELNS1_11target_archE1030ELNS1_3gpuE2ELNS1_3repE0EEENS1_30default_config_static_selectorELNS0_4arch9wavefront6targetE0EEEvT1_.num_agpr, 0
	.set _ZN7rocprim17ROCPRIM_400000_NS6detail17trampoline_kernelINS0_14default_configENS1_25partition_config_selectorILNS1_17partition_subalgoE8EtNS0_10empty_typeEbEEZZNS1_14partition_implILS5_8ELb0ES3_jPKtPS6_PKS6_NS0_5tupleIJPtS6_EEENSE_IJSB_SB_EEENS0_18inequality_wrapperIN6hipcub16HIPCUB_304000_NS8EqualityEEEPlJS6_EEE10hipError_tPvRmT3_T4_T5_T6_T7_T9_mT8_P12ihipStream_tbDpT10_ENKUlT_T0_E_clISt17integral_constantIbLb1EES16_IbLb0EEEEDaS12_S13_EUlS12_E_NS1_11comp_targetILNS1_3genE8ELNS1_11target_archE1030ELNS1_3gpuE2ELNS1_3repE0EEENS1_30default_config_static_selectorELNS0_4arch9wavefront6targetE0EEEvT1_.numbered_sgpr, 0
	.set _ZN7rocprim17ROCPRIM_400000_NS6detail17trampoline_kernelINS0_14default_configENS1_25partition_config_selectorILNS1_17partition_subalgoE8EtNS0_10empty_typeEbEEZZNS1_14partition_implILS5_8ELb0ES3_jPKtPS6_PKS6_NS0_5tupleIJPtS6_EEENSE_IJSB_SB_EEENS0_18inequality_wrapperIN6hipcub16HIPCUB_304000_NS8EqualityEEEPlJS6_EEE10hipError_tPvRmT3_T4_T5_T6_T7_T9_mT8_P12ihipStream_tbDpT10_ENKUlT_T0_E_clISt17integral_constantIbLb1EES16_IbLb0EEEEDaS12_S13_EUlS12_E_NS1_11comp_targetILNS1_3genE8ELNS1_11target_archE1030ELNS1_3gpuE2ELNS1_3repE0EEENS1_30default_config_static_selectorELNS0_4arch9wavefront6targetE0EEEvT1_.num_named_barrier, 0
	.set _ZN7rocprim17ROCPRIM_400000_NS6detail17trampoline_kernelINS0_14default_configENS1_25partition_config_selectorILNS1_17partition_subalgoE8EtNS0_10empty_typeEbEEZZNS1_14partition_implILS5_8ELb0ES3_jPKtPS6_PKS6_NS0_5tupleIJPtS6_EEENSE_IJSB_SB_EEENS0_18inequality_wrapperIN6hipcub16HIPCUB_304000_NS8EqualityEEEPlJS6_EEE10hipError_tPvRmT3_T4_T5_T6_T7_T9_mT8_P12ihipStream_tbDpT10_ENKUlT_T0_E_clISt17integral_constantIbLb1EES16_IbLb0EEEEDaS12_S13_EUlS12_E_NS1_11comp_targetILNS1_3genE8ELNS1_11target_archE1030ELNS1_3gpuE2ELNS1_3repE0EEENS1_30default_config_static_selectorELNS0_4arch9wavefront6targetE0EEEvT1_.private_seg_size, 0
	.set _ZN7rocprim17ROCPRIM_400000_NS6detail17trampoline_kernelINS0_14default_configENS1_25partition_config_selectorILNS1_17partition_subalgoE8EtNS0_10empty_typeEbEEZZNS1_14partition_implILS5_8ELb0ES3_jPKtPS6_PKS6_NS0_5tupleIJPtS6_EEENSE_IJSB_SB_EEENS0_18inequality_wrapperIN6hipcub16HIPCUB_304000_NS8EqualityEEEPlJS6_EEE10hipError_tPvRmT3_T4_T5_T6_T7_T9_mT8_P12ihipStream_tbDpT10_ENKUlT_T0_E_clISt17integral_constantIbLb1EES16_IbLb0EEEEDaS12_S13_EUlS12_E_NS1_11comp_targetILNS1_3genE8ELNS1_11target_archE1030ELNS1_3gpuE2ELNS1_3repE0EEENS1_30default_config_static_selectorELNS0_4arch9wavefront6targetE0EEEvT1_.uses_vcc, 0
	.set _ZN7rocprim17ROCPRIM_400000_NS6detail17trampoline_kernelINS0_14default_configENS1_25partition_config_selectorILNS1_17partition_subalgoE8EtNS0_10empty_typeEbEEZZNS1_14partition_implILS5_8ELb0ES3_jPKtPS6_PKS6_NS0_5tupleIJPtS6_EEENSE_IJSB_SB_EEENS0_18inequality_wrapperIN6hipcub16HIPCUB_304000_NS8EqualityEEEPlJS6_EEE10hipError_tPvRmT3_T4_T5_T6_T7_T9_mT8_P12ihipStream_tbDpT10_ENKUlT_T0_E_clISt17integral_constantIbLb1EES16_IbLb0EEEEDaS12_S13_EUlS12_E_NS1_11comp_targetILNS1_3genE8ELNS1_11target_archE1030ELNS1_3gpuE2ELNS1_3repE0EEENS1_30default_config_static_selectorELNS0_4arch9wavefront6targetE0EEEvT1_.uses_flat_scratch, 0
	.set _ZN7rocprim17ROCPRIM_400000_NS6detail17trampoline_kernelINS0_14default_configENS1_25partition_config_selectorILNS1_17partition_subalgoE8EtNS0_10empty_typeEbEEZZNS1_14partition_implILS5_8ELb0ES3_jPKtPS6_PKS6_NS0_5tupleIJPtS6_EEENSE_IJSB_SB_EEENS0_18inequality_wrapperIN6hipcub16HIPCUB_304000_NS8EqualityEEEPlJS6_EEE10hipError_tPvRmT3_T4_T5_T6_T7_T9_mT8_P12ihipStream_tbDpT10_ENKUlT_T0_E_clISt17integral_constantIbLb1EES16_IbLb0EEEEDaS12_S13_EUlS12_E_NS1_11comp_targetILNS1_3genE8ELNS1_11target_archE1030ELNS1_3gpuE2ELNS1_3repE0EEENS1_30default_config_static_selectorELNS0_4arch9wavefront6targetE0EEEvT1_.has_dyn_sized_stack, 0
	.set _ZN7rocprim17ROCPRIM_400000_NS6detail17trampoline_kernelINS0_14default_configENS1_25partition_config_selectorILNS1_17partition_subalgoE8EtNS0_10empty_typeEbEEZZNS1_14partition_implILS5_8ELb0ES3_jPKtPS6_PKS6_NS0_5tupleIJPtS6_EEENSE_IJSB_SB_EEENS0_18inequality_wrapperIN6hipcub16HIPCUB_304000_NS8EqualityEEEPlJS6_EEE10hipError_tPvRmT3_T4_T5_T6_T7_T9_mT8_P12ihipStream_tbDpT10_ENKUlT_T0_E_clISt17integral_constantIbLb1EES16_IbLb0EEEEDaS12_S13_EUlS12_E_NS1_11comp_targetILNS1_3genE8ELNS1_11target_archE1030ELNS1_3gpuE2ELNS1_3repE0EEENS1_30default_config_static_selectorELNS0_4arch9wavefront6targetE0EEEvT1_.has_recursion, 0
	.set _ZN7rocprim17ROCPRIM_400000_NS6detail17trampoline_kernelINS0_14default_configENS1_25partition_config_selectorILNS1_17partition_subalgoE8EtNS0_10empty_typeEbEEZZNS1_14partition_implILS5_8ELb0ES3_jPKtPS6_PKS6_NS0_5tupleIJPtS6_EEENSE_IJSB_SB_EEENS0_18inequality_wrapperIN6hipcub16HIPCUB_304000_NS8EqualityEEEPlJS6_EEE10hipError_tPvRmT3_T4_T5_T6_T7_T9_mT8_P12ihipStream_tbDpT10_ENKUlT_T0_E_clISt17integral_constantIbLb1EES16_IbLb0EEEEDaS12_S13_EUlS12_E_NS1_11comp_targetILNS1_3genE8ELNS1_11target_archE1030ELNS1_3gpuE2ELNS1_3repE0EEENS1_30default_config_static_selectorELNS0_4arch9wavefront6targetE0EEEvT1_.has_indirect_call, 0
	.section	.AMDGPU.csdata,"",@progbits
; Kernel info:
; codeLenInByte = 0
; TotalNumSgprs: 0
; NumVgprs: 0
; ScratchSize: 0
; MemoryBound: 0
; FloatMode: 240
; IeeeMode: 1
; LDSByteSize: 0 bytes/workgroup (compile time only)
; SGPRBlocks: 0
; VGPRBlocks: 0
; NumSGPRsForWavesPerEU: 1
; NumVGPRsForWavesPerEU: 1
; NamedBarCnt: 0
; Occupancy: 16
; WaveLimiterHint : 0
; COMPUTE_PGM_RSRC2:SCRATCH_EN: 0
; COMPUTE_PGM_RSRC2:USER_SGPR: 2
; COMPUTE_PGM_RSRC2:TRAP_HANDLER: 0
; COMPUTE_PGM_RSRC2:TGID_X_EN: 1
; COMPUTE_PGM_RSRC2:TGID_Y_EN: 0
; COMPUTE_PGM_RSRC2:TGID_Z_EN: 0
; COMPUTE_PGM_RSRC2:TIDIG_COMP_CNT: 0
	.section	.text._ZN7rocprim17ROCPRIM_400000_NS6detail17trampoline_kernelINS0_14default_configENS1_25partition_config_selectorILNS1_17partition_subalgoE8EtNS0_10empty_typeEbEEZZNS1_14partition_implILS5_8ELb0ES3_jPKtPS6_PKS6_NS0_5tupleIJPtS6_EEENSE_IJSB_SB_EEENS0_18inequality_wrapperIN6hipcub16HIPCUB_304000_NS8EqualityEEEPlJS6_EEE10hipError_tPvRmT3_T4_T5_T6_T7_T9_mT8_P12ihipStream_tbDpT10_ENKUlT_T0_E_clISt17integral_constantIbLb0EES16_IbLb1EEEEDaS12_S13_EUlS12_E_NS1_11comp_targetILNS1_3genE0ELNS1_11target_archE4294967295ELNS1_3gpuE0ELNS1_3repE0EEENS1_30default_config_static_selectorELNS0_4arch9wavefront6targetE0EEEvT1_,"axG",@progbits,_ZN7rocprim17ROCPRIM_400000_NS6detail17trampoline_kernelINS0_14default_configENS1_25partition_config_selectorILNS1_17partition_subalgoE8EtNS0_10empty_typeEbEEZZNS1_14partition_implILS5_8ELb0ES3_jPKtPS6_PKS6_NS0_5tupleIJPtS6_EEENSE_IJSB_SB_EEENS0_18inequality_wrapperIN6hipcub16HIPCUB_304000_NS8EqualityEEEPlJS6_EEE10hipError_tPvRmT3_T4_T5_T6_T7_T9_mT8_P12ihipStream_tbDpT10_ENKUlT_T0_E_clISt17integral_constantIbLb0EES16_IbLb1EEEEDaS12_S13_EUlS12_E_NS1_11comp_targetILNS1_3genE0ELNS1_11target_archE4294967295ELNS1_3gpuE0ELNS1_3repE0EEENS1_30default_config_static_selectorELNS0_4arch9wavefront6targetE0EEEvT1_,comdat
	.protected	_ZN7rocprim17ROCPRIM_400000_NS6detail17trampoline_kernelINS0_14default_configENS1_25partition_config_selectorILNS1_17partition_subalgoE8EtNS0_10empty_typeEbEEZZNS1_14partition_implILS5_8ELb0ES3_jPKtPS6_PKS6_NS0_5tupleIJPtS6_EEENSE_IJSB_SB_EEENS0_18inequality_wrapperIN6hipcub16HIPCUB_304000_NS8EqualityEEEPlJS6_EEE10hipError_tPvRmT3_T4_T5_T6_T7_T9_mT8_P12ihipStream_tbDpT10_ENKUlT_T0_E_clISt17integral_constantIbLb0EES16_IbLb1EEEEDaS12_S13_EUlS12_E_NS1_11comp_targetILNS1_3genE0ELNS1_11target_archE4294967295ELNS1_3gpuE0ELNS1_3repE0EEENS1_30default_config_static_selectorELNS0_4arch9wavefront6targetE0EEEvT1_ ; -- Begin function _ZN7rocprim17ROCPRIM_400000_NS6detail17trampoline_kernelINS0_14default_configENS1_25partition_config_selectorILNS1_17partition_subalgoE8EtNS0_10empty_typeEbEEZZNS1_14partition_implILS5_8ELb0ES3_jPKtPS6_PKS6_NS0_5tupleIJPtS6_EEENSE_IJSB_SB_EEENS0_18inequality_wrapperIN6hipcub16HIPCUB_304000_NS8EqualityEEEPlJS6_EEE10hipError_tPvRmT3_T4_T5_T6_T7_T9_mT8_P12ihipStream_tbDpT10_ENKUlT_T0_E_clISt17integral_constantIbLb0EES16_IbLb1EEEEDaS12_S13_EUlS12_E_NS1_11comp_targetILNS1_3genE0ELNS1_11target_archE4294967295ELNS1_3gpuE0ELNS1_3repE0EEENS1_30default_config_static_selectorELNS0_4arch9wavefront6targetE0EEEvT1_
	.globl	_ZN7rocprim17ROCPRIM_400000_NS6detail17trampoline_kernelINS0_14default_configENS1_25partition_config_selectorILNS1_17partition_subalgoE8EtNS0_10empty_typeEbEEZZNS1_14partition_implILS5_8ELb0ES3_jPKtPS6_PKS6_NS0_5tupleIJPtS6_EEENSE_IJSB_SB_EEENS0_18inequality_wrapperIN6hipcub16HIPCUB_304000_NS8EqualityEEEPlJS6_EEE10hipError_tPvRmT3_T4_T5_T6_T7_T9_mT8_P12ihipStream_tbDpT10_ENKUlT_T0_E_clISt17integral_constantIbLb0EES16_IbLb1EEEEDaS12_S13_EUlS12_E_NS1_11comp_targetILNS1_3genE0ELNS1_11target_archE4294967295ELNS1_3gpuE0ELNS1_3repE0EEENS1_30default_config_static_selectorELNS0_4arch9wavefront6targetE0EEEvT1_
	.p2align	8
	.type	_ZN7rocprim17ROCPRIM_400000_NS6detail17trampoline_kernelINS0_14default_configENS1_25partition_config_selectorILNS1_17partition_subalgoE8EtNS0_10empty_typeEbEEZZNS1_14partition_implILS5_8ELb0ES3_jPKtPS6_PKS6_NS0_5tupleIJPtS6_EEENSE_IJSB_SB_EEENS0_18inequality_wrapperIN6hipcub16HIPCUB_304000_NS8EqualityEEEPlJS6_EEE10hipError_tPvRmT3_T4_T5_T6_T7_T9_mT8_P12ihipStream_tbDpT10_ENKUlT_T0_E_clISt17integral_constantIbLb0EES16_IbLb1EEEEDaS12_S13_EUlS12_E_NS1_11comp_targetILNS1_3genE0ELNS1_11target_archE4294967295ELNS1_3gpuE0ELNS1_3repE0EEENS1_30default_config_static_selectorELNS0_4arch9wavefront6targetE0EEEvT1_,@function
_ZN7rocprim17ROCPRIM_400000_NS6detail17trampoline_kernelINS0_14default_configENS1_25partition_config_selectorILNS1_17partition_subalgoE8EtNS0_10empty_typeEbEEZZNS1_14partition_implILS5_8ELb0ES3_jPKtPS6_PKS6_NS0_5tupleIJPtS6_EEENSE_IJSB_SB_EEENS0_18inequality_wrapperIN6hipcub16HIPCUB_304000_NS8EqualityEEEPlJS6_EEE10hipError_tPvRmT3_T4_T5_T6_T7_T9_mT8_P12ihipStream_tbDpT10_ENKUlT_T0_E_clISt17integral_constantIbLb0EES16_IbLb1EEEEDaS12_S13_EUlS12_E_NS1_11comp_targetILNS1_3genE0ELNS1_11target_archE4294967295ELNS1_3gpuE0ELNS1_3repE0EEENS1_30default_config_static_selectorELNS0_4arch9wavefront6targetE0EEEvT1_: ; @_ZN7rocprim17ROCPRIM_400000_NS6detail17trampoline_kernelINS0_14default_configENS1_25partition_config_selectorILNS1_17partition_subalgoE8EtNS0_10empty_typeEbEEZZNS1_14partition_implILS5_8ELb0ES3_jPKtPS6_PKS6_NS0_5tupleIJPtS6_EEENSE_IJSB_SB_EEENS0_18inequality_wrapperIN6hipcub16HIPCUB_304000_NS8EqualityEEEPlJS6_EEE10hipError_tPvRmT3_T4_T5_T6_T7_T9_mT8_P12ihipStream_tbDpT10_ENKUlT_T0_E_clISt17integral_constantIbLb0EES16_IbLb1EEEEDaS12_S13_EUlS12_E_NS1_11comp_targetILNS1_3genE0ELNS1_11target_archE4294967295ELNS1_3gpuE0ELNS1_3repE0EEENS1_30default_config_static_selectorELNS0_4arch9wavefront6targetE0EEEvT1_
; %bb.0:
	s_clause 0x2
	s_load_b128 s[36:39], s[0:1], 0x40
	s_load_b64 s[8:9], s[0:1], 0x50
	s_load_b64 s[40:41], s[0:1], 0x60
	v_cmp_ne_u32_e64 s3, 0, v0
	v_cmp_eq_u32_e64 s2, 0, v0
	s_and_saveexec_b32 s4, s2
	s_cbranch_execz .LBB779_4
; %bb.1:
	s_mov_b32 s6, exec_lo
	s_mov_b32 s5, exec_lo
	v_mbcnt_lo_u32_b32 v1, s6, 0
                                        ; implicit-def: $vgpr2
	s_delay_alu instid0(VALU_DEP_1)
	v_cmpx_eq_u32_e32 0, v1
	s_cbranch_execz .LBB779_3
; %bb.2:
	s_load_b64 s[10:11], s[0:1], 0x70
	s_bcnt1_i32_b32 s6, s6
	s_delay_alu instid0(SALU_CYCLE_1)
	v_dual_mov_b32 v2, 0 :: v_dual_mov_b32 v3, s6
	s_wait_xcnt 0x0
	s_wait_kmcnt 0x0
	global_atomic_add_u32 v2, v2, v3, s[10:11] th:TH_ATOMIC_RETURN scope:SCOPE_DEV
.LBB779_3:
	s_wait_xcnt 0x0
	s_or_b32 exec_lo, exec_lo, s5
	s_wait_loadcnt 0x0
	v_readfirstlane_b32 s5, v2
	s_delay_alu instid0(VALU_DEP_1)
	v_dual_mov_b32 v2, 0 :: v_dual_add_nc_u32 v1, s5, v1
	ds_store_b32 v2, v1
.LBB779_4:
	s_or_b32 exec_lo, exec_lo, s4
	v_mov_b32_e32 v3, 0
	s_clause 0x2
	s_load_b128 s[4:7], s[0:1], 0x8
	s_load_b64 s[34:35], s[0:1], 0x28
	s_load_b32 s10, s[0:1], 0x68
	s_wait_dscnt 0x0
	s_barrier_signal -1
	s_barrier_wait -1
	ds_load_b32 v1, v3
	s_wait_dscnt 0x0
	s_barrier_signal -1
	s_barrier_wait -1
	s_wait_kmcnt 0x0
	global_load_b64 v[20:21], v3, s[38:39]
	s_mov_b32 s13, 0
	s_lshl_b64 s[0:1], s[6:7], 1
	s_mul_i32 s12, s10, 0x1e00
	s_add_co_i32 s14, s10, -1
	s_add_nc_u64 s[10:11], s[6:7], s[12:13]
	s_add_co_i32 s12, s12, s6
	v_cmp_le_u64_e64 s9, s[8:9], s[10:11]
	v_mul_lo_u32 v2, 0x1e00, v1
	s_wait_xcnt 0x0
	v_readfirstlane_b32 s38, v1
	s_sub_co_i32 s39, s8, s12
	s_add_nc_u64 s[0:1], s[4:5], s[0:1]
	s_cmp_eq_u32 s38, s14
	s_cselect_b32 s31, -1, 0
	s_delay_alu instid0(SALU_CYCLE_1) | instskip(SKIP_2) | instid1(SALU_CYCLE_1)
	s_and_b32 s42, s9, s31
	v_lshlrev_b64_e32 v[2:3], 1, v[2:3]
	s_xor_b32 s33, s42, -1
	s_and_b32 vcc_lo, exec_lo, s33
	s_delay_alu instid0(VALU_DEP_1)
	v_add_nc_u64_e32 v[22:23], s[0:1], v[2:3]
	s_mov_b32 s0, -1
	s_cbranch_vccz .LBB779_6
; %bb.5:
	s_delay_alu instid0(VALU_DEP_1) | instskip(NEXT) | instid1(VALU_DEP_2)
	v_readfirstlane_b32 s0, v22
	v_readfirstlane_b32 s1, v23
	v_lshlrev_b32_e32 v35, 1, v0
	s_clause 0x1d
	global_load_u16 v1, v0, s[0:1] scale_offset
	global_load_u16 v2, v0, s[0:1] offset:512 scale_offset
	global_load_u16 v3, v0, s[0:1] offset:1024 scale_offset
	;; [unrolled: 1-line block ×29, first 2 shown]
	s_wait_xcnt 0x0
	s_mov_b32 s0, 0
	s_wait_loadcnt 0x1d
	ds_store_b16 v35, v1
	s_wait_loadcnt 0x1c
	ds_store_b16 v35, v2 offset:512
	s_wait_loadcnt 0x1b
	ds_store_b16 v35, v3 offset:1024
	;; [unrolled: 2-line block ×29, first 2 shown]
	s_wait_dscnt 0x0
	s_barrier_signal -1
	s_barrier_wait -1
.LBB779_6:
	s_and_not1_b32 vcc_lo, exec_lo, s0
	s_addk_co_i32 s39, 0x1e00
	s_cbranch_vccnz .LBB779_68
; %bb.7:
	v_mov_b32_e32 v2, 0
	s_mov_b32 s0, exec_lo
	s_delay_alu instid0(VALU_DEP_1)
	v_dual_mov_b32 v3, v2 :: v_dual_mov_b32 v4, v2
	v_dual_mov_b32 v5, v2 :: v_dual_mov_b32 v6, v2
	;; [unrolled: 1-line block ×7, first 2 shown]
	v_cmpx_gt_u32_e64 s39, v0
	s_cbranch_execz .LBB779_9
; %bb.8:
	v_readfirstlane_b32 s4, v22
	v_readfirstlane_b32 s5, v23
	v_dual_mov_b32 v5, v2 :: v_dual_mov_b32 v6, v2
	v_dual_mov_b32 v17, v2 :: v_dual_mov_b32 v18, v2
	global_load_u16 v1, v0, s[4:5] scale_offset
	v_dual_mov_b32 v7, v2 :: v_dual_mov_b32 v8, v2
	v_dual_mov_b32 v9, v2 :: v_dual_mov_b32 v10, v2
	;; [unrolled: 1-line block ×5, first 2 shown]
	s_wait_loadcnt 0x0
	v_and_b32_e32 v4, 0xffff, v1
	s_delay_alu instid0(VALU_DEP_1)
	v_mov_b64_e32 v[2:3], v[4:5]
	v_mov_b64_e32 v[4:5], v[6:7]
	;; [unrolled: 1-line block ×8, first 2 shown]
.LBB779_9:
	s_or_b32 exec_lo, exec_lo, s0
	v_or_b32_e32 v1, 0x100, v0
	s_mov_b32 s0, exec_lo
	s_delay_alu instid0(VALU_DEP_1)
	v_cmpx_gt_u32_e64 s39, v1
	s_cbranch_execz .LBB779_11
; %bb.10:
	v_readfirstlane_b32 s4, v22
	v_readfirstlane_b32 s5, v23
	global_load_u16 v1, v0, s[4:5] offset:512 scale_offset
	s_wait_loadcnt 0x0
	v_perm_b32 v2, v1, v2, 0x5040100
.LBB779_11:
	s_or_b32 exec_lo, exec_lo, s0
	v_or_b32_e32 v1, 0x200, v0
	s_mov_b32 s0, exec_lo
	s_delay_alu instid0(VALU_DEP_1)
	v_cmpx_gt_u32_e64 s39, v1
	s_cbranch_execz .LBB779_13
; %bb.12:
	v_readfirstlane_b32 s4, v22
	v_readfirstlane_b32 s5, v23
	global_load_u16 v1, v0, s[4:5] offset:1024 scale_offset
	s_wait_loadcnt 0x0
	v_bfi_b32 v3, 0xffff, v1, v3
.LBB779_13:
	s_or_b32 exec_lo, exec_lo, s0
	v_or_b32_e32 v1, 0x300, v0
	s_mov_b32 s0, exec_lo
	s_delay_alu instid0(VALU_DEP_1)
	v_cmpx_gt_u32_e64 s39, v1
	s_cbranch_execz .LBB779_15
; %bb.14:
	v_readfirstlane_b32 s4, v22
	v_readfirstlane_b32 s5, v23
	global_load_u16 v1, v0, s[4:5] offset:1536 scale_offset
	s_wait_loadcnt 0x0
	v_perm_b32 v3, v1, v3, 0x5040100
.LBB779_15:
	s_or_b32 exec_lo, exec_lo, s0
	v_or_b32_e32 v1, 0x400, v0
	s_mov_b32 s0, exec_lo
	s_delay_alu instid0(VALU_DEP_1)
	v_cmpx_gt_u32_e64 s39, v1
	s_cbranch_execz .LBB779_17
; %bb.16:
	v_readfirstlane_b32 s4, v22
	v_readfirstlane_b32 s5, v23
	global_load_u16 v1, v0, s[4:5] offset:2048 scale_offset
	s_wait_loadcnt 0x0
	v_bfi_b32 v4, 0xffff, v1, v4
.LBB779_17:
	s_or_b32 exec_lo, exec_lo, s0
	v_or_b32_e32 v1, 0x500, v0
	s_mov_b32 s0, exec_lo
	s_delay_alu instid0(VALU_DEP_1)
	v_cmpx_gt_u32_e64 s39, v1
	s_cbranch_execz .LBB779_19
; %bb.18:
	v_readfirstlane_b32 s4, v22
	v_readfirstlane_b32 s5, v23
	global_load_u16 v1, v0, s[4:5] offset:2560 scale_offset
	s_wait_loadcnt 0x0
	v_perm_b32 v4, v1, v4, 0x5040100
.LBB779_19:
	s_or_b32 exec_lo, exec_lo, s0
	v_or_b32_e32 v1, 0x600, v0
	s_mov_b32 s0, exec_lo
	s_delay_alu instid0(VALU_DEP_1)
	v_cmpx_gt_u32_e64 s39, v1
	s_cbranch_execz .LBB779_21
; %bb.20:
	v_readfirstlane_b32 s4, v22
	v_readfirstlane_b32 s5, v23
	global_load_u16 v1, v0, s[4:5] offset:3072 scale_offset
	s_wait_loadcnt 0x0
	v_bfi_b32 v5, 0xffff, v1, v5
.LBB779_21:
	s_or_b32 exec_lo, exec_lo, s0
	v_or_b32_e32 v1, 0x700, v0
	s_mov_b32 s0, exec_lo
	s_delay_alu instid0(VALU_DEP_1)
	v_cmpx_gt_u32_e64 s39, v1
	s_cbranch_execz .LBB779_23
; %bb.22:
	v_readfirstlane_b32 s4, v22
	v_readfirstlane_b32 s5, v23
	global_load_u16 v1, v0, s[4:5] offset:3584 scale_offset
	s_wait_loadcnt 0x0
	v_perm_b32 v5, v1, v5, 0x5040100
.LBB779_23:
	s_or_b32 exec_lo, exec_lo, s0
	v_or_b32_e32 v1, 0x800, v0
	s_mov_b32 s0, exec_lo
	s_delay_alu instid0(VALU_DEP_1)
	v_cmpx_gt_u32_e64 s39, v1
	s_cbranch_execz .LBB779_25
; %bb.24:
	v_readfirstlane_b32 s4, v22
	v_readfirstlane_b32 s5, v23
	global_load_u16 v1, v0, s[4:5] offset:4096 scale_offset
	s_wait_loadcnt 0x0
	v_bfi_b32 v6, 0xffff, v1, v6
.LBB779_25:
	s_or_b32 exec_lo, exec_lo, s0
	v_or_b32_e32 v1, 0x900, v0
	s_mov_b32 s0, exec_lo
	s_delay_alu instid0(VALU_DEP_1)
	v_cmpx_gt_u32_e64 s39, v1
	s_cbranch_execz .LBB779_27
; %bb.26:
	v_readfirstlane_b32 s4, v22
	v_readfirstlane_b32 s5, v23
	global_load_u16 v1, v0, s[4:5] offset:4608 scale_offset
	s_wait_loadcnt 0x0
	v_perm_b32 v6, v1, v6, 0x5040100
.LBB779_27:
	s_or_b32 exec_lo, exec_lo, s0
	v_or_b32_e32 v1, 0xa00, v0
	s_mov_b32 s0, exec_lo
	s_delay_alu instid0(VALU_DEP_1)
	v_cmpx_gt_u32_e64 s39, v1
	s_cbranch_execz .LBB779_29
; %bb.28:
	v_readfirstlane_b32 s4, v22
	v_readfirstlane_b32 s5, v23
	global_load_u16 v1, v0, s[4:5] offset:5120 scale_offset
	s_wait_loadcnt 0x0
	v_bfi_b32 v7, 0xffff, v1, v7
.LBB779_29:
	s_or_b32 exec_lo, exec_lo, s0
	v_or_b32_e32 v1, 0xb00, v0
	s_mov_b32 s0, exec_lo
	s_delay_alu instid0(VALU_DEP_1)
	v_cmpx_gt_u32_e64 s39, v1
	s_cbranch_execz .LBB779_31
; %bb.30:
	v_readfirstlane_b32 s4, v22
	v_readfirstlane_b32 s5, v23
	global_load_u16 v1, v0, s[4:5] offset:5632 scale_offset
	s_wait_loadcnt 0x0
	v_perm_b32 v7, v1, v7, 0x5040100
.LBB779_31:
	s_or_b32 exec_lo, exec_lo, s0
	v_or_b32_e32 v1, 0xc00, v0
	s_mov_b32 s0, exec_lo
	s_delay_alu instid0(VALU_DEP_1)
	v_cmpx_gt_u32_e64 s39, v1
	s_cbranch_execz .LBB779_33
; %bb.32:
	v_readfirstlane_b32 s4, v22
	v_readfirstlane_b32 s5, v23
	global_load_u16 v1, v0, s[4:5] offset:6144 scale_offset
	s_wait_loadcnt 0x0
	v_bfi_b32 v8, 0xffff, v1, v8
.LBB779_33:
	s_or_b32 exec_lo, exec_lo, s0
	v_or_b32_e32 v1, 0xd00, v0
	s_mov_b32 s0, exec_lo
	s_delay_alu instid0(VALU_DEP_1)
	v_cmpx_gt_u32_e64 s39, v1
	s_cbranch_execz .LBB779_35
; %bb.34:
	v_readfirstlane_b32 s4, v22
	v_readfirstlane_b32 s5, v23
	global_load_u16 v1, v0, s[4:5] offset:6656 scale_offset
	s_wait_loadcnt 0x0
	v_perm_b32 v8, v1, v8, 0x5040100
.LBB779_35:
	s_or_b32 exec_lo, exec_lo, s0
	v_or_b32_e32 v1, 0xe00, v0
	s_mov_b32 s0, exec_lo
	s_delay_alu instid0(VALU_DEP_1)
	v_cmpx_gt_u32_e64 s39, v1
	s_cbranch_execz .LBB779_37
; %bb.36:
	v_readfirstlane_b32 s4, v22
	v_readfirstlane_b32 s5, v23
	global_load_u16 v1, v0, s[4:5] offset:7168 scale_offset
	s_wait_loadcnt 0x0
	v_bfi_b32 v9, 0xffff, v1, v9
.LBB779_37:
	s_or_b32 exec_lo, exec_lo, s0
	v_or_b32_e32 v1, 0xf00, v0
	s_mov_b32 s0, exec_lo
	s_delay_alu instid0(VALU_DEP_1)
	v_cmpx_gt_u32_e64 s39, v1
	s_cbranch_execz .LBB779_39
; %bb.38:
	v_readfirstlane_b32 s4, v22
	v_readfirstlane_b32 s5, v23
	global_load_u16 v1, v0, s[4:5] offset:7680 scale_offset
	s_wait_loadcnt 0x0
	v_perm_b32 v9, v1, v9, 0x5040100
.LBB779_39:
	s_or_b32 exec_lo, exec_lo, s0
	v_or_b32_e32 v1, 0x1000, v0
	s_mov_b32 s0, exec_lo
	s_delay_alu instid0(VALU_DEP_1)
	v_cmpx_gt_u32_e64 s39, v1
	s_cbranch_execz .LBB779_41
; %bb.40:
	v_readfirstlane_b32 s4, v22
	v_readfirstlane_b32 s5, v23
	global_load_u16 v1, v0, s[4:5] offset:8192 scale_offset
	s_wait_loadcnt 0x0
	v_bfi_b32 v10, 0xffff, v1, v10
.LBB779_41:
	s_or_b32 exec_lo, exec_lo, s0
	v_or_b32_e32 v1, 0x1100, v0
	s_mov_b32 s0, exec_lo
	s_delay_alu instid0(VALU_DEP_1)
	v_cmpx_gt_u32_e64 s39, v1
	s_cbranch_execz .LBB779_43
; %bb.42:
	v_readfirstlane_b32 s4, v22
	v_readfirstlane_b32 s5, v23
	global_load_u16 v1, v0, s[4:5] offset:8704 scale_offset
	s_wait_loadcnt 0x0
	v_perm_b32 v10, v1, v10, 0x5040100
.LBB779_43:
	s_or_b32 exec_lo, exec_lo, s0
	v_or_b32_e32 v1, 0x1200, v0
	s_mov_b32 s0, exec_lo
	s_delay_alu instid0(VALU_DEP_1)
	v_cmpx_gt_u32_e64 s39, v1
	s_cbranch_execz .LBB779_45
; %bb.44:
	v_readfirstlane_b32 s4, v22
	v_readfirstlane_b32 s5, v23
	global_load_u16 v1, v0, s[4:5] offset:9216 scale_offset
	s_wait_loadcnt 0x0
	v_bfi_b32 v11, 0xffff, v1, v11
.LBB779_45:
	s_or_b32 exec_lo, exec_lo, s0
	v_or_b32_e32 v1, 0x1300, v0
	s_mov_b32 s0, exec_lo
	s_delay_alu instid0(VALU_DEP_1)
	v_cmpx_gt_u32_e64 s39, v1
	s_cbranch_execz .LBB779_47
; %bb.46:
	v_readfirstlane_b32 s4, v22
	v_readfirstlane_b32 s5, v23
	global_load_u16 v1, v0, s[4:5] offset:9728 scale_offset
	s_wait_loadcnt 0x0
	v_perm_b32 v11, v1, v11, 0x5040100
.LBB779_47:
	s_or_b32 exec_lo, exec_lo, s0
	v_or_b32_e32 v1, 0x1400, v0
	s_mov_b32 s0, exec_lo
	s_delay_alu instid0(VALU_DEP_1)
	v_cmpx_gt_u32_e64 s39, v1
	s_cbranch_execz .LBB779_49
; %bb.48:
	v_readfirstlane_b32 s4, v22
	v_readfirstlane_b32 s5, v23
	global_load_u16 v1, v0, s[4:5] offset:10240 scale_offset
	s_wait_loadcnt 0x0
	v_bfi_b32 v12, 0xffff, v1, v12
.LBB779_49:
	s_or_b32 exec_lo, exec_lo, s0
	v_or_b32_e32 v1, 0x1500, v0
	s_mov_b32 s0, exec_lo
	s_delay_alu instid0(VALU_DEP_1)
	v_cmpx_gt_u32_e64 s39, v1
	s_cbranch_execz .LBB779_51
; %bb.50:
	v_readfirstlane_b32 s4, v22
	v_readfirstlane_b32 s5, v23
	global_load_u16 v1, v0, s[4:5] offset:10752 scale_offset
	s_wait_loadcnt 0x0
	v_perm_b32 v12, v1, v12, 0x5040100
.LBB779_51:
	s_or_b32 exec_lo, exec_lo, s0
	v_or_b32_e32 v1, 0x1600, v0
	s_mov_b32 s0, exec_lo
	s_delay_alu instid0(VALU_DEP_1)
	v_cmpx_gt_u32_e64 s39, v1
	s_cbranch_execz .LBB779_53
; %bb.52:
	v_readfirstlane_b32 s4, v22
	v_readfirstlane_b32 s5, v23
	global_load_u16 v1, v0, s[4:5] offset:11264 scale_offset
	s_wait_loadcnt 0x0
	v_bfi_b32 v13, 0xffff, v1, v13
.LBB779_53:
	s_or_b32 exec_lo, exec_lo, s0
	v_or_b32_e32 v1, 0x1700, v0
	s_mov_b32 s0, exec_lo
	s_delay_alu instid0(VALU_DEP_1)
	v_cmpx_gt_u32_e64 s39, v1
	s_cbranch_execz .LBB779_55
; %bb.54:
	v_readfirstlane_b32 s4, v22
	v_readfirstlane_b32 s5, v23
	global_load_u16 v1, v0, s[4:5] offset:11776 scale_offset
	s_wait_loadcnt 0x0
	v_perm_b32 v13, v1, v13, 0x5040100
.LBB779_55:
	s_or_b32 exec_lo, exec_lo, s0
	v_or_b32_e32 v1, 0x1800, v0
	s_mov_b32 s0, exec_lo
	s_delay_alu instid0(VALU_DEP_1)
	v_cmpx_gt_u32_e64 s39, v1
	s_cbranch_execz .LBB779_57
; %bb.56:
	v_readfirstlane_b32 s4, v22
	v_readfirstlane_b32 s5, v23
	global_load_u16 v1, v0, s[4:5] offset:12288 scale_offset
	s_wait_loadcnt 0x0
	v_bfi_b32 v14, 0xffff, v1, v14
.LBB779_57:
	s_or_b32 exec_lo, exec_lo, s0
	v_or_b32_e32 v1, 0x1900, v0
	s_mov_b32 s0, exec_lo
	s_delay_alu instid0(VALU_DEP_1)
	v_cmpx_gt_u32_e64 s39, v1
	s_cbranch_execz .LBB779_59
; %bb.58:
	v_readfirstlane_b32 s4, v22
	v_readfirstlane_b32 s5, v23
	global_load_u16 v1, v0, s[4:5] offset:12800 scale_offset
	s_wait_loadcnt 0x0
	v_perm_b32 v14, v1, v14, 0x5040100
.LBB779_59:
	s_or_b32 exec_lo, exec_lo, s0
	v_or_b32_e32 v1, 0x1a00, v0
	s_mov_b32 s0, exec_lo
	s_delay_alu instid0(VALU_DEP_1)
	v_cmpx_gt_u32_e64 s39, v1
	s_cbranch_execz .LBB779_61
; %bb.60:
	v_readfirstlane_b32 s4, v22
	v_readfirstlane_b32 s5, v23
	global_load_u16 v1, v0, s[4:5] offset:13312 scale_offset
	s_wait_loadcnt 0x0
	v_bfi_b32 v15, 0xffff, v1, v15
.LBB779_61:
	s_or_b32 exec_lo, exec_lo, s0
	v_or_b32_e32 v1, 0x1b00, v0
	s_mov_b32 s0, exec_lo
	s_delay_alu instid0(VALU_DEP_1)
	v_cmpx_gt_u32_e64 s39, v1
	s_cbranch_execz .LBB779_63
; %bb.62:
	v_readfirstlane_b32 s4, v22
	v_readfirstlane_b32 s5, v23
	global_load_u16 v1, v0, s[4:5] offset:13824 scale_offset
	s_wait_loadcnt 0x0
	v_perm_b32 v15, v1, v15, 0x5040100
.LBB779_63:
	s_or_b32 exec_lo, exec_lo, s0
	v_or_b32_e32 v1, 0x1c00, v0
	s_mov_b32 s0, exec_lo
	s_delay_alu instid0(VALU_DEP_1)
	v_cmpx_gt_u32_e64 s39, v1
	s_cbranch_execz .LBB779_65
; %bb.64:
	v_readfirstlane_b32 s4, v22
	v_readfirstlane_b32 s5, v23
	global_load_u16 v1, v0, s[4:5] offset:14336 scale_offset
	s_wait_loadcnt 0x0
	v_bfi_b32 v16, 0xffff, v1, v16
.LBB779_65:
	s_or_b32 exec_lo, exec_lo, s0
	v_or_b32_e32 v1, 0x1d00, v0
	s_mov_b32 s0, exec_lo
	s_delay_alu instid0(VALU_DEP_1)
	v_cmpx_gt_u32_e64 s39, v1
	s_cbranch_execz .LBB779_67
; %bb.66:
	v_readfirstlane_b32 s4, v22
	v_readfirstlane_b32 s5, v23
	global_load_u16 v1, v0, s[4:5] offset:14848 scale_offset
	s_wait_loadcnt 0x0
	v_perm_b32 v16, v1, v16, 0x5040100
.LBB779_67:
	s_or_b32 exec_lo, exec_lo, s0
	v_lshlrev_b32_e32 v1, 1, v0
	ds_store_b16 v1, v2
	ds_store_b16_d16_hi v1, v2 offset:512
	ds_store_b16 v1, v3 offset:1024
	ds_store_b16_d16_hi v1, v3 offset:1536
	ds_store_b16 v1, v4 offset:2048
	;; [unrolled: 2-line block ×14, first 2 shown]
	ds_store_b16_d16_hi v1, v16 offset:14848
	s_wait_loadcnt_dscnt 0x0
	s_barrier_signal -1
	s_barrier_wait -1
.LBB779_68:
	v_mul_u32_u24_e32 v16, 30, v0
	s_wait_loadcnt 0x0
	s_cmp_lg_u32 s38, 0
	s_mov_b32 s44, 0
	s_cselect_b32 s43, -1, 0
	v_lshlrev_b32_e32 v17, 1, v16
	s_cmp_lg_u64 s[6:7], 0
	ds_load_2addr_b32 v[14:15], v17 offset1:1
	ds_load_2addr_b32 v[12:13], v17 offset0:2 offset1:3
	ds_load_2addr_b32 v[10:11], v17 offset0:4 offset1:5
	ds_load_2addr_b32 v[8:9], v17 offset0:6 offset1:7
	ds_load_2addr_b32 v[6:7], v17 offset0:8 offset1:9
	ds_load_2addr_b32 v[4:5], v17 offset0:10 offset1:11
	ds_load_2addr_b32 v[2:3], v17 offset0:12 offset1:13
	s_cselect_b32 s0, -1, 0
	s_delay_alu instid0(SALU_CYCLE_1) | instskip(NEXT) | instid1(SALU_CYCLE_1)
	s_or_b32 s0, s0, s43
	s_and_b32 vcc_lo, exec_lo, s0
	s_wait_dscnt 0x6
	v_lshrrev_b32_e32 v40, 16, v14
	ds_load_b32 v1, v17 offset:56
	s_wait_dscnt 0x6
	v_dual_lshrrev_b32 v39, 16, v15 :: v_dual_lshrrev_b32 v38, 16, v12
	s_wait_dscnt 0x5
	v_dual_lshrrev_b32 v37, 16, v13 :: v_dual_lshrrev_b32 v36, 16, v10
	;; [unrolled: 2-line block ×6, first 2 shown]
	v_lshrrev_b32_e32 v27, 16, v3
	s_wait_dscnt 0x0
	s_barrier_signal -1
	s_barrier_wait -1
	v_lshrrev_b32_e32 v26, 16, v1
	s_cbranch_vccz .LBB779_73
; %bb.69:
	global_load_u16 v18, v[22:23], off offset:-2
	v_lshlrev_b32_e32 v19, 1, v0
	s_and_b32 vcc_lo, exec_lo, s33
	ds_store_b16 v19, v26
	s_cbranch_vccz .LBB779_74
; %bb.70:
	s_wait_loadcnt 0x0
	v_mov_b32_e32 v22, v18
	s_wait_dscnt 0x0
	s_barrier_signal -1
	s_barrier_wait -1
	s_and_saveexec_b32 s0, s3
; %bb.71:
	v_add_nc_u32_e32 v22, -2, v19
	ds_load_u16 v22, v22
; %bb.72:
	s_or_b32 exec_lo, exec_lo, s0
	v_cmp_ne_u16_e32 vcc_lo, v1, v26
	s_wait_dscnt 0x0
	v_cmp_ne_u16_e64 s45, v22, v14
	v_cndmask_b32_e64 v41, 0, 1, vcc_lo
	v_cmp_ne_u16_e32 vcc_lo, v27, v1
	v_cndmask_b32_e64 v42, 0, 1, vcc_lo
	v_cmp_ne_u16_e32 vcc_lo, v3, v27
	;; [unrolled: 2-line block ×28, first 2 shown]
	v_cndmask_b32_e64 v69, 0, 1, vcc_lo
	s_branch .LBB779_78
.LBB779_73:
                                        ; implicit-def: $sgpr45
                                        ; implicit-def: $vgpr41
                                        ; implicit-def: $vgpr42
                                        ; implicit-def: $vgpr43
                                        ; implicit-def: $vgpr44
                                        ; implicit-def: $vgpr45
                                        ; implicit-def: $vgpr46
                                        ; implicit-def: $vgpr47
                                        ; implicit-def: $vgpr48
                                        ; implicit-def: $vgpr69
                                        ; implicit-def: $vgpr68
                                        ; implicit-def: $vgpr67
                                        ; implicit-def: $vgpr66
                                        ; implicit-def: $vgpr65
                                        ; implicit-def: $vgpr64
                                        ; implicit-def: $vgpr63
                                        ; implicit-def: $vgpr62
                                        ; implicit-def: $vgpr61
                                        ; implicit-def: $vgpr60
                                        ; implicit-def: $vgpr59
                                        ; implicit-def: $vgpr58
                                        ; implicit-def: $vgpr57
                                        ; implicit-def: $vgpr56
                                        ; implicit-def: $vgpr55
                                        ; implicit-def: $vgpr54
                                        ; implicit-def: $vgpr53
                                        ; implicit-def: $vgpr52
                                        ; implicit-def: $vgpr51
                                        ; implicit-def: $vgpr50
                                        ; implicit-def: $vgpr49
	s_branch .LBB779_79
.LBB779_74:
                                        ; implicit-def: $sgpr45
                                        ; implicit-def: $vgpr41
                                        ; implicit-def: $vgpr42
                                        ; implicit-def: $vgpr43
                                        ; implicit-def: $vgpr44
                                        ; implicit-def: $vgpr45
                                        ; implicit-def: $vgpr46
                                        ; implicit-def: $vgpr47
                                        ; implicit-def: $vgpr48
                                        ; implicit-def: $vgpr69
                                        ; implicit-def: $vgpr68
                                        ; implicit-def: $vgpr67
                                        ; implicit-def: $vgpr66
                                        ; implicit-def: $vgpr65
                                        ; implicit-def: $vgpr64
                                        ; implicit-def: $vgpr63
                                        ; implicit-def: $vgpr62
                                        ; implicit-def: $vgpr61
                                        ; implicit-def: $vgpr60
                                        ; implicit-def: $vgpr59
                                        ; implicit-def: $vgpr58
                                        ; implicit-def: $vgpr57
                                        ; implicit-def: $vgpr56
                                        ; implicit-def: $vgpr55
                                        ; implicit-def: $vgpr54
                                        ; implicit-def: $vgpr53
                                        ; implicit-def: $vgpr52
                                        ; implicit-def: $vgpr51
                                        ; implicit-def: $vgpr50
                                        ; implicit-def: $vgpr49
	s_cbranch_execz .LBB779_78
; %bb.75:
	s_wait_loadcnt_dscnt 0x0
	s_barrier_signal -1
	s_barrier_wait -1
	s_and_saveexec_b32 s0, s3
; %bb.76:
	v_add_nc_u32_e32 v18, -2, v19
	ds_load_u16 v18, v18
; %bb.77:
	s_or_b32 exec_lo, exec_lo, s0
	v_dual_add_nc_u32 v19, 29, v16 :: v_dual_add_nc_u32 v22, 28, v16
	v_cmp_ne_u16_e32 vcc_lo, v1, v26
	v_add_nc_u32_e32 v23, 27, v16
	v_cmp_ne_u16_e64 s1, v27, v1
	s_delay_alu instid0(VALU_DEP_4)
	v_cmp_gt_u32_e64 s0, s39, v19
	v_cmp_gt_u32_e64 s4, s39, v22
	v_add_nc_u32_e32 v19, 26, v16
	v_cmp_gt_u32_e64 s5, s39, v23
	v_add_nc_u32_e32 v22, 25, v16
	s_and_b32 s0, s0, vcc_lo
	v_cmp_ne_u16_e32 vcc_lo, v3, v27
	v_cndmask_b32_e64 v41, 0, 1, s0
	s_and_b32 s0, s4, s1
	v_cmp_ne_u16_e64 s1, v28, v3
	v_cndmask_b32_e64 v42, 0, 1, s0
	v_cmp_gt_u32_e64 s0, s39, v19
	s_and_b32 s4, s5, vcc_lo
	v_add_nc_u32_e32 v19, 24, v16
	v_cndmask_b32_e64 v43, 0, 1, s4
	v_cmp_gt_u32_e32 vcc_lo, s39, v22
	v_cmp_ne_u16_e64 s4, v2, v28
	v_add_nc_u32_e32 v22, 23, v16
	s_and_b32 s0, s0, s1
	v_cmp_ne_u16_e64 s1, v29, v2
	v_cndmask_b32_e64 v44, 0, 1, s0
	v_cmp_gt_u32_e64 s0, s39, v19
	s_and_b32 s4, vcc_lo, s4
	v_add_nc_u32_e32 v19, 22, v16
	v_cndmask_b32_e64 v45, 0, 1, s4
	v_cmp_gt_u32_e32 vcc_lo, s39, v22
	v_cmp_ne_u16_e64 s4, v5, v29
	v_add_nc_u32_e32 v22, 21, v16
	s_and_b32 s0, s0, s1
	v_cmp_ne_u16_e64 s1, v30, v5
	v_cndmask_b32_e64 v46, 0, 1, s0
	v_cmp_gt_u32_e64 s0, s39, v19
	s_and_b32 s4, vcc_lo, s4
	;; [unrolled: 10-line block ×11, first 2 shown]
	v_add_nc_u32_e32 v19, 2, v16
	v_cndmask_b32_e64 v65, 0, 1, s4
	v_cmp_gt_u32_e32 vcc_lo, s39, v22
	v_cmp_ne_u16_e64 s4, v15, v39
	v_or_b32_e32 v22, 1, v16
	s_and_b32 s0, s0, s1
	v_cmp_ne_u16_e64 s1, v40, v15
	v_cndmask_b32_e64 v66, 0, 1, s0
	v_cmp_gt_u32_e64 s0, s39, v19
	s_and_b32 s4, vcc_lo, s4
	v_cmp_gt_u32_e32 vcc_lo, s39, v22
	v_cndmask_b32_e64 v67, 0, 1, s4
	v_cmp_ne_u16_e64 s4, v14, v40
	s_and_b32 s0, s0, s1
	s_wait_dscnt 0x0
	v_cmp_ne_u16_e64 s1, v18, v14
	v_cndmask_b32_e64 v68, 0, 1, s0
	v_cmp_gt_u32_e64 s0, s39, v16
	s_and_b32 s4, vcc_lo, s4
	s_delay_alu instid0(SALU_CYCLE_1)
	v_cndmask_b32_e64 v69, 0, 1, s4
	s_and_b32 s45, s0, s1
.LBB779_78:
	s_mov_b32 s44, -1
	s_cbranch_execnz .LBB779_87
.LBB779_79:
	v_mad_i32_i24 v17, 0xffffffc6, v0, v17
	s_delay_alu instid0(VALU_DEP_2)
	v_cmp_ne_u16_e64 s0, v1, v26
	v_cmp_ne_u16_e64 s1, v27, v1
	;; [unrolled: 1-line block ×29, first 2 shown]
	s_and_b32 vcc_lo, exec_lo, s33
	ds_store_b16 v17, v26
	s_cbranch_vccz .LBB779_83
; %bb.80:
	s_wait_loadcnt_dscnt 0x0
	s_barrier_signal -1
	s_barrier_wait -1
                                        ; implicit-def: $sgpr45
	s_and_saveexec_b32 s46, s3
	s_delay_alu instid0(SALU_CYCLE_1)
	s_xor_b32 s46, exec_lo, s46
	s_cbranch_execz .LBB779_82
; %bb.81:
	v_add_nc_u32_e32 v18, -2, v17
	s_or_b32 s44, s44, exec_lo
	ds_load_u16 v18, v18
	s_wait_dscnt 0x0
	v_cmp_ne_u16_e64 s45, v18, v14
.LBB779_82:
	s_or_b32 exec_lo, exec_lo, s46
	v_cndmask_b32_e64 v41, 0, 1, s0
	v_cndmask_b32_e64 v42, 0, 1, s1
	;; [unrolled: 1-line block ×29, first 2 shown]
	s_branch .LBB779_87
.LBB779_83:
                                        ; implicit-def: $sgpr45
                                        ; implicit-def: $vgpr41
                                        ; implicit-def: $vgpr42
                                        ; implicit-def: $vgpr43
                                        ; implicit-def: $vgpr44
                                        ; implicit-def: $vgpr45
                                        ; implicit-def: $vgpr46
                                        ; implicit-def: $vgpr47
                                        ; implicit-def: $vgpr48
                                        ; implicit-def: $vgpr69
                                        ; implicit-def: $vgpr68
                                        ; implicit-def: $vgpr67
                                        ; implicit-def: $vgpr66
                                        ; implicit-def: $vgpr65
                                        ; implicit-def: $vgpr64
                                        ; implicit-def: $vgpr63
                                        ; implicit-def: $vgpr62
                                        ; implicit-def: $vgpr61
                                        ; implicit-def: $vgpr60
                                        ; implicit-def: $vgpr59
                                        ; implicit-def: $vgpr58
                                        ; implicit-def: $vgpr57
                                        ; implicit-def: $vgpr56
                                        ; implicit-def: $vgpr55
                                        ; implicit-def: $vgpr54
                                        ; implicit-def: $vgpr53
                                        ; implicit-def: $vgpr52
                                        ; implicit-def: $vgpr51
                                        ; implicit-def: $vgpr50
                                        ; implicit-def: $vgpr49
	s_cbranch_execz .LBB779_87
; %bb.84:
	s_wait_loadcnt 0x0
	v_dual_add_nc_u32 v18, 29, v16 :: v_dual_add_nc_u32 v19, 28, v16
	v_cmp_ne_u16_e32 vcc_lo, v1, v26
	v_add_nc_u32_e32 v22, 27, v16
	v_cmp_ne_u16_e64 s0, v27, v1
	s_delay_alu instid0(VALU_DEP_4)
	v_cmp_gt_u32_e64 s1, s39, v18
	v_cmp_gt_u32_e64 s4, s39, v19
	v_dual_add_nc_u32 v18, 26, v16 :: v_dual_add_nc_u32 v19, 25, v16
	v_cmp_ne_u16_e64 s5, v3, v27
	v_cmp_gt_u32_e64 s6, s39, v22
	s_and_b32 s11, s1, vcc_lo
	s_and_b32 s12, s4, s0
	v_add_nc_u32_e32 v22, 24, v16
	v_cmp_gt_u32_e32 vcc_lo, s39, v18
	v_cmp_ne_u16_e64 s0, v28, v3
	v_cmp_gt_u32_e64 s1, s39, v19
	v_cmp_ne_u16_e64 s4, v2, v28
	v_dual_add_nc_u32 v18, 23, v16 :: v_dual_add_nc_u32 v19, 22, v16
	s_and_b32 s13, s6, s5
	v_cmp_gt_u32_e64 s5, s39, v22
	v_cmp_ne_u16_e64 s6, v29, v2
	s_and_b32 s14, vcc_lo, s0
	s_and_b32 s15, s1, s4
	v_add_nc_u32_e32 v22, 21, v16
	v_cmp_gt_u32_e32 vcc_lo, s39, v18
	v_cmp_ne_u16_e64 s0, v5, v29
	v_cmp_gt_u32_e64 s1, s39, v19
	v_cmp_ne_u16_e64 s4, v30, v5
	v_dual_add_nc_u32 v18, 20, v16 :: v_dual_add_nc_u32 v19, 19, v16
	s_and_b32 s16, s5, s6
	v_cmp_gt_u32_e64 s5, s39, v22
	v_cmp_ne_u16_e64 s6, v4, v30
	s_and_b32 s17, vcc_lo, s0
	;; [unrolled: 11-line block ×7, first 2 shown]
	s_and_b32 s48, s1, s4
	v_cmp_gt_u32_e32 vcc_lo, s39, v18
	v_add_nc_u32_e32 v18, 3, v16
	v_cmp_gt_u32_e64 s1, s39, v19
	v_dual_add_nc_u32 v19, 2, v16 :: v_dual_bitop2_b32 v22, 1, v16 bitop3:0x54
	s_and_b32 s49, s5, s6
	v_cmp_ne_u16_e64 s0, v12, v38
	v_cmp_ne_u16_e64 s4, v39, v12
	v_cmp_gt_u32_e64 s5, s39, v18
	v_cmp_ne_u16_e64 s6, v15, v39
	v_cmp_gt_u32_e64 s7, s39, v19
	;; [unrolled: 2-line block ×3, first 2 shown]
	v_cmp_ne_u16_e64 s10, v14, v40
	s_and_b32 s50, vcc_lo, s0
	s_and_b32 s1, s1, s4
	s_and_b32 s4, s5, s6
	;; [unrolled: 1-line block ×4, first 2 shown]
	s_wait_dscnt 0x0
	s_barrier_signal -1
	s_barrier_wait -1
                                        ; implicit-def: $sgpr45
	s_and_saveexec_b32 s7, s3
	s_cbranch_execz .LBB779_86
; %bb.85:
	v_add_nc_u32_e32 v17, -2, v17
	v_cmp_gt_u32_e32 vcc_lo, s39, v16
	s_or_b32 s44, s44, exec_lo
	ds_load_u16 v17, v17
	s_wait_dscnt 0x0
	v_cmp_ne_u16_e64 s0, v17, v14
	s_and_b32 s45, vcc_lo, s0
.LBB779_86:
	s_or_b32 exec_lo, exec_lo, s7
	v_cndmask_b32_e64 v41, 0, 1, s11
	v_cndmask_b32_e64 v42, 0, 1, s12
	;; [unrolled: 1-line block ×29, first 2 shown]
.LBB779_87:
	v_mov_b32_e32 v70, 1
	s_wait_xcnt 0x0
	s_and_saveexec_b32 s0, s44
; %bb.88:
	v_cndmask_b32_e64 v70, 0, 1, s45
; %bb.89:
	s_or_b32 exec_lo, exec_lo, s0
	s_delay_alu instid0(SALU_CYCLE_1)
	s_and_not1_b32 vcc_lo, exec_lo, s42
	s_cbranch_vccnz .LBB779_91
; %bb.90:
	v_cmp_gt_u32_e32 vcc_lo, s39, v16
	v_dual_add_nc_u32 v19, 4, v16 :: v_dual_bitop2_b32 v17, 1, v16 bitop3:0x54
	v_cndmask_b32_e32 v70, 0, v70, vcc_lo
	s_delay_alu instid0(VALU_DEP_2) | instskip(SKIP_3) | instid1(VALU_DEP_2)
	v_cmp_gt_u32_e32 vcc_lo, s39, v17
	s_wait_loadcnt 0x0
	v_dual_add_nc_u32 v18, 2, v16 :: v_dual_add_nc_u32 v17, 3, v16
	v_cndmask_b32_e32 v69, 0, v69, vcc_lo
	v_cmp_gt_u32_e32 vcc_lo, s39, v18
	v_cndmask_b32_e32 v68, 0, v68, vcc_lo
	s_delay_alu instid0(VALU_DEP_4) | instskip(SKIP_4) | instid1(VALU_DEP_2)
	v_cmp_gt_u32_e32 vcc_lo, s39, v17
	v_cndmask_b32_e32 v67, 0, v67, vcc_lo
	v_cmp_gt_u32_e32 vcc_lo, s39, v19
	v_dual_add_nc_u32 v18, 5, v16 :: v_dual_add_nc_u32 v19, 8, v16
	v_cndmask_b32_e32 v66, 0, v66, vcc_lo
	v_cmp_gt_u32_e32 vcc_lo, s39, v18
	v_dual_add_nc_u32 v17, 6, v16 :: v_dual_add_nc_u32 v18, 7, v16
	v_cndmask_b32_e32 v65, 0, v65, vcc_lo
	s_delay_alu instid0(VALU_DEP_2) | instskip(SKIP_1) | instid1(VALU_DEP_4)
	v_cmp_gt_u32_e32 vcc_lo, s39, v17
	v_cndmask_b32_e32 v64, 0, v64, vcc_lo
	v_cmp_gt_u32_e32 vcc_lo, s39, v18
	v_cndmask_b32_e32 v63, 0, v63, vcc_lo
	v_cmp_gt_u32_e32 vcc_lo, s39, v19
	v_dual_add_nc_u32 v17, 9, v16 :: v_dual_add_nc_u32 v19, 12, v16
	v_cndmask_b32_e32 v62, 0, v62, vcc_lo
	s_delay_alu instid0(VALU_DEP_2) | instskip(SKIP_2) | instid1(VALU_DEP_2)
	v_cmp_gt_u32_e32 vcc_lo, s39, v17
	v_dual_add_nc_u32 v18, 10, v16 :: v_dual_add_nc_u32 v17, 11, v16
	v_cndmask_b32_e32 v61, 0, v61, vcc_lo
	v_cmp_gt_u32_e32 vcc_lo, s39, v18
	v_cndmask_b32_e32 v60, 0, v60, vcc_lo
	s_delay_alu instid0(VALU_DEP_4) | instskip(SKIP_4) | instid1(VALU_DEP_2)
	v_cmp_gt_u32_e32 vcc_lo, s39, v17
	v_cndmask_b32_e32 v59, 0, v59, vcc_lo
	v_cmp_gt_u32_e32 vcc_lo, s39, v19
	v_dual_add_nc_u32 v18, 13, v16 :: v_dual_add_nc_u32 v19, 16, v16
	v_cndmask_b32_e32 v58, 0, v58, vcc_lo
	v_cmp_gt_u32_e32 vcc_lo, s39, v18
	v_dual_add_nc_u32 v17, 14, v16 :: v_dual_add_nc_u32 v18, 15, v16
	v_cndmask_b32_e32 v57, 0, v57, vcc_lo
	s_delay_alu instid0(VALU_DEP_2) | instskip(SKIP_1) | instid1(VALU_DEP_4)
	v_cmp_gt_u32_e32 vcc_lo, s39, v17
	v_cndmask_b32_e32 v56, 0, v56, vcc_lo
	v_cmp_gt_u32_e32 vcc_lo, s39, v18
	v_cndmask_b32_e32 v55, 0, v55, vcc_lo
	v_cmp_gt_u32_e32 vcc_lo, s39, v19
	v_dual_add_nc_u32 v17, 17, v16 :: v_dual_add_nc_u32 v19, 20, v16
	v_cndmask_b32_e32 v54, 0, v54, vcc_lo
	s_delay_alu instid0(VALU_DEP_2) | instskip(SKIP_2) | instid1(VALU_DEP_2)
	v_cmp_gt_u32_e32 vcc_lo, s39, v17
	;; [unrolled: 23-line block ×3, first 2 shown]
	v_dual_add_nc_u32 v18, 26, v16 :: v_dual_add_nc_u32 v17, 27, v16
	v_cndmask_b32_e32 v45, 0, v45, vcc_lo
	v_cmp_gt_u32_e32 vcc_lo, s39, v18
	v_cndmask_b32_e32 v44, 0, v44, vcc_lo
	s_delay_alu instid0(VALU_DEP_4) | instskip(SKIP_3) | instid1(VALU_DEP_1)
	v_cmp_gt_u32_e32 vcc_lo, s39, v17
	v_cndmask_b32_e32 v43, 0, v43, vcc_lo
	v_cmp_gt_u32_e32 vcc_lo, s39, v19
	v_dual_add_nc_u32 v16, 29, v16 :: v_dual_cndmask_b32 v42, 0, v42, vcc_lo
	v_cmp_gt_u32_e32 vcc_lo, s39, v16
	v_cndmask_b32_e32 v41, 0, v41, vcc_lo
.LBB779_91:
	v_and_b32_e32 v71, 0xff, v50
	v_and_b32_e32 v72, 0xff, v49
	;; [unrolled: 1-line block ×4, first 2 shown]
	v_mbcnt_lo_u32_b32 v93, -1, 0
	v_and_b32_e32 v75, 0xff, v54
	v_add_nc_u32_e32 v16, v71, v72
	v_and_b32_e32 v76, 0xff, v53
	v_and_b32_e32 v77, 0xff, v56
	v_and_b32_e32 v19, 15, v93
	v_and_b32_e32 v78, 0xff, v55
	v_add3_u32 v16, v16, v74, v73
	v_and_b32_e32 v79, 0xff, v58
	v_and_b32_e32 v80, 0xff, v57
	v_and_b32_e32 v81, 0xff, v60
	v_and_b32_e32 v82, 0xff, v59
	v_add3_u32 v16, v16, v76, v75
	;; [unrolled: 5-line block ×6, first 2 shown]
	v_and_b32_e32 v105, 0xff, v42
	v_and_b32_e32 v17, 0xff, v41
	s_wait_loadcnt 0x0
	v_dual_lshrrev_b32 v94, 5, v0 :: v_dual_bitop2_b32 v18, 31, v0 bitop3:0x54
	v_add3_u32 v16, v16, v86, v85
	v_and_b32_e32 v22, 16, v93
	v_cmp_eq_u32_e64 s6, 0, v19
	s_delay_alu instid0(VALU_DEP_4)
	v_cmp_eq_u32_e64 s0, v0, v18
	v_cmp_lt_u32_e64 s5, 1, v19
	v_add3_u32 v16, v16, v88, v87
	v_cmp_lt_u32_e64 s4, 3, v19
	v_cmp_lt_u32_e64 s3, 7, v19
	v_cmp_eq_u32_e64 s1, 0, v22
	s_and_b32 vcc_lo, exec_lo, s43
	v_add3_u32 v16, v16, v90, v89
	s_mov_b32 s7, -1
	s_wait_dscnt 0x0
	s_barrier_signal -1
	s_barrier_wait -1
	v_add3_u32 v16, v16, v92, v91
	s_delay_alu instid0(VALU_DEP_1) | instskip(NEXT) | instid1(VALU_DEP_1)
	v_add3_u32 v16, v16, v99, v100
	v_add3_u32 v16, v16, v101, v102
	s_delay_alu instid0(VALU_DEP_1) | instskip(NEXT) | instid1(VALU_DEP_1)
	v_add3_u32 v16, v16, v103, v104
	v_add3_u32 v96, v16, v105, v17
	s_cbranch_vccz .LBB779_113
; %bb.92:
	s_delay_alu instid0(VALU_DEP_1) | instskip(NEXT) | instid1(VALU_DEP_1)
	v_mov_b32_dpp v16, v96 row_shr:1 row_mask:0xf bank_mask:0xf
	v_cndmask_b32_e64 v16, v16, 0, s6
	s_delay_alu instid0(VALU_DEP_1) | instskip(NEXT) | instid1(VALU_DEP_1)
	v_add_nc_u32_e32 v16, v16, v96
	v_mov_b32_dpp v17, v16 row_shr:2 row_mask:0xf bank_mask:0xf
	s_delay_alu instid0(VALU_DEP_1) | instskip(NEXT) | instid1(VALU_DEP_1)
	v_cndmask_b32_e64 v17, 0, v17, s5
	v_add_nc_u32_e32 v16, v16, v17
	s_delay_alu instid0(VALU_DEP_1) | instskip(NEXT) | instid1(VALU_DEP_1)
	v_mov_b32_dpp v17, v16 row_shr:4 row_mask:0xf bank_mask:0xf
	v_cndmask_b32_e64 v17, 0, v17, s4
	s_delay_alu instid0(VALU_DEP_1) | instskip(NEXT) | instid1(VALU_DEP_1)
	v_add_nc_u32_e32 v16, v16, v17
	v_mov_b32_dpp v17, v16 row_shr:8 row_mask:0xf bank_mask:0xf
	s_delay_alu instid0(VALU_DEP_1) | instskip(NEXT) | instid1(VALU_DEP_1)
	v_cndmask_b32_e64 v17, 0, v17, s3
	v_add_nc_u32_e32 v16, v16, v17
	ds_swizzle_b32 v17, v16 offset:swizzle(BROADCAST,32,15)
	s_wait_dscnt 0x0
	v_cndmask_b32_e64 v17, v17, 0, s1
	s_delay_alu instid0(VALU_DEP_1)
	v_add_nc_u32_e32 v16, v16, v17
	s_and_saveexec_b32 s7, s0
; %bb.93:
	v_lshlrev_b32_e32 v17, 2, v94
	ds_store_b32 v17, v16
; %bb.94:
	s_or_b32 exec_lo, exec_lo, s7
	s_delay_alu instid0(SALU_CYCLE_1)
	s_mov_b32 s7, exec_lo
	s_wait_dscnt 0x0
	s_barrier_signal -1
	s_barrier_wait -1
	v_cmpx_gt_u32_e32 8, v0
	s_cbranch_execz .LBB779_96
; %bb.95:
	v_dual_lshlrev_b32 v17, 2, v0 :: v_dual_bitop2_b32 v19, 7, v93 bitop3:0x40
	ds_load_b32 v18, v17
	v_cmp_ne_u32_e32 vcc_lo, 0, v19
	s_wait_dscnt 0x0
	v_mov_b32_dpp v22, v18 row_shr:1 row_mask:0xf bank_mask:0xf
	s_delay_alu instid0(VALU_DEP_1) | instskip(SKIP_1) | instid1(VALU_DEP_2)
	v_cndmask_b32_e32 v22, 0, v22, vcc_lo
	v_cmp_lt_u32_e32 vcc_lo, 1, v19
	v_add_nc_u32_e32 v18, v22, v18
	s_delay_alu instid0(VALU_DEP_1) | instskip(NEXT) | instid1(VALU_DEP_1)
	v_mov_b32_dpp v22, v18 row_shr:2 row_mask:0xf bank_mask:0xf
	v_cndmask_b32_e32 v22, 0, v22, vcc_lo
	v_cmp_lt_u32_e32 vcc_lo, 3, v19
	s_delay_alu instid0(VALU_DEP_2) | instskip(NEXT) | instid1(VALU_DEP_1)
	v_add_nc_u32_e32 v18, v18, v22
	v_mov_b32_dpp v22, v18 row_shr:4 row_mask:0xf bank_mask:0xf
	s_delay_alu instid0(VALU_DEP_1) | instskip(NEXT) | instid1(VALU_DEP_1)
	v_cndmask_b32_e32 v19, 0, v22, vcc_lo
	v_add_nc_u32_e32 v18, v18, v19
	ds_store_b32 v17, v18
.LBB779_96:
	s_or_b32 exec_lo, exec_lo, s7
	s_delay_alu instid0(SALU_CYCLE_1)
	s_mov_b32 s8, exec_lo
	v_cmp_gt_u32_e32 vcc_lo, 32, v0
	s_wait_dscnt 0x0
	s_barrier_signal -1
	s_barrier_wait -1
                                        ; implicit-def: $vgpr95
	v_cmpx_lt_u32_e32 31, v0
	s_cbranch_execz .LBB779_98
; %bb.97:
	v_lshl_add_u32 v17, v94, 2, -4
	ds_load_b32 v95, v17
	s_wait_dscnt 0x0
	v_add_nc_u32_e32 v16, v95, v16
.LBB779_98:
	s_or_b32 exec_lo, exec_lo, s8
	v_sub_co_u32 v17, s7, v93, 1
	s_delay_alu instid0(VALU_DEP_1) | instskip(NEXT) | instid1(VALU_DEP_1)
	v_cmp_gt_i32_e64 s8, 0, v17
	v_cndmask_b32_e64 v17, v17, v93, s8
	s_delay_alu instid0(VALU_DEP_1)
	v_lshlrev_b32_e32 v17, 2, v17
	ds_bpermute_b32 v97, v17, v16
	s_and_saveexec_b32 s8, vcc_lo
	s_cbranch_execz .LBB779_118
; %bb.99:
	v_mov_b32_e32 v25, 0
	ds_load_b32 v16, v25 offset:28
	s_and_saveexec_b32 s9, s7
	s_cbranch_execz .LBB779_101
; %bb.100:
	s_add_co_i32 s10, s38, 32
	s_delay_alu instid0(SALU_CYCLE_1)
	v_dual_mov_b32 v17, 1 :: v_dual_mov_b32 v18, s10
	s_wait_dscnt 0x0
	global_store_b64 v18, v[16:17], s[40:41] scale_offset scope:SCOPE_DEV
.LBB779_101:
	s_wait_xcnt 0x0
	s_or_b32 exec_lo, exec_lo, s9
	v_xad_u32 v18, v93, -1, s38
	s_mov_b32 s10, 0
	s_mov_b32 s9, exec_lo
	s_delay_alu instid0(VALU_DEP_1) | instskip(SKIP_4) | instid1(VALU_DEP_1)
	v_add_nc_u32_e32 v24, 32, v18
	global_load_b64 v[22:23], v24, s[40:41] scale_offset scope:SCOPE_DEV
	s_wait_loadcnt 0x0
	v_and_b32_e32 v17, 0xff, v23
	s_wait_xcnt 0x0
	v_cmpx_eq_u16_e32 0, v17
	s_cbranch_execz .LBB779_105
; %bb.102:
	v_lshl_add_u64 v[24:25], v[24:25], 3, s[40:41]
.LBB779_103:                            ; =>This Inner Loop Header: Depth=1
	global_load_b64 v[22:23], v[24:25], off scope:SCOPE_DEV
	s_wait_loadcnt 0x0
	v_and_b32_e32 v17, 0xff, v23
	s_delay_alu instid0(VALU_DEP_1)
	v_cmp_ne_u16_e32 vcc_lo, 0, v17
	s_or_b32 s10, vcc_lo, s10
	s_wait_xcnt 0x0
	s_and_not1_b32 exec_lo, exec_lo, s10
	s_cbranch_execnz .LBB779_103
; %bb.104:
	s_or_b32 exec_lo, exec_lo, s10
.LBB779_105:
	s_delay_alu instid0(SALU_CYCLE_1)
	s_or_b32 exec_lo, exec_lo, s9
	v_cmp_ne_u32_e32 vcc_lo, 31, v93
	v_lshlrev_b32_e64 v106, v93, -1
	v_lshl_or_b32 v113, v93, 2, 64
	v_dual_add_nc_u32 v108, 2, v93 :: v_dual_add_nc_u32 v110, 4, v93
	v_add_co_ci_u32_e64 v17, null, 0, v93, vcc_lo
	v_dual_add_nc_u32 v112, 8, v93 :: v_dual_add_nc_u32 v114, 16, v93
	s_delay_alu instid0(VALU_DEP_2)
	v_lshlrev_b32_e32 v98, 2, v17
	v_and_b32_e32 v17, 0xff, v23
	ds_bpermute_b32 v19, v98, v22
	v_cmp_eq_u16_e32 vcc_lo, 2, v17
	v_and_or_b32 v17, vcc_lo, v106, 0x80000000
	v_cmp_gt_u32_e32 vcc_lo, 30, v93
	s_delay_alu instid0(VALU_DEP_2) | instskip(SKIP_1) | instid1(VALU_DEP_2)
	v_ctz_i32_b32_e32 v17, v17
	v_cndmask_b32_e64 v24, 0, 2, vcc_lo
	v_cmp_lt_u32_e32 vcc_lo, v93, v17
	s_delay_alu instid0(VALU_DEP_2) | instskip(SKIP_3) | instid1(VALU_DEP_2)
	v_add_lshl_u32 v107, v24, v93, 2
	s_wait_dscnt 0x0
	v_cndmask_b32_e32 v19, 0, v19, vcc_lo
	v_cmp_gt_u32_e32 vcc_lo, 28, v93
	v_add_nc_u32_e32 v19, v19, v22
	v_cndmask_b32_e64 v24, 0, 4, vcc_lo
	v_cmp_le_u32_e32 vcc_lo, v108, v17
	ds_bpermute_b32 v22, v107, v19
	v_add_lshl_u32 v109, v24, v93, 2
	s_wait_dscnt 0x0
	v_cndmask_b32_e32 v22, 0, v22, vcc_lo
	v_cmp_gt_u32_e32 vcc_lo, 24, v93
	v_cndmask_b32_e64 v24, 0, 8, vcc_lo
	v_cmp_le_u32_e32 vcc_lo, v110, v17
	s_delay_alu instid0(VALU_DEP_4) | instskip(NEXT) | instid1(VALU_DEP_3)
	v_add_nc_u32_e32 v19, v19, v22
	v_add_lshl_u32 v111, v24, v93, 2
	ds_bpermute_b32 v22, v109, v19
	s_wait_dscnt 0x0
	v_cndmask_b32_e32 v22, 0, v22, vcc_lo
	v_cmp_le_u32_e32 vcc_lo, v112, v17
	s_delay_alu instid0(VALU_DEP_2) | instskip(SKIP_4) | instid1(VALU_DEP_2)
	v_add_nc_u32_e32 v19, v19, v22
	ds_bpermute_b32 v22, v111, v19
	s_wait_dscnt 0x0
	v_cndmask_b32_e32 v22, 0, v22, vcc_lo
	v_cmp_le_u32_e32 vcc_lo, v114, v17
	v_add_nc_u32_e32 v19, v19, v22
	ds_bpermute_b32 v22, v113, v19
	s_wait_dscnt 0x0
	v_cndmask_b32_e32 v17, 0, v22, vcc_lo
	s_delay_alu instid0(VALU_DEP_1)
	v_dual_mov_b32 v19, 0 :: v_dual_add_nc_u32 v22, v19, v17
	s_branch .LBB779_108
.LBB779_106:                            ;   in Loop: Header=BB779_108 Depth=1
	s_or_b32 exec_lo, exec_lo, s9
	v_and_b32_e32 v24, 0xff, v23
	ds_bpermute_b32 v25, v98, v22
	v_subrev_nc_u32_e32 v18, 32, v18
	s_mov_b32 s9, 0
	v_cmp_eq_u16_e32 vcc_lo, 2, v24
	v_and_or_b32 v24, vcc_lo, v106, 0x80000000
	s_delay_alu instid0(VALU_DEP_1) | instskip(NEXT) | instid1(VALU_DEP_1)
	v_ctz_i32_b32_e32 v24, v24
	v_cmp_lt_u32_e32 vcc_lo, v93, v24
	s_wait_dscnt 0x0
	v_cndmask_b32_e32 v25, 0, v25, vcc_lo
	v_cmp_le_u32_e32 vcc_lo, v108, v24
	s_delay_alu instid0(VALU_DEP_2) | instskip(SKIP_4) | instid1(VALU_DEP_2)
	v_add_nc_u32_e32 v22, v25, v22
	ds_bpermute_b32 v25, v107, v22
	s_wait_dscnt 0x0
	v_cndmask_b32_e32 v25, 0, v25, vcc_lo
	v_cmp_le_u32_e32 vcc_lo, v110, v24
	v_add_nc_u32_e32 v22, v22, v25
	ds_bpermute_b32 v25, v109, v22
	s_wait_dscnt 0x0
	v_cndmask_b32_e32 v25, 0, v25, vcc_lo
	v_cmp_le_u32_e32 vcc_lo, v112, v24
	s_delay_alu instid0(VALU_DEP_2) | instskip(SKIP_4) | instid1(VALU_DEP_2)
	v_add_nc_u32_e32 v22, v22, v25
	ds_bpermute_b32 v25, v111, v22
	s_wait_dscnt 0x0
	v_cndmask_b32_e32 v25, 0, v25, vcc_lo
	v_cmp_le_u32_e32 vcc_lo, v114, v24
	v_add_nc_u32_e32 v22, v22, v25
	ds_bpermute_b32 v25, v113, v22
	s_wait_dscnt 0x0
	v_cndmask_b32_e32 v24, 0, v25, vcc_lo
	s_delay_alu instid0(VALU_DEP_1)
	v_add3_u32 v22, v24, v17, v22
.LBB779_107:                            ;   in Loop: Header=BB779_108 Depth=1
	s_and_b32 vcc_lo, exec_lo, s9
	s_cbranch_vccnz .LBB779_114
.LBB779_108:                            ; =>This Loop Header: Depth=1
                                        ;     Child Loop BB779_111 Depth 2
	v_and_b32_e32 v17, 0xff, v23
	s_mov_b32 s9, -1
                                        ; implicit-def: $vgpr23
	s_delay_alu instid0(VALU_DEP_1)
	v_cmp_ne_u16_e32 vcc_lo, 2, v17
	v_mov_b32_e32 v17, v22
                                        ; implicit-def: $vgpr22
	s_cmp_lg_u32 vcc_lo, exec_lo
	s_cbranch_scc1 .LBB779_107
; %bb.109:                              ;   in Loop: Header=BB779_108 Depth=1
	global_load_b64 v[22:23], v18, s[40:41] scale_offset scope:SCOPE_DEV
	s_mov_b32 s9, exec_lo
	s_wait_loadcnt 0x0
	v_and_b32_e32 v24, 0xff, v23
	s_wait_xcnt 0x0
	s_delay_alu instid0(VALU_DEP_1)
	v_cmpx_eq_u16_e32 0, v24
	s_cbranch_execz .LBB779_106
; %bb.110:                              ;   in Loop: Header=BB779_108 Depth=1
	v_lshl_add_u64 v[24:25], v[18:19], 3, s[40:41]
	s_mov_b32 s10, 0
.LBB779_111:                            ;   Parent Loop BB779_108 Depth=1
                                        ; =>  This Inner Loop Header: Depth=2
	global_load_b64 v[22:23], v[24:25], off scope:SCOPE_DEV
	s_wait_loadcnt 0x0
	v_and_b32_e32 v115, 0xff, v23
	s_delay_alu instid0(VALU_DEP_1)
	v_cmp_ne_u16_e32 vcc_lo, 0, v115
	s_or_b32 s10, vcc_lo, s10
	s_wait_xcnt 0x0
	s_and_not1_b32 exec_lo, exec_lo, s10
	s_cbranch_execnz .LBB779_111
; %bb.112:                              ;   in Loop: Header=BB779_108 Depth=1
	s_or_b32 exec_lo, exec_lo, s10
	s_branch .LBB779_106
.LBB779_113:
                                        ; implicit-def: $vgpr18
                                        ; implicit-def: $vgpr16
                                        ; implicit-def: $vgpr95
	s_and_b32 vcc_lo, exec_lo, s7
	s_cbranch_vccnz .LBB779_119
	s_branch .LBB779_128
.LBB779_114:
	s_and_saveexec_b32 s9, s7
	s_cbranch_execz .LBB779_116
; %bb.115:
	s_add_co_i32 s10, s38, 32
	v_dual_mov_b32 v19, 2 :: v_dual_add_nc_u32 v18, v17, v16
	v_dual_mov_b32 v22, s10 :: v_dual_mov_b32 v23, 0
	global_store_b64 v22, v[18:19], s[40:41] scale_offset scope:SCOPE_DEV
	ds_store_b64 v23, v[16:17] offset:15360
.LBB779_116:
	s_wait_xcnt 0x0
	s_or_b32 exec_lo, exec_lo, s9
	s_delay_alu instid0(SALU_CYCLE_1)
	s_and_b32 exec_lo, exec_lo, s2
; %bb.117:
	v_mov_b32_e32 v16, 0
	ds_store_b32 v16, v17 offset:28
.LBB779_118:
	s_or_b32 exec_lo, exec_lo, s8
	s_wait_dscnt 0x0
	v_dual_mov_b32 v16, 0 :: v_dual_cndmask_b32 v19, v97, v95, s7
	s_wait_storecnt 0x0
	s_barrier_signal -1
	s_barrier_wait -1
	ds_load_b32 v18, v16 offset:28
	s_wait_dscnt 0x0
	s_barrier_signal -1
	s_barrier_wait -1
	ds_load_b64 v[16:17], v16 offset:15360
	v_cndmask_b32_e64 v19, v19, 0, s2
	s_wait_dscnt 0x0
	s_delay_alu instid0(VALU_DEP_1)
	v_dual_mov_b32 v18, v17 :: v_dual_add_nc_u32 v95, v18, v19
	s_branch .LBB779_128
.LBB779_119:
	v_mov_b32_dpp v16, v96 row_shr:1 row_mask:0xf bank_mask:0xf
	s_delay_alu instid0(VALU_DEP_1) | instskip(NEXT) | instid1(VALU_DEP_1)
	v_cndmask_b32_e64 v16, v16, 0, s6
	v_add_nc_u32_e32 v16, v16, v96
	s_delay_alu instid0(VALU_DEP_1) | instskip(NEXT) | instid1(VALU_DEP_1)
	v_mov_b32_dpp v17, v16 row_shr:2 row_mask:0xf bank_mask:0xf
	v_cndmask_b32_e64 v17, 0, v17, s5
	s_delay_alu instid0(VALU_DEP_1) | instskip(NEXT) | instid1(VALU_DEP_1)
	v_add_nc_u32_e32 v16, v16, v17
	v_mov_b32_dpp v17, v16 row_shr:4 row_mask:0xf bank_mask:0xf
	s_delay_alu instid0(VALU_DEP_1) | instskip(NEXT) | instid1(VALU_DEP_1)
	v_cndmask_b32_e64 v17, 0, v17, s4
	v_add_nc_u32_e32 v16, v16, v17
	s_delay_alu instid0(VALU_DEP_1) | instskip(NEXT) | instid1(VALU_DEP_1)
	v_mov_b32_dpp v17, v16 row_shr:8 row_mask:0xf bank_mask:0xf
	v_cndmask_b32_e64 v17, 0, v17, s3
	s_delay_alu instid0(VALU_DEP_1) | instskip(SKIP_3) | instid1(VALU_DEP_1)
	v_add_nc_u32_e32 v16, v16, v17
	ds_swizzle_b32 v17, v16 offset:swizzle(BROADCAST,32,15)
	s_wait_dscnt 0x0
	v_cndmask_b32_e64 v17, v17, 0, s1
	v_add_nc_u32_e32 v16, v16, v17
	s_and_saveexec_b32 s1, s0
; %bb.120:
	v_lshlrev_b32_e32 v17, 2, v94
	ds_store_b32 v17, v16
; %bb.121:
	s_or_b32 exec_lo, exec_lo, s1
	s_delay_alu instid0(SALU_CYCLE_1)
	s_mov_b32 s0, exec_lo
	s_wait_dscnt 0x0
	s_barrier_signal -1
	s_barrier_wait -1
	v_cmpx_gt_u32_e32 8, v0
	s_cbranch_execz .LBB779_123
; %bb.122:
	v_dual_lshlrev_b32 v17, 2, v0 :: v_dual_bitop2_b32 v19, 7, v93 bitop3:0x40
	ds_load_b32 v18, v17
	v_cmp_ne_u32_e32 vcc_lo, 0, v19
	s_wait_dscnt 0x0
	v_mov_b32_dpp v22, v18 row_shr:1 row_mask:0xf bank_mask:0xf
	s_delay_alu instid0(VALU_DEP_1) | instskip(SKIP_1) | instid1(VALU_DEP_2)
	v_cndmask_b32_e32 v22, 0, v22, vcc_lo
	v_cmp_lt_u32_e32 vcc_lo, 1, v19
	v_add_nc_u32_e32 v18, v22, v18
	s_delay_alu instid0(VALU_DEP_1) | instskip(NEXT) | instid1(VALU_DEP_1)
	v_mov_b32_dpp v22, v18 row_shr:2 row_mask:0xf bank_mask:0xf
	v_cndmask_b32_e32 v22, 0, v22, vcc_lo
	v_cmp_lt_u32_e32 vcc_lo, 3, v19
	s_delay_alu instid0(VALU_DEP_2) | instskip(NEXT) | instid1(VALU_DEP_1)
	v_add_nc_u32_e32 v18, v18, v22
	v_mov_b32_dpp v22, v18 row_shr:4 row_mask:0xf bank_mask:0xf
	s_delay_alu instid0(VALU_DEP_1) | instskip(NEXT) | instid1(VALU_DEP_1)
	v_cndmask_b32_e32 v19, 0, v22, vcc_lo
	v_add_nc_u32_e32 v18, v18, v19
	ds_store_b32 v17, v18
.LBB779_123:
	s_or_b32 exec_lo, exec_lo, s0
	v_dual_mov_b32 v17, 0 :: v_dual_mov_b32 v18, 0
	s_mov_b32 s0, exec_lo
	s_wait_dscnt 0x0
	s_barrier_signal -1
	s_barrier_wait -1
	v_cmpx_lt_u32_e32 31, v0
; %bb.124:
	v_lshl_add_u32 v18, v94, 2, -4
	ds_load_b32 v18, v18
; %bb.125:
	s_or_b32 exec_lo, exec_lo, s0
	v_sub_co_u32 v19, vcc_lo, v93, 1
	s_wait_dscnt 0x0
	v_add_nc_u32_e32 v16, v18, v16
	s_delay_alu instid0(VALU_DEP_2) | instskip(NEXT) | instid1(VALU_DEP_1)
	v_cmp_gt_i32_e64 s0, 0, v19
	v_cndmask_b32_e64 v19, v19, v93, s0
	s_delay_alu instid0(VALU_DEP_1)
	v_lshlrev_b32_e32 v19, 2, v19
	ds_bpermute_b32 v19, v19, v16
	ds_load_b32 v16, v17 offset:28
	s_and_saveexec_b32 s0, s2
	s_cbranch_execz .LBB779_127
; %bb.126:
	v_dual_mov_b32 v22, 0 :: v_dual_mov_b32 v17, 2
	s_wait_dscnt 0x0
	global_store_b64 v22, v[16:17], s[40:41] offset:256 scope:SCOPE_DEV
.LBB779_127:
	s_wait_xcnt 0x0
	s_or_b32 exec_lo, exec_lo, s0
	s_wait_dscnt 0x1
	v_dual_cndmask_b32 v17, v19, v18 :: v_dual_mov_b32 v18, 0
	s_wait_storecnt_dscnt 0x0
	s_barrier_signal -1
	s_barrier_wait -1
	s_delay_alu instid0(VALU_DEP_1)
	v_cndmask_b32_e64 v95, v17, 0, s2
.LBB779_128:
	s_delay_alu instid0(VALU_DEP_1) | instskip(SKIP_3) | instid1(VALU_DEP_3)
	v_add_nc_u32_e32 v98, v95, v91
	v_cmp_gt_u32_e32 vcc_lo, 0x101, v16
	v_lshlrev_b64_e32 v[22:23], 1, v[20:21]
	s_mov_b32 s0, -1
	v_dual_add_nc_u32 v97, v98, v92 :: v_dual_bitop2_b32 v70, 1, v70 bitop3:0x40
	s_and_b32 vcc_lo, exec_lo, vcc_lo
	s_delay_alu instid0(VALU_DEP_1) | instskip(NEXT) | instid1(VALU_DEP_1)
	v_add_nc_u32_e32 v96, v97, v89
	v_add_nc_u32_e32 v94, v96, v90
	s_delay_alu instid0(VALU_DEP_1) | instskip(NEXT) | instid1(VALU_DEP_1)
	v_add_nc_u32_e32 v93, v94, v87
	v_add_nc_u32_e32 v92, v93, v88
	;; [unrolled: 3-line block ×13, first 2 shown]
	s_delay_alu instid0(VALU_DEP_1)
	v_add_nc_u32_e32 v17, v19, v105
	s_cbranch_vccnz .LBB779_132
; %bb.129:
	s_and_b32 vcc_lo, exec_lo, s0
	s_cbranch_vccnz .LBB779_193
.LBB779_130:
	s_and_b32 s0, s2, s31
	s_delay_alu instid0(SALU_CYCLE_1)
	s_and_saveexec_b32 s1, s0
	s_cbranch_execnz .LBB779_268
.LBB779_131:
	s_sendmsg sendmsg(MSG_DEALLOC_VGPRS)
	s_endpgm
.LBB779_132:
	v_add_nc_u32_e32 v99, v18, v16
	v_add_nc_u64_e32 v[24:25], s[34:35], v[22:23]
	v_cmp_eq_u32_e64 s0, 1, v70
	s_delay_alu instid0(VALU_DEP_3) | instskip(SKIP_1) | instid1(SALU_CYCLE_1)
	v_cmp_lt_u32_e32 vcc_lo, v95, v99
	s_or_b32 s1, s33, vcc_lo
	s_and_b32 s1, s1, s0
	s_delay_alu instid0(SALU_CYCLE_1)
	s_and_saveexec_b32 s0, s1
	s_cbranch_execz .LBB779_134
; %bb.133:
	v_readfirstlane_b32 s4, v24
	v_readfirstlane_b32 s5, v25
	global_store_b16 v95, v14, s[4:5] scale_offset
.LBB779_134:
	s_wait_xcnt 0x0
	s_or_b32 exec_lo, exec_lo, s0
	v_and_b32_e32 v100, 1, v69
	v_cmp_lt_u32_e32 vcc_lo, v98, v99
	s_delay_alu instid0(VALU_DEP_2) | instskip(SKIP_1) | instid1(SALU_CYCLE_1)
	v_cmp_eq_u32_e64 s0, 1, v100
	s_or_b32 s1, s33, vcc_lo
	s_and_b32 s1, s1, s0
	s_delay_alu instid0(SALU_CYCLE_1)
	s_and_saveexec_b32 s0, s1
	s_cbranch_execz .LBB779_136
; %bb.135:
	v_readfirstlane_b32 s4, v24
	v_readfirstlane_b32 s5, v25
	global_store_b16 v98, v40, s[4:5] scale_offset
.LBB779_136:
	s_wait_xcnt 0x0
	s_or_b32 exec_lo, exec_lo, s0
	v_and_b32_e32 v100, 1, v68
	v_cmp_lt_u32_e32 vcc_lo, v97, v99
	s_delay_alu instid0(VALU_DEP_2) | instskip(SKIP_1) | instid1(SALU_CYCLE_1)
	v_cmp_eq_u32_e64 s0, 1, v100
	;; [unrolled: 16-line block ×29, first 2 shown]
	s_or_b32 s1, s33, vcc_lo
	s_and_b32 s1, s1, s0
	s_delay_alu instid0(SALU_CYCLE_1)
	s_and_saveexec_b32 s0, s1
	s_cbranch_execz .LBB779_192
; %bb.191:
	v_readfirstlane_b32 s4, v24
	v_readfirstlane_b32 s5, v25
	global_store_b16 v17, v26, s[4:5] scale_offset
.LBB779_192:
	s_wait_xcnt 0x0
	s_or_b32 exec_lo, exec_lo, s0
	s_branch .LBB779_130
.LBB779_193:
	s_mov_b32 s0, exec_lo
	v_cmpx_eq_u32_e32 1, v70
; %bb.194:
	v_sub_nc_u32_e32 v24, v95, v18
	s_delay_alu instid0(VALU_DEP_1)
	v_lshlrev_b32_e32 v24, 1, v24
	ds_store_b16 v24, v14
; %bb.195:
	s_or_b32 exec_lo, exec_lo, s0
	v_and_b32_e32 v14, 1, v69
	s_mov_b32 s0, exec_lo
	s_delay_alu instid0(VALU_DEP_1)
	v_cmpx_eq_u32_e32 1, v14
; %bb.196:
	v_sub_nc_u32_e32 v14, v98, v18
	s_delay_alu instid0(VALU_DEP_1)
	v_lshlrev_b32_e32 v14, 1, v14
	ds_store_b16 v14, v40
; %bb.197:
	s_or_b32 exec_lo, exec_lo, s0
	v_and_b32_e32 v14, 1, v68
	s_mov_b32 s0, exec_lo
	s_delay_alu instid0(VALU_DEP_1)
	v_cmpx_eq_u32_e32 1, v14
; %bb.198:
	v_sub_nc_u32_e32 v14, v97, v18
	s_delay_alu instid0(VALU_DEP_1)
	v_lshlrev_b32_e32 v14, 1, v14
	ds_store_b16 v14, v15
; %bb.199:
	s_or_b32 exec_lo, exec_lo, s0
	v_and_b32_e32 v14, 1, v67
	s_mov_b32 s0, exec_lo
	s_delay_alu instid0(VALU_DEP_1)
	v_cmpx_eq_u32_e32 1, v14
; %bb.200:
	v_sub_nc_u32_e32 v14, v96, v18
	s_delay_alu instid0(VALU_DEP_1)
	v_lshlrev_b32_e32 v14, 1, v14
	ds_store_b16 v14, v39
; %bb.201:
	s_or_b32 exec_lo, exec_lo, s0
	v_and_b32_e32 v14, 1, v66
	s_mov_b32 s0, exec_lo
	s_delay_alu instid0(VALU_DEP_1)
	v_cmpx_eq_u32_e32 1, v14
; %bb.202:
	v_sub_nc_u32_e32 v14, v94, v18
	s_delay_alu instid0(VALU_DEP_1)
	v_lshlrev_b32_e32 v14, 1, v14
	ds_store_b16 v14, v12
; %bb.203:
	s_or_b32 exec_lo, exec_lo, s0
	v_and_b32_e32 v12, 1, v65
	s_mov_b32 s0, exec_lo
	s_delay_alu instid0(VALU_DEP_1)
	v_cmpx_eq_u32_e32 1, v12
; %bb.204:
	v_sub_nc_u32_e32 v12, v93, v18
	s_delay_alu instid0(VALU_DEP_1)
	v_lshlrev_b32_e32 v12, 1, v12
	ds_store_b16 v12, v38
; %bb.205:
	s_or_b32 exec_lo, exec_lo, s0
	v_and_b32_e32 v12, 1, v64
	s_mov_b32 s0, exec_lo
	s_delay_alu instid0(VALU_DEP_1)
	v_cmpx_eq_u32_e32 1, v12
; %bb.206:
	v_sub_nc_u32_e32 v12, v92, v18
	s_delay_alu instid0(VALU_DEP_1)
	v_lshlrev_b32_e32 v12, 1, v12
	ds_store_b16 v12, v13
; %bb.207:
	s_or_b32 exec_lo, exec_lo, s0
	v_and_b32_e32 v12, 1, v63
	s_mov_b32 s0, exec_lo
	s_delay_alu instid0(VALU_DEP_1)
	v_cmpx_eq_u32_e32 1, v12
; %bb.208:
	v_sub_nc_u32_e32 v12, v91, v18
	s_delay_alu instid0(VALU_DEP_1)
	v_lshlrev_b32_e32 v12, 1, v12
	ds_store_b16 v12, v37
; %bb.209:
	s_or_b32 exec_lo, exec_lo, s0
	v_and_b32_e32 v12, 1, v62
	s_mov_b32 s0, exec_lo
	s_delay_alu instid0(VALU_DEP_1)
	v_cmpx_eq_u32_e32 1, v12
; %bb.210:
	v_sub_nc_u32_e32 v12, v90, v18
	s_delay_alu instid0(VALU_DEP_1)
	v_lshlrev_b32_e32 v12, 1, v12
	ds_store_b16 v12, v10
; %bb.211:
	s_or_b32 exec_lo, exec_lo, s0
	v_and_b32_e32 v10, 1, v61
	s_mov_b32 s0, exec_lo
	s_delay_alu instid0(VALU_DEP_1)
	v_cmpx_eq_u32_e32 1, v10
; %bb.212:
	v_sub_nc_u32_e32 v10, v89, v18
	s_delay_alu instid0(VALU_DEP_1)
	v_lshlrev_b32_e32 v10, 1, v10
	ds_store_b16 v10, v36
; %bb.213:
	s_or_b32 exec_lo, exec_lo, s0
	v_and_b32_e32 v10, 1, v60
	s_mov_b32 s0, exec_lo
	s_delay_alu instid0(VALU_DEP_1)
	v_cmpx_eq_u32_e32 1, v10
; %bb.214:
	v_sub_nc_u32_e32 v10, v88, v18
	s_delay_alu instid0(VALU_DEP_1)
	v_lshlrev_b32_e32 v10, 1, v10
	ds_store_b16 v10, v11
; %bb.215:
	s_or_b32 exec_lo, exec_lo, s0
	v_and_b32_e32 v10, 1, v59
	s_mov_b32 s0, exec_lo
	s_delay_alu instid0(VALU_DEP_1)
	v_cmpx_eq_u32_e32 1, v10
; %bb.216:
	v_sub_nc_u32_e32 v10, v87, v18
	s_delay_alu instid0(VALU_DEP_1)
	v_lshlrev_b32_e32 v10, 1, v10
	ds_store_b16 v10, v35
; %bb.217:
	s_or_b32 exec_lo, exec_lo, s0
	v_and_b32_e32 v10, 1, v58
	s_mov_b32 s0, exec_lo
	s_delay_alu instid0(VALU_DEP_1)
	v_cmpx_eq_u32_e32 1, v10
; %bb.218:
	v_sub_nc_u32_e32 v10, v86, v18
	s_delay_alu instid0(VALU_DEP_1)
	v_lshlrev_b32_e32 v10, 1, v10
	ds_store_b16 v10, v8
; %bb.219:
	s_or_b32 exec_lo, exec_lo, s0
	v_and_b32_e32 v8, 1, v57
	s_mov_b32 s0, exec_lo
	s_delay_alu instid0(VALU_DEP_1)
	v_cmpx_eq_u32_e32 1, v8
; %bb.220:
	v_sub_nc_u32_e32 v8, v85, v18
	s_delay_alu instid0(VALU_DEP_1)
	v_lshlrev_b32_e32 v8, 1, v8
	ds_store_b16 v8, v34
; %bb.221:
	s_or_b32 exec_lo, exec_lo, s0
	v_and_b32_e32 v8, 1, v56
	s_mov_b32 s0, exec_lo
	s_delay_alu instid0(VALU_DEP_1)
	v_cmpx_eq_u32_e32 1, v8
; %bb.222:
	v_sub_nc_u32_e32 v8, v84, v18
	s_delay_alu instid0(VALU_DEP_1)
	v_lshlrev_b32_e32 v8, 1, v8
	ds_store_b16 v8, v9
; %bb.223:
	s_or_b32 exec_lo, exec_lo, s0
	v_and_b32_e32 v8, 1, v55
	s_mov_b32 s0, exec_lo
	s_delay_alu instid0(VALU_DEP_1)
	v_cmpx_eq_u32_e32 1, v8
; %bb.224:
	v_sub_nc_u32_e32 v8, v83, v18
	s_delay_alu instid0(VALU_DEP_1)
	v_lshlrev_b32_e32 v8, 1, v8
	ds_store_b16 v8, v33
; %bb.225:
	s_or_b32 exec_lo, exec_lo, s0
	v_and_b32_e32 v8, 1, v54
	s_mov_b32 s0, exec_lo
	s_delay_alu instid0(VALU_DEP_1)
	v_cmpx_eq_u32_e32 1, v8
; %bb.226:
	v_sub_nc_u32_e32 v8, v82, v18
	s_delay_alu instid0(VALU_DEP_1)
	v_lshlrev_b32_e32 v8, 1, v8
	ds_store_b16 v8, v6
; %bb.227:
	s_or_b32 exec_lo, exec_lo, s0
	v_and_b32_e32 v6, 1, v53
	s_mov_b32 s0, exec_lo
	s_delay_alu instid0(VALU_DEP_1)
	v_cmpx_eq_u32_e32 1, v6
; %bb.228:
	v_sub_nc_u32_e32 v6, v81, v18
	s_delay_alu instid0(VALU_DEP_1)
	v_lshlrev_b32_e32 v6, 1, v6
	ds_store_b16 v6, v32
; %bb.229:
	s_or_b32 exec_lo, exec_lo, s0
	v_and_b32_e32 v6, 1, v52
	s_mov_b32 s0, exec_lo
	s_delay_alu instid0(VALU_DEP_1)
	v_cmpx_eq_u32_e32 1, v6
; %bb.230:
	v_sub_nc_u32_e32 v6, v80, v18
	s_delay_alu instid0(VALU_DEP_1)
	v_lshlrev_b32_e32 v6, 1, v6
	ds_store_b16 v6, v7
; %bb.231:
	s_or_b32 exec_lo, exec_lo, s0
	v_and_b32_e32 v6, 1, v51
	s_mov_b32 s0, exec_lo
	s_delay_alu instid0(VALU_DEP_1)
	v_cmpx_eq_u32_e32 1, v6
; %bb.232:
	v_sub_nc_u32_e32 v6, v79, v18
	s_delay_alu instid0(VALU_DEP_1)
	v_lshlrev_b32_e32 v6, 1, v6
	ds_store_b16 v6, v31
; %bb.233:
	s_or_b32 exec_lo, exec_lo, s0
	v_and_b32_e32 v6, 1, v50
	s_mov_b32 s0, exec_lo
	s_delay_alu instid0(VALU_DEP_1)
	v_cmpx_eq_u32_e32 1, v6
; %bb.234:
	v_sub_nc_u32_e32 v6, v78, v18
	s_delay_alu instid0(VALU_DEP_1)
	v_lshlrev_b32_e32 v6, 1, v6
	ds_store_b16 v6, v4
; %bb.235:
	s_or_b32 exec_lo, exec_lo, s0
	v_and_b32_e32 v4, 1, v49
	s_mov_b32 s0, exec_lo
	s_delay_alu instid0(VALU_DEP_1)
	v_cmpx_eq_u32_e32 1, v4
; %bb.236:
	v_sub_nc_u32_e32 v4, v77, v18
	s_delay_alu instid0(VALU_DEP_1)
	v_lshlrev_b32_e32 v4, 1, v4
	ds_store_b16 v4, v30
; %bb.237:
	s_or_b32 exec_lo, exec_lo, s0
	v_and_b32_e32 v4, 1, v48
	s_mov_b32 s0, exec_lo
	s_delay_alu instid0(VALU_DEP_1)
	v_cmpx_eq_u32_e32 1, v4
; %bb.238:
	v_sub_nc_u32_e32 v4, v76, v18
	s_delay_alu instid0(VALU_DEP_1)
	v_lshlrev_b32_e32 v4, 1, v4
	ds_store_b16 v4, v5
; %bb.239:
	s_or_b32 exec_lo, exec_lo, s0
	v_and_b32_e32 v4, 1, v47
	s_mov_b32 s0, exec_lo
	s_delay_alu instid0(VALU_DEP_1)
	v_cmpx_eq_u32_e32 1, v4
; %bb.240:
	v_sub_nc_u32_e32 v4, v75, v18
	s_delay_alu instid0(VALU_DEP_1)
	v_lshlrev_b32_e32 v4, 1, v4
	ds_store_b16 v4, v29
; %bb.241:
	s_or_b32 exec_lo, exec_lo, s0
	v_and_b32_e32 v4, 1, v46
	s_mov_b32 s0, exec_lo
	s_delay_alu instid0(VALU_DEP_1)
	v_cmpx_eq_u32_e32 1, v4
; %bb.242:
	v_sub_nc_u32_e32 v4, v74, v18
	s_delay_alu instid0(VALU_DEP_1)
	v_lshlrev_b32_e32 v4, 1, v4
	ds_store_b16 v4, v2
; %bb.243:
	s_or_b32 exec_lo, exec_lo, s0
	v_and_b32_e32 v2, 1, v45
	s_mov_b32 s0, exec_lo
	s_delay_alu instid0(VALU_DEP_1)
	v_cmpx_eq_u32_e32 1, v2
; %bb.244:
	v_sub_nc_u32_e32 v2, v73, v18
	s_delay_alu instid0(VALU_DEP_1)
	v_lshlrev_b32_e32 v2, 1, v2
	ds_store_b16 v2, v28
; %bb.245:
	s_or_b32 exec_lo, exec_lo, s0
	v_and_b32_e32 v2, 1, v44
	s_mov_b32 s0, exec_lo
	s_delay_alu instid0(VALU_DEP_1)
	v_cmpx_eq_u32_e32 1, v2
; %bb.246:
	v_sub_nc_u32_e32 v2, v72, v18
	s_delay_alu instid0(VALU_DEP_1)
	v_lshlrev_b32_e32 v2, 1, v2
	ds_store_b16 v2, v3
; %bb.247:
	s_or_b32 exec_lo, exec_lo, s0
	v_and_b32_e32 v2, 1, v43
	s_mov_b32 s0, exec_lo
	s_delay_alu instid0(VALU_DEP_1)
	v_cmpx_eq_u32_e32 1, v2
; %bb.248:
	v_sub_nc_u32_e32 v2, v71, v18
	s_delay_alu instid0(VALU_DEP_1)
	v_lshlrev_b32_e32 v2, 1, v2
	ds_store_b16 v2, v27
; %bb.249:
	s_or_b32 exec_lo, exec_lo, s0
	v_and_b32_e32 v2, 1, v42
	s_mov_b32 s0, exec_lo
	s_delay_alu instid0(VALU_DEP_1)
	v_cmpx_eq_u32_e32 1, v2
; %bb.250:
	v_sub_nc_u32_e32 v2, v19, v18
	s_delay_alu instid0(VALU_DEP_1)
	v_lshlrev_b32_e32 v2, 1, v2
	ds_store_b16 v2, v1
; %bb.251:
	s_or_b32 exec_lo, exec_lo, s0
	v_and_b32_e32 v1, 1, v41
	s_mov_b32 s0, exec_lo
	s_delay_alu instid0(VALU_DEP_1)
	v_cmpx_eq_u32_e32 1, v1
; %bb.252:
	v_sub_nc_u32_e32 v1, v17, v18
	s_delay_alu instid0(VALU_DEP_1)
	v_lshlrev_b32_e32 v1, 1, v1
	ds_store_b16 v1, v26
; %bb.253:
	s_or_b32 exec_lo, exec_lo, s0
	v_or_b32_e32 v1, 0x100, v0
	v_mov_b32_e32 v19, 0
	v_add_nc_u64_e32 v[4:5], s[34:35], v[22:23]
	s_mov_b32 s4, -1
	s_mov_b32 s1, exec_lo
	v_max_u32_e32 v3, v16, v1
	v_lshlrev_b64_e32 v[6:7], 1, v[18:19]
	s_wait_storecnt_dscnt 0x0
	s_barrier_signal -1
	s_barrier_wait -1
	v_xad_u32 v2, v0, -1, v3
	s_delay_alu instid0(VALU_DEP_2) | instskip(NEXT) | instid1(VALU_DEP_2)
	v_add_nc_u64_e32 v[8:9], v[4:5], v[6:7]
	v_cmp_gt_u32_e64 s0, 0x1b00, v2
	v_cmpx_lt_u32_e32 0x1aff, v2
	s_cbranch_execz .LBB779_264
; %bb.254:
	v_sub_nc_u32_e32 v3, v0, v3
	s_mov_b32 s3, exec_lo
	s_delay_alu instid0(VALU_DEP_1) | instskip(NEXT) | instid1(VALU_DEP_1)
	v_or_b32_e32 v3, 0xff, v3
	v_cmpx_ge_u32_e64 v3, v0
	s_cbranch_execz .LBB779_263
; %bb.255:
	v_lshrrev_b32_e32 v12, 8, v2
	v_or_b32_e32 v3, 0x300, v0
	v_or_b32_e32 v2, 0x200, v0
	s_delay_alu instid0(VALU_DEP_3) | instskip(NEXT) | instid1(VALU_DEP_1)
	v_dual_mov_b32 v19, 0 :: v_dual_add_nc_u32 v4, -3, v12
	v_lshrrev_b32_e32 v5, 2, v4
	v_lshlrev_b32_e32 v13, 1, v0
	v_cmp_lt_u32_e32 vcc_lo, 11, v4
	s_delay_alu instid0(VALU_DEP_3)
	v_add_nc_u32_e32 v14, 1, v5
	v_mov_b64_e32 v[6:7], v[2:3]
	v_mov_b64_e32 v[4:5], v[0:1]
	s_and_saveexec_b32 s4, vcc_lo
	s_cbranch_execz .LBB779_259
; %bb.256:
	v_mov_b64_e32 v[6:7], v[2:3]
	v_mov_b64_e32 v[4:5], v[0:1]
	v_and_b32_e32 v15, 0x7ffffffc, v14
	v_dual_mov_b32 v11, 0 :: v_dual_mov_b32 v17, v13
	s_mov_b32 s5, 0
	s_mov_b32 s6, 0
.LBB779_257:                            ; =>This Inner Loop Header: Depth=1
	s_delay_alu instid0(VALU_DEP_1)
	v_dual_mov_b32 v10, v4 :: v_dual_mov_b32 v25, v11
	ds_load_u16 v1, v17
	ds_load_u16 v46, v17 offset:512
	ds_load_u16 v47, v17 offset:1024
	ds_load_u16 v48, v17 offset:1536
	ds_load_u16 v49, v17 offset:2048
	ds_load_u16 v50, v17 offset:2560
	ds_load_u16 v51, v17 offset:3072
	ds_load_u16 v52, v17 offset:3584
	ds_load_u16 v53, v17 offset:4096
	ds_load_u16 v54, v17 offset:4608
	ds_load_u16 v55, v17 offset:5120
	ds_load_u16 v56, v17 offset:5632
	ds_load_u16 v57, v17 offset:6144
	ds_load_u16 v58, v17 offset:6656
	ds_load_u16 v59, v17 offset:7168
	ds_load_u16 v60, v17 offset:7680
	v_add_nc_u32_e32 v17, 0x2000, v17
	v_lshl_add_u64 v[38:39], v[10:11], 1, v[8:9]
	v_dual_mov_b32 v10, v5 :: v_dual_add_nc_u32 v15, -4, v15
	v_dual_mov_b32 v31, v11 :: v_dual_add_nc_u32 v24, 0x400, v5
	v_dual_mov_b32 v37, v11 :: v_dual_add_nc_u32 v30, 0x800, v5
	s_delay_alu instid0(VALU_DEP_3) | instskip(SKIP_2) | instid1(SALU_CYCLE_1)
	v_lshl_add_u64 v[40:41], v[10:11], 1, v[8:9]
	v_mov_b32_e32 v10, v6
	s_add_co_i32 s6, s6, 16
	v_dual_mov_b32 v19, s6 :: v_dual_add_nc_u32 v36, 0xc00, v5
	v_add_nc_u32_e32 v5, 0x1000, v5
	s_delay_alu instid0(VALU_DEP_3)
	v_lshl_add_u64 v[42:43], v[10:11], 1, v[8:9]
	v_mov_b32_e32 v10, v7
	s_wait_dscnt 0xf
	global_store_b16 v[38:39], v1, off
	s_wait_dscnt 0xe
	global_store_b16 v[40:41], v46, off
	;; [unrolled: 2-line block ×3, first 2 shown]
	v_dual_mov_b32 v23, v11 :: v_dual_add_nc_u32 v2, 0x400, v7
	v_lshl_add_u64 v[44:45], v[10:11], 1, v[8:9]
	v_add_nc_u32_e32 v10, 0x400, v4
	v_dual_mov_b32 v3, v11 :: v_dual_add_nc_u32 v22, 0x400, v6
	v_dual_mov_b32 v29, v11 :: v_dual_add_nc_u32 v26, 0x800, v7
	s_wait_xcnt 0x2
	s_delay_alu instid0(VALU_DEP_3)
	v_lshl_add_u64 v[38:39], v[10:11], 1, v[8:9]
	v_add_nc_u32_e32 v10, 0x800, v4
	v_dual_mov_b32 v27, v11 :: v_dual_add_nc_u32 v28, 0x800, v6
	v_cmp_eq_u32_e32 vcc_lo, 0, v15
	v_lshl_add_u64 v[24:25], v[24:25], 1, v[8:9]
	s_wait_dscnt 0xc
	global_store_b16 v[44:45], v48, off
	s_wait_dscnt 0xb
	global_store_b16 v[38:39], v49, off
	s_wait_xcnt 0x0
	v_lshl_add_u64 v[38:39], v[10:11], 1, v[8:9]
	v_add_nc_u32_e32 v10, 0xc00, v4
	v_dual_mov_b32 v35, v11 :: v_dual_add_nc_u32 v32, 0xc00, v7
	v_dual_mov_b32 v33, v11 :: v_dual_add_nc_u32 v34, 0xc00, v6
	v_lshl_add_u64 v[22:23], v[22:23], 1, v[8:9]
	v_add_nc_u32_e32 v6, 0x1000, v6
	v_add_nc_u32_e32 v7, 0x1000, v7
	;; [unrolled: 1-line block ×3, first 2 shown]
	v_lshl_add_u64 v[2:3], v[2:3], 1, v[8:9]
	v_lshl_add_u64 v[30:31], v[30:31], 1, v[8:9]
	;; [unrolled: 1-line block ×4, first 2 shown]
	s_or_b32 s5, vcc_lo, s5
	s_wait_dscnt 0xa
	global_store_b16 v[24:25], v50, off
	s_wait_dscnt 0x9
	global_store_b16 v[22:23], v51, off
	;; [unrolled: 2-line block ×3, first 2 shown]
	s_wait_xcnt 0x0
	v_lshl_add_u64 v[2:3], v[10:11], 1, v[8:9]
	v_lshl_add_u64 v[36:37], v[36:37], 1, v[8:9]
	;; [unrolled: 1-line block ×4, first 2 shown]
	s_wait_dscnt 0x7
	global_store_b16 v[38:39], v53, off
	s_wait_dscnt 0x6
	global_store_b16 v[30:31], v54, off
	;; [unrolled: 2-line block ×8, first 2 shown]
	s_wait_xcnt 0x0
	s_and_not1_b32 exec_lo, exec_lo, s5
	s_cbranch_execnz .LBB779_257
; %bb.258:
	s_or_b32 exec_lo, exec_lo, s5
.LBB779_259:
	s_delay_alu instid0(SALU_CYCLE_1) | instskip(SKIP_3) | instid1(VALU_DEP_1)
	s_or_b32 exec_lo, exec_lo, s4
	v_and_b32_e32 v1, 3, v14
	s_mov_b32 s5, 0
	s_mov_b32 s4, exec_lo
	v_cmpx_ne_u32_e32 0, v1
	s_cbranch_execz .LBB779_262
; %bb.260:
	v_lshl_or_b32 v10, v19, 9, v13
	v_mov_b32_e32 v3, 0
.LBB779_261:                            ; =>This Inner Loop Header: Depth=1
	v_dual_mov_b32 v2, v4 :: v_dual_add_nc_u32 v1, -1, v1
	ds_load_u16 v11, v10
	ds_load_u16 v13, v10 offset:512
	ds_load_u16 v17, v10 offset:1024
	;; [unrolled: 1-line block ×3, first 2 shown]
	v_add_nc_u32_e32 v4, 0x400, v4
	v_add_nc_u32_e32 v10, 0x800, v10
	v_lshl_add_u64 v[14:15], v[2:3], 1, v[8:9]
	v_dual_mov_b32 v2, v5 :: v_dual_add_nc_u32 v5, 0x400, v5
	v_cmp_eq_u32_e32 vcc_lo, 0, v1
	s_delay_alu instid0(VALU_DEP_2) | instskip(SKIP_3) | instid1(VALU_DEP_2)
	v_lshl_add_u64 v[22:23], v[2:3], 1, v[8:9]
	v_mov_b32_e32 v2, v6
	v_add_nc_u32_e32 v6, 0x400, v6
	s_or_b32 s5, vcc_lo, s5
	v_lshl_add_u64 v[24:25], v[2:3], 1, v[8:9]
	v_dual_mov_b32 v2, v7 :: v_dual_add_nc_u32 v7, 0x400, v7
	s_delay_alu instid0(VALU_DEP_1)
	v_lshl_add_u64 v[26:27], v[2:3], 1, v[8:9]
	s_wait_dscnt 0x3
	global_store_b16 v[14:15], v11, off
	s_wait_dscnt 0x2
	global_store_b16 v[22:23], v13, off
	;; [unrolled: 2-line block ×4, first 2 shown]
	s_wait_xcnt 0x0
	s_and_not1_b32 exec_lo, exec_lo, s5
	s_cbranch_execnz .LBB779_261
.LBB779_262:
	s_or_b32 exec_lo, exec_lo, s4
	v_add_nc_u32_e32 v1, 1, v12
	s_delay_alu instid0(VALU_DEP_1) | instskip(NEXT) | instid1(VALU_DEP_1)
	v_and_b32_e32 v2, 0x1fffffc, v1
	v_cmp_ne_u32_e32 vcc_lo, v1, v2
	v_lshl_or_b32 v0, v2, 8, v0
	s_or_not1_b32 s4, vcc_lo, exec_lo
.LBB779_263:
	s_or_b32 exec_lo, exec_lo, s3
	s_delay_alu instid0(SALU_CYCLE_1) | instskip(SKIP_1) | instid1(SALU_CYCLE_1)
	s_and_not1_b32 s0, s0, exec_lo
	s_and_b32 s3, s4, exec_lo
	s_or_b32 s0, s0, s3
.LBB779_264:
	s_or_b32 exec_lo, exec_lo, s1
	s_and_saveexec_b32 s1, s0
	s_cbranch_execz .LBB779_267
; %bb.265:
	v_lshlrev_b32_e32 v1, 1, v0
	s_mov_b32 s0, 0
.LBB779_266:                            ; =>This Inner Loop Header: Depth=1
	ds_load_u16 v2, v1
	v_readfirstlane_b32 s4, v8
	v_readfirstlane_b32 s5, v9
	v_add_nc_u32_e32 v1, 0x200, v1
	s_wait_dscnt 0x0
	global_store_b16 v0, v2, s[4:5] scale_offset
	s_wait_xcnt 0x0
	v_add_nc_u32_e32 v0, 0x100, v0
	s_delay_alu instid0(VALU_DEP_1) | instskip(SKIP_1) | instid1(SALU_CYCLE_1)
	v_cmp_ge_u32_e32 vcc_lo, v0, v16
	s_or_b32 s0, vcc_lo, s0
	s_and_not1_b32 exec_lo, exec_lo, s0
	s_cbranch_execnz .LBB779_266
.LBB779_267:
	s_or_b32 exec_lo, exec_lo, s1
	s_and_b32 s0, s2, s31
	s_delay_alu instid0(SALU_CYCLE_1)
	s_and_saveexec_b32 s1, s0
	s_cbranch_execz .LBB779_131
.LBB779_268:
	v_mov_b32_e32 v17, 0
	s_delay_alu instid0(VALU_DEP_1) | instskip(SKIP_1) | instid1(VALU_DEP_1)
	v_add_nc_u64_e32 v[0:1], v[20:21], v[16:17]
	v_mov_b32_e32 v19, v17
	v_add_nc_u64_e32 v[0:1], v[0:1], v[18:19]
	global_store_b64 v17, v[0:1], s[36:37]
	s_sendmsg sendmsg(MSG_DEALLOC_VGPRS)
	s_endpgm
	.section	.rodata,"a",@progbits
	.p2align	6, 0x0
	.amdhsa_kernel _ZN7rocprim17ROCPRIM_400000_NS6detail17trampoline_kernelINS0_14default_configENS1_25partition_config_selectorILNS1_17partition_subalgoE8EtNS0_10empty_typeEbEEZZNS1_14partition_implILS5_8ELb0ES3_jPKtPS6_PKS6_NS0_5tupleIJPtS6_EEENSE_IJSB_SB_EEENS0_18inequality_wrapperIN6hipcub16HIPCUB_304000_NS8EqualityEEEPlJS6_EEE10hipError_tPvRmT3_T4_T5_T6_T7_T9_mT8_P12ihipStream_tbDpT10_ENKUlT_T0_E_clISt17integral_constantIbLb0EES16_IbLb1EEEEDaS12_S13_EUlS12_E_NS1_11comp_targetILNS1_3genE0ELNS1_11target_archE4294967295ELNS1_3gpuE0ELNS1_3repE0EEENS1_30default_config_static_selectorELNS0_4arch9wavefront6targetE0EEEvT1_
		.amdhsa_group_segment_fixed_size 15368
		.amdhsa_private_segment_fixed_size 0
		.amdhsa_kernarg_size 128
		.amdhsa_user_sgpr_count 2
		.amdhsa_user_sgpr_dispatch_ptr 0
		.amdhsa_user_sgpr_queue_ptr 0
		.amdhsa_user_sgpr_kernarg_segment_ptr 1
		.amdhsa_user_sgpr_dispatch_id 0
		.amdhsa_user_sgpr_kernarg_preload_length 0
		.amdhsa_user_sgpr_kernarg_preload_offset 0
		.amdhsa_user_sgpr_private_segment_size 0
		.amdhsa_wavefront_size32 1
		.amdhsa_uses_dynamic_stack 0
		.amdhsa_enable_private_segment 0
		.amdhsa_system_sgpr_workgroup_id_x 1
		.amdhsa_system_sgpr_workgroup_id_y 0
		.amdhsa_system_sgpr_workgroup_id_z 0
		.amdhsa_system_sgpr_workgroup_info 0
		.amdhsa_system_vgpr_workitem_id 0
		.amdhsa_next_free_vgpr 116
		.amdhsa_next_free_sgpr 51
		.amdhsa_named_barrier_count 0
		.amdhsa_reserve_vcc 1
		.amdhsa_float_round_mode_32 0
		.amdhsa_float_round_mode_16_64 0
		.amdhsa_float_denorm_mode_32 3
		.amdhsa_float_denorm_mode_16_64 3
		.amdhsa_fp16_overflow 0
		.amdhsa_memory_ordered 1
		.amdhsa_forward_progress 1
		.amdhsa_inst_pref_size 114
		.amdhsa_round_robin_scheduling 0
		.amdhsa_exception_fp_ieee_invalid_op 0
		.amdhsa_exception_fp_denorm_src 0
		.amdhsa_exception_fp_ieee_div_zero 0
		.amdhsa_exception_fp_ieee_overflow 0
		.amdhsa_exception_fp_ieee_underflow 0
		.amdhsa_exception_fp_ieee_inexact 0
		.amdhsa_exception_int_div_zero 0
	.end_amdhsa_kernel
	.section	.text._ZN7rocprim17ROCPRIM_400000_NS6detail17trampoline_kernelINS0_14default_configENS1_25partition_config_selectorILNS1_17partition_subalgoE8EtNS0_10empty_typeEbEEZZNS1_14partition_implILS5_8ELb0ES3_jPKtPS6_PKS6_NS0_5tupleIJPtS6_EEENSE_IJSB_SB_EEENS0_18inequality_wrapperIN6hipcub16HIPCUB_304000_NS8EqualityEEEPlJS6_EEE10hipError_tPvRmT3_T4_T5_T6_T7_T9_mT8_P12ihipStream_tbDpT10_ENKUlT_T0_E_clISt17integral_constantIbLb0EES16_IbLb1EEEEDaS12_S13_EUlS12_E_NS1_11comp_targetILNS1_3genE0ELNS1_11target_archE4294967295ELNS1_3gpuE0ELNS1_3repE0EEENS1_30default_config_static_selectorELNS0_4arch9wavefront6targetE0EEEvT1_,"axG",@progbits,_ZN7rocprim17ROCPRIM_400000_NS6detail17trampoline_kernelINS0_14default_configENS1_25partition_config_selectorILNS1_17partition_subalgoE8EtNS0_10empty_typeEbEEZZNS1_14partition_implILS5_8ELb0ES3_jPKtPS6_PKS6_NS0_5tupleIJPtS6_EEENSE_IJSB_SB_EEENS0_18inequality_wrapperIN6hipcub16HIPCUB_304000_NS8EqualityEEEPlJS6_EEE10hipError_tPvRmT3_T4_T5_T6_T7_T9_mT8_P12ihipStream_tbDpT10_ENKUlT_T0_E_clISt17integral_constantIbLb0EES16_IbLb1EEEEDaS12_S13_EUlS12_E_NS1_11comp_targetILNS1_3genE0ELNS1_11target_archE4294967295ELNS1_3gpuE0ELNS1_3repE0EEENS1_30default_config_static_selectorELNS0_4arch9wavefront6targetE0EEEvT1_,comdat
.Lfunc_end779:
	.size	_ZN7rocprim17ROCPRIM_400000_NS6detail17trampoline_kernelINS0_14default_configENS1_25partition_config_selectorILNS1_17partition_subalgoE8EtNS0_10empty_typeEbEEZZNS1_14partition_implILS5_8ELb0ES3_jPKtPS6_PKS6_NS0_5tupleIJPtS6_EEENSE_IJSB_SB_EEENS0_18inequality_wrapperIN6hipcub16HIPCUB_304000_NS8EqualityEEEPlJS6_EEE10hipError_tPvRmT3_T4_T5_T6_T7_T9_mT8_P12ihipStream_tbDpT10_ENKUlT_T0_E_clISt17integral_constantIbLb0EES16_IbLb1EEEEDaS12_S13_EUlS12_E_NS1_11comp_targetILNS1_3genE0ELNS1_11target_archE4294967295ELNS1_3gpuE0ELNS1_3repE0EEENS1_30default_config_static_selectorELNS0_4arch9wavefront6targetE0EEEvT1_, .Lfunc_end779-_ZN7rocprim17ROCPRIM_400000_NS6detail17trampoline_kernelINS0_14default_configENS1_25partition_config_selectorILNS1_17partition_subalgoE8EtNS0_10empty_typeEbEEZZNS1_14partition_implILS5_8ELb0ES3_jPKtPS6_PKS6_NS0_5tupleIJPtS6_EEENSE_IJSB_SB_EEENS0_18inequality_wrapperIN6hipcub16HIPCUB_304000_NS8EqualityEEEPlJS6_EEE10hipError_tPvRmT3_T4_T5_T6_T7_T9_mT8_P12ihipStream_tbDpT10_ENKUlT_T0_E_clISt17integral_constantIbLb0EES16_IbLb1EEEEDaS12_S13_EUlS12_E_NS1_11comp_targetILNS1_3genE0ELNS1_11target_archE4294967295ELNS1_3gpuE0ELNS1_3repE0EEENS1_30default_config_static_selectorELNS0_4arch9wavefront6targetE0EEEvT1_
                                        ; -- End function
	.set _ZN7rocprim17ROCPRIM_400000_NS6detail17trampoline_kernelINS0_14default_configENS1_25partition_config_selectorILNS1_17partition_subalgoE8EtNS0_10empty_typeEbEEZZNS1_14partition_implILS5_8ELb0ES3_jPKtPS6_PKS6_NS0_5tupleIJPtS6_EEENSE_IJSB_SB_EEENS0_18inequality_wrapperIN6hipcub16HIPCUB_304000_NS8EqualityEEEPlJS6_EEE10hipError_tPvRmT3_T4_T5_T6_T7_T9_mT8_P12ihipStream_tbDpT10_ENKUlT_T0_E_clISt17integral_constantIbLb0EES16_IbLb1EEEEDaS12_S13_EUlS12_E_NS1_11comp_targetILNS1_3genE0ELNS1_11target_archE4294967295ELNS1_3gpuE0ELNS1_3repE0EEENS1_30default_config_static_selectorELNS0_4arch9wavefront6targetE0EEEvT1_.num_vgpr, 116
	.set _ZN7rocprim17ROCPRIM_400000_NS6detail17trampoline_kernelINS0_14default_configENS1_25partition_config_selectorILNS1_17partition_subalgoE8EtNS0_10empty_typeEbEEZZNS1_14partition_implILS5_8ELb0ES3_jPKtPS6_PKS6_NS0_5tupleIJPtS6_EEENSE_IJSB_SB_EEENS0_18inequality_wrapperIN6hipcub16HIPCUB_304000_NS8EqualityEEEPlJS6_EEE10hipError_tPvRmT3_T4_T5_T6_T7_T9_mT8_P12ihipStream_tbDpT10_ENKUlT_T0_E_clISt17integral_constantIbLb0EES16_IbLb1EEEEDaS12_S13_EUlS12_E_NS1_11comp_targetILNS1_3genE0ELNS1_11target_archE4294967295ELNS1_3gpuE0ELNS1_3repE0EEENS1_30default_config_static_selectorELNS0_4arch9wavefront6targetE0EEEvT1_.num_agpr, 0
	.set _ZN7rocprim17ROCPRIM_400000_NS6detail17trampoline_kernelINS0_14default_configENS1_25partition_config_selectorILNS1_17partition_subalgoE8EtNS0_10empty_typeEbEEZZNS1_14partition_implILS5_8ELb0ES3_jPKtPS6_PKS6_NS0_5tupleIJPtS6_EEENSE_IJSB_SB_EEENS0_18inequality_wrapperIN6hipcub16HIPCUB_304000_NS8EqualityEEEPlJS6_EEE10hipError_tPvRmT3_T4_T5_T6_T7_T9_mT8_P12ihipStream_tbDpT10_ENKUlT_T0_E_clISt17integral_constantIbLb0EES16_IbLb1EEEEDaS12_S13_EUlS12_E_NS1_11comp_targetILNS1_3genE0ELNS1_11target_archE4294967295ELNS1_3gpuE0ELNS1_3repE0EEENS1_30default_config_static_selectorELNS0_4arch9wavefront6targetE0EEEvT1_.numbered_sgpr, 51
	.set _ZN7rocprim17ROCPRIM_400000_NS6detail17trampoline_kernelINS0_14default_configENS1_25partition_config_selectorILNS1_17partition_subalgoE8EtNS0_10empty_typeEbEEZZNS1_14partition_implILS5_8ELb0ES3_jPKtPS6_PKS6_NS0_5tupleIJPtS6_EEENSE_IJSB_SB_EEENS0_18inequality_wrapperIN6hipcub16HIPCUB_304000_NS8EqualityEEEPlJS6_EEE10hipError_tPvRmT3_T4_T5_T6_T7_T9_mT8_P12ihipStream_tbDpT10_ENKUlT_T0_E_clISt17integral_constantIbLb0EES16_IbLb1EEEEDaS12_S13_EUlS12_E_NS1_11comp_targetILNS1_3genE0ELNS1_11target_archE4294967295ELNS1_3gpuE0ELNS1_3repE0EEENS1_30default_config_static_selectorELNS0_4arch9wavefront6targetE0EEEvT1_.num_named_barrier, 0
	.set _ZN7rocprim17ROCPRIM_400000_NS6detail17trampoline_kernelINS0_14default_configENS1_25partition_config_selectorILNS1_17partition_subalgoE8EtNS0_10empty_typeEbEEZZNS1_14partition_implILS5_8ELb0ES3_jPKtPS6_PKS6_NS0_5tupleIJPtS6_EEENSE_IJSB_SB_EEENS0_18inequality_wrapperIN6hipcub16HIPCUB_304000_NS8EqualityEEEPlJS6_EEE10hipError_tPvRmT3_T4_T5_T6_T7_T9_mT8_P12ihipStream_tbDpT10_ENKUlT_T0_E_clISt17integral_constantIbLb0EES16_IbLb1EEEEDaS12_S13_EUlS12_E_NS1_11comp_targetILNS1_3genE0ELNS1_11target_archE4294967295ELNS1_3gpuE0ELNS1_3repE0EEENS1_30default_config_static_selectorELNS0_4arch9wavefront6targetE0EEEvT1_.private_seg_size, 0
	.set _ZN7rocprim17ROCPRIM_400000_NS6detail17trampoline_kernelINS0_14default_configENS1_25partition_config_selectorILNS1_17partition_subalgoE8EtNS0_10empty_typeEbEEZZNS1_14partition_implILS5_8ELb0ES3_jPKtPS6_PKS6_NS0_5tupleIJPtS6_EEENSE_IJSB_SB_EEENS0_18inequality_wrapperIN6hipcub16HIPCUB_304000_NS8EqualityEEEPlJS6_EEE10hipError_tPvRmT3_T4_T5_T6_T7_T9_mT8_P12ihipStream_tbDpT10_ENKUlT_T0_E_clISt17integral_constantIbLb0EES16_IbLb1EEEEDaS12_S13_EUlS12_E_NS1_11comp_targetILNS1_3genE0ELNS1_11target_archE4294967295ELNS1_3gpuE0ELNS1_3repE0EEENS1_30default_config_static_selectorELNS0_4arch9wavefront6targetE0EEEvT1_.uses_vcc, 1
	.set _ZN7rocprim17ROCPRIM_400000_NS6detail17trampoline_kernelINS0_14default_configENS1_25partition_config_selectorILNS1_17partition_subalgoE8EtNS0_10empty_typeEbEEZZNS1_14partition_implILS5_8ELb0ES3_jPKtPS6_PKS6_NS0_5tupleIJPtS6_EEENSE_IJSB_SB_EEENS0_18inequality_wrapperIN6hipcub16HIPCUB_304000_NS8EqualityEEEPlJS6_EEE10hipError_tPvRmT3_T4_T5_T6_T7_T9_mT8_P12ihipStream_tbDpT10_ENKUlT_T0_E_clISt17integral_constantIbLb0EES16_IbLb1EEEEDaS12_S13_EUlS12_E_NS1_11comp_targetILNS1_3genE0ELNS1_11target_archE4294967295ELNS1_3gpuE0ELNS1_3repE0EEENS1_30default_config_static_selectorELNS0_4arch9wavefront6targetE0EEEvT1_.uses_flat_scratch, 0
	.set _ZN7rocprim17ROCPRIM_400000_NS6detail17trampoline_kernelINS0_14default_configENS1_25partition_config_selectorILNS1_17partition_subalgoE8EtNS0_10empty_typeEbEEZZNS1_14partition_implILS5_8ELb0ES3_jPKtPS6_PKS6_NS0_5tupleIJPtS6_EEENSE_IJSB_SB_EEENS0_18inequality_wrapperIN6hipcub16HIPCUB_304000_NS8EqualityEEEPlJS6_EEE10hipError_tPvRmT3_T4_T5_T6_T7_T9_mT8_P12ihipStream_tbDpT10_ENKUlT_T0_E_clISt17integral_constantIbLb0EES16_IbLb1EEEEDaS12_S13_EUlS12_E_NS1_11comp_targetILNS1_3genE0ELNS1_11target_archE4294967295ELNS1_3gpuE0ELNS1_3repE0EEENS1_30default_config_static_selectorELNS0_4arch9wavefront6targetE0EEEvT1_.has_dyn_sized_stack, 0
	.set _ZN7rocprim17ROCPRIM_400000_NS6detail17trampoline_kernelINS0_14default_configENS1_25partition_config_selectorILNS1_17partition_subalgoE8EtNS0_10empty_typeEbEEZZNS1_14partition_implILS5_8ELb0ES3_jPKtPS6_PKS6_NS0_5tupleIJPtS6_EEENSE_IJSB_SB_EEENS0_18inequality_wrapperIN6hipcub16HIPCUB_304000_NS8EqualityEEEPlJS6_EEE10hipError_tPvRmT3_T4_T5_T6_T7_T9_mT8_P12ihipStream_tbDpT10_ENKUlT_T0_E_clISt17integral_constantIbLb0EES16_IbLb1EEEEDaS12_S13_EUlS12_E_NS1_11comp_targetILNS1_3genE0ELNS1_11target_archE4294967295ELNS1_3gpuE0ELNS1_3repE0EEENS1_30default_config_static_selectorELNS0_4arch9wavefront6targetE0EEEvT1_.has_recursion, 0
	.set _ZN7rocprim17ROCPRIM_400000_NS6detail17trampoline_kernelINS0_14default_configENS1_25partition_config_selectorILNS1_17partition_subalgoE8EtNS0_10empty_typeEbEEZZNS1_14partition_implILS5_8ELb0ES3_jPKtPS6_PKS6_NS0_5tupleIJPtS6_EEENSE_IJSB_SB_EEENS0_18inequality_wrapperIN6hipcub16HIPCUB_304000_NS8EqualityEEEPlJS6_EEE10hipError_tPvRmT3_T4_T5_T6_T7_T9_mT8_P12ihipStream_tbDpT10_ENKUlT_T0_E_clISt17integral_constantIbLb0EES16_IbLb1EEEEDaS12_S13_EUlS12_E_NS1_11comp_targetILNS1_3genE0ELNS1_11target_archE4294967295ELNS1_3gpuE0ELNS1_3repE0EEENS1_30default_config_static_selectorELNS0_4arch9wavefront6targetE0EEEvT1_.has_indirect_call, 0
	.section	.AMDGPU.csdata,"",@progbits
; Kernel info:
; codeLenInByte = 14516
; TotalNumSgprs: 53
; NumVgprs: 116
; ScratchSize: 0
; MemoryBound: 0
; FloatMode: 240
; IeeeMode: 1
; LDSByteSize: 15368 bytes/workgroup (compile time only)
; SGPRBlocks: 0
; VGPRBlocks: 7
; NumSGPRsForWavesPerEU: 53
; NumVGPRsForWavesPerEU: 116
; NamedBarCnt: 0
; Occupancy: 8
; WaveLimiterHint : 1
; COMPUTE_PGM_RSRC2:SCRATCH_EN: 0
; COMPUTE_PGM_RSRC2:USER_SGPR: 2
; COMPUTE_PGM_RSRC2:TRAP_HANDLER: 0
; COMPUTE_PGM_RSRC2:TGID_X_EN: 1
; COMPUTE_PGM_RSRC2:TGID_Y_EN: 0
; COMPUTE_PGM_RSRC2:TGID_Z_EN: 0
; COMPUTE_PGM_RSRC2:TIDIG_COMP_CNT: 0
	.section	.text._ZN7rocprim17ROCPRIM_400000_NS6detail17trampoline_kernelINS0_14default_configENS1_25partition_config_selectorILNS1_17partition_subalgoE8EtNS0_10empty_typeEbEEZZNS1_14partition_implILS5_8ELb0ES3_jPKtPS6_PKS6_NS0_5tupleIJPtS6_EEENSE_IJSB_SB_EEENS0_18inequality_wrapperIN6hipcub16HIPCUB_304000_NS8EqualityEEEPlJS6_EEE10hipError_tPvRmT3_T4_T5_T6_T7_T9_mT8_P12ihipStream_tbDpT10_ENKUlT_T0_E_clISt17integral_constantIbLb0EES16_IbLb1EEEEDaS12_S13_EUlS12_E_NS1_11comp_targetILNS1_3genE5ELNS1_11target_archE942ELNS1_3gpuE9ELNS1_3repE0EEENS1_30default_config_static_selectorELNS0_4arch9wavefront6targetE0EEEvT1_,"axG",@progbits,_ZN7rocprim17ROCPRIM_400000_NS6detail17trampoline_kernelINS0_14default_configENS1_25partition_config_selectorILNS1_17partition_subalgoE8EtNS0_10empty_typeEbEEZZNS1_14partition_implILS5_8ELb0ES3_jPKtPS6_PKS6_NS0_5tupleIJPtS6_EEENSE_IJSB_SB_EEENS0_18inequality_wrapperIN6hipcub16HIPCUB_304000_NS8EqualityEEEPlJS6_EEE10hipError_tPvRmT3_T4_T5_T6_T7_T9_mT8_P12ihipStream_tbDpT10_ENKUlT_T0_E_clISt17integral_constantIbLb0EES16_IbLb1EEEEDaS12_S13_EUlS12_E_NS1_11comp_targetILNS1_3genE5ELNS1_11target_archE942ELNS1_3gpuE9ELNS1_3repE0EEENS1_30default_config_static_selectorELNS0_4arch9wavefront6targetE0EEEvT1_,comdat
	.protected	_ZN7rocprim17ROCPRIM_400000_NS6detail17trampoline_kernelINS0_14default_configENS1_25partition_config_selectorILNS1_17partition_subalgoE8EtNS0_10empty_typeEbEEZZNS1_14partition_implILS5_8ELb0ES3_jPKtPS6_PKS6_NS0_5tupleIJPtS6_EEENSE_IJSB_SB_EEENS0_18inequality_wrapperIN6hipcub16HIPCUB_304000_NS8EqualityEEEPlJS6_EEE10hipError_tPvRmT3_T4_T5_T6_T7_T9_mT8_P12ihipStream_tbDpT10_ENKUlT_T0_E_clISt17integral_constantIbLb0EES16_IbLb1EEEEDaS12_S13_EUlS12_E_NS1_11comp_targetILNS1_3genE5ELNS1_11target_archE942ELNS1_3gpuE9ELNS1_3repE0EEENS1_30default_config_static_selectorELNS0_4arch9wavefront6targetE0EEEvT1_ ; -- Begin function _ZN7rocprim17ROCPRIM_400000_NS6detail17trampoline_kernelINS0_14default_configENS1_25partition_config_selectorILNS1_17partition_subalgoE8EtNS0_10empty_typeEbEEZZNS1_14partition_implILS5_8ELb0ES3_jPKtPS6_PKS6_NS0_5tupleIJPtS6_EEENSE_IJSB_SB_EEENS0_18inequality_wrapperIN6hipcub16HIPCUB_304000_NS8EqualityEEEPlJS6_EEE10hipError_tPvRmT3_T4_T5_T6_T7_T9_mT8_P12ihipStream_tbDpT10_ENKUlT_T0_E_clISt17integral_constantIbLb0EES16_IbLb1EEEEDaS12_S13_EUlS12_E_NS1_11comp_targetILNS1_3genE5ELNS1_11target_archE942ELNS1_3gpuE9ELNS1_3repE0EEENS1_30default_config_static_selectorELNS0_4arch9wavefront6targetE0EEEvT1_
	.globl	_ZN7rocprim17ROCPRIM_400000_NS6detail17trampoline_kernelINS0_14default_configENS1_25partition_config_selectorILNS1_17partition_subalgoE8EtNS0_10empty_typeEbEEZZNS1_14partition_implILS5_8ELb0ES3_jPKtPS6_PKS6_NS0_5tupleIJPtS6_EEENSE_IJSB_SB_EEENS0_18inequality_wrapperIN6hipcub16HIPCUB_304000_NS8EqualityEEEPlJS6_EEE10hipError_tPvRmT3_T4_T5_T6_T7_T9_mT8_P12ihipStream_tbDpT10_ENKUlT_T0_E_clISt17integral_constantIbLb0EES16_IbLb1EEEEDaS12_S13_EUlS12_E_NS1_11comp_targetILNS1_3genE5ELNS1_11target_archE942ELNS1_3gpuE9ELNS1_3repE0EEENS1_30default_config_static_selectorELNS0_4arch9wavefront6targetE0EEEvT1_
	.p2align	8
	.type	_ZN7rocprim17ROCPRIM_400000_NS6detail17trampoline_kernelINS0_14default_configENS1_25partition_config_selectorILNS1_17partition_subalgoE8EtNS0_10empty_typeEbEEZZNS1_14partition_implILS5_8ELb0ES3_jPKtPS6_PKS6_NS0_5tupleIJPtS6_EEENSE_IJSB_SB_EEENS0_18inequality_wrapperIN6hipcub16HIPCUB_304000_NS8EqualityEEEPlJS6_EEE10hipError_tPvRmT3_T4_T5_T6_T7_T9_mT8_P12ihipStream_tbDpT10_ENKUlT_T0_E_clISt17integral_constantIbLb0EES16_IbLb1EEEEDaS12_S13_EUlS12_E_NS1_11comp_targetILNS1_3genE5ELNS1_11target_archE942ELNS1_3gpuE9ELNS1_3repE0EEENS1_30default_config_static_selectorELNS0_4arch9wavefront6targetE0EEEvT1_,@function
_ZN7rocprim17ROCPRIM_400000_NS6detail17trampoline_kernelINS0_14default_configENS1_25partition_config_selectorILNS1_17partition_subalgoE8EtNS0_10empty_typeEbEEZZNS1_14partition_implILS5_8ELb0ES3_jPKtPS6_PKS6_NS0_5tupleIJPtS6_EEENSE_IJSB_SB_EEENS0_18inequality_wrapperIN6hipcub16HIPCUB_304000_NS8EqualityEEEPlJS6_EEE10hipError_tPvRmT3_T4_T5_T6_T7_T9_mT8_P12ihipStream_tbDpT10_ENKUlT_T0_E_clISt17integral_constantIbLb0EES16_IbLb1EEEEDaS12_S13_EUlS12_E_NS1_11comp_targetILNS1_3genE5ELNS1_11target_archE942ELNS1_3gpuE9ELNS1_3repE0EEENS1_30default_config_static_selectorELNS0_4arch9wavefront6targetE0EEEvT1_: ; @_ZN7rocprim17ROCPRIM_400000_NS6detail17trampoline_kernelINS0_14default_configENS1_25partition_config_selectorILNS1_17partition_subalgoE8EtNS0_10empty_typeEbEEZZNS1_14partition_implILS5_8ELb0ES3_jPKtPS6_PKS6_NS0_5tupleIJPtS6_EEENSE_IJSB_SB_EEENS0_18inequality_wrapperIN6hipcub16HIPCUB_304000_NS8EqualityEEEPlJS6_EEE10hipError_tPvRmT3_T4_T5_T6_T7_T9_mT8_P12ihipStream_tbDpT10_ENKUlT_T0_E_clISt17integral_constantIbLb0EES16_IbLb1EEEEDaS12_S13_EUlS12_E_NS1_11comp_targetILNS1_3genE5ELNS1_11target_archE942ELNS1_3gpuE9ELNS1_3repE0EEENS1_30default_config_static_selectorELNS0_4arch9wavefront6targetE0EEEvT1_
; %bb.0:
	.section	.rodata,"a",@progbits
	.p2align	6, 0x0
	.amdhsa_kernel _ZN7rocprim17ROCPRIM_400000_NS6detail17trampoline_kernelINS0_14default_configENS1_25partition_config_selectorILNS1_17partition_subalgoE8EtNS0_10empty_typeEbEEZZNS1_14partition_implILS5_8ELb0ES3_jPKtPS6_PKS6_NS0_5tupleIJPtS6_EEENSE_IJSB_SB_EEENS0_18inequality_wrapperIN6hipcub16HIPCUB_304000_NS8EqualityEEEPlJS6_EEE10hipError_tPvRmT3_T4_T5_T6_T7_T9_mT8_P12ihipStream_tbDpT10_ENKUlT_T0_E_clISt17integral_constantIbLb0EES16_IbLb1EEEEDaS12_S13_EUlS12_E_NS1_11comp_targetILNS1_3genE5ELNS1_11target_archE942ELNS1_3gpuE9ELNS1_3repE0EEENS1_30default_config_static_selectorELNS0_4arch9wavefront6targetE0EEEvT1_
		.amdhsa_group_segment_fixed_size 0
		.amdhsa_private_segment_fixed_size 0
		.amdhsa_kernarg_size 128
		.amdhsa_user_sgpr_count 2
		.amdhsa_user_sgpr_dispatch_ptr 0
		.amdhsa_user_sgpr_queue_ptr 0
		.amdhsa_user_sgpr_kernarg_segment_ptr 1
		.amdhsa_user_sgpr_dispatch_id 0
		.amdhsa_user_sgpr_kernarg_preload_length 0
		.amdhsa_user_sgpr_kernarg_preload_offset 0
		.amdhsa_user_sgpr_private_segment_size 0
		.amdhsa_wavefront_size32 1
		.amdhsa_uses_dynamic_stack 0
		.amdhsa_enable_private_segment 0
		.amdhsa_system_sgpr_workgroup_id_x 1
		.amdhsa_system_sgpr_workgroup_id_y 0
		.amdhsa_system_sgpr_workgroup_id_z 0
		.amdhsa_system_sgpr_workgroup_info 0
		.amdhsa_system_vgpr_workitem_id 0
		.amdhsa_next_free_vgpr 1
		.amdhsa_next_free_sgpr 1
		.amdhsa_named_barrier_count 0
		.amdhsa_reserve_vcc 0
		.amdhsa_float_round_mode_32 0
		.amdhsa_float_round_mode_16_64 0
		.amdhsa_float_denorm_mode_32 3
		.amdhsa_float_denorm_mode_16_64 3
		.amdhsa_fp16_overflow 0
		.amdhsa_memory_ordered 1
		.amdhsa_forward_progress 1
		.amdhsa_inst_pref_size 0
		.amdhsa_round_robin_scheduling 0
		.amdhsa_exception_fp_ieee_invalid_op 0
		.amdhsa_exception_fp_denorm_src 0
		.amdhsa_exception_fp_ieee_div_zero 0
		.amdhsa_exception_fp_ieee_overflow 0
		.amdhsa_exception_fp_ieee_underflow 0
		.amdhsa_exception_fp_ieee_inexact 0
		.amdhsa_exception_int_div_zero 0
	.end_amdhsa_kernel
	.section	.text._ZN7rocprim17ROCPRIM_400000_NS6detail17trampoline_kernelINS0_14default_configENS1_25partition_config_selectorILNS1_17partition_subalgoE8EtNS0_10empty_typeEbEEZZNS1_14partition_implILS5_8ELb0ES3_jPKtPS6_PKS6_NS0_5tupleIJPtS6_EEENSE_IJSB_SB_EEENS0_18inequality_wrapperIN6hipcub16HIPCUB_304000_NS8EqualityEEEPlJS6_EEE10hipError_tPvRmT3_T4_T5_T6_T7_T9_mT8_P12ihipStream_tbDpT10_ENKUlT_T0_E_clISt17integral_constantIbLb0EES16_IbLb1EEEEDaS12_S13_EUlS12_E_NS1_11comp_targetILNS1_3genE5ELNS1_11target_archE942ELNS1_3gpuE9ELNS1_3repE0EEENS1_30default_config_static_selectorELNS0_4arch9wavefront6targetE0EEEvT1_,"axG",@progbits,_ZN7rocprim17ROCPRIM_400000_NS6detail17trampoline_kernelINS0_14default_configENS1_25partition_config_selectorILNS1_17partition_subalgoE8EtNS0_10empty_typeEbEEZZNS1_14partition_implILS5_8ELb0ES3_jPKtPS6_PKS6_NS0_5tupleIJPtS6_EEENSE_IJSB_SB_EEENS0_18inequality_wrapperIN6hipcub16HIPCUB_304000_NS8EqualityEEEPlJS6_EEE10hipError_tPvRmT3_T4_T5_T6_T7_T9_mT8_P12ihipStream_tbDpT10_ENKUlT_T0_E_clISt17integral_constantIbLb0EES16_IbLb1EEEEDaS12_S13_EUlS12_E_NS1_11comp_targetILNS1_3genE5ELNS1_11target_archE942ELNS1_3gpuE9ELNS1_3repE0EEENS1_30default_config_static_selectorELNS0_4arch9wavefront6targetE0EEEvT1_,comdat
.Lfunc_end780:
	.size	_ZN7rocprim17ROCPRIM_400000_NS6detail17trampoline_kernelINS0_14default_configENS1_25partition_config_selectorILNS1_17partition_subalgoE8EtNS0_10empty_typeEbEEZZNS1_14partition_implILS5_8ELb0ES3_jPKtPS6_PKS6_NS0_5tupleIJPtS6_EEENSE_IJSB_SB_EEENS0_18inequality_wrapperIN6hipcub16HIPCUB_304000_NS8EqualityEEEPlJS6_EEE10hipError_tPvRmT3_T4_T5_T6_T7_T9_mT8_P12ihipStream_tbDpT10_ENKUlT_T0_E_clISt17integral_constantIbLb0EES16_IbLb1EEEEDaS12_S13_EUlS12_E_NS1_11comp_targetILNS1_3genE5ELNS1_11target_archE942ELNS1_3gpuE9ELNS1_3repE0EEENS1_30default_config_static_selectorELNS0_4arch9wavefront6targetE0EEEvT1_, .Lfunc_end780-_ZN7rocprim17ROCPRIM_400000_NS6detail17trampoline_kernelINS0_14default_configENS1_25partition_config_selectorILNS1_17partition_subalgoE8EtNS0_10empty_typeEbEEZZNS1_14partition_implILS5_8ELb0ES3_jPKtPS6_PKS6_NS0_5tupleIJPtS6_EEENSE_IJSB_SB_EEENS0_18inequality_wrapperIN6hipcub16HIPCUB_304000_NS8EqualityEEEPlJS6_EEE10hipError_tPvRmT3_T4_T5_T6_T7_T9_mT8_P12ihipStream_tbDpT10_ENKUlT_T0_E_clISt17integral_constantIbLb0EES16_IbLb1EEEEDaS12_S13_EUlS12_E_NS1_11comp_targetILNS1_3genE5ELNS1_11target_archE942ELNS1_3gpuE9ELNS1_3repE0EEENS1_30default_config_static_selectorELNS0_4arch9wavefront6targetE0EEEvT1_
                                        ; -- End function
	.set _ZN7rocprim17ROCPRIM_400000_NS6detail17trampoline_kernelINS0_14default_configENS1_25partition_config_selectorILNS1_17partition_subalgoE8EtNS0_10empty_typeEbEEZZNS1_14partition_implILS5_8ELb0ES3_jPKtPS6_PKS6_NS0_5tupleIJPtS6_EEENSE_IJSB_SB_EEENS0_18inequality_wrapperIN6hipcub16HIPCUB_304000_NS8EqualityEEEPlJS6_EEE10hipError_tPvRmT3_T4_T5_T6_T7_T9_mT8_P12ihipStream_tbDpT10_ENKUlT_T0_E_clISt17integral_constantIbLb0EES16_IbLb1EEEEDaS12_S13_EUlS12_E_NS1_11comp_targetILNS1_3genE5ELNS1_11target_archE942ELNS1_3gpuE9ELNS1_3repE0EEENS1_30default_config_static_selectorELNS0_4arch9wavefront6targetE0EEEvT1_.num_vgpr, 0
	.set _ZN7rocprim17ROCPRIM_400000_NS6detail17trampoline_kernelINS0_14default_configENS1_25partition_config_selectorILNS1_17partition_subalgoE8EtNS0_10empty_typeEbEEZZNS1_14partition_implILS5_8ELb0ES3_jPKtPS6_PKS6_NS0_5tupleIJPtS6_EEENSE_IJSB_SB_EEENS0_18inequality_wrapperIN6hipcub16HIPCUB_304000_NS8EqualityEEEPlJS6_EEE10hipError_tPvRmT3_T4_T5_T6_T7_T9_mT8_P12ihipStream_tbDpT10_ENKUlT_T0_E_clISt17integral_constantIbLb0EES16_IbLb1EEEEDaS12_S13_EUlS12_E_NS1_11comp_targetILNS1_3genE5ELNS1_11target_archE942ELNS1_3gpuE9ELNS1_3repE0EEENS1_30default_config_static_selectorELNS0_4arch9wavefront6targetE0EEEvT1_.num_agpr, 0
	.set _ZN7rocprim17ROCPRIM_400000_NS6detail17trampoline_kernelINS0_14default_configENS1_25partition_config_selectorILNS1_17partition_subalgoE8EtNS0_10empty_typeEbEEZZNS1_14partition_implILS5_8ELb0ES3_jPKtPS6_PKS6_NS0_5tupleIJPtS6_EEENSE_IJSB_SB_EEENS0_18inequality_wrapperIN6hipcub16HIPCUB_304000_NS8EqualityEEEPlJS6_EEE10hipError_tPvRmT3_T4_T5_T6_T7_T9_mT8_P12ihipStream_tbDpT10_ENKUlT_T0_E_clISt17integral_constantIbLb0EES16_IbLb1EEEEDaS12_S13_EUlS12_E_NS1_11comp_targetILNS1_3genE5ELNS1_11target_archE942ELNS1_3gpuE9ELNS1_3repE0EEENS1_30default_config_static_selectorELNS0_4arch9wavefront6targetE0EEEvT1_.numbered_sgpr, 0
	.set _ZN7rocprim17ROCPRIM_400000_NS6detail17trampoline_kernelINS0_14default_configENS1_25partition_config_selectorILNS1_17partition_subalgoE8EtNS0_10empty_typeEbEEZZNS1_14partition_implILS5_8ELb0ES3_jPKtPS6_PKS6_NS0_5tupleIJPtS6_EEENSE_IJSB_SB_EEENS0_18inequality_wrapperIN6hipcub16HIPCUB_304000_NS8EqualityEEEPlJS6_EEE10hipError_tPvRmT3_T4_T5_T6_T7_T9_mT8_P12ihipStream_tbDpT10_ENKUlT_T0_E_clISt17integral_constantIbLb0EES16_IbLb1EEEEDaS12_S13_EUlS12_E_NS1_11comp_targetILNS1_3genE5ELNS1_11target_archE942ELNS1_3gpuE9ELNS1_3repE0EEENS1_30default_config_static_selectorELNS0_4arch9wavefront6targetE0EEEvT1_.num_named_barrier, 0
	.set _ZN7rocprim17ROCPRIM_400000_NS6detail17trampoline_kernelINS0_14default_configENS1_25partition_config_selectorILNS1_17partition_subalgoE8EtNS0_10empty_typeEbEEZZNS1_14partition_implILS5_8ELb0ES3_jPKtPS6_PKS6_NS0_5tupleIJPtS6_EEENSE_IJSB_SB_EEENS0_18inequality_wrapperIN6hipcub16HIPCUB_304000_NS8EqualityEEEPlJS6_EEE10hipError_tPvRmT3_T4_T5_T6_T7_T9_mT8_P12ihipStream_tbDpT10_ENKUlT_T0_E_clISt17integral_constantIbLb0EES16_IbLb1EEEEDaS12_S13_EUlS12_E_NS1_11comp_targetILNS1_3genE5ELNS1_11target_archE942ELNS1_3gpuE9ELNS1_3repE0EEENS1_30default_config_static_selectorELNS0_4arch9wavefront6targetE0EEEvT1_.private_seg_size, 0
	.set _ZN7rocprim17ROCPRIM_400000_NS6detail17trampoline_kernelINS0_14default_configENS1_25partition_config_selectorILNS1_17partition_subalgoE8EtNS0_10empty_typeEbEEZZNS1_14partition_implILS5_8ELb0ES3_jPKtPS6_PKS6_NS0_5tupleIJPtS6_EEENSE_IJSB_SB_EEENS0_18inequality_wrapperIN6hipcub16HIPCUB_304000_NS8EqualityEEEPlJS6_EEE10hipError_tPvRmT3_T4_T5_T6_T7_T9_mT8_P12ihipStream_tbDpT10_ENKUlT_T0_E_clISt17integral_constantIbLb0EES16_IbLb1EEEEDaS12_S13_EUlS12_E_NS1_11comp_targetILNS1_3genE5ELNS1_11target_archE942ELNS1_3gpuE9ELNS1_3repE0EEENS1_30default_config_static_selectorELNS0_4arch9wavefront6targetE0EEEvT1_.uses_vcc, 0
	.set _ZN7rocprim17ROCPRIM_400000_NS6detail17trampoline_kernelINS0_14default_configENS1_25partition_config_selectorILNS1_17partition_subalgoE8EtNS0_10empty_typeEbEEZZNS1_14partition_implILS5_8ELb0ES3_jPKtPS6_PKS6_NS0_5tupleIJPtS6_EEENSE_IJSB_SB_EEENS0_18inequality_wrapperIN6hipcub16HIPCUB_304000_NS8EqualityEEEPlJS6_EEE10hipError_tPvRmT3_T4_T5_T6_T7_T9_mT8_P12ihipStream_tbDpT10_ENKUlT_T0_E_clISt17integral_constantIbLb0EES16_IbLb1EEEEDaS12_S13_EUlS12_E_NS1_11comp_targetILNS1_3genE5ELNS1_11target_archE942ELNS1_3gpuE9ELNS1_3repE0EEENS1_30default_config_static_selectorELNS0_4arch9wavefront6targetE0EEEvT1_.uses_flat_scratch, 0
	.set _ZN7rocprim17ROCPRIM_400000_NS6detail17trampoline_kernelINS0_14default_configENS1_25partition_config_selectorILNS1_17partition_subalgoE8EtNS0_10empty_typeEbEEZZNS1_14partition_implILS5_8ELb0ES3_jPKtPS6_PKS6_NS0_5tupleIJPtS6_EEENSE_IJSB_SB_EEENS0_18inequality_wrapperIN6hipcub16HIPCUB_304000_NS8EqualityEEEPlJS6_EEE10hipError_tPvRmT3_T4_T5_T6_T7_T9_mT8_P12ihipStream_tbDpT10_ENKUlT_T0_E_clISt17integral_constantIbLb0EES16_IbLb1EEEEDaS12_S13_EUlS12_E_NS1_11comp_targetILNS1_3genE5ELNS1_11target_archE942ELNS1_3gpuE9ELNS1_3repE0EEENS1_30default_config_static_selectorELNS0_4arch9wavefront6targetE0EEEvT1_.has_dyn_sized_stack, 0
	.set _ZN7rocprim17ROCPRIM_400000_NS6detail17trampoline_kernelINS0_14default_configENS1_25partition_config_selectorILNS1_17partition_subalgoE8EtNS0_10empty_typeEbEEZZNS1_14partition_implILS5_8ELb0ES3_jPKtPS6_PKS6_NS0_5tupleIJPtS6_EEENSE_IJSB_SB_EEENS0_18inequality_wrapperIN6hipcub16HIPCUB_304000_NS8EqualityEEEPlJS6_EEE10hipError_tPvRmT3_T4_T5_T6_T7_T9_mT8_P12ihipStream_tbDpT10_ENKUlT_T0_E_clISt17integral_constantIbLb0EES16_IbLb1EEEEDaS12_S13_EUlS12_E_NS1_11comp_targetILNS1_3genE5ELNS1_11target_archE942ELNS1_3gpuE9ELNS1_3repE0EEENS1_30default_config_static_selectorELNS0_4arch9wavefront6targetE0EEEvT1_.has_recursion, 0
	.set _ZN7rocprim17ROCPRIM_400000_NS6detail17trampoline_kernelINS0_14default_configENS1_25partition_config_selectorILNS1_17partition_subalgoE8EtNS0_10empty_typeEbEEZZNS1_14partition_implILS5_8ELb0ES3_jPKtPS6_PKS6_NS0_5tupleIJPtS6_EEENSE_IJSB_SB_EEENS0_18inequality_wrapperIN6hipcub16HIPCUB_304000_NS8EqualityEEEPlJS6_EEE10hipError_tPvRmT3_T4_T5_T6_T7_T9_mT8_P12ihipStream_tbDpT10_ENKUlT_T0_E_clISt17integral_constantIbLb0EES16_IbLb1EEEEDaS12_S13_EUlS12_E_NS1_11comp_targetILNS1_3genE5ELNS1_11target_archE942ELNS1_3gpuE9ELNS1_3repE0EEENS1_30default_config_static_selectorELNS0_4arch9wavefront6targetE0EEEvT1_.has_indirect_call, 0
	.section	.AMDGPU.csdata,"",@progbits
; Kernel info:
; codeLenInByte = 0
; TotalNumSgprs: 0
; NumVgprs: 0
; ScratchSize: 0
; MemoryBound: 0
; FloatMode: 240
; IeeeMode: 1
; LDSByteSize: 0 bytes/workgroup (compile time only)
; SGPRBlocks: 0
; VGPRBlocks: 0
; NumSGPRsForWavesPerEU: 1
; NumVGPRsForWavesPerEU: 1
; NamedBarCnt: 0
; Occupancy: 16
; WaveLimiterHint : 0
; COMPUTE_PGM_RSRC2:SCRATCH_EN: 0
; COMPUTE_PGM_RSRC2:USER_SGPR: 2
; COMPUTE_PGM_RSRC2:TRAP_HANDLER: 0
; COMPUTE_PGM_RSRC2:TGID_X_EN: 1
; COMPUTE_PGM_RSRC2:TGID_Y_EN: 0
; COMPUTE_PGM_RSRC2:TGID_Z_EN: 0
; COMPUTE_PGM_RSRC2:TIDIG_COMP_CNT: 0
	.section	.text._ZN7rocprim17ROCPRIM_400000_NS6detail17trampoline_kernelINS0_14default_configENS1_25partition_config_selectorILNS1_17partition_subalgoE8EtNS0_10empty_typeEbEEZZNS1_14partition_implILS5_8ELb0ES3_jPKtPS6_PKS6_NS0_5tupleIJPtS6_EEENSE_IJSB_SB_EEENS0_18inequality_wrapperIN6hipcub16HIPCUB_304000_NS8EqualityEEEPlJS6_EEE10hipError_tPvRmT3_T4_T5_T6_T7_T9_mT8_P12ihipStream_tbDpT10_ENKUlT_T0_E_clISt17integral_constantIbLb0EES16_IbLb1EEEEDaS12_S13_EUlS12_E_NS1_11comp_targetILNS1_3genE4ELNS1_11target_archE910ELNS1_3gpuE8ELNS1_3repE0EEENS1_30default_config_static_selectorELNS0_4arch9wavefront6targetE0EEEvT1_,"axG",@progbits,_ZN7rocprim17ROCPRIM_400000_NS6detail17trampoline_kernelINS0_14default_configENS1_25partition_config_selectorILNS1_17partition_subalgoE8EtNS0_10empty_typeEbEEZZNS1_14partition_implILS5_8ELb0ES3_jPKtPS6_PKS6_NS0_5tupleIJPtS6_EEENSE_IJSB_SB_EEENS0_18inequality_wrapperIN6hipcub16HIPCUB_304000_NS8EqualityEEEPlJS6_EEE10hipError_tPvRmT3_T4_T5_T6_T7_T9_mT8_P12ihipStream_tbDpT10_ENKUlT_T0_E_clISt17integral_constantIbLb0EES16_IbLb1EEEEDaS12_S13_EUlS12_E_NS1_11comp_targetILNS1_3genE4ELNS1_11target_archE910ELNS1_3gpuE8ELNS1_3repE0EEENS1_30default_config_static_selectorELNS0_4arch9wavefront6targetE0EEEvT1_,comdat
	.protected	_ZN7rocprim17ROCPRIM_400000_NS6detail17trampoline_kernelINS0_14default_configENS1_25partition_config_selectorILNS1_17partition_subalgoE8EtNS0_10empty_typeEbEEZZNS1_14partition_implILS5_8ELb0ES3_jPKtPS6_PKS6_NS0_5tupleIJPtS6_EEENSE_IJSB_SB_EEENS0_18inequality_wrapperIN6hipcub16HIPCUB_304000_NS8EqualityEEEPlJS6_EEE10hipError_tPvRmT3_T4_T5_T6_T7_T9_mT8_P12ihipStream_tbDpT10_ENKUlT_T0_E_clISt17integral_constantIbLb0EES16_IbLb1EEEEDaS12_S13_EUlS12_E_NS1_11comp_targetILNS1_3genE4ELNS1_11target_archE910ELNS1_3gpuE8ELNS1_3repE0EEENS1_30default_config_static_selectorELNS0_4arch9wavefront6targetE0EEEvT1_ ; -- Begin function _ZN7rocprim17ROCPRIM_400000_NS6detail17trampoline_kernelINS0_14default_configENS1_25partition_config_selectorILNS1_17partition_subalgoE8EtNS0_10empty_typeEbEEZZNS1_14partition_implILS5_8ELb0ES3_jPKtPS6_PKS6_NS0_5tupleIJPtS6_EEENSE_IJSB_SB_EEENS0_18inequality_wrapperIN6hipcub16HIPCUB_304000_NS8EqualityEEEPlJS6_EEE10hipError_tPvRmT3_T4_T5_T6_T7_T9_mT8_P12ihipStream_tbDpT10_ENKUlT_T0_E_clISt17integral_constantIbLb0EES16_IbLb1EEEEDaS12_S13_EUlS12_E_NS1_11comp_targetILNS1_3genE4ELNS1_11target_archE910ELNS1_3gpuE8ELNS1_3repE0EEENS1_30default_config_static_selectorELNS0_4arch9wavefront6targetE0EEEvT1_
	.globl	_ZN7rocprim17ROCPRIM_400000_NS6detail17trampoline_kernelINS0_14default_configENS1_25partition_config_selectorILNS1_17partition_subalgoE8EtNS0_10empty_typeEbEEZZNS1_14partition_implILS5_8ELb0ES3_jPKtPS6_PKS6_NS0_5tupleIJPtS6_EEENSE_IJSB_SB_EEENS0_18inequality_wrapperIN6hipcub16HIPCUB_304000_NS8EqualityEEEPlJS6_EEE10hipError_tPvRmT3_T4_T5_T6_T7_T9_mT8_P12ihipStream_tbDpT10_ENKUlT_T0_E_clISt17integral_constantIbLb0EES16_IbLb1EEEEDaS12_S13_EUlS12_E_NS1_11comp_targetILNS1_3genE4ELNS1_11target_archE910ELNS1_3gpuE8ELNS1_3repE0EEENS1_30default_config_static_selectorELNS0_4arch9wavefront6targetE0EEEvT1_
	.p2align	8
	.type	_ZN7rocprim17ROCPRIM_400000_NS6detail17trampoline_kernelINS0_14default_configENS1_25partition_config_selectorILNS1_17partition_subalgoE8EtNS0_10empty_typeEbEEZZNS1_14partition_implILS5_8ELb0ES3_jPKtPS6_PKS6_NS0_5tupleIJPtS6_EEENSE_IJSB_SB_EEENS0_18inequality_wrapperIN6hipcub16HIPCUB_304000_NS8EqualityEEEPlJS6_EEE10hipError_tPvRmT3_T4_T5_T6_T7_T9_mT8_P12ihipStream_tbDpT10_ENKUlT_T0_E_clISt17integral_constantIbLb0EES16_IbLb1EEEEDaS12_S13_EUlS12_E_NS1_11comp_targetILNS1_3genE4ELNS1_11target_archE910ELNS1_3gpuE8ELNS1_3repE0EEENS1_30default_config_static_selectorELNS0_4arch9wavefront6targetE0EEEvT1_,@function
_ZN7rocprim17ROCPRIM_400000_NS6detail17trampoline_kernelINS0_14default_configENS1_25partition_config_selectorILNS1_17partition_subalgoE8EtNS0_10empty_typeEbEEZZNS1_14partition_implILS5_8ELb0ES3_jPKtPS6_PKS6_NS0_5tupleIJPtS6_EEENSE_IJSB_SB_EEENS0_18inequality_wrapperIN6hipcub16HIPCUB_304000_NS8EqualityEEEPlJS6_EEE10hipError_tPvRmT3_T4_T5_T6_T7_T9_mT8_P12ihipStream_tbDpT10_ENKUlT_T0_E_clISt17integral_constantIbLb0EES16_IbLb1EEEEDaS12_S13_EUlS12_E_NS1_11comp_targetILNS1_3genE4ELNS1_11target_archE910ELNS1_3gpuE8ELNS1_3repE0EEENS1_30default_config_static_selectorELNS0_4arch9wavefront6targetE0EEEvT1_: ; @_ZN7rocprim17ROCPRIM_400000_NS6detail17trampoline_kernelINS0_14default_configENS1_25partition_config_selectorILNS1_17partition_subalgoE8EtNS0_10empty_typeEbEEZZNS1_14partition_implILS5_8ELb0ES3_jPKtPS6_PKS6_NS0_5tupleIJPtS6_EEENSE_IJSB_SB_EEENS0_18inequality_wrapperIN6hipcub16HIPCUB_304000_NS8EqualityEEEPlJS6_EEE10hipError_tPvRmT3_T4_T5_T6_T7_T9_mT8_P12ihipStream_tbDpT10_ENKUlT_T0_E_clISt17integral_constantIbLb0EES16_IbLb1EEEEDaS12_S13_EUlS12_E_NS1_11comp_targetILNS1_3genE4ELNS1_11target_archE910ELNS1_3gpuE8ELNS1_3repE0EEENS1_30default_config_static_selectorELNS0_4arch9wavefront6targetE0EEEvT1_
; %bb.0:
	.section	.rodata,"a",@progbits
	.p2align	6, 0x0
	.amdhsa_kernel _ZN7rocprim17ROCPRIM_400000_NS6detail17trampoline_kernelINS0_14default_configENS1_25partition_config_selectorILNS1_17partition_subalgoE8EtNS0_10empty_typeEbEEZZNS1_14partition_implILS5_8ELb0ES3_jPKtPS6_PKS6_NS0_5tupleIJPtS6_EEENSE_IJSB_SB_EEENS0_18inequality_wrapperIN6hipcub16HIPCUB_304000_NS8EqualityEEEPlJS6_EEE10hipError_tPvRmT3_T4_T5_T6_T7_T9_mT8_P12ihipStream_tbDpT10_ENKUlT_T0_E_clISt17integral_constantIbLb0EES16_IbLb1EEEEDaS12_S13_EUlS12_E_NS1_11comp_targetILNS1_3genE4ELNS1_11target_archE910ELNS1_3gpuE8ELNS1_3repE0EEENS1_30default_config_static_selectorELNS0_4arch9wavefront6targetE0EEEvT1_
		.amdhsa_group_segment_fixed_size 0
		.amdhsa_private_segment_fixed_size 0
		.amdhsa_kernarg_size 128
		.amdhsa_user_sgpr_count 2
		.amdhsa_user_sgpr_dispatch_ptr 0
		.amdhsa_user_sgpr_queue_ptr 0
		.amdhsa_user_sgpr_kernarg_segment_ptr 1
		.amdhsa_user_sgpr_dispatch_id 0
		.amdhsa_user_sgpr_kernarg_preload_length 0
		.amdhsa_user_sgpr_kernarg_preload_offset 0
		.amdhsa_user_sgpr_private_segment_size 0
		.amdhsa_wavefront_size32 1
		.amdhsa_uses_dynamic_stack 0
		.amdhsa_enable_private_segment 0
		.amdhsa_system_sgpr_workgroup_id_x 1
		.amdhsa_system_sgpr_workgroup_id_y 0
		.amdhsa_system_sgpr_workgroup_id_z 0
		.amdhsa_system_sgpr_workgroup_info 0
		.amdhsa_system_vgpr_workitem_id 0
		.amdhsa_next_free_vgpr 1
		.amdhsa_next_free_sgpr 1
		.amdhsa_named_barrier_count 0
		.amdhsa_reserve_vcc 0
		.amdhsa_float_round_mode_32 0
		.amdhsa_float_round_mode_16_64 0
		.amdhsa_float_denorm_mode_32 3
		.amdhsa_float_denorm_mode_16_64 3
		.amdhsa_fp16_overflow 0
		.amdhsa_memory_ordered 1
		.amdhsa_forward_progress 1
		.amdhsa_inst_pref_size 0
		.amdhsa_round_robin_scheduling 0
		.amdhsa_exception_fp_ieee_invalid_op 0
		.amdhsa_exception_fp_denorm_src 0
		.amdhsa_exception_fp_ieee_div_zero 0
		.amdhsa_exception_fp_ieee_overflow 0
		.amdhsa_exception_fp_ieee_underflow 0
		.amdhsa_exception_fp_ieee_inexact 0
		.amdhsa_exception_int_div_zero 0
	.end_amdhsa_kernel
	.section	.text._ZN7rocprim17ROCPRIM_400000_NS6detail17trampoline_kernelINS0_14default_configENS1_25partition_config_selectorILNS1_17partition_subalgoE8EtNS0_10empty_typeEbEEZZNS1_14partition_implILS5_8ELb0ES3_jPKtPS6_PKS6_NS0_5tupleIJPtS6_EEENSE_IJSB_SB_EEENS0_18inequality_wrapperIN6hipcub16HIPCUB_304000_NS8EqualityEEEPlJS6_EEE10hipError_tPvRmT3_T4_T5_T6_T7_T9_mT8_P12ihipStream_tbDpT10_ENKUlT_T0_E_clISt17integral_constantIbLb0EES16_IbLb1EEEEDaS12_S13_EUlS12_E_NS1_11comp_targetILNS1_3genE4ELNS1_11target_archE910ELNS1_3gpuE8ELNS1_3repE0EEENS1_30default_config_static_selectorELNS0_4arch9wavefront6targetE0EEEvT1_,"axG",@progbits,_ZN7rocprim17ROCPRIM_400000_NS6detail17trampoline_kernelINS0_14default_configENS1_25partition_config_selectorILNS1_17partition_subalgoE8EtNS0_10empty_typeEbEEZZNS1_14partition_implILS5_8ELb0ES3_jPKtPS6_PKS6_NS0_5tupleIJPtS6_EEENSE_IJSB_SB_EEENS0_18inequality_wrapperIN6hipcub16HIPCUB_304000_NS8EqualityEEEPlJS6_EEE10hipError_tPvRmT3_T4_T5_T6_T7_T9_mT8_P12ihipStream_tbDpT10_ENKUlT_T0_E_clISt17integral_constantIbLb0EES16_IbLb1EEEEDaS12_S13_EUlS12_E_NS1_11comp_targetILNS1_3genE4ELNS1_11target_archE910ELNS1_3gpuE8ELNS1_3repE0EEENS1_30default_config_static_selectorELNS0_4arch9wavefront6targetE0EEEvT1_,comdat
.Lfunc_end781:
	.size	_ZN7rocprim17ROCPRIM_400000_NS6detail17trampoline_kernelINS0_14default_configENS1_25partition_config_selectorILNS1_17partition_subalgoE8EtNS0_10empty_typeEbEEZZNS1_14partition_implILS5_8ELb0ES3_jPKtPS6_PKS6_NS0_5tupleIJPtS6_EEENSE_IJSB_SB_EEENS0_18inequality_wrapperIN6hipcub16HIPCUB_304000_NS8EqualityEEEPlJS6_EEE10hipError_tPvRmT3_T4_T5_T6_T7_T9_mT8_P12ihipStream_tbDpT10_ENKUlT_T0_E_clISt17integral_constantIbLb0EES16_IbLb1EEEEDaS12_S13_EUlS12_E_NS1_11comp_targetILNS1_3genE4ELNS1_11target_archE910ELNS1_3gpuE8ELNS1_3repE0EEENS1_30default_config_static_selectorELNS0_4arch9wavefront6targetE0EEEvT1_, .Lfunc_end781-_ZN7rocprim17ROCPRIM_400000_NS6detail17trampoline_kernelINS0_14default_configENS1_25partition_config_selectorILNS1_17partition_subalgoE8EtNS0_10empty_typeEbEEZZNS1_14partition_implILS5_8ELb0ES3_jPKtPS6_PKS6_NS0_5tupleIJPtS6_EEENSE_IJSB_SB_EEENS0_18inequality_wrapperIN6hipcub16HIPCUB_304000_NS8EqualityEEEPlJS6_EEE10hipError_tPvRmT3_T4_T5_T6_T7_T9_mT8_P12ihipStream_tbDpT10_ENKUlT_T0_E_clISt17integral_constantIbLb0EES16_IbLb1EEEEDaS12_S13_EUlS12_E_NS1_11comp_targetILNS1_3genE4ELNS1_11target_archE910ELNS1_3gpuE8ELNS1_3repE0EEENS1_30default_config_static_selectorELNS0_4arch9wavefront6targetE0EEEvT1_
                                        ; -- End function
	.set _ZN7rocprim17ROCPRIM_400000_NS6detail17trampoline_kernelINS0_14default_configENS1_25partition_config_selectorILNS1_17partition_subalgoE8EtNS0_10empty_typeEbEEZZNS1_14partition_implILS5_8ELb0ES3_jPKtPS6_PKS6_NS0_5tupleIJPtS6_EEENSE_IJSB_SB_EEENS0_18inequality_wrapperIN6hipcub16HIPCUB_304000_NS8EqualityEEEPlJS6_EEE10hipError_tPvRmT3_T4_T5_T6_T7_T9_mT8_P12ihipStream_tbDpT10_ENKUlT_T0_E_clISt17integral_constantIbLb0EES16_IbLb1EEEEDaS12_S13_EUlS12_E_NS1_11comp_targetILNS1_3genE4ELNS1_11target_archE910ELNS1_3gpuE8ELNS1_3repE0EEENS1_30default_config_static_selectorELNS0_4arch9wavefront6targetE0EEEvT1_.num_vgpr, 0
	.set _ZN7rocprim17ROCPRIM_400000_NS6detail17trampoline_kernelINS0_14default_configENS1_25partition_config_selectorILNS1_17partition_subalgoE8EtNS0_10empty_typeEbEEZZNS1_14partition_implILS5_8ELb0ES3_jPKtPS6_PKS6_NS0_5tupleIJPtS6_EEENSE_IJSB_SB_EEENS0_18inequality_wrapperIN6hipcub16HIPCUB_304000_NS8EqualityEEEPlJS6_EEE10hipError_tPvRmT3_T4_T5_T6_T7_T9_mT8_P12ihipStream_tbDpT10_ENKUlT_T0_E_clISt17integral_constantIbLb0EES16_IbLb1EEEEDaS12_S13_EUlS12_E_NS1_11comp_targetILNS1_3genE4ELNS1_11target_archE910ELNS1_3gpuE8ELNS1_3repE0EEENS1_30default_config_static_selectorELNS0_4arch9wavefront6targetE0EEEvT1_.num_agpr, 0
	.set _ZN7rocprim17ROCPRIM_400000_NS6detail17trampoline_kernelINS0_14default_configENS1_25partition_config_selectorILNS1_17partition_subalgoE8EtNS0_10empty_typeEbEEZZNS1_14partition_implILS5_8ELb0ES3_jPKtPS6_PKS6_NS0_5tupleIJPtS6_EEENSE_IJSB_SB_EEENS0_18inequality_wrapperIN6hipcub16HIPCUB_304000_NS8EqualityEEEPlJS6_EEE10hipError_tPvRmT3_T4_T5_T6_T7_T9_mT8_P12ihipStream_tbDpT10_ENKUlT_T0_E_clISt17integral_constantIbLb0EES16_IbLb1EEEEDaS12_S13_EUlS12_E_NS1_11comp_targetILNS1_3genE4ELNS1_11target_archE910ELNS1_3gpuE8ELNS1_3repE0EEENS1_30default_config_static_selectorELNS0_4arch9wavefront6targetE0EEEvT1_.numbered_sgpr, 0
	.set _ZN7rocprim17ROCPRIM_400000_NS6detail17trampoline_kernelINS0_14default_configENS1_25partition_config_selectorILNS1_17partition_subalgoE8EtNS0_10empty_typeEbEEZZNS1_14partition_implILS5_8ELb0ES3_jPKtPS6_PKS6_NS0_5tupleIJPtS6_EEENSE_IJSB_SB_EEENS0_18inequality_wrapperIN6hipcub16HIPCUB_304000_NS8EqualityEEEPlJS6_EEE10hipError_tPvRmT3_T4_T5_T6_T7_T9_mT8_P12ihipStream_tbDpT10_ENKUlT_T0_E_clISt17integral_constantIbLb0EES16_IbLb1EEEEDaS12_S13_EUlS12_E_NS1_11comp_targetILNS1_3genE4ELNS1_11target_archE910ELNS1_3gpuE8ELNS1_3repE0EEENS1_30default_config_static_selectorELNS0_4arch9wavefront6targetE0EEEvT1_.num_named_barrier, 0
	.set _ZN7rocprim17ROCPRIM_400000_NS6detail17trampoline_kernelINS0_14default_configENS1_25partition_config_selectorILNS1_17partition_subalgoE8EtNS0_10empty_typeEbEEZZNS1_14partition_implILS5_8ELb0ES3_jPKtPS6_PKS6_NS0_5tupleIJPtS6_EEENSE_IJSB_SB_EEENS0_18inequality_wrapperIN6hipcub16HIPCUB_304000_NS8EqualityEEEPlJS6_EEE10hipError_tPvRmT3_T4_T5_T6_T7_T9_mT8_P12ihipStream_tbDpT10_ENKUlT_T0_E_clISt17integral_constantIbLb0EES16_IbLb1EEEEDaS12_S13_EUlS12_E_NS1_11comp_targetILNS1_3genE4ELNS1_11target_archE910ELNS1_3gpuE8ELNS1_3repE0EEENS1_30default_config_static_selectorELNS0_4arch9wavefront6targetE0EEEvT1_.private_seg_size, 0
	.set _ZN7rocprim17ROCPRIM_400000_NS6detail17trampoline_kernelINS0_14default_configENS1_25partition_config_selectorILNS1_17partition_subalgoE8EtNS0_10empty_typeEbEEZZNS1_14partition_implILS5_8ELb0ES3_jPKtPS6_PKS6_NS0_5tupleIJPtS6_EEENSE_IJSB_SB_EEENS0_18inequality_wrapperIN6hipcub16HIPCUB_304000_NS8EqualityEEEPlJS6_EEE10hipError_tPvRmT3_T4_T5_T6_T7_T9_mT8_P12ihipStream_tbDpT10_ENKUlT_T0_E_clISt17integral_constantIbLb0EES16_IbLb1EEEEDaS12_S13_EUlS12_E_NS1_11comp_targetILNS1_3genE4ELNS1_11target_archE910ELNS1_3gpuE8ELNS1_3repE0EEENS1_30default_config_static_selectorELNS0_4arch9wavefront6targetE0EEEvT1_.uses_vcc, 0
	.set _ZN7rocprim17ROCPRIM_400000_NS6detail17trampoline_kernelINS0_14default_configENS1_25partition_config_selectorILNS1_17partition_subalgoE8EtNS0_10empty_typeEbEEZZNS1_14partition_implILS5_8ELb0ES3_jPKtPS6_PKS6_NS0_5tupleIJPtS6_EEENSE_IJSB_SB_EEENS0_18inequality_wrapperIN6hipcub16HIPCUB_304000_NS8EqualityEEEPlJS6_EEE10hipError_tPvRmT3_T4_T5_T6_T7_T9_mT8_P12ihipStream_tbDpT10_ENKUlT_T0_E_clISt17integral_constantIbLb0EES16_IbLb1EEEEDaS12_S13_EUlS12_E_NS1_11comp_targetILNS1_3genE4ELNS1_11target_archE910ELNS1_3gpuE8ELNS1_3repE0EEENS1_30default_config_static_selectorELNS0_4arch9wavefront6targetE0EEEvT1_.uses_flat_scratch, 0
	.set _ZN7rocprim17ROCPRIM_400000_NS6detail17trampoline_kernelINS0_14default_configENS1_25partition_config_selectorILNS1_17partition_subalgoE8EtNS0_10empty_typeEbEEZZNS1_14partition_implILS5_8ELb0ES3_jPKtPS6_PKS6_NS0_5tupleIJPtS6_EEENSE_IJSB_SB_EEENS0_18inequality_wrapperIN6hipcub16HIPCUB_304000_NS8EqualityEEEPlJS6_EEE10hipError_tPvRmT3_T4_T5_T6_T7_T9_mT8_P12ihipStream_tbDpT10_ENKUlT_T0_E_clISt17integral_constantIbLb0EES16_IbLb1EEEEDaS12_S13_EUlS12_E_NS1_11comp_targetILNS1_3genE4ELNS1_11target_archE910ELNS1_3gpuE8ELNS1_3repE0EEENS1_30default_config_static_selectorELNS0_4arch9wavefront6targetE0EEEvT1_.has_dyn_sized_stack, 0
	.set _ZN7rocprim17ROCPRIM_400000_NS6detail17trampoline_kernelINS0_14default_configENS1_25partition_config_selectorILNS1_17partition_subalgoE8EtNS0_10empty_typeEbEEZZNS1_14partition_implILS5_8ELb0ES3_jPKtPS6_PKS6_NS0_5tupleIJPtS6_EEENSE_IJSB_SB_EEENS0_18inequality_wrapperIN6hipcub16HIPCUB_304000_NS8EqualityEEEPlJS6_EEE10hipError_tPvRmT3_T4_T5_T6_T7_T9_mT8_P12ihipStream_tbDpT10_ENKUlT_T0_E_clISt17integral_constantIbLb0EES16_IbLb1EEEEDaS12_S13_EUlS12_E_NS1_11comp_targetILNS1_3genE4ELNS1_11target_archE910ELNS1_3gpuE8ELNS1_3repE0EEENS1_30default_config_static_selectorELNS0_4arch9wavefront6targetE0EEEvT1_.has_recursion, 0
	.set _ZN7rocprim17ROCPRIM_400000_NS6detail17trampoline_kernelINS0_14default_configENS1_25partition_config_selectorILNS1_17partition_subalgoE8EtNS0_10empty_typeEbEEZZNS1_14partition_implILS5_8ELb0ES3_jPKtPS6_PKS6_NS0_5tupleIJPtS6_EEENSE_IJSB_SB_EEENS0_18inequality_wrapperIN6hipcub16HIPCUB_304000_NS8EqualityEEEPlJS6_EEE10hipError_tPvRmT3_T4_T5_T6_T7_T9_mT8_P12ihipStream_tbDpT10_ENKUlT_T0_E_clISt17integral_constantIbLb0EES16_IbLb1EEEEDaS12_S13_EUlS12_E_NS1_11comp_targetILNS1_3genE4ELNS1_11target_archE910ELNS1_3gpuE8ELNS1_3repE0EEENS1_30default_config_static_selectorELNS0_4arch9wavefront6targetE0EEEvT1_.has_indirect_call, 0
	.section	.AMDGPU.csdata,"",@progbits
; Kernel info:
; codeLenInByte = 0
; TotalNumSgprs: 0
; NumVgprs: 0
; ScratchSize: 0
; MemoryBound: 0
; FloatMode: 240
; IeeeMode: 1
; LDSByteSize: 0 bytes/workgroup (compile time only)
; SGPRBlocks: 0
; VGPRBlocks: 0
; NumSGPRsForWavesPerEU: 1
; NumVGPRsForWavesPerEU: 1
; NamedBarCnt: 0
; Occupancy: 16
; WaveLimiterHint : 0
; COMPUTE_PGM_RSRC2:SCRATCH_EN: 0
; COMPUTE_PGM_RSRC2:USER_SGPR: 2
; COMPUTE_PGM_RSRC2:TRAP_HANDLER: 0
; COMPUTE_PGM_RSRC2:TGID_X_EN: 1
; COMPUTE_PGM_RSRC2:TGID_Y_EN: 0
; COMPUTE_PGM_RSRC2:TGID_Z_EN: 0
; COMPUTE_PGM_RSRC2:TIDIG_COMP_CNT: 0
	.section	.text._ZN7rocprim17ROCPRIM_400000_NS6detail17trampoline_kernelINS0_14default_configENS1_25partition_config_selectorILNS1_17partition_subalgoE8EtNS0_10empty_typeEbEEZZNS1_14partition_implILS5_8ELb0ES3_jPKtPS6_PKS6_NS0_5tupleIJPtS6_EEENSE_IJSB_SB_EEENS0_18inequality_wrapperIN6hipcub16HIPCUB_304000_NS8EqualityEEEPlJS6_EEE10hipError_tPvRmT3_T4_T5_T6_T7_T9_mT8_P12ihipStream_tbDpT10_ENKUlT_T0_E_clISt17integral_constantIbLb0EES16_IbLb1EEEEDaS12_S13_EUlS12_E_NS1_11comp_targetILNS1_3genE3ELNS1_11target_archE908ELNS1_3gpuE7ELNS1_3repE0EEENS1_30default_config_static_selectorELNS0_4arch9wavefront6targetE0EEEvT1_,"axG",@progbits,_ZN7rocprim17ROCPRIM_400000_NS6detail17trampoline_kernelINS0_14default_configENS1_25partition_config_selectorILNS1_17partition_subalgoE8EtNS0_10empty_typeEbEEZZNS1_14partition_implILS5_8ELb0ES3_jPKtPS6_PKS6_NS0_5tupleIJPtS6_EEENSE_IJSB_SB_EEENS0_18inequality_wrapperIN6hipcub16HIPCUB_304000_NS8EqualityEEEPlJS6_EEE10hipError_tPvRmT3_T4_T5_T6_T7_T9_mT8_P12ihipStream_tbDpT10_ENKUlT_T0_E_clISt17integral_constantIbLb0EES16_IbLb1EEEEDaS12_S13_EUlS12_E_NS1_11comp_targetILNS1_3genE3ELNS1_11target_archE908ELNS1_3gpuE7ELNS1_3repE0EEENS1_30default_config_static_selectorELNS0_4arch9wavefront6targetE0EEEvT1_,comdat
	.protected	_ZN7rocprim17ROCPRIM_400000_NS6detail17trampoline_kernelINS0_14default_configENS1_25partition_config_selectorILNS1_17partition_subalgoE8EtNS0_10empty_typeEbEEZZNS1_14partition_implILS5_8ELb0ES3_jPKtPS6_PKS6_NS0_5tupleIJPtS6_EEENSE_IJSB_SB_EEENS0_18inequality_wrapperIN6hipcub16HIPCUB_304000_NS8EqualityEEEPlJS6_EEE10hipError_tPvRmT3_T4_T5_T6_T7_T9_mT8_P12ihipStream_tbDpT10_ENKUlT_T0_E_clISt17integral_constantIbLb0EES16_IbLb1EEEEDaS12_S13_EUlS12_E_NS1_11comp_targetILNS1_3genE3ELNS1_11target_archE908ELNS1_3gpuE7ELNS1_3repE0EEENS1_30default_config_static_selectorELNS0_4arch9wavefront6targetE0EEEvT1_ ; -- Begin function _ZN7rocprim17ROCPRIM_400000_NS6detail17trampoline_kernelINS0_14default_configENS1_25partition_config_selectorILNS1_17partition_subalgoE8EtNS0_10empty_typeEbEEZZNS1_14partition_implILS5_8ELb0ES3_jPKtPS6_PKS6_NS0_5tupleIJPtS6_EEENSE_IJSB_SB_EEENS0_18inequality_wrapperIN6hipcub16HIPCUB_304000_NS8EqualityEEEPlJS6_EEE10hipError_tPvRmT3_T4_T5_T6_T7_T9_mT8_P12ihipStream_tbDpT10_ENKUlT_T0_E_clISt17integral_constantIbLb0EES16_IbLb1EEEEDaS12_S13_EUlS12_E_NS1_11comp_targetILNS1_3genE3ELNS1_11target_archE908ELNS1_3gpuE7ELNS1_3repE0EEENS1_30default_config_static_selectorELNS0_4arch9wavefront6targetE0EEEvT1_
	.globl	_ZN7rocprim17ROCPRIM_400000_NS6detail17trampoline_kernelINS0_14default_configENS1_25partition_config_selectorILNS1_17partition_subalgoE8EtNS0_10empty_typeEbEEZZNS1_14partition_implILS5_8ELb0ES3_jPKtPS6_PKS6_NS0_5tupleIJPtS6_EEENSE_IJSB_SB_EEENS0_18inequality_wrapperIN6hipcub16HIPCUB_304000_NS8EqualityEEEPlJS6_EEE10hipError_tPvRmT3_T4_T5_T6_T7_T9_mT8_P12ihipStream_tbDpT10_ENKUlT_T0_E_clISt17integral_constantIbLb0EES16_IbLb1EEEEDaS12_S13_EUlS12_E_NS1_11comp_targetILNS1_3genE3ELNS1_11target_archE908ELNS1_3gpuE7ELNS1_3repE0EEENS1_30default_config_static_selectorELNS0_4arch9wavefront6targetE0EEEvT1_
	.p2align	8
	.type	_ZN7rocprim17ROCPRIM_400000_NS6detail17trampoline_kernelINS0_14default_configENS1_25partition_config_selectorILNS1_17partition_subalgoE8EtNS0_10empty_typeEbEEZZNS1_14partition_implILS5_8ELb0ES3_jPKtPS6_PKS6_NS0_5tupleIJPtS6_EEENSE_IJSB_SB_EEENS0_18inequality_wrapperIN6hipcub16HIPCUB_304000_NS8EqualityEEEPlJS6_EEE10hipError_tPvRmT3_T4_T5_T6_T7_T9_mT8_P12ihipStream_tbDpT10_ENKUlT_T0_E_clISt17integral_constantIbLb0EES16_IbLb1EEEEDaS12_S13_EUlS12_E_NS1_11comp_targetILNS1_3genE3ELNS1_11target_archE908ELNS1_3gpuE7ELNS1_3repE0EEENS1_30default_config_static_selectorELNS0_4arch9wavefront6targetE0EEEvT1_,@function
_ZN7rocprim17ROCPRIM_400000_NS6detail17trampoline_kernelINS0_14default_configENS1_25partition_config_selectorILNS1_17partition_subalgoE8EtNS0_10empty_typeEbEEZZNS1_14partition_implILS5_8ELb0ES3_jPKtPS6_PKS6_NS0_5tupleIJPtS6_EEENSE_IJSB_SB_EEENS0_18inequality_wrapperIN6hipcub16HIPCUB_304000_NS8EqualityEEEPlJS6_EEE10hipError_tPvRmT3_T4_T5_T6_T7_T9_mT8_P12ihipStream_tbDpT10_ENKUlT_T0_E_clISt17integral_constantIbLb0EES16_IbLb1EEEEDaS12_S13_EUlS12_E_NS1_11comp_targetILNS1_3genE3ELNS1_11target_archE908ELNS1_3gpuE7ELNS1_3repE0EEENS1_30default_config_static_selectorELNS0_4arch9wavefront6targetE0EEEvT1_: ; @_ZN7rocprim17ROCPRIM_400000_NS6detail17trampoline_kernelINS0_14default_configENS1_25partition_config_selectorILNS1_17partition_subalgoE8EtNS0_10empty_typeEbEEZZNS1_14partition_implILS5_8ELb0ES3_jPKtPS6_PKS6_NS0_5tupleIJPtS6_EEENSE_IJSB_SB_EEENS0_18inequality_wrapperIN6hipcub16HIPCUB_304000_NS8EqualityEEEPlJS6_EEE10hipError_tPvRmT3_T4_T5_T6_T7_T9_mT8_P12ihipStream_tbDpT10_ENKUlT_T0_E_clISt17integral_constantIbLb0EES16_IbLb1EEEEDaS12_S13_EUlS12_E_NS1_11comp_targetILNS1_3genE3ELNS1_11target_archE908ELNS1_3gpuE7ELNS1_3repE0EEENS1_30default_config_static_selectorELNS0_4arch9wavefront6targetE0EEEvT1_
; %bb.0:
	.section	.rodata,"a",@progbits
	.p2align	6, 0x0
	.amdhsa_kernel _ZN7rocprim17ROCPRIM_400000_NS6detail17trampoline_kernelINS0_14default_configENS1_25partition_config_selectorILNS1_17partition_subalgoE8EtNS0_10empty_typeEbEEZZNS1_14partition_implILS5_8ELb0ES3_jPKtPS6_PKS6_NS0_5tupleIJPtS6_EEENSE_IJSB_SB_EEENS0_18inequality_wrapperIN6hipcub16HIPCUB_304000_NS8EqualityEEEPlJS6_EEE10hipError_tPvRmT3_T4_T5_T6_T7_T9_mT8_P12ihipStream_tbDpT10_ENKUlT_T0_E_clISt17integral_constantIbLb0EES16_IbLb1EEEEDaS12_S13_EUlS12_E_NS1_11comp_targetILNS1_3genE3ELNS1_11target_archE908ELNS1_3gpuE7ELNS1_3repE0EEENS1_30default_config_static_selectorELNS0_4arch9wavefront6targetE0EEEvT1_
		.amdhsa_group_segment_fixed_size 0
		.amdhsa_private_segment_fixed_size 0
		.amdhsa_kernarg_size 128
		.amdhsa_user_sgpr_count 2
		.amdhsa_user_sgpr_dispatch_ptr 0
		.amdhsa_user_sgpr_queue_ptr 0
		.amdhsa_user_sgpr_kernarg_segment_ptr 1
		.amdhsa_user_sgpr_dispatch_id 0
		.amdhsa_user_sgpr_kernarg_preload_length 0
		.amdhsa_user_sgpr_kernarg_preload_offset 0
		.amdhsa_user_sgpr_private_segment_size 0
		.amdhsa_wavefront_size32 1
		.amdhsa_uses_dynamic_stack 0
		.amdhsa_enable_private_segment 0
		.amdhsa_system_sgpr_workgroup_id_x 1
		.amdhsa_system_sgpr_workgroup_id_y 0
		.amdhsa_system_sgpr_workgroup_id_z 0
		.amdhsa_system_sgpr_workgroup_info 0
		.amdhsa_system_vgpr_workitem_id 0
		.amdhsa_next_free_vgpr 1
		.amdhsa_next_free_sgpr 1
		.amdhsa_named_barrier_count 0
		.amdhsa_reserve_vcc 0
		.amdhsa_float_round_mode_32 0
		.amdhsa_float_round_mode_16_64 0
		.amdhsa_float_denorm_mode_32 3
		.amdhsa_float_denorm_mode_16_64 3
		.amdhsa_fp16_overflow 0
		.amdhsa_memory_ordered 1
		.amdhsa_forward_progress 1
		.amdhsa_inst_pref_size 0
		.amdhsa_round_robin_scheduling 0
		.amdhsa_exception_fp_ieee_invalid_op 0
		.amdhsa_exception_fp_denorm_src 0
		.amdhsa_exception_fp_ieee_div_zero 0
		.amdhsa_exception_fp_ieee_overflow 0
		.amdhsa_exception_fp_ieee_underflow 0
		.amdhsa_exception_fp_ieee_inexact 0
		.amdhsa_exception_int_div_zero 0
	.end_amdhsa_kernel
	.section	.text._ZN7rocprim17ROCPRIM_400000_NS6detail17trampoline_kernelINS0_14default_configENS1_25partition_config_selectorILNS1_17partition_subalgoE8EtNS0_10empty_typeEbEEZZNS1_14partition_implILS5_8ELb0ES3_jPKtPS6_PKS6_NS0_5tupleIJPtS6_EEENSE_IJSB_SB_EEENS0_18inequality_wrapperIN6hipcub16HIPCUB_304000_NS8EqualityEEEPlJS6_EEE10hipError_tPvRmT3_T4_T5_T6_T7_T9_mT8_P12ihipStream_tbDpT10_ENKUlT_T0_E_clISt17integral_constantIbLb0EES16_IbLb1EEEEDaS12_S13_EUlS12_E_NS1_11comp_targetILNS1_3genE3ELNS1_11target_archE908ELNS1_3gpuE7ELNS1_3repE0EEENS1_30default_config_static_selectorELNS0_4arch9wavefront6targetE0EEEvT1_,"axG",@progbits,_ZN7rocprim17ROCPRIM_400000_NS6detail17trampoline_kernelINS0_14default_configENS1_25partition_config_selectorILNS1_17partition_subalgoE8EtNS0_10empty_typeEbEEZZNS1_14partition_implILS5_8ELb0ES3_jPKtPS6_PKS6_NS0_5tupleIJPtS6_EEENSE_IJSB_SB_EEENS0_18inequality_wrapperIN6hipcub16HIPCUB_304000_NS8EqualityEEEPlJS6_EEE10hipError_tPvRmT3_T4_T5_T6_T7_T9_mT8_P12ihipStream_tbDpT10_ENKUlT_T0_E_clISt17integral_constantIbLb0EES16_IbLb1EEEEDaS12_S13_EUlS12_E_NS1_11comp_targetILNS1_3genE3ELNS1_11target_archE908ELNS1_3gpuE7ELNS1_3repE0EEENS1_30default_config_static_selectorELNS0_4arch9wavefront6targetE0EEEvT1_,comdat
.Lfunc_end782:
	.size	_ZN7rocprim17ROCPRIM_400000_NS6detail17trampoline_kernelINS0_14default_configENS1_25partition_config_selectorILNS1_17partition_subalgoE8EtNS0_10empty_typeEbEEZZNS1_14partition_implILS5_8ELb0ES3_jPKtPS6_PKS6_NS0_5tupleIJPtS6_EEENSE_IJSB_SB_EEENS0_18inequality_wrapperIN6hipcub16HIPCUB_304000_NS8EqualityEEEPlJS6_EEE10hipError_tPvRmT3_T4_T5_T6_T7_T9_mT8_P12ihipStream_tbDpT10_ENKUlT_T0_E_clISt17integral_constantIbLb0EES16_IbLb1EEEEDaS12_S13_EUlS12_E_NS1_11comp_targetILNS1_3genE3ELNS1_11target_archE908ELNS1_3gpuE7ELNS1_3repE0EEENS1_30default_config_static_selectorELNS0_4arch9wavefront6targetE0EEEvT1_, .Lfunc_end782-_ZN7rocprim17ROCPRIM_400000_NS6detail17trampoline_kernelINS0_14default_configENS1_25partition_config_selectorILNS1_17partition_subalgoE8EtNS0_10empty_typeEbEEZZNS1_14partition_implILS5_8ELb0ES3_jPKtPS6_PKS6_NS0_5tupleIJPtS6_EEENSE_IJSB_SB_EEENS0_18inequality_wrapperIN6hipcub16HIPCUB_304000_NS8EqualityEEEPlJS6_EEE10hipError_tPvRmT3_T4_T5_T6_T7_T9_mT8_P12ihipStream_tbDpT10_ENKUlT_T0_E_clISt17integral_constantIbLb0EES16_IbLb1EEEEDaS12_S13_EUlS12_E_NS1_11comp_targetILNS1_3genE3ELNS1_11target_archE908ELNS1_3gpuE7ELNS1_3repE0EEENS1_30default_config_static_selectorELNS0_4arch9wavefront6targetE0EEEvT1_
                                        ; -- End function
	.set _ZN7rocprim17ROCPRIM_400000_NS6detail17trampoline_kernelINS0_14default_configENS1_25partition_config_selectorILNS1_17partition_subalgoE8EtNS0_10empty_typeEbEEZZNS1_14partition_implILS5_8ELb0ES3_jPKtPS6_PKS6_NS0_5tupleIJPtS6_EEENSE_IJSB_SB_EEENS0_18inequality_wrapperIN6hipcub16HIPCUB_304000_NS8EqualityEEEPlJS6_EEE10hipError_tPvRmT3_T4_T5_T6_T7_T9_mT8_P12ihipStream_tbDpT10_ENKUlT_T0_E_clISt17integral_constantIbLb0EES16_IbLb1EEEEDaS12_S13_EUlS12_E_NS1_11comp_targetILNS1_3genE3ELNS1_11target_archE908ELNS1_3gpuE7ELNS1_3repE0EEENS1_30default_config_static_selectorELNS0_4arch9wavefront6targetE0EEEvT1_.num_vgpr, 0
	.set _ZN7rocprim17ROCPRIM_400000_NS6detail17trampoline_kernelINS0_14default_configENS1_25partition_config_selectorILNS1_17partition_subalgoE8EtNS0_10empty_typeEbEEZZNS1_14partition_implILS5_8ELb0ES3_jPKtPS6_PKS6_NS0_5tupleIJPtS6_EEENSE_IJSB_SB_EEENS0_18inequality_wrapperIN6hipcub16HIPCUB_304000_NS8EqualityEEEPlJS6_EEE10hipError_tPvRmT3_T4_T5_T6_T7_T9_mT8_P12ihipStream_tbDpT10_ENKUlT_T0_E_clISt17integral_constantIbLb0EES16_IbLb1EEEEDaS12_S13_EUlS12_E_NS1_11comp_targetILNS1_3genE3ELNS1_11target_archE908ELNS1_3gpuE7ELNS1_3repE0EEENS1_30default_config_static_selectorELNS0_4arch9wavefront6targetE0EEEvT1_.num_agpr, 0
	.set _ZN7rocprim17ROCPRIM_400000_NS6detail17trampoline_kernelINS0_14default_configENS1_25partition_config_selectorILNS1_17partition_subalgoE8EtNS0_10empty_typeEbEEZZNS1_14partition_implILS5_8ELb0ES3_jPKtPS6_PKS6_NS0_5tupleIJPtS6_EEENSE_IJSB_SB_EEENS0_18inequality_wrapperIN6hipcub16HIPCUB_304000_NS8EqualityEEEPlJS6_EEE10hipError_tPvRmT3_T4_T5_T6_T7_T9_mT8_P12ihipStream_tbDpT10_ENKUlT_T0_E_clISt17integral_constantIbLb0EES16_IbLb1EEEEDaS12_S13_EUlS12_E_NS1_11comp_targetILNS1_3genE3ELNS1_11target_archE908ELNS1_3gpuE7ELNS1_3repE0EEENS1_30default_config_static_selectorELNS0_4arch9wavefront6targetE0EEEvT1_.numbered_sgpr, 0
	.set _ZN7rocprim17ROCPRIM_400000_NS6detail17trampoline_kernelINS0_14default_configENS1_25partition_config_selectorILNS1_17partition_subalgoE8EtNS0_10empty_typeEbEEZZNS1_14partition_implILS5_8ELb0ES3_jPKtPS6_PKS6_NS0_5tupleIJPtS6_EEENSE_IJSB_SB_EEENS0_18inequality_wrapperIN6hipcub16HIPCUB_304000_NS8EqualityEEEPlJS6_EEE10hipError_tPvRmT3_T4_T5_T6_T7_T9_mT8_P12ihipStream_tbDpT10_ENKUlT_T0_E_clISt17integral_constantIbLb0EES16_IbLb1EEEEDaS12_S13_EUlS12_E_NS1_11comp_targetILNS1_3genE3ELNS1_11target_archE908ELNS1_3gpuE7ELNS1_3repE0EEENS1_30default_config_static_selectorELNS0_4arch9wavefront6targetE0EEEvT1_.num_named_barrier, 0
	.set _ZN7rocprim17ROCPRIM_400000_NS6detail17trampoline_kernelINS0_14default_configENS1_25partition_config_selectorILNS1_17partition_subalgoE8EtNS0_10empty_typeEbEEZZNS1_14partition_implILS5_8ELb0ES3_jPKtPS6_PKS6_NS0_5tupleIJPtS6_EEENSE_IJSB_SB_EEENS0_18inequality_wrapperIN6hipcub16HIPCUB_304000_NS8EqualityEEEPlJS6_EEE10hipError_tPvRmT3_T4_T5_T6_T7_T9_mT8_P12ihipStream_tbDpT10_ENKUlT_T0_E_clISt17integral_constantIbLb0EES16_IbLb1EEEEDaS12_S13_EUlS12_E_NS1_11comp_targetILNS1_3genE3ELNS1_11target_archE908ELNS1_3gpuE7ELNS1_3repE0EEENS1_30default_config_static_selectorELNS0_4arch9wavefront6targetE0EEEvT1_.private_seg_size, 0
	.set _ZN7rocprim17ROCPRIM_400000_NS6detail17trampoline_kernelINS0_14default_configENS1_25partition_config_selectorILNS1_17partition_subalgoE8EtNS0_10empty_typeEbEEZZNS1_14partition_implILS5_8ELb0ES3_jPKtPS6_PKS6_NS0_5tupleIJPtS6_EEENSE_IJSB_SB_EEENS0_18inequality_wrapperIN6hipcub16HIPCUB_304000_NS8EqualityEEEPlJS6_EEE10hipError_tPvRmT3_T4_T5_T6_T7_T9_mT8_P12ihipStream_tbDpT10_ENKUlT_T0_E_clISt17integral_constantIbLb0EES16_IbLb1EEEEDaS12_S13_EUlS12_E_NS1_11comp_targetILNS1_3genE3ELNS1_11target_archE908ELNS1_3gpuE7ELNS1_3repE0EEENS1_30default_config_static_selectorELNS0_4arch9wavefront6targetE0EEEvT1_.uses_vcc, 0
	.set _ZN7rocprim17ROCPRIM_400000_NS6detail17trampoline_kernelINS0_14default_configENS1_25partition_config_selectorILNS1_17partition_subalgoE8EtNS0_10empty_typeEbEEZZNS1_14partition_implILS5_8ELb0ES3_jPKtPS6_PKS6_NS0_5tupleIJPtS6_EEENSE_IJSB_SB_EEENS0_18inequality_wrapperIN6hipcub16HIPCUB_304000_NS8EqualityEEEPlJS6_EEE10hipError_tPvRmT3_T4_T5_T6_T7_T9_mT8_P12ihipStream_tbDpT10_ENKUlT_T0_E_clISt17integral_constantIbLb0EES16_IbLb1EEEEDaS12_S13_EUlS12_E_NS1_11comp_targetILNS1_3genE3ELNS1_11target_archE908ELNS1_3gpuE7ELNS1_3repE0EEENS1_30default_config_static_selectorELNS0_4arch9wavefront6targetE0EEEvT1_.uses_flat_scratch, 0
	.set _ZN7rocprim17ROCPRIM_400000_NS6detail17trampoline_kernelINS0_14default_configENS1_25partition_config_selectorILNS1_17partition_subalgoE8EtNS0_10empty_typeEbEEZZNS1_14partition_implILS5_8ELb0ES3_jPKtPS6_PKS6_NS0_5tupleIJPtS6_EEENSE_IJSB_SB_EEENS0_18inequality_wrapperIN6hipcub16HIPCUB_304000_NS8EqualityEEEPlJS6_EEE10hipError_tPvRmT3_T4_T5_T6_T7_T9_mT8_P12ihipStream_tbDpT10_ENKUlT_T0_E_clISt17integral_constantIbLb0EES16_IbLb1EEEEDaS12_S13_EUlS12_E_NS1_11comp_targetILNS1_3genE3ELNS1_11target_archE908ELNS1_3gpuE7ELNS1_3repE0EEENS1_30default_config_static_selectorELNS0_4arch9wavefront6targetE0EEEvT1_.has_dyn_sized_stack, 0
	.set _ZN7rocprim17ROCPRIM_400000_NS6detail17trampoline_kernelINS0_14default_configENS1_25partition_config_selectorILNS1_17partition_subalgoE8EtNS0_10empty_typeEbEEZZNS1_14partition_implILS5_8ELb0ES3_jPKtPS6_PKS6_NS0_5tupleIJPtS6_EEENSE_IJSB_SB_EEENS0_18inequality_wrapperIN6hipcub16HIPCUB_304000_NS8EqualityEEEPlJS6_EEE10hipError_tPvRmT3_T4_T5_T6_T7_T9_mT8_P12ihipStream_tbDpT10_ENKUlT_T0_E_clISt17integral_constantIbLb0EES16_IbLb1EEEEDaS12_S13_EUlS12_E_NS1_11comp_targetILNS1_3genE3ELNS1_11target_archE908ELNS1_3gpuE7ELNS1_3repE0EEENS1_30default_config_static_selectorELNS0_4arch9wavefront6targetE0EEEvT1_.has_recursion, 0
	.set _ZN7rocprim17ROCPRIM_400000_NS6detail17trampoline_kernelINS0_14default_configENS1_25partition_config_selectorILNS1_17partition_subalgoE8EtNS0_10empty_typeEbEEZZNS1_14partition_implILS5_8ELb0ES3_jPKtPS6_PKS6_NS0_5tupleIJPtS6_EEENSE_IJSB_SB_EEENS0_18inequality_wrapperIN6hipcub16HIPCUB_304000_NS8EqualityEEEPlJS6_EEE10hipError_tPvRmT3_T4_T5_T6_T7_T9_mT8_P12ihipStream_tbDpT10_ENKUlT_T0_E_clISt17integral_constantIbLb0EES16_IbLb1EEEEDaS12_S13_EUlS12_E_NS1_11comp_targetILNS1_3genE3ELNS1_11target_archE908ELNS1_3gpuE7ELNS1_3repE0EEENS1_30default_config_static_selectorELNS0_4arch9wavefront6targetE0EEEvT1_.has_indirect_call, 0
	.section	.AMDGPU.csdata,"",@progbits
; Kernel info:
; codeLenInByte = 0
; TotalNumSgprs: 0
; NumVgprs: 0
; ScratchSize: 0
; MemoryBound: 0
; FloatMode: 240
; IeeeMode: 1
; LDSByteSize: 0 bytes/workgroup (compile time only)
; SGPRBlocks: 0
; VGPRBlocks: 0
; NumSGPRsForWavesPerEU: 1
; NumVGPRsForWavesPerEU: 1
; NamedBarCnt: 0
; Occupancy: 16
; WaveLimiterHint : 0
; COMPUTE_PGM_RSRC2:SCRATCH_EN: 0
; COMPUTE_PGM_RSRC2:USER_SGPR: 2
; COMPUTE_PGM_RSRC2:TRAP_HANDLER: 0
; COMPUTE_PGM_RSRC2:TGID_X_EN: 1
; COMPUTE_PGM_RSRC2:TGID_Y_EN: 0
; COMPUTE_PGM_RSRC2:TGID_Z_EN: 0
; COMPUTE_PGM_RSRC2:TIDIG_COMP_CNT: 0
	.section	.text._ZN7rocprim17ROCPRIM_400000_NS6detail17trampoline_kernelINS0_14default_configENS1_25partition_config_selectorILNS1_17partition_subalgoE8EtNS0_10empty_typeEbEEZZNS1_14partition_implILS5_8ELb0ES3_jPKtPS6_PKS6_NS0_5tupleIJPtS6_EEENSE_IJSB_SB_EEENS0_18inequality_wrapperIN6hipcub16HIPCUB_304000_NS8EqualityEEEPlJS6_EEE10hipError_tPvRmT3_T4_T5_T6_T7_T9_mT8_P12ihipStream_tbDpT10_ENKUlT_T0_E_clISt17integral_constantIbLb0EES16_IbLb1EEEEDaS12_S13_EUlS12_E_NS1_11comp_targetILNS1_3genE2ELNS1_11target_archE906ELNS1_3gpuE6ELNS1_3repE0EEENS1_30default_config_static_selectorELNS0_4arch9wavefront6targetE0EEEvT1_,"axG",@progbits,_ZN7rocprim17ROCPRIM_400000_NS6detail17trampoline_kernelINS0_14default_configENS1_25partition_config_selectorILNS1_17partition_subalgoE8EtNS0_10empty_typeEbEEZZNS1_14partition_implILS5_8ELb0ES3_jPKtPS6_PKS6_NS0_5tupleIJPtS6_EEENSE_IJSB_SB_EEENS0_18inequality_wrapperIN6hipcub16HIPCUB_304000_NS8EqualityEEEPlJS6_EEE10hipError_tPvRmT3_T4_T5_T6_T7_T9_mT8_P12ihipStream_tbDpT10_ENKUlT_T0_E_clISt17integral_constantIbLb0EES16_IbLb1EEEEDaS12_S13_EUlS12_E_NS1_11comp_targetILNS1_3genE2ELNS1_11target_archE906ELNS1_3gpuE6ELNS1_3repE0EEENS1_30default_config_static_selectorELNS0_4arch9wavefront6targetE0EEEvT1_,comdat
	.protected	_ZN7rocprim17ROCPRIM_400000_NS6detail17trampoline_kernelINS0_14default_configENS1_25partition_config_selectorILNS1_17partition_subalgoE8EtNS0_10empty_typeEbEEZZNS1_14partition_implILS5_8ELb0ES3_jPKtPS6_PKS6_NS0_5tupleIJPtS6_EEENSE_IJSB_SB_EEENS0_18inequality_wrapperIN6hipcub16HIPCUB_304000_NS8EqualityEEEPlJS6_EEE10hipError_tPvRmT3_T4_T5_T6_T7_T9_mT8_P12ihipStream_tbDpT10_ENKUlT_T0_E_clISt17integral_constantIbLb0EES16_IbLb1EEEEDaS12_S13_EUlS12_E_NS1_11comp_targetILNS1_3genE2ELNS1_11target_archE906ELNS1_3gpuE6ELNS1_3repE0EEENS1_30default_config_static_selectorELNS0_4arch9wavefront6targetE0EEEvT1_ ; -- Begin function _ZN7rocprim17ROCPRIM_400000_NS6detail17trampoline_kernelINS0_14default_configENS1_25partition_config_selectorILNS1_17partition_subalgoE8EtNS0_10empty_typeEbEEZZNS1_14partition_implILS5_8ELb0ES3_jPKtPS6_PKS6_NS0_5tupleIJPtS6_EEENSE_IJSB_SB_EEENS0_18inequality_wrapperIN6hipcub16HIPCUB_304000_NS8EqualityEEEPlJS6_EEE10hipError_tPvRmT3_T4_T5_T6_T7_T9_mT8_P12ihipStream_tbDpT10_ENKUlT_T0_E_clISt17integral_constantIbLb0EES16_IbLb1EEEEDaS12_S13_EUlS12_E_NS1_11comp_targetILNS1_3genE2ELNS1_11target_archE906ELNS1_3gpuE6ELNS1_3repE0EEENS1_30default_config_static_selectorELNS0_4arch9wavefront6targetE0EEEvT1_
	.globl	_ZN7rocprim17ROCPRIM_400000_NS6detail17trampoline_kernelINS0_14default_configENS1_25partition_config_selectorILNS1_17partition_subalgoE8EtNS0_10empty_typeEbEEZZNS1_14partition_implILS5_8ELb0ES3_jPKtPS6_PKS6_NS0_5tupleIJPtS6_EEENSE_IJSB_SB_EEENS0_18inequality_wrapperIN6hipcub16HIPCUB_304000_NS8EqualityEEEPlJS6_EEE10hipError_tPvRmT3_T4_T5_T6_T7_T9_mT8_P12ihipStream_tbDpT10_ENKUlT_T0_E_clISt17integral_constantIbLb0EES16_IbLb1EEEEDaS12_S13_EUlS12_E_NS1_11comp_targetILNS1_3genE2ELNS1_11target_archE906ELNS1_3gpuE6ELNS1_3repE0EEENS1_30default_config_static_selectorELNS0_4arch9wavefront6targetE0EEEvT1_
	.p2align	8
	.type	_ZN7rocprim17ROCPRIM_400000_NS6detail17trampoline_kernelINS0_14default_configENS1_25partition_config_selectorILNS1_17partition_subalgoE8EtNS0_10empty_typeEbEEZZNS1_14partition_implILS5_8ELb0ES3_jPKtPS6_PKS6_NS0_5tupleIJPtS6_EEENSE_IJSB_SB_EEENS0_18inequality_wrapperIN6hipcub16HIPCUB_304000_NS8EqualityEEEPlJS6_EEE10hipError_tPvRmT3_T4_T5_T6_T7_T9_mT8_P12ihipStream_tbDpT10_ENKUlT_T0_E_clISt17integral_constantIbLb0EES16_IbLb1EEEEDaS12_S13_EUlS12_E_NS1_11comp_targetILNS1_3genE2ELNS1_11target_archE906ELNS1_3gpuE6ELNS1_3repE0EEENS1_30default_config_static_selectorELNS0_4arch9wavefront6targetE0EEEvT1_,@function
_ZN7rocprim17ROCPRIM_400000_NS6detail17trampoline_kernelINS0_14default_configENS1_25partition_config_selectorILNS1_17partition_subalgoE8EtNS0_10empty_typeEbEEZZNS1_14partition_implILS5_8ELb0ES3_jPKtPS6_PKS6_NS0_5tupleIJPtS6_EEENSE_IJSB_SB_EEENS0_18inequality_wrapperIN6hipcub16HIPCUB_304000_NS8EqualityEEEPlJS6_EEE10hipError_tPvRmT3_T4_T5_T6_T7_T9_mT8_P12ihipStream_tbDpT10_ENKUlT_T0_E_clISt17integral_constantIbLb0EES16_IbLb1EEEEDaS12_S13_EUlS12_E_NS1_11comp_targetILNS1_3genE2ELNS1_11target_archE906ELNS1_3gpuE6ELNS1_3repE0EEENS1_30default_config_static_selectorELNS0_4arch9wavefront6targetE0EEEvT1_: ; @_ZN7rocprim17ROCPRIM_400000_NS6detail17trampoline_kernelINS0_14default_configENS1_25partition_config_selectorILNS1_17partition_subalgoE8EtNS0_10empty_typeEbEEZZNS1_14partition_implILS5_8ELb0ES3_jPKtPS6_PKS6_NS0_5tupleIJPtS6_EEENSE_IJSB_SB_EEENS0_18inequality_wrapperIN6hipcub16HIPCUB_304000_NS8EqualityEEEPlJS6_EEE10hipError_tPvRmT3_T4_T5_T6_T7_T9_mT8_P12ihipStream_tbDpT10_ENKUlT_T0_E_clISt17integral_constantIbLb0EES16_IbLb1EEEEDaS12_S13_EUlS12_E_NS1_11comp_targetILNS1_3genE2ELNS1_11target_archE906ELNS1_3gpuE6ELNS1_3repE0EEENS1_30default_config_static_selectorELNS0_4arch9wavefront6targetE0EEEvT1_
; %bb.0:
	.section	.rodata,"a",@progbits
	.p2align	6, 0x0
	.amdhsa_kernel _ZN7rocprim17ROCPRIM_400000_NS6detail17trampoline_kernelINS0_14default_configENS1_25partition_config_selectorILNS1_17partition_subalgoE8EtNS0_10empty_typeEbEEZZNS1_14partition_implILS5_8ELb0ES3_jPKtPS6_PKS6_NS0_5tupleIJPtS6_EEENSE_IJSB_SB_EEENS0_18inequality_wrapperIN6hipcub16HIPCUB_304000_NS8EqualityEEEPlJS6_EEE10hipError_tPvRmT3_T4_T5_T6_T7_T9_mT8_P12ihipStream_tbDpT10_ENKUlT_T0_E_clISt17integral_constantIbLb0EES16_IbLb1EEEEDaS12_S13_EUlS12_E_NS1_11comp_targetILNS1_3genE2ELNS1_11target_archE906ELNS1_3gpuE6ELNS1_3repE0EEENS1_30default_config_static_selectorELNS0_4arch9wavefront6targetE0EEEvT1_
		.amdhsa_group_segment_fixed_size 0
		.amdhsa_private_segment_fixed_size 0
		.amdhsa_kernarg_size 128
		.amdhsa_user_sgpr_count 2
		.amdhsa_user_sgpr_dispatch_ptr 0
		.amdhsa_user_sgpr_queue_ptr 0
		.amdhsa_user_sgpr_kernarg_segment_ptr 1
		.amdhsa_user_sgpr_dispatch_id 0
		.amdhsa_user_sgpr_kernarg_preload_length 0
		.amdhsa_user_sgpr_kernarg_preload_offset 0
		.amdhsa_user_sgpr_private_segment_size 0
		.amdhsa_wavefront_size32 1
		.amdhsa_uses_dynamic_stack 0
		.amdhsa_enable_private_segment 0
		.amdhsa_system_sgpr_workgroup_id_x 1
		.amdhsa_system_sgpr_workgroup_id_y 0
		.amdhsa_system_sgpr_workgroup_id_z 0
		.amdhsa_system_sgpr_workgroup_info 0
		.amdhsa_system_vgpr_workitem_id 0
		.amdhsa_next_free_vgpr 1
		.amdhsa_next_free_sgpr 1
		.amdhsa_named_barrier_count 0
		.amdhsa_reserve_vcc 0
		.amdhsa_float_round_mode_32 0
		.amdhsa_float_round_mode_16_64 0
		.amdhsa_float_denorm_mode_32 3
		.amdhsa_float_denorm_mode_16_64 3
		.amdhsa_fp16_overflow 0
		.amdhsa_memory_ordered 1
		.amdhsa_forward_progress 1
		.amdhsa_inst_pref_size 0
		.amdhsa_round_robin_scheduling 0
		.amdhsa_exception_fp_ieee_invalid_op 0
		.amdhsa_exception_fp_denorm_src 0
		.amdhsa_exception_fp_ieee_div_zero 0
		.amdhsa_exception_fp_ieee_overflow 0
		.amdhsa_exception_fp_ieee_underflow 0
		.amdhsa_exception_fp_ieee_inexact 0
		.amdhsa_exception_int_div_zero 0
	.end_amdhsa_kernel
	.section	.text._ZN7rocprim17ROCPRIM_400000_NS6detail17trampoline_kernelINS0_14default_configENS1_25partition_config_selectorILNS1_17partition_subalgoE8EtNS0_10empty_typeEbEEZZNS1_14partition_implILS5_8ELb0ES3_jPKtPS6_PKS6_NS0_5tupleIJPtS6_EEENSE_IJSB_SB_EEENS0_18inequality_wrapperIN6hipcub16HIPCUB_304000_NS8EqualityEEEPlJS6_EEE10hipError_tPvRmT3_T4_T5_T6_T7_T9_mT8_P12ihipStream_tbDpT10_ENKUlT_T0_E_clISt17integral_constantIbLb0EES16_IbLb1EEEEDaS12_S13_EUlS12_E_NS1_11comp_targetILNS1_3genE2ELNS1_11target_archE906ELNS1_3gpuE6ELNS1_3repE0EEENS1_30default_config_static_selectorELNS0_4arch9wavefront6targetE0EEEvT1_,"axG",@progbits,_ZN7rocprim17ROCPRIM_400000_NS6detail17trampoline_kernelINS0_14default_configENS1_25partition_config_selectorILNS1_17partition_subalgoE8EtNS0_10empty_typeEbEEZZNS1_14partition_implILS5_8ELb0ES3_jPKtPS6_PKS6_NS0_5tupleIJPtS6_EEENSE_IJSB_SB_EEENS0_18inequality_wrapperIN6hipcub16HIPCUB_304000_NS8EqualityEEEPlJS6_EEE10hipError_tPvRmT3_T4_T5_T6_T7_T9_mT8_P12ihipStream_tbDpT10_ENKUlT_T0_E_clISt17integral_constantIbLb0EES16_IbLb1EEEEDaS12_S13_EUlS12_E_NS1_11comp_targetILNS1_3genE2ELNS1_11target_archE906ELNS1_3gpuE6ELNS1_3repE0EEENS1_30default_config_static_selectorELNS0_4arch9wavefront6targetE0EEEvT1_,comdat
.Lfunc_end783:
	.size	_ZN7rocprim17ROCPRIM_400000_NS6detail17trampoline_kernelINS0_14default_configENS1_25partition_config_selectorILNS1_17partition_subalgoE8EtNS0_10empty_typeEbEEZZNS1_14partition_implILS5_8ELb0ES3_jPKtPS6_PKS6_NS0_5tupleIJPtS6_EEENSE_IJSB_SB_EEENS0_18inequality_wrapperIN6hipcub16HIPCUB_304000_NS8EqualityEEEPlJS6_EEE10hipError_tPvRmT3_T4_T5_T6_T7_T9_mT8_P12ihipStream_tbDpT10_ENKUlT_T0_E_clISt17integral_constantIbLb0EES16_IbLb1EEEEDaS12_S13_EUlS12_E_NS1_11comp_targetILNS1_3genE2ELNS1_11target_archE906ELNS1_3gpuE6ELNS1_3repE0EEENS1_30default_config_static_selectorELNS0_4arch9wavefront6targetE0EEEvT1_, .Lfunc_end783-_ZN7rocprim17ROCPRIM_400000_NS6detail17trampoline_kernelINS0_14default_configENS1_25partition_config_selectorILNS1_17partition_subalgoE8EtNS0_10empty_typeEbEEZZNS1_14partition_implILS5_8ELb0ES3_jPKtPS6_PKS6_NS0_5tupleIJPtS6_EEENSE_IJSB_SB_EEENS0_18inequality_wrapperIN6hipcub16HIPCUB_304000_NS8EqualityEEEPlJS6_EEE10hipError_tPvRmT3_T4_T5_T6_T7_T9_mT8_P12ihipStream_tbDpT10_ENKUlT_T0_E_clISt17integral_constantIbLb0EES16_IbLb1EEEEDaS12_S13_EUlS12_E_NS1_11comp_targetILNS1_3genE2ELNS1_11target_archE906ELNS1_3gpuE6ELNS1_3repE0EEENS1_30default_config_static_selectorELNS0_4arch9wavefront6targetE0EEEvT1_
                                        ; -- End function
	.set _ZN7rocprim17ROCPRIM_400000_NS6detail17trampoline_kernelINS0_14default_configENS1_25partition_config_selectorILNS1_17partition_subalgoE8EtNS0_10empty_typeEbEEZZNS1_14partition_implILS5_8ELb0ES3_jPKtPS6_PKS6_NS0_5tupleIJPtS6_EEENSE_IJSB_SB_EEENS0_18inequality_wrapperIN6hipcub16HIPCUB_304000_NS8EqualityEEEPlJS6_EEE10hipError_tPvRmT3_T4_T5_T6_T7_T9_mT8_P12ihipStream_tbDpT10_ENKUlT_T0_E_clISt17integral_constantIbLb0EES16_IbLb1EEEEDaS12_S13_EUlS12_E_NS1_11comp_targetILNS1_3genE2ELNS1_11target_archE906ELNS1_3gpuE6ELNS1_3repE0EEENS1_30default_config_static_selectorELNS0_4arch9wavefront6targetE0EEEvT1_.num_vgpr, 0
	.set _ZN7rocprim17ROCPRIM_400000_NS6detail17trampoline_kernelINS0_14default_configENS1_25partition_config_selectorILNS1_17partition_subalgoE8EtNS0_10empty_typeEbEEZZNS1_14partition_implILS5_8ELb0ES3_jPKtPS6_PKS6_NS0_5tupleIJPtS6_EEENSE_IJSB_SB_EEENS0_18inequality_wrapperIN6hipcub16HIPCUB_304000_NS8EqualityEEEPlJS6_EEE10hipError_tPvRmT3_T4_T5_T6_T7_T9_mT8_P12ihipStream_tbDpT10_ENKUlT_T0_E_clISt17integral_constantIbLb0EES16_IbLb1EEEEDaS12_S13_EUlS12_E_NS1_11comp_targetILNS1_3genE2ELNS1_11target_archE906ELNS1_3gpuE6ELNS1_3repE0EEENS1_30default_config_static_selectorELNS0_4arch9wavefront6targetE0EEEvT1_.num_agpr, 0
	.set _ZN7rocprim17ROCPRIM_400000_NS6detail17trampoline_kernelINS0_14default_configENS1_25partition_config_selectorILNS1_17partition_subalgoE8EtNS0_10empty_typeEbEEZZNS1_14partition_implILS5_8ELb0ES3_jPKtPS6_PKS6_NS0_5tupleIJPtS6_EEENSE_IJSB_SB_EEENS0_18inequality_wrapperIN6hipcub16HIPCUB_304000_NS8EqualityEEEPlJS6_EEE10hipError_tPvRmT3_T4_T5_T6_T7_T9_mT8_P12ihipStream_tbDpT10_ENKUlT_T0_E_clISt17integral_constantIbLb0EES16_IbLb1EEEEDaS12_S13_EUlS12_E_NS1_11comp_targetILNS1_3genE2ELNS1_11target_archE906ELNS1_3gpuE6ELNS1_3repE0EEENS1_30default_config_static_selectorELNS0_4arch9wavefront6targetE0EEEvT1_.numbered_sgpr, 0
	.set _ZN7rocprim17ROCPRIM_400000_NS6detail17trampoline_kernelINS0_14default_configENS1_25partition_config_selectorILNS1_17partition_subalgoE8EtNS0_10empty_typeEbEEZZNS1_14partition_implILS5_8ELb0ES3_jPKtPS6_PKS6_NS0_5tupleIJPtS6_EEENSE_IJSB_SB_EEENS0_18inequality_wrapperIN6hipcub16HIPCUB_304000_NS8EqualityEEEPlJS6_EEE10hipError_tPvRmT3_T4_T5_T6_T7_T9_mT8_P12ihipStream_tbDpT10_ENKUlT_T0_E_clISt17integral_constantIbLb0EES16_IbLb1EEEEDaS12_S13_EUlS12_E_NS1_11comp_targetILNS1_3genE2ELNS1_11target_archE906ELNS1_3gpuE6ELNS1_3repE0EEENS1_30default_config_static_selectorELNS0_4arch9wavefront6targetE0EEEvT1_.num_named_barrier, 0
	.set _ZN7rocprim17ROCPRIM_400000_NS6detail17trampoline_kernelINS0_14default_configENS1_25partition_config_selectorILNS1_17partition_subalgoE8EtNS0_10empty_typeEbEEZZNS1_14partition_implILS5_8ELb0ES3_jPKtPS6_PKS6_NS0_5tupleIJPtS6_EEENSE_IJSB_SB_EEENS0_18inequality_wrapperIN6hipcub16HIPCUB_304000_NS8EqualityEEEPlJS6_EEE10hipError_tPvRmT3_T4_T5_T6_T7_T9_mT8_P12ihipStream_tbDpT10_ENKUlT_T0_E_clISt17integral_constantIbLb0EES16_IbLb1EEEEDaS12_S13_EUlS12_E_NS1_11comp_targetILNS1_3genE2ELNS1_11target_archE906ELNS1_3gpuE6ELNS1_3repE0EEENS1_30default_config_static_selectorELNS0_4arch9wavefront6targetE0EEEvT1_.private_seg_size, 0
	.set _ZN7rocprim17ROCPRIM_400000_NS6detail17trampoline_kernelINS0_14default_configENS1_25partition_config_selectorILNS1_17partition_subalgoE8EtNS0_10empty_typeEbEEZZNS1_14partition_implILS5_8ELb0ES3_jPKtPS6_PKS6_NS0_5tupleIJPtS6_EEENSE_IJSB_SB_EEENS0_18inequality_wrapperIN6hipcub16HIPCUB_304000_NS8EqualityEEEPlJS6_EEE10hipError_tPvRmT3_T4_T5_T6_T7_T9_mT8_P12ihipStream_tbDpT10_ENKUlT_T0_E_clISt17integral_constantIbLb0EES16_IbLb1EEEEDaS12_S13_EUlS12_E_NS1_11comp_targetILNS1_3genE2ELNS1_11target_archE906ELNS1_3gpuE6ELNS1_3repE0EEENS1_30default_config_static_selectorELNS0_4arch9wavefront6targetE0EEEvT1_.uses_vcc, 0
	.set _ZN7rocprim17ROCPRIM_400000_NS6detail17trampoline_kernelINS0_14default_configENS1_25partition_config_selectorILNS1_17partition_subalgoE8EtNS0_10empty_typeEbEEZZNS1_14partition_implILS5_8ELb0ES3_jPKtPS6_PKS6_NS0_5tupleIJPtS6_EEENSE_IJSB_SB_EEENS0_18inequality_wrapperIN6hipcub16HIPCUB_304000_NS8EqualityEEEPlJS6_EEE10hipError_tPvRmT3_T4_T5_T6_T7_T9_mT8_P12ihipStream_tbDpT10_ENKUlT_T0_E_clISt17integral_constantIbLb0EES16_IbLb1EEEEDaS12_S13_EUlS12_E_NS1_11comp_targetILNS1_3genE2ELNS1_11target_archE906ELNS1_3gpuE6ELNS1_3repE0EEENS1_30default_config_static_selectorELNS0_4arch9wavefront6targetE0EEEvT1_.uses_flat_scratch, 0
	.set _ZN7rocprim17ROCPRIM_400000_NS6detail17trampoline_kernelINS0_14default_configENS1_25partition_config_selectorILNS1_17partition_subalgoE8EtNS0_10empty_typeEbEEZZNS1_14partition_implILS5_8ELb0ES3_jPKtPS6_PKS6_NS0_5tupleIJPtS6_EEENSE_IJSB_SB_EEENS0_18inequality_wrapperIN6hipcub16HIPCUB_304000_NS8EqualityEEEPlJS6_EEE10hipError_tPvRmT3_T4_T5_T6_T7_T9_mT8_P12ihipStream_tbDpT10_ENKUlT_T0_E_clISt17integral_constantIbLb0EES16_IbLb1EEEEDaS12_S13_EUlS12_E_NS1_11comp_targetILNS1_3genE2ELNS1_11target_archE906ELNS1_3gpuE6ELNS1_3repE0EEENS1_30default_config_static_selectorELNS0_4arch9wavefront6targetE0EEEvT1_.has_dyn_sized_stack, 0
	.set _ZN7rocprim17ROCPRIM_400000_NS6detail17trampoline_kernelINS0_14default_configENS1_25partition_config_selectorILNS1_17partition_subalgoE8EtNS0_10empty_typeEbEEZZNS1_14partition_implILS5_8ELb0ES3_jPKtPS6_PKS6_NS0_5tupleIJPtS6_EEENSE_IJSB_SB_EEENS0_18inequality_wrapperIN6hipcub16HIPCUB_304000_NS8EqualityEEEPlJS6_EEE10hipError_tPvRmT3_T4_T5_T6_T7_T9_mT8_P12ihipStream_tbDpT10_ENKUlT_T0_E_clISt17integral_constantIbLb0EES16_IbLb1EEEEDaS12_S13_EUlS12_E_NS1_11comp_targetILNS1_3genE2ELNS1_11target_archE906ELNS1_3gpuE6ELNS1_3repE0EEENS1_30default_config_static_selectorELNS0_4arch9wavefront6targetE0EEEvT1_.has_recursion, 0
	.set _ZN7rocprim17ROCPRIM_400000_NS6detail17trampoline_kernelINS0_14default_configENS1_25partition_config_selectorILNS1_17partition_subalgoE8EtNS0_10empty_typeEbEEZZNS1_14partition_implILS5_8ELb0ES3_jPKtPS6_PKS6_NS0_5tupleIJPtS6_EEENSE_IJSB_SB_EEENS0_18inequality_wrapperIN6hipcub16HIPCUB_304000_NS8EqualityEEEPlJS6_EEE10hipError_tPvRmT3_T4_T5_T6_T7_T9_mT8_P12ihipStream_tbDpT10_ENKUlT_T0_E_clISt17integral_constantIbLb0EES16_IbLb1EEEEDaS12_S13_EUlS12_E_NS1_11comp_targetILNS1_3genE2ELNS1_11target_archE906ELNS1_3gpuE6ELNS1_3repE0EEENS1_30default_config_static_selectorELNS0_4arch9wavefront6targetE0EEEvT1_.has_indirect_call, 0
	.section	.AMDGPU.csdata,"",@progbits
; Kernel info:
; codeLenInByte = 0
; TotalNumSgprs: 0
; NumVgprs: 0
; ScratchSize: 0
; MemoryBound: 0
; FloatMode: 240
; IeeeMode: 1
; LDSByteSize: 0 bytes/workgroup (compile time only)
; SGPRBlocks: 0
; VGPRBlocks: 0
; NumSGPRsForWavesPerEU: 1
; NumVGPRsForWavesPerEU: 1
; NamedBarCnt: 0
; Occupancy: 16
; WaveLimiterHint : 0
; COMPUTE_PGM_RSRC2:SCRATCH_EN: 0
; COMPUTE_PGM_RSRC2:USER_SGPR: 2
; COMPUTE_PGM_RSRC2:TRAP_HANDLER: 0
; COMPUTE_PGM_RSRC2:TGID_X_EN: 1
; COMPUTE_PGM_RSRC2:TGID_Y_EN: 0
; COMPUTE_PGM_RSRC2:TGID_Z_EN: 0
; COMPUTE_PGM_RSRC2:TIDIG_COMP_CNT: 0
	.section	.text._ZN7rocprim17ROCPRIM_400000_NS6detail17trampoline_kernelINS0_14default_configENS1_25partition_config_selectorILNS1_17partition_subalgoE8EtNS0_10empty_typeEbEEZZNS1_14partition_implILS5_8ELb0ES3_jPKtPS6_PKS6_NS0_5tupleIJPtS6_EEENSE_IJSB_SB_EEENS0_18inequality_wrapperIN6hipcub16HIPCUB_304000_NS8EqualityEEEPlJS6_EEE10hipError_tPvRmT3_T4_T5_T6_T7_T9_mT8_P12ihipStream_tbDpT10_ENKUlT_T0_E_clISt17integral_constantIbLb0EES16_IbLb1EEEEDaS12_S13_EUlS12_E_NS1_11comp_targetILNS1_3genE10ELNS1_11target_archE1200ELNS1_3gpuE4ELNS1_3repE0EEENS1_30default_config_static_selectorELNS0_4arch9wavefront6targetE0EEEvT1_,"axG",@progbits,_ZN7rocprim17ROCPRIM_400000_NS6detail17trampoline_kernelINS0_14default_configENS1_25partition_config_selectorILNS1_17partition_subalgoE8EtNS0_10empty_typeEbEEZZNS1_14partition_implILS5_8ELb0ES3_jPKtPS6_PKS6_NS0_5tupleIJPtS6_EEENSE_IJSB_SB_EEENS0_18inequality_wrapperIN6hipcub16HIPCUB_304000_NS8EqualityEEEPlJS6_EEE10hipError_tPvRmT3_T4_T5_T6_T7_T9_mT8_P12ihipStream_tbDpT10_ENKUlT_T0_E_clISt17integral_constantIbLb0EES16_IbLb1EEEEDaS12_S13_EUlS12_E_NS1_11comp_targetILNS1_3genE10ELNS1_11target_archE1200ELNS1_3gpuE4ELNS1_3repE0EEENS1_30default_config_static_selectorELNS0_4arch9wavefront6targetE0EEEvT1_,comdat
	.protected	_ZN7rocprim17ROCPRIM_400000_NS6detail17trampoline_kernelINS0_14default_configENS1_25partition_config_selectorILNS1_17partition_subalgoE8EtNS0_10empty_typeEbEEZZNS1_14partition_implILS5_8ELb0ES3_jPKtPS6_PKS6_NS0_5tupleIJPtS6_EEENSE_IJSB_SB_EEENS0_18inequality_wrapperIN6hipcub16HIPCUB_304000_NS8EqualityEEEPlJS6_EEE10hipError_tPvRmT3_T4_T5_T6_T7_T9_mT8_P12ihipStream_tbDpT10_ENKUlT_T0_E_clISt17integral_constantIbLb0EES16_IbLb1EEEEDaS12_S13_EUlS12_E_NS1_11comp_targetILNS1_3genE10ELNS1_11target_archE1200ELNS1_3gpuE4ELNS1_3repE0EEENS1_30default_config_static_selectorELNS0_4arch9wavefront6targetE0EEEvT1_ ; -- Begin function _ZN7rocprim17ROCPRIM_400000_NS6detail17trampoline_kernelINS0_14default_configENS1_25partition_config_selectorILNS1_17partition_subalgoE8EtNS0_10empty_typeEbEEZZNS1_14partition_implILS5_8ELb0ES3_jPKtPS6_PKS6_NS0_5tupleIJPtS6_EEENSE_IJSB_SB_EEENS0_18inequality_wrapperIN6hipcub16HIPCUB_304000_NS8EqualityEEEPlJS6_EEE10hipError_tPvRmT3_T4_T5_T6_T7_T9_mT8_P12ihipStream_tbDpT10_ENKUlT_T0_E_clISt17integral_constantIbLb0EES16_IbLb1EEEEDaS12_S13_EUlS12_E_NS1_11comp_targetILNS1_3genE10ELNS1_11target_archE1200ELNS1_3gpuE4ELNS1_3repE0EEENS1_30default_config_static_selectorELNS0_4arch9wavefront6targetE0EEEvT1_
	.globl	_ZN7rocprim17ROCPRIM_400000_NS6detail17trampoline_kernelINS0_14default_configENS1_25partition_config_selectorILNS1_17partition_subalgoE8EtNS0_10empty_typeEbEEZZNS1_14partition_implILS5_8ELb0ES3_jPKtPS6_PKS6_NS0_5tupleIJPtS6_EEENSE_IJSB_SB_EEENS0_18inequality_wrapperIN6hipcub16HIPCUB_304000_NS8EqualityEEEPlJS6_EEE10hipError_tPvRmT3_T4_T5_T6_T7_T9_mT8_P12ihipStream_tbDpT10_ENKUlT_T0_E_clISt17integral_constantIbLb0EES16_IbLb1EEEEDaS12_S13_EUlS12_E_NS1_11comp_targetILNS1_3genE10ELNS1_11target_archE1200ELNS1_3gpuE4ELNS1_3repE0EEENS1_30default_config_static_selectorELNS0_4arch9wavefront6targetE0EEEvT1_
	.p2align	8
	.type	_ZN7rocprim17ROCPRIM_400000_NS6detail17trampoline_kernelINS0_14default_configENS1_25partition_config_selectorILNS1_17partition_subalgoE8EtNS0_10empty_typeEbEEZZNS1_14partition_implILS5_8ELb0ES3_jPKtPS6_PKS6_NS0_5tupleIJPtS6_EEENSE_IJSB_SB_EEENS0_18inequality_wrapperIN6hipcub16HIPCUB_304000_NS8EqualityEEEPlJS6_EEE10hipError_tPvRmT3_T4_T5_T6_T7_T9_mT8_P12ihipStream_tbDpT10_ENKUlT_T0_E_clISt17integral_constantIbLb0EES16_IbLb1EEEEDaS12_S13_EUlS12_E_NS1_11comp_targetILNS1_3genE10ELNS1_11target_archE1200ELNS1_3gpuE4ELNS1_3repE0EEENS1_30default_config_static_selectorELNS0_4arch9wavefront6targetE0EEEvT1_,@function
_ZN7rocprim17ROCPRIM_400000_NS6detail17trampoline_kernelINS0_14default_configENS1_25partition_config_selectorILNS1_17partition_subalgoE8EtNS0_10empty_typeEbEEZZNS1_14partition_implILS5_8ELb0ES3_jPKtPS6_PKS6_NS0_5tupleIJPtS6_EEENSE_IJSB_SB_EEENS0_18inequality_wrapperIN6hipcub16HIPCUB_304000_NS8EqualityEEEPlJS6_EEE10hipError_tPvRmT3_T4_T5_T6_T7_T9_mT8_P12ihipStream_tbDpT10_ENKUlT_T0_E_clISt17integral_constantIbLb0EES16_IbLb1EEEEDaS12_S13_EUlS12_E_NS1_11comp_targetILNS1_3genE10ELNS1_11target_archE1200ELNS1_3gpuE4ELNS1_3repE0EEENS1_30default_config_static_selectorELNS0_4arch9wavefront6targetE0EEEvT1_: ; @_ZN7rocprim17ROCPRIM_400000_NS6detail17trampoline_kernelINS0_14default_configENS1_25partition_config_selectorILNS1_17partition_subalgoE8EtNS0_10empty_typeEbEEZZNS1_14partition_implILS5_8ELb0ES3_jPKtPS6_PKS6_NS0_5tupleIJPtS6_EEENSE_IJSB_SB_EEENS0_18inequality_wrapperIN6hipcub16HIPCUB_304000_NS8EqualityEEEPlJS6_EEE10hipError_tPvRmT3_T4_T5_T6_T7_T9_mT8_P12ihipStream_tbDpT10_ENKUlT_T0_E_clISt17integral_constantIbLb0EES16_IbLb1EEEEDaS12_S13_EUlS12_E_NS1_11comp_targetILNS1_3genE10ELNS1_11target_archE1200ELNS1_3gpuE4ELNS1_3repE0EEENS1_30default_config_static_selectorELNS0_4arch9wavefront6targetE0EEEvT1_
; %bb.0:
	.section	.rodata,"a",@progbits
	.p2align	6, 0x0
	.amdhsa_kernel _ZN7rocprim17ROCPRIM_400000_NS6detail17trampoline_kernelINS0_14default_configENS1_25partition_config_selectorILNS1_17partition_subalgoE8EtNS0_10empty_typeEbEEZZNS1_14partition_implILS5_8ELb0ES3_jPKtPS6_PKS6_NS0_5tupleIJPtS6_EEENSE_IJSB_SB_EEENS0_18inequality_wrapperIN6hipcub16HIPCUB_304000_NS8EqualityEEEPlJS6_EEE10hipError_tPvRmT3_T4_T5_T6_T7_T9_mT8_P12ihipStream_tbDpT10_ENKUlT_T0_E_clISt17integral_constantIbLb0EES16_IbLb1EEEEDaS12_S13_EUlS12_E_NS1_11comp_targetILNS1_3genE10ELNS1_11target_archE1200ELNS1_3gpuE4ELNS1_3repE0EEENS1_30default_config_static_selectorELNS0_4arch9wavefront6targetE0EEEvT1_
		.amdhsa_group_segment_fixed_size 0
		.amdhsa_private_segment_fixed_size 0
		.amdhsa_kernarg_size 128
		.amdhsa_user_sgpr_count 2
		.amdhsa_user_sgpr_dispatch_ptr 0
		.amdhsa_user_sgpr_queue_ptr 0
		.amdhsa_user_sgpr_kernarg_segment_ptr 1
		.amdhsa_user_sgpr_dispatch_id 0
		.amdhsa_user_sgpr_kernarg_preload_length 0
		.amdhsa_user_sgpr_kernarg_preload_offset 0
		.amdhsa_user_sgpr_private_segment_size 0
		.amdhsa_wavefront_size32 1
		.amdhsa_uses_dynamic_stack 0
		.amdhsa_enable_private_segment 0
		.amdhsa_system_sgpr_workgroup_id_x 1
		.amdhsa_system_sgpr_workgroup_id_y 0
		.amdhsa_system_sgpr_workgroup_id_z 0
		.amdhsa_system_sgpr_workgroup_info 0
		.amdhsa_system_vgpr_workitem_id 0
		.amdhsa_next_free_vgpr 1
		.amdhsa_next_free_sgpr 1
		.amdhsa_named_barrier_count 0
		.amdhsa_reserve_vcc 0
		.amdhsa_float_round_mode_32 0
		.amdhsa_float_round_mode_16_64 0
		.amdhsa_float_denorm_mode_32 3
		.amdhsa_float_denorm_mode_16_64 3
		.amdhsa_fp16_overflow 0
		.amdhsa_memory_ordered 1
		.amdhsa_forward_progress 1
		.amdhsa_inst_pref_size 0
		.amdhsa_round_robin_scheduling 0
		.amdhsa_exception_fp_ieee_invalid_op 0
		.amdhsa_exception_fp_denorm_src 0
		.amdhsa_exception_fp_ieee_div_zero 0
		.amdhsa_exception_fp_ieee_overflow 0
		.amdhsa_exception_fp_ieee_underflow 0
		.amdhsa_exception_fp_ieee_inexact 0
		.amdhsa_exception_int_div_zero 0
	.end_amdhsa_kernel
	.section	.text._ZN7rocprim17ROCPRIM_400000_NS6detail17trampoline_kernelINS0_14default_configENS1_25partition_config_selectorILNS1_17partition_subalgoE8EtNS0_10empty_typeEbEEZZNS1_14partition_implILS5_8ELb0ES3_jPKtPS6_PKS6_NS0_5tupleIJPtS6_EEENSE_IJSB_SB_EEENS0_18inequality_wrapperIN6hipcub16HIPCUB_304000_NS8EqualityEEEPlJS6_EEE10hipError_tPvRmT3_T4_T5_T6_T7_T9_mT8_P12ihipStream_tbDpT10_ENKUlT_T0_E_clISt17integral_constantIbLb0EES16_IbLb1EEEEDaS12_S13_EUlS12_E_NS1_11comp_targetILNS1_3genE10ELNS1_11target_archE1200ELNS1_3gpuE4ELNS1_3repE0EEENS1_30default_config_static_selectorELNS0_4arch9wavefront6targetE0EEEvT1_,"axG",@progbits,_ZN7rocprim17ROCPRIM_400000_NS6detail17trampoline_kernelINS0_14default_configENS1_25partition_config_selectorILNS1_17partition_subalgoE8EtNS0_10empty_typeEbEEZZNS1_14partition_implILS5_8ELb0ES3_jPKtPS6_PKS6_NS0_5tupleIJPtS6_EEENSE_IJSB_SB_EEENS0_18inequality_wrapperIN6hipcub16HIPCUB_304000_NS8EqualityEEEPlJS6_EEE10hipError_tPvRmT3_T4_T5_T6_T7_T9_mT8_P12ihipStream_tbDpT10_ENKUlT_T0_E_clISt17integral_constantIbLb0EES16_IbLb1EEEEDaS12_S13_EUlS12_E_NS1_11comp_targetILNS1_3genE10ELNS1_11target_archE1200ELNS1_3gpuE4ELNS1_3repE0EEENS1_30default_config_static_selectorELNS0_4arch9wavefront6targetE0EEEvT1_,comdat
.Lfunc_end784:
	.size	_ZN7rocprim17ROCPRIM_400000_NS6detail17trampoline_kernelINS0_14default_configENS1_25partition_config_selectorILNS1_17partition_subalgoE8EtNS0_10empty_typeEbEEZZNS1_14partition_implILS5_8ELb0ES3_jPKtPS6_PKS6_NS0_5tupleIJPtS6_EEENSE_IJSB_SB_EEENS0_18inequality_wrapperIN6hipcub16HIPCUB_304000_NS8EqualityEEEPlJS6_EEE10hipError_tPvRmT3_T4_T5_T6_T7_T9_mT8_P12ihipStream_tbDpT10_ENKUlT_T0_E_clISt17integral_constantIbLb0EES16_IbLb1EEEEDaS12_S13_EUlS12_E_NS1_11comp_targetILNS1_3genE10ELNS1_11target_archE1200ELNS1_3gpuE4ELNS1_3repE0EEENS1_30default_config_static_selectorELNS0_4arch9wavefront6targetE0EEEvT1_, .Lfunc_end784-_ZN7rocprim17ROCPRIM_400000_NS6detail17trampoline_kernelINS0_14default_configENS1_25partition_config_selectorILNS1_17partition_subalgoE8EtNS0_10empty_typeEbEEZZNS1_14partition_implILS5_8ELb0ES3_jPKtPS6_PKS6_NS0_5tupleIJPtS6_EEENSE_IJSB_SB_EEENS0_18inequality_wrapperIN6hipcub16HIPCUB_304000_NS8EqualityEEEPlJS6_EEE10hipError_tPvRmT3_T4_T5_T6_T7_T9_mT8_P12ihipStream_tbDpT10_ENKUlT_T0_E_clISt17integral_constantIbLb0EES16_IbLb1EEEEDaS12_S13_EUlS12_E_NS1_11comp_targetILNS1_3genE10ELNS1_11target_archE1200ELNS1_3gpuE4ELNS1_3repE0EEENS1_30default_config_static_selectorELNS0_4arch9wavefront6targetE0EEEvT1_
                                        ; -- End function
	.set _ZN7rocprim17ROCPRIM_400000_NS6detail17trampoline_kernelINS0_14default_configENS1_25partition_config_selectorILNS1_17partition_subalgoE8EtNS0_10empty_typeEbEEZZNS1_14partition_implILS5_8ELb0ES3_jPKtPS6_PKS6_NS0_5tupleIJPtS6_EEENSE_IJSB_SB_EEENS0_18inequality_wrapperIN6hipcub16HIPCUB_304000_NS8EqualityEEEPlJS6_EEE10hipError_tPvRmT3_T4_T5_T6_T7_T9_mT8_P12ihipStream_tbDpT10_ENKUlT_T0_E_clISt17integral_constantIbLb0EES16_IbLb1EEEEDaS12_S13_EUlS12_E_NS1_11comp_targetILNS1_3genE10ELNS1_11target_archE1200ELNS1_3gpuE4ELNS1_3repE0EEENS1_30default_config_static_selectorELNS0_4arch9wavefront6targetE0EEEvT1_.num_vgpr, 0
	.set _ZN7rocprim17ROCPRIM_400000_NS6detail17trampoline_kernelINS0_14default_configENS1_25partition_config_selectorILNS1_17partition_subalgoE8EtNS0_10empty_typeEbEEZZNS1_14partition_implILS5_8ELb0ES3_jPKtPS6_PKS6_NS0_5tupleIJPtS6_EEENSE_IJSB_SB_EEENS0_18inequality_wrapperIN6hipcub16HIPCUB_304000_NS8EqualityEEEPlJS6_EEE10hipError_tPvRmT3_T4_T5_T6_T7_T9_mT8_P12ihipStream_tbDpT10_ENKUlT_T0_E_clISt17integral_constantIbLb0EES16_IbLb1EEEEDaS12_S13_EUlS12_E_NS1_11comp_targetILNS1_3genE10ELNS1_11target_archE1200ELNS1_3gpuE4ELNS1_3repE0EEENS1_30default_config_static_selectorELNS0_4arch9wavefront6targetE0EEEvT1_.num_agpr, 0
	.set _ZN7rocprim17ROCPRIM_400000_NS6detail17trampoline_kernelINS0_14default_configENS1_25partition_config_selectorILNS1_17partition_subalgoE8EtNS0_10empty_typeEbEEZZNS1_14partition_implILS5_8ELb0ES3_jPKtPS6_PKS6_NS0_5tupleIJPtS6_EEENSE_IJSB_SB_EEENS0_18inequality_wrapperIN6hipcub16HIPCUB_304000_NS8EqualityEEEPlJS6_EEE10hipError_tPvRmT3_T4_T5_T6_T7_T9_mT8_P12ihipStream_tbDpT10_ENKUlT_T0_E_clISt17integral_constantIbLb0EES16_IbLb1EEEEDaS12_S13_EUlS12_E_NS1_11comp_targetILNS1_3genE10ELNS1_11target_archE1200ELNS1_3gpuE4ELNS1_3repE0EEENS1_30default_config_static_selectorELNS0_4arch9wavefront6targetE0EEEvT1_.numbered_sgpr, 0
	.set _ZN7rocprim17ROCPRIM_400000_NS6detail17trampoline_kernelINS0_14default_configENS1_25partition_config_selectorILNS1_17partition_subalgoE8EtNS0_10empty_typeEbEEZZNS1_14partition_implILS5_8ELb0ES3_jPKtPS6_PKS6_NS0_5tupleIJPtS6_EEENSE_IJSB_SB_EEENS0_18inequality_wrapperIN6hipcub16HIPCUB_304000_NS8EqualityEEEPlJS6_EEE10hipError_tPvRmT3_T4_T5_T6_T7_T9_mT8_P12ihipStream_tbDpT10_ENKUlT_T0_E_clISt17integral_constantIbLb0EES16_IbLb1EEEEDaS12_S13_EUlS12_E_NS1_11comp_targetILNS1_3genE10ELNS1_11target_archE1200ELNS1_3gpuE4ELNS1_3repE0EEENS1_30default_config_static_selectorELNS0_4arch9wavefront6targetE0EEEvT1_.num_named_barrier, 0
	.set _ZN7rocprim17ROCPRIM_400000_NS6detail17trampoline_kernelINS0_14default_configENS1_25partition_config_selectorILNS1_17partition_subalgoE8EtNS0_10empty_typeEbEEZZNS1_14partition_implILS5_8ELb0ES3_jPKtPS6_PKS6_NS0_5tupleIJPtS6_EEENSE_IJSB_SB_EEENS0_18inequality_wrapperIN6hipcub16HIPCUB_304000_NS8EqualityEEEPlJS6_EEE10hipError_tPvRmT3_T4_T5_T6_T7_T9_mT8_P12ihipStream_tbDpT10_ENKUlT_T0_E_clISt17integral_constantIbLb0EES16_IbLb1EEEEDaS12_S13_EUlS12_E_NS1_11comp_targetILNS1_3genE10ELNS1_11target_archE1200ELNS1_3gpuE4ELNS1_3repE0EEENS1_30default_config_static_selectorELNS0_4arch9wavefront6targetE0EEEvT1_.private_seg_size, 0
	.set _ZN7rocprim17ROCPRIM_400000_NS6detail17trampoline_kernelINS0_14default_configENS1_25partition_config_selectorILNS1_17partition_subalgoE8EtNS0_10empty_typeEbEEZZNS1_14partition_implILS5_8ELb0ES3_jPKtPS6_PKS6_NS0_5tupleIJPtS6_EEENSE_IJSB_SB_EEENS0_18inequality_wrapperIN6hipcub16HIPCUB_304000_NS8EqualityEEEPlJS6_EEE10hipError_tPvRmT3_T4_T5_T6_T7_T9_mT8_P12ihipStream_tbDpT10_ENKUlT_T0_E_clISt17integral_constantIbLb0EES16_IbLb1EEEEDaS12_S13_EUlS12_E_NS1_11comp_targetILNS1_3genE10ELNS1_11target_archE1200ELNS1_3gpuE4ELNS1_3repE0EEENS1_30default_config_static_selectorELNS0_4arch9wavefront6targetE0EEEvT1_.uses_vcc, 0
	.set _ZN7rocprim17ROCPRIM_400000_NS6detail17trampoline_kernelINS0_14default_configENS1_25partition_config_selectorILNS1_17partition_subalgoE8EtNS0_10empty_typeEbEEZZNS1_14partition_implILS5_8ELb0ES3_jPKtPS6_PKS6_NS0_5tupleIJPtS6_EEENSE_IJSB_SB_EEENS0_18inequality_wrapperIN6hipcub16HIPCUB_304000_NS8EqualityEEEPlJS6_EEE10hipError_tPvRmT3_T4_T5_T6_T7_T9_mT8_P12ihipStream_tbDpT10_ENKUlT_T0_E_clISt17integral_constantIbLb0EES16_IbLb1EEEEDaS12_S13_EUlS12_E_NS1_11comp_targetILNS1_3genE10ELNS1_11target_archE1200ELNS1_3gpuE4ELNS1_3repE0EEENS1_30default_config_static_selectorELNS0_4arch9wavefront6targetE0EEEvT1_.uses_flat_scratch, 0
	.set _ZN7rocprim17ROCPRIM_400000_NS6detail17trampoline_kernelINS0_14default_configENS1_25partition_config_selectorILNS1_17partition_subalgoE8EtNS0_10empty_typeEbEEZZNS1_14partition_implILS5_8ELb0ES3_jPKtPS6_PKS6_NS0_5tupleIJPtS6_EEENSE_IJSB_SB_EEENS0_18inequality_wrapperIN6hipcub16HIPCUB_304000_NS8EqualityEEEPlJS6_EEE10hipError_tPvRmT3_T4_T5_T6_T7_T9_mT8_P12ihipStream_tbDpT10_ENKUlT_T0_E_clISt17integral_constantIbLb0EES16_IbLb1EEEEDaS12_S13_EUlS12_E_NS1_11comp_targetILNS1_3genE10ELNS1_11target_archE1200ELNS1_3gpuE4ELNS1_3repE0EEENS1_30default_config_static_selectorELNS0_4arch9wavefront6targetE0EEEvT1_.has_dyn_sized_stack, 0
	.set _ZN7rocprim17ROCPRIM_400000_NS6detail17trampoline_kernelINS0_14default_configENS1_25partition_config_selectorILNS1_17partition_subalgoE8EtNS0_10empty_typeEbEEZZNS1_14partition_implILS5_8ELb0ES3_jPKtPS6_PKS6_NS0_5tupleIJPtS6_EEENSE_IJSB_SB_EEENS0_18inequality_wrapperIN6hipcub16HIPCUB_304000_NS8EqualityEEEPlJS6_EEE10hipError_tPvRmT3_T4_T5_T6_T7_T9_mT8_P12ihipStream_tbDpT10_ENKUlT_T0_E_clISt17integral_constantIbLb0EES16_IbLb1EEEEDaS12_S13_EUlS12_E_NS1_11comp_targetILNS1_3genE10ELNS1_11target_archE1200ELNS1_3gpuE4ELNS1_3repE0EEENS1_30default_config_static_selectorELNS0_4arch9wavefront6targetE0EEEvT1_.has_recursion, 0
	.set _ZN7rocprim17ROCPRIM_400000_NS6detail17trampoline_kernelINS0_14default_configENS1_25partition_config_selectorILNS1_17partition_subalgoE8EtNS0_10empty_typeEbEEZZNS1_14partition_implILS5_8ELb0ES3_jPKtPS6_PKS6_NS0_5tupleIJPtS6_EEENSE_IJSB_SB_EEENS0_18inequality_wrapperIN6hipcub16HIPCUB_304000_NS8EqualityEEEPlJS6_EEE10hipError_tPvRmT3_T4_T5_T6_T7_T9_mT8_P12ihipStream_tbDpT10_ENKUlT_T0_E_clISt17integral_constantIbLb0EES16_IbLb1EEEEDaS12_S13_EUlS12_E_NS1_11comp_targetILNS1_3genE10ELNS1_11target_archE1200ELNS1_3gpuE4ELNS1_3repE0EEENS1_30default_config_static_selectorELNS0_4arch9wavefront6targetE0EEEvT1_.has_indirect_call, 0
	.section	.AMDGPU.csdata,"",@progbits
; Kernel info:
; codeLenInByte = 0
; TotalNumSgprs: 0
; NumVgprs: 0
; ScratchSize: 0
; MemoryBound: 0
; FloatMode: 240
; IeeeMode: 1
; LDSByteSize: 0 bytes/workgroup (compile time only)
; SGPRBlocks: 0
; VGPRBlocks: 0
; NumSGPRsForWavesPerEU: 1
; NumVGPRsForWavesPerEU: 1
; NamedBarCnt: 0
; Occupancy: 16
; WaveLimiterHint : 0
; COMPUTE_PGM_RSRC2:SCRATCH_EN: 0
; COMPUTE_PGM_RSRC2:USER_SGPR: 2
; COMPUTE_PGM_RSRC2:TRAP_HANDLER: 0
; COMPUTE_PGM_RSRC2:TGID_X_EN: 1
; COMPUTE_PGM_RSRC2:TGID_Y_EN: 0
; COMPUTE_PGM_RSRC2:TGID_Z_EN: 0
; COMPUTE_PGM_RSRC2:TIDIG_COMP_CNT: 0
	.section	.text._ZN7rocprim17ROCPRIM_400000_NS6detail17trampoline_kernelINS0_14default_configENS1_25partition_config_selectorILNS1_17partition_subalgoE8EtNS0_10empty_typeEbEEZZNS1_14partition_implILS5_8ELb0ES3_jPKtPS6_PKS6_NS0_5tupleIJPtS6_EEENSE_IJSB_SB_EEENS0_18inequality_wrapperIN6hipcub16HIPCUB_304000_NS8EqualityEEEPlJS6_EEE10hipError_tPvRmT3_T4_T5_T6_T7_T9_mT8_P12ihipStream_tbDpT10_ENKUlT_T0_E_clISt17integral_constantIbLb0EES16_IbLb1EEEEDaS12_S13_EUlS12_E_NS1_11comp_targetILNS1_3genE9ELNS1_11target_archE1100ELNS1_3gpuE3ELNS1_3repE0EEENS1_30default_config_static_selectorELNS0_4arch9wavefront6targetE0EEEvT1_,"axG",@progbits,_ZN7rocprim17ROCPRIM_400000_NS6detail17trampoline_kernelINS0_14default_configENS1_25partition_config_selectorILNS1_17partition_subalgoE8EtNS0_10empty_typeEbEEZZNS1_14partition_implILS5_8ELb0ES3_jPKtPS6_PKS6_NS0_5tupleIJPtS6_EEENSE_IJSB_SB_EEENS0_18inequality_wrapperIN6hipcub16HIPCUB_304000_NS8EqualityEEEPlJS6_EEE10hipError_tPvRmT3_T4_T5_T6_T7_T9_mT8_P12ihipStream_tbDpT10_ENKUlT_T0_E_clISt17integral_constantIbLb0EES16_IbLb1EEEEDaS12_S13_EUlS12_E_NS1_11comp_targetILNS1_3genE9ELNS1_11target_archE1100ELNS1_3gpuE3ELNS1_3repE0EEENS1_30default_config_static_selectorELNS0_4arch9wavefront6targetE0EEEvT1_,comdat
	.protected	_ZN7rocprim17ROCPRIM_400000_NS6detail17trampoline_kernelINS0_14default_configENS1_25partition_config_selectorILNS1_17partition_subalgoE8EtNS0_10empty_typeEbEEZZNS1_14partition_implILS5_8ELb0ES3_jPKtPS6_PKS6_NS0_5tupleIJPtS6_EEENSE_IJSB_SB_EEENS0_18inequality_wrapperIN6hipcub16HIPCUB_304000_NS8EqualityEEEPlJS6_EEE10hipError_tPvRmT3_T4_T5_T6_T7_T9_mT8_P12ihipStream_tbDpT10_ENKUlT_T0_E_clISt17integral_constantIbLb0EES16_IbLb1EEEEDaS12_S13_EUlS12_E_NS1_11comp_targetILNS1_3genE9ELNS1_11target_archE1100ELNS1_3gpuE3ELNS1_3repE0EEENS1_30default_config_static_selectorELNS0_4arch9wavefront6targetE0EEEvT1_ ; -- Begin function _ZN7rocprim17ROCPRIM_400000_NS6detail17trampoline_kernelINS0_14default_configENS1_25partition_config_selectorILNS1_17partition_subalgoE8EtNS0_10empty_typeEbEEZZNS1_14partition_implILS5_8ELb0ES3_jPKtPS6_PKS6_NS0_5tupleIJPtS6_EEENSE_IJSB_SB_EEENS0_18inequality_wrapperIN6hipcub16HIPCUB_304000_NS8EqualityEEEPlJS6_EEE10hipError_tPvRmT3_T4_T5_T6_T7_T9_mT8_P12ihipStream_tbDpT10_ENKUlT_T0_E_clISt17integral_constantIbLb0EES16_IbLb1EEEEDaS12_S13_EUlS12_E_NS1_11comp_targetILNS1_3genE9ELNS1_11target_archE1100ELNS1_3gpuE3ELNS1_3repE0EEENS1_30default_config_static_selectorELNS0_4arch9wavefront6targetE0EEEvT1_
	.globl	_ZN7rocprim17ROCPRIM_400000_NS6detail17trampoline_kernelINS0_14default_configENS1_25partition_config_selectorILNS1_17partition_subalgoE8EtNS0_10empty_typeEbEEZZNS1_14partition_implILS5_8ELb0ES3_jPKtPS6_PKS6_NS0_5tupleIJPtS6_EEENSE_IJSB_SB_EEENS0_18inequality_wrapperIN6hipcub16HIPCUB_304000_NS8EqualityEEEPlJS6_EEE10hipError_tPvRmT3_T4_T5_T6_T7_T9_mT8_P12ihipStream_tbDpT10_ENKUlT_T0_E_clISt17integral_constantIbLb0EES16_IbLb1EEEEDaS12_S13_EUlS12_E_NS1_11comp_targetILNS1_3genE9ELNS1_11target_archE1100ELNS1_3gpuE3ELNS1_3repE0EEENS1_30default_config_static_selectorELNS0_4arch9wavefront6targetE0EEEvT1_
	.p2align	8
	.type	_ZN7rocprim17ROCPRIM_400000_NS6detail17trampoline_kernelINS0_14default_configENS1_25partition_config_selectorILNS1_17partition_subalgoE8EtNS0_10empty_typeEbEEZZNS1_14partition_implILS5_8ELb0ES3_jPKtPS6_PKS6_NS0_5tupleIJPtS6_EEENSE_IJSB_SB_EEENS0_18inequality_wrapperIN6hipcub16HIPCUB_304000_NS8EqualityEEEPlJS6_EEE10hipError_tPvRmT3_T4_T5_T6_T7_T9_mT8_P12ihipStream_tbDpT10_ENKUlT_T0_E_clISt17integral_constantIbLb0EES16_IbLb1EEEEDaS12_S13_EUlS12_E_NS1_11comp_targetILNS1_3genE9ELNS1_11target_archE1100ELNS1_3gpuE3ELNS1_3repE0EEENS1_30default_config_static_selectorELNS0_4arch9wavefront6targetE0EEEvT1_,@function
_ZN7rocprim17ROCPRIM_400000_NS6detail17trampoline_kernelINS0_14default_configENS1_25partition_config_selectorILNS1_17partition_subalgoE8EtNS0_10empty_typeEbEEZZNS1_14partition_implILS5_8ELb0ES3_jPKtPS6_PKS6_NS0_5tupleIJPtS6_EEENSE_IJSB_SB_EEENS0_18inequality_wrapperIN6hipcub16HIPCUB_304000_NS8EqualityEEEPlJS6_EEE10hipError_tPvRmT3_T4_T5_T6_T7_T9_mT8_P12ihipStream_tbDpT10_ENKUlT_T0_E_clISt17integral_constantIbLb0EES16_IbLb1EEEEDaS12_S13_EUlS12_E_NS1_11comp_targetILNS1_3genE9ELNS1_11target_archE1100ELNS1_3gpuE3ELNS1_3repE0EEENS1_30default_config_static_selectorELNS0_4arch9wavefront6targetE0EEEvT1_: ; @_ZN7rocprim17ROCPRIM_400000_NS6detail17trampoline_kernelINS0_14default_configENS1_25partition_config_selectorILNS1_17partition_subalgoE8EtNS0_10empty_typeEbEEZZNS1_14partition_implILS5_8ELb0ES3_jPKtPS6_PKS6_NS0_5tupleIJPtS6_EEENSE_IJSB_SB_EEENS0_18inequality_wrapperIN6hipcub16HIPCUB_304000_NS8EqualityEEEPlJS6_EEE10hipError_tPvRmT3_T4_T5_T6_T7_T9_mT8_P12ihipStream_tbDpT10_ENKUlT_T0_E_clISt17integral_constantIbLb0EES16_IbLb1EEEEDaS12_S13_EUlS12_E_NS1_11comp_targetILNS1_3genE9ELNS1_11target_archE1100ELNS1_3gpuE3ELNS1_3repE0EEENS1_30default_config_static_selectorELNS0_4arch9wavefront6targetE0EEEvT1_
; %bb.0:
	.section	.rodata,"a",@progbits
	.p2align	6, 0x0
	.amdhsa_kernel _ZN7rocprim17ROCPRIM_400000_NS6detail17trampoline_kernelINS0_14default_configENS1_25partition_config_selectorILNS1_17partition_subalgoE8EtNS0_10empty_typeEbEEZZNS1_14partition_implILS5_8ELb0ES3_jPKtPS6_PKS6_NS0_5tupleIJPtS6_EEENSE_IJSB_SB_EEENS0_18inequality_wrapperIN6hipcub16HIPCUB_304000_NS8EqualityEEEPlJS6_EEE10hipError_tPvRmT3_T4_T5_T6_T7_T9_mT8_P12ihipStream_tbDpT10_ENKUlT_T0_E_clISt17integral_constantIbLb0EES16_IbLb1EEEEDaS12_S13_EUlS12_E_NS1_11comp_targetILNS1_3genE9ELNS1_11target_archE1100ELNS1_3gpuE3ELNS1_3repE0EEENS1_30default_config_static_selectorELNS0_4arch9wavefront6targetE0EEEvT1_
		.amdhsa_group_segment_fixed_size 0
		.amdhsa_private_segment_fixed_size 0
		.amdhsa_kernarg_size 128
		.amdhsa_user_sgpr_count 2
		.amdhsa_user_sgpr_dispatch_ptr 0
		.amdhsa_user_sgpr_queue_ptr 0
		.amdhsa_user_sgpr_kernarg_segment_ptr 1
		.amdhsa_user_sgpr_dispatch_id 0
		.amdhsa_user_sgpr_kernarg_preload_length 0
		.amdhsa_user_sgpr_kernarg_preload_offset 0
		.amdhsa_user_sgpr_private_segment_size 0
		.amdhsa_wavefront_size32 1
		.amdhsa_uses_dynamic_stack 0
		.amdhsa_enable_private_segment 0
		.amdhsa_system_sgpr_workgroup_id_x 1
		.amdhsa_system_sgpr_workgroup_id_y 0
		.amdhsa_system_sgpr_workgroup_id_z 0
		.amdhsa_system_sgpr_workgroup_info 0
		.amdhsa_system_vgpr_workitem_id 0
		.amdhsa_next_free_vgpr 1
		.amdhsa_next_free_sgpr 1
		.amdhsa_named_barrier_count 0
		.amdhsa_reserve_vcc 0
		.amdhsa_float_round_mode_32 0
		.amdhsa_float_round_mode_16_64 0
		.amdhsa_float_denorm_mode_32 3
		.amdhsa_float_denorm_mode_16_64 3
		.amdhsa_fp16_overflow 0
		.amdhsa_memory_ordered 1
		.amdhsa_forward_progress 1
		.amdhsa_inst_pref_size 0
		.amdhsa_round_robin_scheduling 0
		.amdhsa_exception_fp_ieee_invalid_op 0
		.amdhsa_exception_fp_denorm_src 0
		.amdhsa_exception_fp_ieee_div_zero 0
		.amdhsa_exception_fp_ieee_overflow 0
		.amdhsa_exception_fp_ieee_underflow 0
		.amdhsa_exception_fp_ieee_inexact 0
		.amdhsa_exception_int_div_zero 0
	.end_amdhsa_kernel
	.section	.text._ZN7rocprim17ROCPRIM_400000_NS6detail17trampoline_kernelINS0_14default_configENS1_25partition_config_selectorILNS1_17partition_subalgoE8EtNS0_10empty_typeEbEEZZNS1_14partition_implILS5_8ELb0ES3_jPKtPS6_PKS6_NS0_5tupleIJPtS6_EEENSE_IJSB_SB_EEENS0_18inequality_wrapperIN6hipcub16HIPCUB_304000_NS8EqualityEEEPlJS6_EEE10hipError_tPvRmT3_T4_T5_T6_T7_T9_mT8_P12ihipStream_tbDpT10_ENKUlT_T0_E_clISt17integral_constantIbLb0EES16_IbLb1EEEEDaS12_S13_EUlS12_E_NS1_11comp_targetILNS1_3genE9ELNS1_11target_archE1100ELNS1_3gpuE3ELNS1_3repE0EEENS1_30default_config_static_selectorELNS0_4arch9wavefront6targetE0EEEvT1_,"axG",@progbits,_ZN7rocprim17ROCPRIM_400000_NS6detail17trampoline_kernelINS0_14default_configENS1_25partition_config_selectorILNS1_17partition_subalgoE8EtNS0_10empty_typeEbEEZZNS1_14partition_implILS5_8ELb0ES3_jPKtPS6_PKS6_NS0_5tupleIJPtS6_EEENSE_IJSB_SB_EEENS0_18inequality_wrapperIN6hipcub16HIPCUB_304000_NS8EqualityEEEPlJS6_EEE10hipError_tPvRmT3_T4_T5_T6_T7_T9_mT8_P12ihipStream_tbDpT10_ENKUlT_T0_E_clISt17integral_constantIbLb0EES16_IbLb1EEEEDaS12_S13_EUlS12_E_NS1_11comp_targetILNS1_3genE9ELNS1_11target_archE1100ELNS1_3gpuE3ELNS1_3repE0EEENS1_30default_config_static_selectorELNS0_4arch9wavefront6targetE0EEEvT1_,comdat
.Lfunc_end785:
	.size	_ZN7rocprim17ROCPRIM_400000_NS6detail17trampoline_kernelINS0_14default_configENS1_25partition_config_selectorILNS1_17partition_subalgoE8EtNS0_10empty_typeEbEEZZNS1_14partition_implILS5_8ELb0ES3_jPKtPS6_PKS6_NS0_5tupleIJPtS6_EEENSE_IJSB_SB_EEENS0_18inequality_wrapperIN6hipcub16HIPCUB_304000_NS8EqualityEEEPlJS6_EEE10hipError_tPvRmT3_T4_T5_T6_T7_T9_mT8_P12ihipStream_tbDpT10_ENKUlT_T0_E_clISt17integral_constantIbLb0EES16_IbLb1EEEEDaS12_S13_EUlS12_E_NS1_11comp_targetILNS1_3genE9ELNS1_11target_archE1100ELNS1_3gpuE3ELNS1_3repE0EEENS1_30default_config_static_selectorELNS0_4arch9wavefront6targetE0EEEvT1_, .Lfunc_end785-_ZN7rocprim17ROCPRIM_400000_NS6detail17trampoline_kernelINS0_14default_configENS1_25partition_config_selectorILNS1_17partition_subalgoE8EtNS0_10empty_typeEbEEZZNS1_14partition_implILS5_8ELb0ES3_jPKtPS6_PKS6_NS0_5tupleIJPtS6_EEENSE_IJSB_SB_EEENS0_18inequality_wrapperIN6hipcub16HIPCUB_304000_NS8EqualityEEEPlJS6_EEE10hipError_tPvRmT3_T4_T5_T6_T7_T9_mT8_P12ihipStream_tbDpT10_ENKUlT_T0_E_clISt17integral_constantIbLb0EES16_IbLb1EEEEDaS12_S13_EUlS12_E_NS1_11comp_targetILNS1_3genE9ELNS1_11target_archE1100ELNS1_3gpuE3ELNS1_3repE0EEENS1_30default_config_static_selectorELNS0_4arch9wavefront6targetE0EEEvT1_
                                        ; -- End function
	.set _ZN7rocprim17ROCPRIM_400000_NS6detail17trampoline_kernelINS0_14default_configENS1_25partition_config_selectorILNS1_17partition_subalgoE8EtNS0_10empty_typeEbEEZZNS1_14partition_implILS5_8ELb0ES3_jPKtPS6_PKS6_NS0_5tupleIJPtS6_EEENSE_IJSB_SB_EEENS0_18inequality_wrapperIN6hipcub16HIPCUB_304000_NS8EqualityEEEPlJS6_EEE10hipError_tPvRmT3_T4_T5_T6_T7_T9_mT8_P12ihipStream_tbDpT10_ENKUlT_T0_E_clISt17integral_constantIbLb0EES16_IbLb1EEEEDaS12_S13_EUlS12_E_NS1_11comp_targetILNS1_3genE9ELNS1_11target_archE1100ELNS1_3gpuE3ELNS1_3repE0EEENS1_30default_config_static_selectorELNS0_4arch9wavefront6targetE0EEEvT1_.num_vgpr, 0
	.set _ZN7rocprim17ROCPRIM_400000_NS6detail17trampoline_kernelINS0_14default_configENS1_25partition_config_selectorILNS1_17partition_subalgoE8EtNS0_10empty_typeEbEEZZNS1_14partition_implILS5_8ELb0ES3_jPKtPS6_PKS6_NS0_5tupleIJPtS6_EEENSE_IJSB_SB_EEENS0_18inequality_wrapperIN6hipcub16HIPCUB_304000_NS8EqualityEEEPlJS6_EEE10hipError_tPvRmT3_T4_T5_T6_T7_T9_mT8_P12ihipStream_tbDpT10_ENKUlT_T0_E_clISt17integral_constantIbLb0EES16_IbLb1EEEEDaS12_S13_EUlS12_E_NS1_11comp_targetILNS1_3genE9ELNS1_11target_archE1100ELNS1_3gpuE3ELNS1_3repE0EEENS1_30default_config_static_selectorELNS0_4arch9wavefront6targetE0EEEvT1_.num_agpr, 0
	.set _ZN7rocprim17ROCPRIM_400000_NS6detail17trampoline_kernelINS0_14default_configENS1_25partition_config_selectorILNS1_17partition_subalgoE8EtNS0_10empty_typeEbEEZZNS1_14partition_implILS5_8ELb0ES3_jPKtPS6_PKS6_NS0_5tupleIJPtS6_EEENSE_IJSB_SB_EEENS0_18inequality_wrapperIN6hipcub16HIPCUB_304000_NS8EqualityEEEPlJS6_EEE10hipError_tPvRmT3_T4_T5_T6_T7_T9_mT8_P12ihipStream_tbDpT10_ENKUlT_T0_E_clISt17integral_constantIbLb0EES16_IbLb1EEEEDaS12_S13_EUlS12_E_NS1_11comp_targetILNS1_3genE9ELNS1_11target_archE1100ELNS1_3gpuE3ELNS1_3repE0EEENS1_30default_config_static_selectorELNS0_4arch9wavefront6targetE0EEEvT1_.numbered_sgpr, 0
	.set _ZN7rocprim17ROCPRIM_400000_NS6detail17trampoline_kernelINS0_14default_configENS1_25partition_config_selectorILNS1_17partition_subalgoE8EtNS0_10empty_typeEbEEZZNS1_14partition_implILS5_8ELb0ES3_jPKtPS6_PKS6_NS0_5tupleIJPtS6_EEENSE_IJSB_SB_EEENS0_18inequality_wrapperIN6hipcub16HIPCUB_304000_NS8EqualityEEEPlJS6_EEE10hipError_tPvRmT3_T4_T5_T6_T7_T9_mT8_P12ihipStream_tbDpT10_ENKUlT_T0_E_clISt17integral_constantIbLb0EES16_IbLb1EEEEDaS12_S13_EUlS12_E_NS1_11comp_targetILNS1_3genE9ELNS1_11target_archE1100ELNS1_3gpuE3ELNS1_3repE0EEENS1_30default_config_static_selectorELNS0_4arch9wavefront6targetE0EEEvT1_.num_named_barrier, 0
	.set _ZN7rocprim17ROCPRIM_400000_NS6detail17trampoline_kernelINS0_14default_configENS1_25partition_config_selectorILNS1_17partition_subalgoE8EtNS0_10empty_typeEbEEZZNS1_14partition_implILS5_8ELb0ES3_jPKtPS6_PKS6_NS0_5tupleIJPtS6_EEENSE_IJSB_SB_EEENS0_18inequality_wrapperIN6hipcub16HIPCUB_304000_NS8EqualityEEEPlJS6_EEE10hipError_tPvRmT3_T4_T5_T6_T7_T9_mT8_P12ihipStream_tbDpT10_ENKUlT_T0_E_clISt17integral_constantIbLb0EES16_IbLb1EEEEDaS12_S13_EUlS12_E_NS1_11comp_targetILNS1_3genE9ELNS1_11target_archE1100ELNS1_3gpuE3ELNS1_3repE0EEENS1_30default_config_static_selectorELNS0_4arch9wavefront6targetE0EEEvT1_.private_seg_size, 0
	.set _ZN7rocprim17ROCPRIM_400000_NS6detail17trampoline_kernelINS0_14default_configENS1_25partition_config_selectorILNS1_17partition_subalgoE8EtNS0_10empty_typeEbEEZZNS1_14partition_implILS5_8ELb0ES3_jPKtPS6_PKS6_NS0_5tupleIJPtS6_EEENSE_IJSB_SB_EEENS0_18inequality_wrapperIN6hipcub16HIPCUB_304000_NS8EqualityEEEPlJS6_EEE10hipError_tPvRmT3_T4_T5_T6_T7_T9_mT8_P12ihipStream_tbDpT10_ENKUlT_T0_E_clISt17integral_constantIbLb0EES16_IbLb1EEEEDaS12_S13_EUlS12_E_NS1_11comp_targetILNS1_3genE9ELNS1_11target_archE1100ELNS1_3gpuE3ELNS1_3repE0EEENS1_30default_config_static_selectorELNS0_4arch9wavefront6targetE0EEEvT1_.uses_vcc, 0
	.set _ZN7rocprim17ROCPRIM_400000_NS6detail17trampoline_kernelINS0_14default_configENS1_25partition_config_selectorILNS1_17partition_subalgoE8EtNS0_10empty_typeEbEEZZNS1_14partition_implILS5_8ELb0ES3_jPKtPS6_PKS6_NS0_5tupleIJPtS6_EEENSE_IJSB_SB_EEENS0_18inequality_wrapperIN6hipcub16HIPCUB_304000_NS8EqualityEEEPlJS6_EEE10hipError_tPvRmT3_T4_T5_T6_T7_T9_mT8_P12ihipStream_tbDpT10_ENKUlT_T0_E_clISt17integral_constantIbLb0EES16_IbLb1EEEEDaS12_S13_EUlS12_E_NS1_11comp_targetILNS1_3genE9ELNS1_11target_archE1100ELNS1_3gpuE3ELNS1_3repE0EEENS1_30default_config_static_selectorELNS0_4arch9wavefront6targetE0EEEvT1_.uses_flat_scratch, 0
	.set _ZN7rocprim17ROCPRIM_400000_NS6detail17trampoline_kernelINS0_14default_configENS1_25partition_config_selectorILNS1_17partition_subalgoE8EtNS0_10empty_typeEbEEZZNS1_14partition_implILS5_8ELb0ES3_jPKtPS6_PKS6_NS0_5tupleIJPtS6_EEENSE_IJSB_SB_EEENS0_18inequality_wrapperIN6hipcub16HIPCUB_304000_NS8EqualityEEEPlJS6_EEE10hipError_tPvRmT3_T4_T5_T6_T7_T9_mT8_P12ihipStream_tbDpT10_ENKUlT_T0_E_clISt17integral_constantIbLb0EES16_IbLb1EEEEDaS12_S13_EUlS12_E_NS1_11comp_targetILNS1_3genE9ELNS1_11target_archE1100ELNS1_3gpuE3ELNS1_3repE0EEENS1_30default_config_static_selectorELNS0_4arch9wavefront6targetE0EEEvT1_.has_dyn_sized_stack, 0
	.set _ZN7rocprim17ROCPRIM_400000_NS6detail17trampoline_kernelINS0_14default_configENS1_25partition_config_selectorILNS1_17partition_subalgoE8EtNS0_10empty_typeEbEEZZNS1_14partition_implILS5_8ELb0ES3_jPKtPS6_PKS6_NS0_5tupleIJPtS6_EEENSE_IJSB_SB_EEENS0_18inequality_wrapperIN6hipcub16HIPCUB_304000_NS8EqualityEEEPlJS6_EEE10hipError_tPvRmT3_T4_T5_T6_T7_T9_mT8_P12ihipStream_tbDpT10_ENKUlT_T0_E_clISt17integral_constantIbLb0EES16_IbLb1EEEEDaS12_S13_EUlS12_E_NS1_11comp_targetILNS1_3genE9ELNS1_11target_archE1100ELNS1_3gpuE3ELNS1_3repE0EEENS1_30default_config_static_selectorELNS0_4arch9wavefront6targetE0EEEvT1_.has_recursion, 0
	.set _ZN7rocprim17ROCPRIM_400000_NS6detail17trampoline_kernelINS0_14default_configENS1_25partition_config_selectorILNS1_17partition_subalgoE8EtNS0_10empty_typeEbEEZZNS1_14partition_implILS5_8ELb0ES3_jPKtPS6_PKS6_NS0_5tupleIJPtS6_EEENSE_IJSB_SB_EEENS0_18inequality_wrapperIN6hipcub16HIPCUB_304000_NS8EqualityEEEPlJS6_EEE10hipError_tPvRmT3_T4_T5_T6_T7_T9_mT8_P12ihipStream_tbDpT10_ENKUlT_T0_E_clISt17integral_constantIbLb0EES16_IbLb1EEEEDaS12_S13_EUlS12_E_NS1_11comp_targetILNS1_3genE9ELNS1_11target_archE1100ELNS1_3gpuE3ELNS1_3repE0EEENS1_30default_config_static_selectorELNS0_4arch9wavefront6targetE0EEEvT1_.has_indirect_call, 0
	.section	.AMDGPU.csdata,"",@progbits
; Kernel info:
; codeLenInByte = 0
; TotalNumSgprs: 0
; NumVgprs: 0
; ScratchSize: 0
; MemoryBound: 0
; FloatMode: 240
; IeeeMode: 1
; LDSByteSize: 0 bytes/workgroup (compile time only)
; SGPRBlocks: 0
; VGPRBlocks: 0
; NumSGPRsForWavesPerEU: 1
; NumVGPRsForWavesPerEU: 1
; NamedBarCnt: 0
; Occupancy: 16
; WaveLimiterHint : 0
; COMPUTE_PGM_RSRC2:SCRATCH_EN: 0
; COMPUTE_PGM_RSRC2:USER_SGPR: 2
; COMPUTE_PGM_RSRC2:TRAP_HANDLER: 0
; COMPUTE_PGM_RSRC2:TGID_X_EN: 1
; COMPUTE_PGM_RSRC2:TGID_Y_EN: 0
; COMPUTE_PGM_RSRC2:TGID_Z_EN: 0
; COMPUTE_PGM_RSRC2:TIDIG_COMP_CNT: 0
	.section	.text._ZN7rocprim17ROCPRIM_400000_NS6detail17trampoline_kernelINS0_14default_configENS1_25partition_config_selectorILNS1_17partition_subalgoE8EtNS0_10empty_typeEbEEZZNS1_14partition_implILS5_8ELb0ES3_jPKtPS6_PKS6_NS0_5tupleIJPtS6_EEENSE_IJSB_SB_EEENS0_18inequality_wrapperIN6hipcub16HIPCUB_304000_NS8EqualityEEEPlJS6_EEE10hipError_tPvRmT3_T4_T5_T6_T7_T9_mT8_P12ihipStream_tbDpT10_ENKUlT_T0_E_clISt17integral_constantIbLb0EES16_IbLb1EEEEDaS12_S13_EUlS12_E_NS1_11comp_targetILNS1_3genE8ELNS1_11target_archE1030ELNS1_3gpuE2ELNS1_3repE0EEENS1_30default_config_static_selectorELNS0_4arch9wavefront6targetE0EEEvT1_,"axG",@progbits,_ZN7rocprim17ROCPRIM_400000_NS6detail17trampoline_kernelINS0_14default_configENS1_25partition_config_selectorILNS1_17partition_subalgoE8EtNS0_10empty_typeEbEEZZNS1_14partition_implILS5_8ELb0ES3_jPKtPS6_PKS6_NS0_5tupleIJPtS6_EEENSE_IJSB_SB_EEENS0_18inequality_wrapperIN6hipcub16HIPCUB_304000_NS8EqualityEEEPlJS6_EEE10hipError_tPvRmT3_T4_T5_T6_T7_T9_mT8_P12ihipStream_tbDpT10_ENKUlT_T0_E_clISt17integral_constantIbLb0EES16_IbLb1EEEEDaS12_S13_EUlS12_E_NS1_11comp_targetILNS1_3genE8ELNS1_11target_archE1030ELNS1_3gpuE2ELNS1_3repE0EEENS1_30default_config_static_selectorELNS0_4arch9wavefront6targetE0EEEvT1_,comdat
	.protected	_ZN7rocprim17ROCPRIM_400000_NS6detail17trampoline_kernelINS0_14default_configENS1_25partition_config_selectorILNS1_17partition_subalgoE8EtNS0_10empty_typeEbEEZZNS1_14partition_implILS5_8ELb0ES3_jPKtPS6_PKS6_NS0_5tupleIJPtS6_EEENSE_IJSB_SB_EEENS0_18inequality_wrapperIN6hipcub16HIPCUB_304000_NS8EqualityEEEPlJS6_EEE10hipError_tPvRmT3_T4_T5_T6_T7_T9_mT8_P12ihipStream_tbDpT10_ENKUlT_T0_E_clISt17integral_constantIbLb0EES16_IbLb1EEEEDaS12_S13_EUlS12_E_NS1_11comp_targetILNS1_3genE8ELNS1_11target_archE1030ELNS1_3gpuE2ELNS1_3repE0EEENS1_30default_config_static_selectorELNS0_4arch9wavefront6targetE0EEEvT1_ ; -- Begin function _ZN7rocprim17ROCPRIM_400000_NS6detail17trampoline_kernelINS0_14default_configENS1_25partition_config_selectorILNS1_17partition_subalgoE8EtNS0_10empty_typeEbEEZZNS1_14partition_implILS5_8ELb0ES3_jPKtPS6_PKS6_NS0_5tupleIJPtS6_EEENSE_IJSB_SB_EEENS0_18inequality_wrapperIN6hipcub16HIPCUB_304000_NS8EqualityEEEPlJS6_EEE10hipError_tPvRmT3_T4_T5_T6_T7_T9_mT8_P12ihipStream_tbDpT10_ENKUlT_T0_E_clISt17integral_constantIbLb0EES16_IbLb1EEEEDaS12_S13_EUlS12_E_NS1_11comp_targetILNS1_3genE8ELNS1_11target_archE1030ELNS1_3gpuE2ELNS1_3repE0EEENS1_30default_config_static_selectorELNS0_4arch9wavefront6targetE0EEEvT1_
	.globl	_ZN7rocprim17ROCPRIM_400000_NS6detail17trampoline_kernelINS0_14default_configENS1_25partition_config_selectorILNS1_17partition_subalgoE8EtNS0_10empty_typeEbEEZZNS1_14partition_implILS5_8ELb0ES3_jPKtPS6_PKS6_NS0_5tupleIJPtS6_EEENSE_IJSB_SB_EEENS0_18inequality_wrapperIN6hipcub16HIPCUB_304000_NS8EqualityEEEPlJS6_EEE10hipError_tPvRmT3_T4_T5_T6_T7_T9_mT8_P12ihipStream_tbDpT10_ENKUlT_T0_E_clISt17integral_constantIbLb0EES16_IbLb1EEEEDaS12_S13_EUlS12_E_NS1_11comp_targetILNS1_3genE8ELNS1_11target_archE1030ELNS1_3gpuE2ELNS1_3repE0EEENS1_30default_config_static_selectorELNS0_4arch9wavefront6targetE0EEEvT1_
	.p2align	8
	.type	_ZN7rocprim17ROCPRIM_400000_NS6detail17trampoline_kernelINS0_14default_configENS1_25partition_config_selectorILNS1_17partition_subalgoE8EtNS0_10empty_typeEbEEZZNS1_14partition_implILS5_8ELb0ES3_jPKtPS6_PKS6_NS0_5tupleIJPtS6_EEENSE_IJSB_SB_EEENS0_18inequality_wrapperIN6hipcub16HIPCUB_304000_NS8EqualityEEEPlJS6_EEE10hipError_tPvRmT3_T4_T5_T6_T7_T9_mT8_P12ihipStream_tbDpT10_ENKUlT_T0_E_clISt17integral_constantIbLb0EES16_IbLb1EEEEDaS12_S13_EUlS12_E_NS1_11comp_targetILNS1_3genE8ELNS1_11target_archE1030ELNS1_3gpuE2ELNS1_3repE0EEENS1_30default_config_static_selectorELNS0_4arch9wavefront6targetE0EEEvT1_,@function
_ZN7rocprim17ROCPRIM_400000_NS6detail17trampoline_kernelINS0_14default_configENS1_25partition_config_selectorILNS1_17partition_subalgoE8EtNS0_10empty_typeEbEEZZNS1_14partition_implILS5_8ELb0ES3_jPKtPS6_PKS6_NS0_5tupleIJPtS6_EEENSE_IJSB_SB_EEENS0_18inequality_wrapperIN6hipcub16HIPCUB_304000_NS8EqualityEEEPlJS6_EEE10hipError_tPvRmT3_T4_T5_T6_T7_T9_mT8_P12ihipStream_tbDpT10_ENKUlT_T0_E_clISt17integral_constantIbLb0EES16_IbLb1EEEEDaS12_S13_EUlS12_E_NS1_11comp_targetILNS1_3genE8ELNS1_11target_archE1030ELNS1_3gpuE2ELNS1_3repE0EEENS1_30default_config_static_selectorELNS0_4arch9wavefront6targetE0EEEvT1_: ; @_ZN7rocprim17ROCPRIM_400000_NS6detail17trampoline_kernelINS0_14default_configENS1_25partition_config_selectorILNS1_17partition_subalgoE8EtNS0_10empty_typeEbEEZZNS1_14partition_implILS5_8ELb0ES3_jPKtPS6_PKS6_NS0_5tupleIJPtS6_EEENSE_IJSB_SB_EEENS0_18inequality_wrapperIN6hipcub16HIPCUB_304000_NS8EqualityEEEPlJS6_EEE10hipError_tPvRmT3_T4_T5_T6_T7_T9_mT8_P12ihipStream_tbDpT10_ENKUlT_T0_E_clISt17integral_constantIbLb0EES16_IbLb1EEEEDaS12_S13_EUlS12_E_NS1_11comp_targetILNS1_3genE8ELNS1_11target_archE1030ELNS1_3gpuE2ELNS1_3repE0EEENS1_30default_config_static_selectorELNS0_4arch9wavefront6targetE0EEEvT1_
; %bb.0:
	.section	.rodata,"a",@progbits
	.p2align	6, 0x0
	.amdhsa_kernel _ZN7rocprim17ROCPRIM_400000_NS6detail17trampoline_kernelINS0_14default_configENS1_25partition_config_selectorILNS1_17partition_subalgoE8EtNS0_10empty_typeEbEEZZNS1_14partition_implILS5_8ELb0ES3_jPKtPS6_PKS6_NS0_5tupleIJPtS6_EEENSE_IJSB_SB_EEENS0_18inequality_wrapperIN6hipcub16HIPCUB_304000_NS8EqualityEEEPlJS6_EEE10hipError_tPvRmT3_T4_T5_T6_T7_T9_mT8_P12ihipStream_tbDpT10_ENKUlT_T0_E_clISt17integral_constantIbLb0EES16_IbLb1EEEEDaS12_S13_EUlS12_E_NS1_11comp_targetILNS1_3genE8ELNS1_11target_archE1030ELNS1_3gpuE2ELNS1_3repE0EEENS1_30default_config_static_selectorELNS0_4arch9wavefront6targetE0EEEvT1_
		.amdhsa_group_segment_fixed_size 0
		.amdhsa_private_segment_fixed_size 0
		.amdhsa_kernarg_size 128
		.amdhsa_user_sgpr_count 2
		.amdhsa_user_sgpr_dispatch_ptr 0
		.amdhsa_user_sgpr_queue_ptr 0
		.amdhsa_user_sgpr_kernarg_segment_ptr 1
		.amdhsa_user_sgpr_dispatch_id 0
		.amdhsa_user_sgpr_kernarg_preload_length 0
		.amdhsa_user_sgpr_kernarg_preload_offset 0
		.amdhsa_user_sgpr_private_segment_size 0
		.amdhsa_wavefront_size32 1
		.amdhsa_uses_dynamic_stack 0
		.amdhsa_enable_private_segment 0
		.amdhsa_system_sgpr_workgroup_id_x 1
		.amdhsa_system_sgpr_workgroup_id_y 0
		.amdhsa_system_sgpr_workgroup_id_z 0
		.amdhsa_system_sgpr_workgroup_info 0
		.amdhsa_system_vgpr_workitem_id 0
		.amdhsa_next_free_vgpr 1
		.amdhsa_next_free_sgpr 1
		.amdhsa_named_barrier_count 0
		.amdhsa_reserve_vcc 0
		.amdhsa_float_round_mode_32 0
		.amdhsa_float_round_mode_16_64 0
		.amdhsa_float_denorm_mode_32 3
		.amdhsa_float_denorm_mode_16_64 3
		.amdhsa_fp16_overflow 0
		.amdhsa_memory_ordered 1
		.amdhsa_forward_progress 1
		.amdhsa_inst_pref_size 0
		.amdhsa_round_robin_scheduling 0
		.amdhsa_exception_fp_ieee_invalid_op 0
		.amdhsa_exception_fp_denorm_src 0
		.amdhsa_exception_fp_ieee_div_zero 0
		.amdhsa_exception_fp_ieee_overflow 0
		.amdhsa_exception_fp_ieee_underflow 0
		.amdhsa_exception_fp_ieee_inexact 0
		.amdhsa_exception_int_div_zero 0
	.end_amdhsa_kernel
	.section	.text._ZN7rocprim17ROCPRIM_400000_NS6detail17trampoline_kernelINS0_14default_configENS1_25partition_config_selectorILNS1_17partition_subalgoE8EtNS0_10empty_typeEbEEZZNS1_14partition_implILS5_8ELb0ES3_jPKtPS6_PKS6_NS0_5tupleIJPtS6_EEENSE_IJSB_SB_EEENS0_18inequality_wrapperIN6hipcub16HIPCUB_304000_NS8EqualityEEEPlJS6_EEE10hipError_tPvRmT3_T4_T5_T6_T7_T9_mT8_P12ihipStream_tbDpT10_ENKUlT_T0_E_clISt17integral_constantIbLb0EES16_IbLb1EEEEDaS12_S13_EUlS12_E_NS1_11comp_targetILNS1_3genE8ELNS1_11target_archE1030ELNS1_3gpuE2ELNS1_3repE0EEENS1_30default_config_static_selectorELNS0_4arch9wavefront6targetE0EEEvT1_,"axG",@progbits,_ZN7rocprim17ROCPRIM_400000_NS6detail17trampoline_kernelINS0_14default_configENS1_25partition_config_selectorILNS1_17partition_subalgoE8EtNS0_10empty_typeEbEEZZNS1_14partition_implILS5_8ELb0ES3_jPKtPS6_PKS6_NS0_5tupleIJPtS6_EEENSE_IJSB_SB_EEENS0_18inequality_wrapperIN6hipcub16HIPCUB_304000_NS8EqualityEEEPlJS6_EEE10hipError_tPvRmT3_T4_T5_T6_T7_T9_mT8_P12ihipStream_tbDpT10_ENKUlT_T0_E_clISt17integral_constantIbLb0EES16_IbLb1EEEEDaS12_S13_EUlS12_E_NS1_11comp_targetILNS1_3genE8ELNS1_11target_archE1030ELNS1_3gpuE2ELNS1_3repE0EEENS1_30default_config_static_selectorELNS0_4arch9wavefront6targetE0EEEvT1_,comdat
.Lfunc_end786:
	.size	_ZN7rocprim17ROCPRIM_400000_NS6detail17trampoline_kernelINS0_14default_configENS1_25partition_config_selectorILNS1_17partition_subalgoE8EtNS0_10empty_typeEbEEZZNS1_14partition_implILS5_8ELb0ES3_jPKtPS6_PKS6_NS0_5tupleIJPtS6_EEENSE_IJSB_SB_EEENS0_18inequality_wrapperIN6hipcub16HIPCUB_304000_NS8EqualityEEEPlJS6_EEE10hipError_tPvRmT3_T4_T5_T6_T7_T9_mT8_P12ihipStream_tbDpT10_ENKUlT_T0_E_clISt17integral_constantIbLb0EES16_IbLb1EEEEDaS12_S13_EUlS12_E_NS1_11comp_targetILNS1_3genE8ELNS1_11target_archE1030ELNS1_3gpuE2ELNS1_3repE0EEENS1_30default_config_static_selectorELNS0_4arch9wavefront6targetE0EEEvT1_, .Lfunc_end786-_ZN7rocprim17ROCPRIM_400000_NS6detail17trampoline_kernelINS0_14default_configENS1_25partition_config_selectorILNS1_17partition_subalgoE8EtNS0_10empty_typeEbEEZZNS1_14partition_implILS5_8ELb0ES3_jPKtPS6_PKS6_NS0_5tupleIJPtS6_EEENSE_IJSB_SB_EEENS0_18inequality_wrapperIN6hipcub16HIPCUB_304000_NS8EqualityEEEPlJS6_EEE10hipError_tPvRmT3_T4_T5_T6_T7_T9_mT8_P12ihipStream_tbDpT10_ENKUlT_T0_E_clISt17integral_constantIbLb0EES16_IbLb1EEEEDaS12_S13_EUlS12_E_NS1_11comp_targetILNS1_3genE8ELNS1_11target_archE1030ELNS1_3gpuE2ELNS1_3repE0EEENS1_30default_config_static_selectorELNS0_4arch9wavefront6targetE0EEEvT1_
                                        ; -- End function
	.set _ZN7rocprim17ROCPRIM_400000_NS6detail17trampoline_kernelINS0_14default_configENS1_25partition_config_selectorILNS1_17partition_subalgoE8EtNS0_10empty_typeEbEEZZNS1_14partition_implILS5_8ELb0ES3_jPKtPS6_PKS6_NS0_5tupleIJPtS6_EEENSE_IJSB_SB_EEENS0_18inequality_wrapperIN6hipcub16HIPCUB_304000_NS8EqualityEEEPlJS6_EEE10hipError_tPvRmT3_T4_T5_T6_T7_T9_mT8_P12ihipStream_tbDpT10_ENKUlT_T0_E_clISt17integral_constantIbLb0EES16_IbLb1EEEEDaS12_S13_EUlS12_E_NS1_11comp_targetILNS1_3genE8ELNS1_11target_archE1030ELNS1_3gpuE2ELNS1_3repE0EEENS1_30default_config_static_selectorELNS0_4arch9wavefront6targetE0EEEvT1_.num_vgpr, 0
	.set _ZN7rocprim17ROCPRIM_400000_NS6detail17trampoline_kernelINS0_14default_configENS1_25partition_config_selectorILNS1_17partition_subalgoE8EtNS0_10empty_typeEbEEZZNS1_14partition_implILS5_8ELb0ES3_jPKtPS6_PKS6_NS0_5tupleIJPtS6_EEENSE_IJSB_SB_EEENS0_18inequality_wrapperIN6hipcub16HIPCUB_304000_NS8EqualityEEEPlJS6_EEE10hipError_tPvRmT3_T4_T5_T6_T7_T9_mT8_P12ihipStream_tbDpT10_ENKUlT_T0_E_clISt17integral_constantIbLb0EES16_IbLb1EEEEDaS12_S13_EUlS12_E_NS1_11comp_targetILNS1_3genE8ELNS1_11target_archE1030ELNS1_3gpuE2ELNS1_3repE0EEENS1_30default_config_static_selectorELNS0_4arch9wavefront6targetE0EEEvT1_.num_agpr, 0
	.set _ZN7rocprim17ROCPRIM_400000_NS6detail17trampoline_kernelINS0_14default_configENS1_25partition_config_selectorILNS1_17partition_subalgoE8EtNS0_10empty_typeEbEEZZNS1_14partition_implILS5_8ELb0ES3_jPKtPS6_PKS6_NS0_5tupleIJPtS6_EEENSE_IJSB_SB_EEENS0_18inequality_wrapperIN6hipcub16HIPCUB_304000_NS8EqualityEEEPlJS6_EEE10hipError_tPvRmT3_T4_T5_T6_T7_T9_mT8_P12ihipStream_tbDpT10_ENKUlT_T0_E_clISt17integral_constantIbLb0EES16_IbLb1EEEEDaS12_S13_EUlS12_E_NS1_11comp_targetILNS1_3genE8ELNS1_11target_archE1030ELNS1_3gpuE2ELNS1_3repE0EEENS1_30default_config_static_selectorELNS0_4arch9wavefront6targetE0EEEvT1_.numbered_sgpr, 0
	.set _ZN7rocprim17ROCPRIM_400000_NS6detail17trampoline_kernelINS0_14default_configENS1_25partition_config_selectorILNS1_17partition_subalgoE8EtNS0_10empty_typeEbEEZZNS1_14partition_implILS5_8ELb0ES3_jPKtPS6_PKS6_NS0_5tupleIJPtS6_EEENSE_IJSB_SB_EEENS0_18inequality_wrapperIN6hipcub16HIPCUB_304000_NS8EqualityEEEPlJS6_EEE10hipError_tPvRmT3_T4_T5_T6_T7_T9_mT8_P12ihipStream_tbDpT10_ENKUlT_T0_E_clISt17integral_constantIbLb0EES16_IbLb1EEEEDaS12_S13_EUlS12_E_NS1_11comp_targetILNS1_3genE8ELNS1_11target_archE1030ELNS1_3gpuE2ELNS1_3repE0EEENS1_30default_config_static_selectorELNS0_4arch9wavefront6targetE0EEEvT1_.num_named_barrier, 0
	.set _ZN7rocprim17ROCPRIM_400000_NS6detail17trampoline_kernelINS0_14default_configENS1_25partition_config_selectorILNS1_17partition_subalgoE8EtNS0_10empty_typeEbEEZZNS1_14partition_implILS5_8ELb0ES3_jPKtPS6_PKS6_NS0_5tupleIJPtS6_EEENSE_IJSB_SB_EEENS0_18inequality_wrapperIN6hipcub16HIPCUB_304000_NS8EqualityEEEPlJS6_EEE10hipError_tPvRmT3_T4_T5_T6_T7_T9_mT8_P12ihipStream_tbDpT10_ENKUlT_T0_E_clISt17integral_constantIbLb0EES16_IbLb1EEEEDaS12_S13_EUlS12_E_NS1_11comp_targetILNS1_3genE8ELNS1_11target_archE1030ELNS1_3gpuE2ELNS1_3repE0EEENS1_30default_config_static_selectorELNS0_4arch9wavefront6targetE0EEEvT1_.private_seg_size, 0
	.set _ZN7rocprim17ROCPRIM_400000_NS6detail17trampoline_kernelINS0_14default_configENS1_25partition_config_selectorILNS1_17partition_subalgoE8EtNS0_10empty_typeEbEEZZNS1_14partition_implILS5_8ELb0ES3_jPKtPS6_PKS6_NS0_5tupleIJPtS6_EEENSE_IJSB_SB_EEENS0_18inequality_wrapperIN6hipcub16HIPCUB_304000_NS8EqualityEEEPlJS6_EEE10hipError_tPvRmT3_T4_T5_T6_T7_T9_mT8_P12ihipStream_tbDpT10_ENKUlT_T0_E_clISt17integral_constantIbLb0EES16_IbLb1EEEEDaS12_S13_EUlS12_E_NS1_11comp_targetILNS1_3genE8ELNS1_11target_archE1030ELNS1_3gpuE2ELNS1_3repE0EEENS1_30default_config_static_selectorELNS0_4arch9wavefront6targetE0EEEvT1_.uses_vcc, 0
	.set _ZN7rocprim17ROCPRIM_400000_NS6detail17trampoline_kernelINS0_14default_configENS1_25partition_config_selectorILNS1_17partition_subalgoE8EtNS0_10empty_typeEbEEZZNS1_14partition_implILS5_8ELb0ES3_jPKtPS6_PKS6_NS0_5tupleIJPtS6_EEENSE_IJSB_SB_EEENS0_18inequality_wrapperIN6hipcub16HIPCUB_304000_NS8EqualityEEEPlJS6_EEE10hipError_tPvRmT3_T4_T5_T6_T7_T9_mT8_P12ihipStream_tbDpT10_ENKUlT_T0_E_clISt17integral_constantIbLb0EES16_IbLb1EEEEDaS12_S13_EUlS12_E_NS1_11comp_targetILNS1_3genE8ELNS1_11target_archE1030ELNS1_3gpuE2ELNS1_3repE0EEENS1_30default_config_static_selectorELNS0_4arch9wavefront6targetE0EEEvT1_.uses_flat_scratch, 0
	.set _ZN7rocprim17ROCPRIM_400000_NS6detail17trampoline_kernelINS0_14default_configENS1_25partition_config_selectorILNS1_17partition_subalgoE8EtNS0_10empty_typeEbEEZZNS1_14partition_implILS5_8ELb0ES3_jPKtPS6_PKS6_NS0_5tupleIJPtS6_EEENSE_IJSB_SB_EEENS0_18inequality_wrapperIN6hipcub16HIPCUB_304000_NS8EqualityEEEPlJS6_EEE10hipError_tPvRmT3_T4_T5_T6_T7_T9_mT8_P12ihipStream_tbDpT10_ENKUlT_T0_E_clISt17integral_constantIbLb0EES16_IbLb1EEEEDaS12_S13_EUlS12_E_NS1_11comp_targetILNS1_3genE8ELNS1_11target_archE1030ELNS1_3gpuE2ELNS1_3repE0EEENS1_30default_config_static_selectorELNS0_4arch9wavefront6targetE0EEEvT1_.has_dyn_sized_stack, 0
	.set _ZN7rocprim17ROCPRIM_400000_NS6detail17trampoline_kernelINS0_14default_configENS1_25partition_config_selectorILNS1_17partition_subalgoE8EtNS0_10empty_typeEbEEZZNS1_14partition_implILS5_8ELb0ES3_jPKtPS6_PKS6_NS0_5tupleIJPtS6_EEENSE_IJSB_SB_EEENS0_18inequality_wrapperIN6hipcub16HIPCUB_304000_NS8EqualityEEEPlJS6_EEE10hipError_tPvRmT3_T4_T5_T6_T7_T9_mT8_P12ihipStream_tbDpT10_ENKUlT_T0_E_clISt17integral_constantIbLb0EES16_IbLb1EEEEDaS12_S13_EUlS12_E_NS1_11comp_targetILNS1_3genE8ELNS1_11target_archE1030ELNS1_3gpuE2ELNS1_3repE0EEENS1_30default_config_static_selectorELNS0_4arch9wavefront6targetE0EEEvT1_.has_recursion, 0
	.set _ZN7rocprim17ROCPRIM_400000_NS6detail17trampoline_kernelINS0_14default_configENS1_25partition_config_selectorILNS1_17partition_subalgoE8EtNS0_10empty_typeEbEEZZNS1_14partition_implILS5_8ELb0ES3_jPKtPS6_PKS6_NS0_5tupleIJPtS6_EEENSE_IJSB_SB_EEENS0_18inequality_wrapperIN6hipcub16HIPCUB_304000_NS8EqualityEEEPlJS6_EEE10hipError_tPvRmT3_T4_T5_T6_T7_T9_mT8_P12ihipStream_tbDpT10_ENKUlT_T0_E_clISt17integral_constantIbLb0EES16_IbLb1EEEEDaS12_S13_EUlS12_E_NS1_11comp_targetILNS1_3genE8ELNS1_11target_archE1030ELNS1_3gpuE2ELNS1_3repE0EEENS1_30default_config_static_selectorELNS0_4arch9wavefront6targetE0EEEvT1_.has_indirect_call, 0
	.section	.AMDGPU.csdata,"",@progbits
; Kernel info:
; codeLenInByte = 0
; TotalNumSgprs: 0
; NumVgprs: 0
; ScratchSize: 0
; MemoryBound: 0
; FloatMode: 240
; IeeeMode: 1
; LDSByteSize: 0 bytes/workgroup (compile time only)
; SGPRBlocks: 0
; VGPRBlocks: 0
; NumSGPRsForWavesPerEU: 1
; NumVGPRsForWavesPerEU: 1
; NamedBarCnt: 0
; Occupancy: 16
; WaveLimiterHint : 0
; COMPUTE_PGM_RSRC2:SCRATCH_EN: 0
; COMPUTE_PGM_RSRC2:USER_SGPR: 2
; COMPUTE_PGM_RSRC2:TRAP_HANDLER: 0
; COMPUTE_PGM_RSRC2:TGID_X_EN: 1
; COMPUTE_PGM_RSRC2:TGID_Y_EN: 0
; COMPUTE_PGM_RSRC2:TGID_Z_EN: 0
; COMPUTE_PGM_RSRC2:TIDIG_COMP_CNT: 0
	.section	.text._ZN7rocprim17ROCPRIM_400000_NS6detail17trampoline_kernelINS0_14default_configENS1_33run_length_encode_config_selectorItjNS0_4plusIjEEEEZZNS1_33reduce_by_key_impl_wrapped_configILNS1_25lookback_scan_determinismE0ES3_S7_PKtNS0_17constant_iteratorIjlEEPtPlSF_S6_NS0_8equal_toItEEEE10hipError_tPvRmT2_T3_mT4_T5_T6_T7_T8_P12ihipStream_tbENKUlT_T0_E_clISt17integral_constantIbLb0EESZ_EEDaSU_SV_EUlSU_E_NS1_11comp_targetILNS1_3genE0ELNS1_11target_archE4294967295ELNS1_3gpuE0ELNS1_3repE0EEENS1_30default_config_static_selectorELNS0_4arch9wavefront6targetE0EEEvT1_,"axG",@progbits,_ZN7rocprim17ROCPRIM_400000_NS6detail17trampoline_kernelINS0_14default_configENS1_33run_length_encode_config_selectorItjNS0_4plusIjEEEEZZNS1_33reduce_by_key_impl_wrapped_configILNS1_25lookback_scan_determinismE0ES3_S7_PKtNS0_17constant_iteratorIjlEEPtPlSF_S6_NS0_8equal_toItEEEE10hipError_tPvRmT2_T3_mT4_T5_T6_T7_T8_P12ihipStream_tbENKUlT_T0_E_clISt17integral_constantIbLb0EESZ_EEDaSU_SV_EUlSU_E_NS1_11comp_targetILNS1_3genE0ELNS1_11target_archE4294967295ELNS1_3gpuE0ELNS1_3repE0EEENS1_30default_config_static_selectorELNS0_4arch9wavefront6targetE0EEEvT1_,comdat
	.protected	_ZN7rocprim17ROCPRIM_400000_NS6detail17trampoline_kernelINS0_14default_configENS1_33run_length_encode_config_selectorItjNS0_4plusIjEEEEZZNS1_33reduce_by_key_impl_wrapped_configILNS1_25lookback_scan_determinismE0ES3_S7_PKtNS0_17constant_iteratorIjlEEPtPlSF_S6_NS0_8equal_toItEEEE10hipError_tPvRmT2_T3_mT4_T5_T6_T7_T8_P12ihipStream_tbENKUlT_T0_E_clISt17integral_constantIbLb0EESZ_EEDaSU_SV_EUlSU_E_NS1_11comp_targetILNS1_3genE0ELNS1_11target_archE4294967295ELNS1_3gpuE0ELNS1_3repE0EEENS1_30default_config_static_selectorELNS0_4arch9wavefront6targetE0EEEvT1_ ; -- Begin function _ZN7rocprim17ROCPRIM_400000_NS6detail17trampoline_kernelINS0_14default_configENS1_33run_length_encode_config_selectorItjNS0_4plusIjEEEEZZNS1_33reduce_by_key_impl_wrapped_configILNS1_25lookback_scan_determinismE0ES3_S7_PKtNS0_17constant_iteratorIjlEEPtPlSF_S6_NS0_8equal_toItEEEE10hipError_tPvRmT2_T3_mT4_T5_T6_T7_T8_P12ihipStream_tbENKUlT_T0_E_clISt17integral_constantIbLb0EESZ_EEDaSU_SV_EUlSU_E_NS1_11comp_targetILNS1_3genE0ELNS1_11target_archE4294967295ELNS1_3gpuE0ELNS1_3repE0EEENS1_30default_config_static_selectorELNS0_4arch9wavefront6targetE0EEEvT1_
	.globl	_ZN7rocprim17ROCPRIM_400000_NS6detail17trampoline_kernelINS0_14default_configENS1_33run_length_encode_config_selectorItjNS0_4plusIjEEEEZZNS1_33reduce_by_key_impl_wrapped_configILNS1_25lookback_scan_determinismE0ES3_S7_PKtNS0_17constant_iteratorIjlEEPtPlSF_S6_NS0_8equal_toItEEEE10hipError_tPvRmT2_T3_mT4_T5_T6_T7_T8_P12ihipStream_tbENKUlT_T0_E_clISt17integral_constantIbLb0EESZ_EEDaSU_SV_EUlSU_E_NS1_11comp_targetILNS1_3genE0ELNS1_11target_archE4294967295ELNS1_3gpuE0ELNS1_3repE0EEENS1_30default_config_static_selectorELNS0_4arch9wavefront6targetE0EEEvT1_
	.p2align	8
	.type	_ZN7rocprim17ROCPRIM_400000_NS6detail17trampoline_kernelINS0_14default_configENS1_33run_length_encode_config_selectorItjNS0_4plusIjEEEEZZNS1_33reduce_by_key_impl_wrapped_configILNS1_25lookback_scan_determinismE0ES3_S7_PKtNS0_17constant_iteratorIjlEEPtPlSF_S6_NS0_8equal_toItEEEE10hipError_tPvRmT2_T3_mT4_T5_T6_T7_T8_P12ihipStream_tbENKUlT_T0_E_clISt17integral_constantIbLb0EESZ_EEDaSU_SV_EUlSU_E_NS1_11comp_targetILNS1_3genE0ELNS1_11target_archE4294967295ELNS1_3gpuE0ELNS1_3repE0EEENS1_30default_config_static_selectorELNS0_4arch9wavefront6targetE0EEEvT1_,@function
_ZN7rocprim17ROCPRIM_400000_NS6detail17trampoline_kernelINS0_14default_configENS1_33run_length_encode_config_selectorItjNS0_4plusIjEEEEZZNS1_33reduce_by_key_impl_wrapped_configILNS1_25lookback_scan_determinismE0ES3_S7_PKtNS0_17constant_iteratorIjlEEPtPlSF_S6_NS0_8equal_toItEEEE10hipError_tPvRmT2_T3_mT4_T5_T6_T7_T8_P12ihipStream_tbENKUlT_T0_E_clISt17integral_constantIbLb0EESZ_EEDaSU_SV_EUlSU_E_NS1_11comp_targetILNS1_3genE0ELNS1_11target_archE4294967295ELNS1_3gpuE0ELNS1_3repE0EEENS1_30default_config_static_selectorELNS0_4arch9wavefront6targetE0EEEvT1_: ; @_ZN7rocprim17ROCPRIM_400000_NS6detail17trampoline_kernelINS0_14default_configENS1_33run_length_encode_config_selectorItjNS0_4plusIjEEEEZZNS1_33reduce_by_key_impl_wrapped_configILNS1_25lookback_scan_determinismE0ES3_S7_PKtNS0_17constant_iteratorIjlEEPtPlSF_S6_NS0_8equal_toItEEEE10hipError_tPvRmT2_T3_mT4_T5_T6_T7_T8_P12ihipStream_tbENKUlT_T0_E_clISt17integral_constantIbLb0EESZ_EEDaSU_SV_EUlSU_E_NS1_11comp_targetILNS1_3genE0ELNS1_11target_archE4294967295ELNS1_3gpuE0ELNS1_3repE0EEENS1_30default_config_static_selectorELNS0_4arch9wavefront6targetE0EEEvT1_
; %bb.0:
	s_clause 0x1
	s_load_b128 s[8:11], s[0:1], 0x0
	s_load_b256 s[16:23], s[0:1], 0x40
	s_bfe_u32 s5, ttmp6, 0x4000c
	s_clause 0x1
	s_load_b32 s4, s[0:1], 0x10
	s_load_b128 s[24:27], s[0:1], 0x60
	s_add_co_i32 s5, s5, 1
	s_and_b32 s2, ttmp6, 15
	s_mul_i32 s5, ttmp9, s5
	s_getreg_b32 s12, hwreg(HW_REG_IB_STS2, 6, 4)
	s_add_co_i32 s2, s2, s5
	s_mov_b32 s3, 0
	s_delay_alu instid0(SALU_CYCLE_1)
	s_mov_b32 s29, s3
	s_wait_kmcnt 0x0
	s_lshl_b64 s[6:7], s[10:11], 1
	s_cmp_eq_u32 s12, 0
	s_mul_u64 s[10:11], s[20:21], s[18:19]
	s_cselect_b32 s28, ttmp9, s2
	s_add_nc_u64 s[20:21], s[22:23], -1
	s_mul_i32 s2, s28, 0x1400
	s_add_nc_u64 s[14:15], s[10:11], s[28:29]
	s_lshl_b64 s[10:11], s[2:3], 1
	s_cmp_eq_u64 s[14:15], s[20:21]
	s_add_nc_u64 s[6:7], s[8:9], s[6:7]
	s_cselect_b32 s29, -1, 0
	s_cmp_lg_u64 s[14:15], s[20:21]
	s_add_nc_u64 s[12:13], s[6:7], s[10:11]
	s_cselect_b32 s2, -1, 0
	s_and_b32 vcc_lo, exec_lo, s29
	s_mul_i32 s30, s20, 0xffffec00
	s_cbranch_vccnz .LBB787_2
; %bb.1:
	s_clause 0x9
	global_load_u16 v1, v0, s[12:13] scale_offset
	global_load_u16 v2, v0, s[12:13] offset:1024 scale_offset
	global_load_u16 v3, v0, s[12:13] offset:2048 scale_offset
	;; [unrolled: 1-line block ×9, first 2 shown]
	v_lshlrev_b32_e32 v11, 1, v0
	s_mov_b32 s5, 0
	s_mov_b32 s3, -1
	s_wait_loadcnt 0x9
	ds_store_b16 v11, v1
	s_wait_loadcnt 0x8
	ds_store_b16 v11, v2 offset:1024
	s_wait_loadcnt 0x7
	ds_store_b16 v11, v3 offset:2048
	;; [unrolled: 2-line block ×9, first 2 shown]
	v_mad_u32_u24 v14, v0, 18, v11
	s_wait_dscnt 0x0
	s_barrier_signal -1
	s_barrier_wait -1
	ds_load_2addr_b32 v[12:13], v14 offset1:1
	ds_load_2addr_b32 v[10:11], v14 offset0:2 offset1:3
	ds_load_b32 v1, v14 offset:16
	s_branch .LBB787_3
.LBB787_2:
	s_mov_b32 s5, -1
                                        ; implicit-def: $vgpr12
                                        ; implicit-def: $vgpr10
                                        ; implicit-def: $vgpr1
.LBB787_3:
	v_dual_mov_b32 v36, s4 :: v_dual_mov_b32 v37, s4
	v_dual_mov_b32 v38, s4 :: v_dual_mov_b32 v40, s4
	;; [unrolled: 1-line block ×4, first 2 shown]
	v_mov_b32_e32 v39, s4
	s_and_not1_b32 vcc_lo, exec_lo, s5
	s_add_co_i32 s30, s30, s24
                                        ; implicit-def: $vgpr60
	s_cbranch_vccnz .LBB787_25
; %bb.4:
	s_mov_b32 s3, exec_lo
                                        ; implicit-def: $vgpr1
	v_cmpx_gt_u32_e64 s30, v0
	s_cbranch_execz .LBB787_6
; %bb.5:
	s_wait_dscnt 0x0
	global_load_u16 v1, v0, s[12:13] scale_offset
.LBB787_6:
	s_wait_xcnt 0x0
	s_or_b32 exec_lo, exec_lo, s3
	v_or_b32_e32 v2, 0x200, v0
	s_delay_alu instid0(VALU_DEP_1)
	v_cmp_gt_u32_e32 vcc_lo, s30, v2
                                        ; implicit-def: $vgpr2
	s_and_saveexec_b32 s3, vcc_lo
	s_cbranch_execz .LBB787_8
; %bb.7:
	global_load_u16 v2, v0, s[12:13] offset:1024 scale_offset
.LBB787_8:
	s_wait_xcnt 0x0
	s_or_b32 exec_lo, exec_lo, s3
	v_or_b32_e32 v3, 0x400, v0
	s_delay_alu instid0(VALU_DEP_1)
	v_cmp_gt_u32_e32 vcc_lo, s30, v3
                                        ; implicit-def: $vgpr3
	s_and_saveexec_b32 s3, vcc_lo
	s_cbranch_execz .LBB787_10
; %bb.9:
	global_load_u16 v3, v0, s[12:13] offset:2048 scale_offset
.LBB787_10:
	s_wait_xcnt 0x0
	s_or_b32 exec_lo, exec_lo, s3
	v_or_b32_e32 v4, 0x600, v0
	s_delay_alu instid0(VALU_DEP_1)
	v_cmp_gt_u32_e32 vcc_lo, s30, v4
                                        ; implicit-def: $vgpr4
	s_and_saveexec_b32 s3, vcc_lo
	s_cbranch_execz .LBB787_12
; %bb.11:
	global_load_u16 v4, v0, s[12:13] offset:3072 scale_offset
.LBB787_12:
	s_wait_xcnt 0x0
	s_or_b32 exec_lo, exec_lo, s3
	v_or_b32_e32 v5, 0x800, v0
	s_delay_alu instid0(VALU_DEP_1)
	v_cmp_gt_u32_e32 vcc_lo, s30, v5
                                        ; implicit-def: $vgpr5
	s_and_saveexec_b32 s3, vcc_lo
	s_cbranch_execz .LBB787_14
; %bb.13:
	global_load_u16 v5, v0, s[12:13] offset:4096 scale_offset
.LBB787_14:
	s_wait_xcnt 0x0
	s_or_b32 exec_lo, exec_lo, s3
	v_or_b32_e32 v6, 0xa00, v0
	s_delay_alu instid0(VALU_DEP_1)
	v_cmp_gt_u32_e32 vcc_lo, s30, v6
                                        ; implicit-def: $vgpr6
	s_and_saveexec_b32 s3, vcc_lo
	s_cbranch_execz .LBB787_16
; %bb.15:
	global_load_u16 v6, v0, s[12:13] offset:5120 scale_offset
.LBB787_16:
	s_wait_xcnt 0x0
	s_or_b32 exec_lo, exec_lo, s3
	v_or_b32_e32 v7, 0xc00, v0
	s_delay_alu instid0(VALU_DEP_1)
	v_cmp_gt_u32_e32 vcc_lo, s30, v7
                                        ; implicit-def: $vgpr7
	s_and_saveexec_b32 s3, vcc_lo
	s_cbranch_execz .LBB787_18
; %bb.17:
	global_load_u16 v7, v0, s[12:13] offset:6144 scale_offset
.LBB787_18:
	s_wait_xcnt 0x0
	s_or_b32 exec_lo, exec_lo, s3
	v_or_b32_e32 v8, 0xe00, v0
	s_delay_alu instid0(VALU_DEP_1)
	v_cmp_gt_u32_e32 vcc_lo, s30, v8
                                        ; implicit-def: $vgpr8
	s_and_saveexec_b32 s3, vcc_lo
	s_cbranch_execz .LBB787_20
; %bb.19:
	global_load_u16 v8, v0, s[12:13] offset:7168 scale_offset
.LBB787_20:
	s_wait_xcnt 0x0
	s_or_b32 exec_lo, exec_lo, s3
	v_or_b32_e32 v9, 0x1000, v0
	s_delay_alu instid0(VALU_DEP_1)
	v_cmp_gt_u32_e32 vcc_lo, s30, v9
                                        ; implicit-def: $vgpr9
	s_and_saveexec_b32 s3, vcc_lo
	s_cbranch_execz .LBB787_22
; %bb.21:
	global_load_u16 v9, v0, s[12:13] offset:8192 scale_offset
.LBB787_22:
	s_wait_xcnt 0x0
	s_or_b32 exec_lo, exec_lo, s3
	s_wait_dscnt 0x1
	v_or_b32_e32 v10, 0x1200, v0
	s_delay_alu instid0(VALU_DEP_1)
	v_cmp_gt_u32_e32 vcc_lo, s30, v10
                                        ; implicit-def: $vgpr10
	s_and_saveexec_b32 s3, vcc_lo
	s_cbranch_execz .LBB787_24
; %bb.23:
	global_load_u16 v10, v0, s[12:13] offset:9216 scale_offset
.LBB787_24:
	s_wait_xcnt 0x0
	s_or_b32 exec_lo, exec_lo, s3
	v_dual_mov_b32 v60, 0 :: v_dual_lshlrev_b32 v11, 1, v0
	s_wait_loadcnt_dscnt 0x0
	ds_store_b16 v11, v1
	ds_store_b16 v11, v2 offset:1024
	ds_store_b16 v11, v3 offset:2048
	;; [unrolled: 1-line block ×9, first 2 shown]
	v_mul_u32_u24_e32 v2, 10, v0
	v_mad_u32_u24 v4, v0, 10, 4
	s_wait_dscnt 0x0
	s_barrier_signal -1
	s_barrier_wait -1
	v_or_b32_e32 v3, 1, v2
	v_cmp_gt_u32_e32 vcc_lo, s30, v2
	v_mad_u32_u24 v2, v0, 10, 2
	v_mad_u32_u24 v1, v0, 18, v11
	ds_load_2addr_b32 v[12:13], v1 offset1:1
	ds_load_2addr_b32 v[10:11], v1 offset0:2 offset1:3
	ds_load_b32 v1, v1 offset:16
	v_cndmask_b32_e64 v39, 0, s4, vcc_lo
	v_cmp_gt_u32_e32 vcc_lo, s30, v3
	v_mad_u32_u24 v3, v0, 10, 3
	v_cndmask_b32_e64 v41, 0, s4, vcc_lo
	v_cmp_gt_u32_e32 vcc_lo, s30, v2
	v_mad_u32_u24 v2, v0, 10, 5
	;; [unrolled: 3-line block ×6, first 2 shown]
	v_cndmask_b32_e64 v38, 0, s4, vcc_lo
	v_cmp_gt_u32_e32 vcc_lo, s30, v2
	s_delay_alu instid0(VALU_DEP_3)
	v_cmp_gt_u32_e64 s3, s30, v3
	v_cndmask_b32_e64 v37, 0, s4, vcc_lo
	v_cmp_gt_u32_e32 vcc_lo, s30, v4
	v_cndmask_b32_e64 v36, 0, s4, vcc_lo
.LBB787_25:
	s_delay_alu instid0(VALU_DEP_4)
	s_and_saveexec_b32 s5, s3
; %bb.26:
	v_mov_b32_e32 v60, s4
; %bb.27:
	s_or_b32 exec_lo, exec_lo, s5
	s_load_b64 s[22:23], s[0:1], 0x70
	s_cmp_eq_u64 s[14:15], 0
	s_wait_dscnt 0x2
	v_dual_lshrrev_b32 v57, 16, v12 :: v_dual_lshrrev_b32 v56, 16, v13
	s_wait_dscnt 0x1
	v_dual_lshrrev_b32 v55, 16, v10 :: v_dual_lshrrev_b32 v54, 16, v11
	s_wait_dscnt 0x0
	v_lshrrev_b32_e32 v53, 16, v1
	s_cselect_b32 s31, -1, 0
	s_cmp_lg_u64 s[14:15], 0
	s_cselect_b32 s20, -1, 0
	s_and_b32 vcc_lo, exec_lo, s2
	s_barrier_signal -1
	s_barrier_wait -1
	s_cbranch_vccz .LBB787_32
; %bb.28:
	s_and_b32 vcc_lo, exec_lo, s20
	s_cbranch_vccz .LBB787_33
; %bb.29:
	v_dual_mov_b32 v2, 0 :: v_dual_lshlrev_b32 v3, 1, v0
	v_cmp_ne_u16_e64 s2, v54, v1
	v_cmp_ne_u16_e64 s3, v11, v54
	;; [unrolled: 1-line block ×3, first 2 shown]
	global_load_u16 v2, v2, s[12:13] offset:-2
	v_cmp_ne_u16_e64 s5, v10, v55
	v_cmp_ne_u16_e64 s6, v56, v10
	;; [unrolled: 1-line block ×5, first 2 shown]
	s_mov_b32 s21, 0
	s_mov_b32 s11, exec_lo
	ds_store_b16 v3, v53
	v_cmp_ne_u16_e32 vcc_lo, v1, v53
	s_wait_loadcnt_dscnt 0x0
	s_barrier_signal -1
	s_barrier_wait -1
	v_cmpx_ne_u32_e32 0, v0
; %bb.30:
	v_add_nc_u32_e32 v2, -2, v3
	ds_load_u16 v2, v2
; %bb.31:
	s_or_b32 exec_lo, exec_lo, s11
	v_cndmask_b32_e64 v48, 0, 1, vcc_lo
	v_cndmask_b32_e64 v46, 0, 1, s2
	v_cndmask_b32_e64 v44, 0, 1, s3
	;; [unrolled: 1-line block ×8, first 2 shown]
	s_wait_dscnt 0x0
	v_cmp_ne_u16_e64 s11, v2, v12
	s_mov_b32 s33, -1
	s_and_b32 vcc_lo, exec_lo, s21
	s_cbranch_vccnz .LBB787_34
	s_branch .LBB787_37
.LBB787_32:
	s_mov_b32 s33, 0
                                        ; implicit-def: $sgpr11
                                        ; implicit-def: $vgpr48
                                        ; implicit-def: $vgpr46
                                        ; implicit-def: $vgpr44
                                        ; implicit-def: $vgpr45
                                        ; implicit-def: $vgpr47
                                        ; implicit-def: $vgpr49
                                        ; implicit-def: $vgpr50
                                        ; implicit-def: $vgpr51
                                        ; implicit-def: $vgpr52
	s_cbranch_execnz .LBB787_38
	s_branch .LBB787_46
.LBB787_33:
	s_mov_b32 s33, 0
                                        ; implicit-def: $sgpr11
                                        ; implicit-def: $vgpr48
                                        ; implicit-def: $vgpr46
                                        ; implicit-def: $vgpr44
                                        ; implicit-def: $vgpr45
                                        ; implicit-def: $vgpr47
                                        ; implicit-def: $vgpr49
                                        ; implicit-def: $vgpr50
                                        ; implicit-def: $vgpr51
                                        ; implicit-def: $vgpr52
	s_cbranch_execz .LBB787_37
.LBB787_34:
	v_lshlrev_b32_e32 v2, 1, v0
	v_cmp_ne_u16_e64 s2, v54, v1
	v_cmp_ne_u16_e64 s3, v11, v54
	;; [unrolled: 1-line block ×8, first 2 shown]
	v_cmp_ne_u32_e64 s10, 0, v0
	v_cmp_ne_u16_e32 vcc_lo, v1, v53
	ds_store_b16 v2, v53
	s_wait_dscnt 0x0
	s_barrier_signal -1
	s_barrier_wait -1
                                        ; implicit-def: $sgpr11
	s_and_saveexec_b32 s21, s10
	s_delay_alu instid0(SALU_CYCLE_1)
	s_xor_b32 s10, exec_lo, s21
	s_cbranch_execz .LBB787_36
; %bb.35:
	v_add_nc_u32_e32 v2, -2, v2
	s_or_b32 s33, s33, exec_lo
	ds_load_u16 v2, v2
	s_wait_dscnt 0x0
	v_cmp_ne_u16_e64 s11, v2, v12
.LBB787_36:
	s_or_b32 exec_lo, exec_lo, s10
	v_cndmask_b32_e64 v48, 0, 1, vcc_lo
	v_cndmask_b32_e64 v46, 0, 1, s2
	v_cndmask_b32_e64 v44, 0, 1, s3
	;; [unrolled: 1-line block ×8, first 2 shown]
.LBB787_37:
	s_branch .LBB787_46
.LBB787_38:
	s_mov_b64 s[2:3], 0xffffffffffffec00
	v_cmp_ne_u16_e64 s10, v1, v53
	s_mul_u64 s[14:15], s[14:15], s[2:3]
	v_cmp_ne_u16_e64 s11, v54, v1
	v_cmp_ne_u16_e64 s2, v11, v54
	v_cmp_ne_u16_e64 s3, v55, v11
	v_cmp_ne_u16_e64 s4, v10, v55
	v_cmp_ne_u16_e64 s5, v56, v10
	v_cmp_ne_u16_e64 s6, v13, v56
	v_cmp_ne_u16_e64 s7, v57, v13
	v_cmp_ne_u16_e64 s8, v12, v57
	v_mul_u32_u24_e32 v2, 10, v0
	v_mad_u32_u24 v4, v0, 10, 9
	v_mad_u32_u24 v22, v0, 10, 8
	;; [unrolled: 1-line block ×8, first 2 shown]
	v_cmp_ne_u32_e64 s9, 0, v0
	s_and_b32 vcc_lo, exec_lo, s20
	s_add_nc_u64 s[20:21], s[14:15], s[24:25]
	s_cbranch_vccz .LBB787_42
; %bb.39:
	v_dual_mov_b32 v5, 0 :: v_dual_lshlrev_b32 v3, 1, v0
	s_delay_alu instid0(VALU_DEP_1)
	v_dual_mov_b32 v7, v5 :: v_dual_bitop2_b32 v26, 1, v2 bitop3:0x54
	global_load_u16 v24, v5, s[12:13] offset:-2
	v_dual_mov_b32 v23, v5 :: v_dual_mov_b32 v21, v5
	v_cmp_gt_u64_e32 vcc_lo, s[20:21], v[4:5]
	v_dual_mov_b32 v19, v5 :: v_dual_mov_b32 v17, v5
	s_wait_xcnt 0x0
	s_delay_alu instid0(VALU_DEP_3)
	v_cmp_gt_u64_e64 s12, s[20:21], v[22:23]
	v_dual_mov_b32 v15, v5 :: v_dual_mov_b32 v9, v5
	v_mov_b32_e32 v27, v5
	s_and_b32 s25, vcc_lo, s10
	v_cmp_gt_u64_e32 vcc_lo, s[20:21], v[20:21]
	v_cmp_gt_u64_e64 s10, s[20:21], v[18:19]
	s_and_b32 s24, s12, s11
	v_cmp_gt_u64_e64 s11, s[20:21], v[16:17]
	v_cmp_gt_u64_e64 s12, s[20:21], v[14:15]
	v_cmp_gt_u64_e64 s13, s[20:21], v[8:9]
	v_cmp_gt_u64_e64 s14, s[20:21], v[6:7]
	v_cmp_gt_u64_e64 s15, s[20:21], v[26:27]
	s_and_b32 s33, vcc_lo, s2
	s_and_b32 s10, s10, s3
	s_and_b32 s11, s11, s4
	s_and_b32 s2, s12, s5
	s_and_b32 s4, s13, s6
	s_and_b32 s5, s14, s7
	s_and_b32 s6, s15, s8
	s_mov_b32 s3, 0
	ds_store_b16 v3, v53
	s_wait_loadcnt_dscnt 0x0
	s_barrier_signal -1
	s_barrier_wait -1
	s_and_saveexec_b32 s7, s9
; %bb.40:
	v_add_nc_u32_e32 v3, -2, v3
	ds_load_u16 v24, v3
; %bb.41:
	s_or_b32 exec_lo, exec_lo, s7
	v_mov_b32_e32 v3, v5
	v_cndmask_b32_e64 v49, 0, 1, s2
	s_wait_dscnt 0x0
	v_cmp_ne_u16_e64 s2, v24, v12
	v_cndmask_b32_e64 v48, 0, 1, s25
	v_cndmask_b32_e64 v46, 0, 1, s24
	v_cmp_gt_u64_e32 vcc_lo, s[20:21], v[2:3]
	v_cndmask_b32_e64 v44, 0, 1, s33
	v_cndmask_b32_e64 v45, 0, 1, s10
	;; [unrolled: 1-line block ×6, first 2 shown]
	s_and_b32 s11, vcc_lo, s2
	s_mov_b32 s33, -1
	s_and_b32 vcc_lo, exec_lo, s3
	s_cbranch_vccnz .LBB787_43
	s_branch .LBB787_46
.LBB787_42:
                                        ; implicit-def: $sgpr11
                                        ; implicit-def: $vgpr48
                                        ; implicit-def: $vgpr46
                                        ; implicit-def: $vgpr44
                                        ; implicit-def: $vgpr45
                                        ; implicit-def: $vgpr47
                                        ; implicit-def: $vgpr49
                                        ; implicit-def: $vgpr50
                                        ; implicit-def: $vgpr51
                                        ; implicit-def: $vgpr52
	s_cbranch_execz .LBB787_46
.LBB787_43:
	v_dual_mov_b32 v5, 0 :: v_dual_lshlrev_b32 v3, 1, v0
	v_cmp_ne_u16_e32 vcc_lo, v1, v53
	v_cmp_ne_u16_e64 s2, v54, v1
	v_cmp_ne_u16_e64 s3, v11, v54
	s_delay_alu instid0(VALU_DEP_4) | instskip(SKIP_2) | instid1(VALU_DEP_3)
	v_dual_mov_b32 v23, v5 :: v_dual_mov_b32 v21, v5
	v_dual_mov_b32 v19, v5 :: v_dual_mov_b32 v17, v5
	v_cmp_gt_u64_e64 s4, s[20:21], v[4:5]
	v_cmp_gt_u64_e64 s5, s[20:21], v[22:23]
	s_delay_alu instid0(VALU_DEP_4) | instskip(NEXT) | instid1(VALU_DEP_4)
	v_cmp_gt_u64_e64 s6, s[20:21], v[20:21]
	v_cmp_gt_u64_e64 s8, s[20:21], v[18:19]
	v_cmp_ne_u16_e64 s7, v55, v11
	v_dual_mov_b32 v15, v5 :: v_dual_mov_b32 v9, v5
	v_dual_mov_b32 v7, v5 :: v_dual_bitop2_b32 v4, 1, v2 bitop3:0x54
	s_and_b32 s12, s4, vcc_lo
	s_and_b32 s13, s5, s2
	s_and_b32 s14, s6, s3
	;; [unrolled: 1-line block ×3, first 2 shown]
	v_cmp_gt_u64_e32 vcc_lo, s[20:21], v[16:17]
	v_cmp_gt_u64_e64 s3, s[20:21], v[14:15]
	v_cmp_gt_u64_e64 s5, s[20:21], v[8:9]
	;; [unrolled: 1-line block ×4, first 2 shown]
	v_cmp_ne_u16_e64 s2, v10, v55
	v_cmp_ne_u16_e64 s4, v56, v10
	;; [unrolled: 1-line block ×5, first 2 shown]
	s_and_b32 s24, vcc_lo, s2
	s_and_b32 s3, s3, s4
	s_and_b32 s4, s5, s6
	;; [unrolled: 1-line block ×4, first 2 shown]
	s_mov_b32 s7, exec_lo
	ds_store_b16 v3, v53
	s_wait_dscnt 0x0
	s_barrier_signal -1
	s_barrier_wait -1
                                        ; implicit-def: $sgpr11
	v_cmpx_ne_u32_e32 0, v0
	s_cbranch_execz .LBB787_45
; %bb.44:
	v_add_nc_u32_e32 v3, -2, v3
	s_or_b32 s33, s33, exec_lo
	ds_load_u16 v4, v3
	v_mov_b32_e32 v3, v5
	s_delay_alu instid0(VALU_DEP_1)
	v_cmp_gt_u64_e32 vcc_lo, s[20:21], v[2:3]
	s_wait_dscnt 0x0
	v_cmp_ne_u16_e64 s2, v4, v12
	s_and_b32 s11, vcc_lo, s2
.LBB787_45:
	s_or_b32 exec_lo, exec_lo, s7
	v_cndmask_b32_e64 v48, 0, 1, s12
	v_cndmask_b32_e64 v46, 0, 1, s13
	;; [unrolled: 1-line block ×9, first 2 shown]
.LBB787_46:
	v_mov_b32_e32 v58, 1
	s_and_saveexec_b32 s2, s33
; %bb.47:
	v_cndmask_b32_e64 v58, 0, 1, s11
; %bb.48:
	s_or_b32 exec_lo, exec_lo, s2
	s_clause 0x1
	s_load_b128 s[12:15], s[0:1], 0x20
	s_load_b64 s[20:21], s[0:1], 0x30
	v_dual_add_nc_u32 v2, v52, v58 :: v_dual_lshrrev_b32 v62, 5, v0
	v_cmp_eq_u32_e64 s7, 0, v52
	v_cmp_eq_u32_e64 s6, 0, v51
	;; [unrolled: 1-line block ×3, first 2 shown]
	s_delay_alu instid0(VALU_DEP_4)
	v_add3_u32 v64, v2, v51, v50
	v_cmp_eq_u32_e64 s4, 0, v49
	v_cmp_eq_u32_e64 s3, 0, v47
	;; [unrolled: 1-line block ×3, first 2 shown]
	s_wait_xcnt 0x0
	v_cmp_eq_u32_e64 s1, 0, v44
	v_cmp_eq_u32_e64 s0, 0, v46
	v_mbcnt_lo_u32_b32 v61, -1, 0
	v_or_b32_e32 v63, 31, v0
	s_cmp_eq_u64 s[18:19], 0
	v_cmp_eq_u32_e32 vcc_lo, 0, v48
	s_cselect_b32 s18, -1, 0
	s_cmp_lg_u32 s28, 0
	s_cbranch_scc0 .LBB787_69
; %bb.49:
	v_add3_u32 v3, v64, v49, v47
	v_dual_cndmask_b32 v2, 0, v39, s7 :: v_dual_bitop2_b32 v5, 15, v61 bitop3:0x40
	s_mov_b32 s19, exec_lo
	s_delay_alu instid0(VALU_DEP_2) | instskip(NEXT) | instid1(VALU_DEP_2)
	v_add3_u32 v3, v3, v45, v44
	v_add_nc_u32_e32 v2, v2, v41
	s_delay_alu instid0(VALU_DEP_3) | instskip(NEXT) | instid1(VALU_DEP_3)
	v_cmp_eq_u32_e64 s9, 0, v5
	v_add3_u32 v3, v3, v46, v48
	s_delay_alu instid0(VALU_DEP_1) | instskip(NEXT) | instid1(VALU_DEP_1)
	v_mov_b32_dpp v6, v3 row_shr:1 row_mask:0xf bank_mask:0xf
	v_cndmask_b32_e64 v6, v6, 0, s9
	v_cndmask_b32_e64 v2, 0, v2, s6
	s_delay_alu instid0(VALU_DEP_1) | instskip(NEXT) | instid1(VALU_DEP_1)
	v_add_nc_u32_e32 v2, v2, v43
	v_cndmask_b32_e64 v2, 0, v2, s5
	s_delay_alu instid0(VALU_DEP_1) | instskip(NEXT) | instid1(VALU_DEP_1)
	v_add_nc_u32_e32 v2, v2, v59
	;; [unrolled: 3-line block ×7, first 2 shown]
	v_cndmask_b32_e32 v2, 0, v2, vcc_lo
	v_cmp_eq_u32_e32 vcc_lo, 0, v3
	v_add_nc_u32_e32 v3, v6, v3
	s_delay_alu instid0(VALU_DEP_3) | instskip(NEXT) | instid1(VALU_DEP_2)
	v_add_nc_u32_e32 v2, v2, v60
	v_cmp_eq_u32_e64 s8, 0, v3
	s_delay_alu instid0(VALU_DEP_2) | instskip(NEXT) | instid1(VALU_DEP_1)
	v_mov_b32_dpp v4, v2 row_shr:1 row_mask:0xf bank_mask:0xf
	v_cndmask_b32_e32 v4, 0, v4, vcc_lo
	v_cmp_lt_u32_e32 vcc_lo, 1, v5
	s_delay_alu instid0(VALU_DEP_2) | instskip(SKIP_1) | instid1(VALU_DEP_1)
	v_cndmask_b32_e64 v4, v4, 0, s9
	s_and_b32 s8, vcc_lo, s8
	v_add_nc_u32_e32 v2, v4, v2
	v_mov_b32_dpp v4, v3 row_shr:2 row_mask:0xf bank_mask:0xf
	s_delay_alu instid0(VALU_DEP_2) | instskip(NEXT) | instid1(VALU_DEP_1)
	v_mov_b32_dpp v6, v2 row_shr:2 row_mask:0xf bank_mask:0xf
	v_dual_cndmask_b32 v4, 0, v4, vcc_lo :: v_dual_cndmask_b32 v6, 0, v6, s8
	s_delay_alu instid0(VALU_DEP_1) | instskip(SKIP_1) | instid1(VALU_DEP_3)
	v_add_nc_u32_e32 v3, v3, v4
	v_cmp_lt_u32_e64 s8, 3, v5
	v_add_nc_u32_e32 v2, v6, v2
	s_delay_alu instid0(VALU_DEP_3) | instskip(SKIP_1) | instid1(VALU_DEP_3)
	v_mov_b32_dpp v4, v3 row_shr:4 row_mask:0xf bank_mask:0xf
	v_cmp_eq_u32_e64 s10, 0, v3
	v_mov_b32_dpp v6, v2 row_shr:4 row_mask:0xf bank_mask:0xf
	s_delay_alu instid0(VALU_DEP_3)
	v_cndmask_b32_e64 v4, 0, v4, s8
	s_and_b32 s10, s8, s10
	s_delay_alu instid0(VALU_DEP_1) | instid1(SALU_CYCLE_1)
	v_dual_cndmask_b32 v6, 0, v6, s10 :: v_dual_add_nc_u32 v3, v4, v3
	v_cmp_lt_u32_e64 s10, 7, v5
	s_delay_alu instid0(VALU_DEP_2) | instskip(NEXT) | instid1(VALU_DEP_3)
	v_add_nc_u32_e32 v2, v2, v6
	v_cmp_eq_u32_e64 s11, 0, v3
	v_mov_b32_dpp v4, v3 row_shr:8 row_mask:0xf bank_mask:0xf
	v_bfe_i32 v6, v61, 4, 1
	s_delay_alu instid0(VALU_DEP_4)
	v_mov_b32_dpp v5, v2 row_shr:8 row_mask:0xf bank_mask:0xf
	s_and_b32 s11, s10, s11
	s_delay_alu instid0(VALU_DEP_1) | instid1(SALU_CYCLE_1)
	v_dual_cndmask_b32 v4, 0, v4, s10 :: v_dual_cndmask_b32 v5, 0, v5, s11
	s_delay_alu instid0(VALU_DEP_1) | instskip(SKIP_4) | instid1(VALU_DEP_1)
	v_dual_add_nc_u32 v5, v5, v2 :: v_dual_add_nc_u32 v2, v4, v3
	ds_swizzle_b32 v3, v5 offset:swizzle(BROADCAST,32,15)
	ds_swizzle_b32 v4, v2 offset:swizzle(BROADCAST,32,15)
	v_cmp_eq_u32_e64 s11, 0, v2
	s_wait_dscnt 0x0
	v_dual_cndmask_b32 v3, 0, v3, s11 :: v_dual_bitop2_b32 v4, v6, v4 bitop3:0x40
	s_delay_alu instid0(VALU_DEP_1) | instskip(NEXT) | instid1(VALU_DEP_1)
	v_dual_add_nc_u32 v2, v4, v2 :: v_dual_bitop2_b32 v3, v6, v3 bitop3:0x40
	v_dual_lshlrev_b32 v4, 3, v62 :: v_dual_add_nc_u32 v3, v3, v5
	v_cmpx_eq_u32_e64 v0, v63
; %bb.50:
	ds_store_b64 v4, v[2:3] offset:2064
; %bb.51:
	s_or_b32 exec_lo, exec_lo, s19
	s_delay_alu instid0(SALU_CYCLE_1)
	s_mov_b32 s19, exec_lo
	s_wait_dscnt 0x0
	s_barrier_signal -1
	s_barrier_wait -1
	v_cmpx_gt_u32_e32 16, v0
	s_cbranch_execz .LBB787_53
; %bb.52:
	v_lshlrev_b32_e32 v5, 3, v0
	ds_load_b64 v[6:7], v5 offset:2064
	s_wait_dscnt 0x0
	v_mov_b32_dpp v8, v7 row_shr:1 row_mask:0xf bank_mask:0xf
	v_mov_b32_dpp v9, v6 row_shr:1 row_mask:0xf bank_mask:0xf
	v_cmp_eq_u32_e64 s11, 0, v6
	s_delay_alu instid0(VALU_DEP_2) | instskip(NEXT) | instid1(VALU_DEP_1)
	v_cndmask_b32_e64 v9, v9, 0, s9
	v_dual_cndmask_b32 v8, 0, v8, s11 :: v_dual_add_nc_u32 v6, v9, v6
	s_delay_alu instid0(VALU_DEP_1) | instskip(NEXT) | instid1(VALU_DEP_2)
	v_cndmask_b32_e64 v8, v8, 0, s9
	v_cmp_eq_u32_e64 s9, 0, v6
	s_delay_alu instid0(VALU_DEP_2) | instskip(SKIP_1) | instid1(VALU_DEP_1)
	v_add_nc_u32_e32 v7, v8, v7
	v_mov_b32_dpp v8, v6 row_shr:2 row_mask:0xf bank_mask:0xf
	v_cndmask_b32_e32 v8, 0, v8, vcc_lo
	s_delay_alu instid0(VALU_DEP_3) | instskip(SKIP_1) | instid1(VALU_DEP_1)
	v_mov_b32_dpp v9, v7 row_shr:2 row_mask:0xf bank_mask:0xf
	s_and_b32 vcc_lo, vcc_lo, s9
	v_dual_cndmask_b32 v9, 0, v9 :: v_dual_add_nc_u32 v6, v8, v6
	s_delay_alu instid0(VALU_DEP_1) | instskip(NEXT) | instid1(VALU_DEP_2)
	v_add_nc_u32_e32 v7, v9, v7
	v_mov_b32_dpp v8, v6 row_shr:4 row_mask:0xf bank_mask:0xf
	v_cmp_eq_u32_e32 vcc_lo, 0, v6
	s_delay_alu instid0(VALU_DEP_3)
	v_mov_b32_dpp v9, v7 row_shr:4 row_mask:0xf bank_mask:0xf
	s_and_b32 vcc_lo, s8, vcc_lo
	s_delay_alu instid0(VALU_DEP_1) | instid1(SALU_CYCLE_1)
	v_dual_cndmask_b32 v8, 0, v8, s8 :: v_dual_cndmask_b32 v9, 0, v9, vcc_lo
	s_delay_alu instid0(VALU_DEP_1) | instskip(NEXT) | instid1(VALU_DEP_1)
	v_dual_add_nc_u32 v6, v8, v6 :: v_dual_add_nc_u32 v7, v9, v7
	v_cmp_eq_u32_e32 vcc_lo, 0, v6
	v_mov_b32_dpp v8, v6 row_shr:8 row_mask:0xf bank_mask:0xf
	s_delay_alu instid0(VALU_DEP_3)
	v_mov_b32_dpp v9, v7 row_shr:8 row_mask:0xf bank_mask:0xf
	s_and_b32 vcc_lo, s10, vcc_lo
	s_delay_alu instid0(VALU_DEP_1) | instid1(SALU_CYCLE_1)
	v_dual_cndmask_b32 v8, 0, v8, s10 :: v_dual_cndmask_b32 v9, 0, v9, vcc_lo
	s_delay_alu instid0(VALU_DEP_1)
	v_dual_add_nc_u32 v6, v8, v6 :: v_dual_add_nc_u32 v7, v9, v7
	ds_store_b64 v5, v[6:7] offset:2064
.LBB787_53:
	s_or_b32 exec_lo, exec_lo, s19
	v_dual_mov_b32 v14, 0 :: v_dual_mov_b32 v15, 0
	s_mov_b32 s9, exec_lo
	v_cmp_gt_u32_e32 vcc_lo, 32, v0
	s_wait_dscnt 0x0
	s_barrier_signal -1
	s_barrier_wait -1
	v_cmpx_lt_u32_e32 31, v0
	s_cbranch_execz .LBB787_55
; %bb.54:
	ds_load_b64 v[14:15], v4 offset:2056
	v_cmp_eq_u32_e64 s8, 0, v2
	s_wait_dscnt 0x0
	s_delay_alu instid0(VALU_DEP_1) | instskip(NEXT) | instid1(VALU_DEP_1)
	v_dual_cndmask_b32 v4, 0, v15, s8 :: v_dual_add_nc_u32 v2, v14, v2
	v_add_nc_u32_e32 v3, v4, v3
.LBB787_55:
	s_or_b32 exec_lo, exec_lo, s9
	v_sub_co_u32 v4, s8, v61, 1
	s_delay_alu instid0(VALU_DEP_1) | instskip(NEXT) | instid1(VALU_DEP_1)
	v_cmp_gt_i32_e64 s9, 0, v4
	v_cndmask_b32_e64 v4, v4, v61, s9
	s_delay_alu instid0(VALU_DEP_1)
	v_lshlrev_b32_e32 v4, 2, v4
	ds_bpermute_b32 v20, v4, v2
	ds_bpermute_b32 v21, v4, v3
	s_and_saveexec_b32 s11, vcc_lo
	s_cbranch_execz .LBB787_74
; %bb.56:
	v_mov_b32_e32 v5, 0
	ds_load_b64 v[2:3], v5 offset:2184
	s_and_saveexec_b32 s9, s8
	s_cbranch_execz .LBB787_58
; %bb.57:
	s_add_co_i32 s24, s28, 32
	s_mov_b32 s25, 0
	v_mov_b32_e32 v4, 1
	s_lshl_b64 s[24:25], s[24:25], 4
	s_delay_alu instid0(SALU_CYCLE_1) | instskip(NEXT) | instid1(SALU_CYCLE_1)
	s_add_nc_u64 s[24:25], s[16:17], s[24:25]
	v_mov_b64_e32 v[6:7], s[24:25]
	s_wait_dscnt 0x0
	;;#ASMSTART
	global_store_b128 v[6:7], v[2:5] off scope:SCOPE_DEV	
s_wait_storecnt 0x0
	;;#ASMEND
.LBB787_58:
	s_or_b32 exec_lo, exec_lo, s9
	v_xad_u32 v16, v61, -1, s28
	s_mov_b32 s10, 0
	s_mov_b32 s9, exec_lo
	s_delay_alu instid0(VALU_DEP_1) | instskip(NEXT) | instid1(VALU_DEP_1)
	v_add_nc_u32_e32 v4, 32, v16
	v_lshl_add_u64 v[4:5], v[4:5], 4, s[16:17]
	;;#ASMSTART
	global_load_b128 v[6:9], v[4:5] off scope:SCOPE_DEV	
s_wait_loadcnt 0x0
	;;#ASMEND
	v_and_b32_e32 v9, 0xff, v8
	s_delay_alu instid0(VALU_DEP_1)
	v_cmpx_eq_u16_e32 0, v9
	s_cbranch_execz .LBB787_61
.LBB787_59:                             ; =>This Inner Loop Header: Depth=1
	;;#ASMSTART
	global_load_b128 v[6:9], v[4:5] off scope:SCOPE_DEV	
s_wait_loadcnt 0x0
	;;#ASMEND
	v_and_b32_e32 v9, 0xff, v8
	s_delay_alu instid0(VALU_DEP_1) | instskip(SKIP_1) | instid1(SALU_CYCLE_1)
	v_cmp_ne_u16_e32 vcc_lo, 0, v9
	s_or_b32 s10, vcc_lo, s10
	s_and_not1_b32 exec_lo, exec_lo, s10
	s_cbranch_execnz .LBB787_59
; %bb.60:
	s_or_b32 exec_lo, exec_lo, s10
.LBB787_61:
	s_delay_alu instid0(SALU_CYCLE_1)
	s_or_b32 exec_lo, exec_lo, s9
	v_cmp_ne_u32_e32 vcc_lo, 31, v61
	v_lshlrev_b32_e64 v23, v61, -1
	v_cmp_gt_u32_e64 s10, 30, v61
	v_lshl_or_b32 v30, v61, 2, 64
	v_add_nc_u32_e32 v25, 2, v61
	v_add_co_ci_u32_e64 v4, null, 0, v61, vcc_lo
	s_delay_alu instid0(VALU_DEP_4) | instskip(SKIP_1) | instid1(VALU_DEP_3)
	v_cndmask_b32_e64 v17, 0, 2, s10
	v_dual_add_nc_u32 v27, 4, v61 :: v_dual_add_nc_u32 v29, 8, v61
	v_lshlrev_b32_e32 v22, 2, v4
	v_and_b32_e32 v4, 0xff, v8
	s_delay_alu instid0(VALU_DEP_4)
	v_add_lshl_u32 v24, v17, v61, 2
	v_add_nc_u32_e32 v31, 16, v61
	ds_bpermute_b32 v5, v22, v6
	v_cmp_eq_u16_e32 vcc_lo, 2, v4
	v_and_or_b32 v9, vcc_lo, v23, 0x80000000
	v_cmp_eq_u32_e32 vcc_lo, 0, v6
	s_delay_alu instid0(VALU_DEP_2) | instskip(NEXT) | instid1(VALU_DEP_1)
	v_ctz_i32_b32_e32 v9, v9
	v_cmp_lt_u32_e64 s9, v61, v9
	s_wait_dscnt 0x0
	s_delay_alu instid0(VALU_DEP_1) | instskip(SKIP_4) | instid1(VALU_DEP_1)
	v_cndmask_b32_e64 v5, 0, v5, s9
	ds_bpermute_b32 v4, v22, v7
	s_and_b32 vcc_lo, s9, vcc_lo
	s_wait_dscnt 0x0
	v_dual_cndmask_b32 v4, 0, v4 :: v_dual_add_nc_u32 v5, v5, v6
	v_cmp_eq_u32_e32 vcc_lo, 0, v5
	s_delay_alu instid0(VALU_DEP_2)
	v_add_nc_u32_e32 v4, v4, v7
	ds_bpermute_b32 v7, v24, v4
	s_wait_dscnt 0x0
	v_cndmask_b32_e32 v6, 0, v7, vcc_lo
	ds_bpermute_b32 v7, v24, v5
	v_cmp_gt_u32_e32 vcc_lo, 28, v61
	v_cndmask_b32_e64 v17, 0, 4, vcc_lo
	v_cmp_gt_u32_e32 vcc_lo, v25, v9
	s_delay_alu instid0(VALU_DEP_2) | instskip(SKIP_2) | instid1(VALU_DEP_1)
	v_add_lshl_u32 v26, v17, v61, 2
	s_wait_dscnt 0x0
	v_cndmask_b32_e64 v7, v7, 0, vcc_lo
	v_add_nc_u32_e32 v5, v5, v7
	v_cndmask_b32_e64 v6, v6, 0, vcc_lo
	ds_bpermute_b32 v7, v26, v5
	v_add_nc_u32_e32 v4, v6, v4
	v_cmp_eq_u32_e32 vcc_lo, 0, v5
	ds_bpermute_b32 v6, v26, v4
	s_wait_dscnt 0x0
	v_cndmask_b32_e32 v6, 0, v6, vcc_lo
	v_cmp_gt_u32_e32 vcc_lo, 24, v61
	v_cndmask_b32_e64 v17, 0, 8, vcc_lo
	v_cmp_gt_u32_e32 vcc_lo, v27, v9
	s_delay_alu instid0(VALU_DEP_2) | instskip(SKIP_1) | instid1(VALU_DEP_1)
	v_add_lshl_u32 v28, v17, v61, 2
	v_cndmask_b32_e64 v7, v7, 0, vcc_lo
	v_dual_mov_b32 v17, 0 :: v_dual_add_nc_u32 v5, v5, v7
	v_cndmask_b32_e64 v6, v6, 0, vcc_lo
	ds_bpermute_b32 v7, v28, v5
	v_add_nc_u32_e32 v4, v4, v6
	v_cmp_eq_u32_e32 vcc_lo, 0, v5
	ds_bpermute_b32 v6, v28, v4
	s_wait_dscnt 0x0
	v_cndmask_b32_e32 v6, 0, v6, vcc_lo
	v_cmp_gt_u32_e32 vcc_lo, v29, v9
	s_delay_alu instid0(VALU_DEP_2) | instskip(NEXT) | instid1(VALU_DEP_1)
	v_cndmask_b32_e64 v6, v6, 0, vcc_lo
	v_add_nc_u32_e32 v4, v4, v6
	v_cndmask_b32_e64 v6, v7, 0, vcc_lo
	s_delay_alu instid0(VALU_DEP_1)
	v_add_nc_u32_e32 v5, v5, v6
	ds_bpermute_b32 v7, v30, v4
	ds_bpermute_b32 v6, v30, v5
	v_cmp_eq_u32_e32 vcc_lo, 0, v5
	s_wait_dscnt 0x1
	v_cndmask_b32_e32 v7, 0, v7, vcc_lo
	v_cmp_gt_u32_e32 vcc_lo, v31, v9
	s_wait_dscnt 0x0
	v_cndmask_b32_e64 v6, v6, 0, vcc_lo
	s_delay_alu instid0(VALU_DEP_1) | instskip(SKIP_1) | instid1(VALU_DEP_1)
	v_add_nc_u32_e32 v6, v6, v5
	v_cndmask_b32_e64 v7, v7, 0, vcc_lo
	v_add_nc_u32_e32 v7, v7, v4
	s_branch .LBB787_65
.LBB787_62:                             ;   in Loop: Header=BB787_65 Depth=1
	s_or_b32 exec_lo, exec_lo, s10
.LBB787_63:                             ;   in Loop: Header=BB787_65 Depth=1
	s_delay_alu instid0(SALU_CYCLE_1)
	s_or_b32 exec_lo, exec_lo, s9
	v_and_b32_e32 v9, 0xff, v8
	ds_bpermute_b32 v18, v22, v6
	v_subrev_nc_u32_e32 v16, 32, v16
	v_cmp_eq_u16_e32 vcc_lo, 2, v9
	ds_bpermute_b32 v9, v22, v7
	v_and_or_b32 v19, vcc_lo, v23, 0x80000000
	v_cmp_eq_u32_e32 vcc_lo, 0, v6
	s_delay_alu instid0(VALU_DEP_2) | instskip(NEXT) | instid1(VALU_DEP_1)
	v_ctz_i32_b32_e32 v19, v19
	v_cmp_lt_u32_e64 s9, v61, v19
	s_and_b32 vcc_lo, s9, vcc_lo
	s_wait_dscnt 0x0
	v_dual_cndmask_b32 v18, 0, v18, s9 :: v_dual_cndmask_b32 v9, 0, v9, vcc_lo
	s_mov_b32 s9, 0
	s_delay_alu instid0(VALU_DEP_1)
	v_dual_add_nc_u32 v6, v18, v6 :: v_dual_add_nc_u32 v7, v9, v7
	ds_bpermute_b32 v18, v24, v6
	ds_bpermute_b32 v9, v24, v7
	v_cmp_eq_u32_e32 vcc_lo, 0, v6
	s_wait_dscnt 0x0
	v_cndmask_b32_e32 v9, 0, v9, vcc_lo
	v_cmp_gt_u32_e32 vcc_lo, v25, v19
	v_cndmask_b32_e64 v18, v18, 0, vcc_lo
	s_delay_alu instid0(VALU_DEP_1) | instskip(NEXT) | instid1(VALU_DEP_4)
	v_add_nc_u32_e32 v6, v6, v18
	v_cndmask_b32_e64 v9, v9, 0, vcc_lo
	s_delay_alu instid0(VALU_DEP_2) | instskip(NEXT) | instid1(VALU_DEP_2)
	v_cmp_eq_u32_e32 vcc_lo, 0, v6
	v_add_nc_u32_e32 v7, v9, v7
	ds_bpermute_b32 v18, v26, v6
	ds_bpermute_b32 v9, v26, v7
	s_wait_dscnt 0x0
	v_cndmask_b32_e32 v9, 0, v9, vcc_lo
	v_cmp_gt_u32_e32 vcc_lo, v27, v19
	s_delay_alu instid0(VALU_DEP_2) | instskip(SKIP_1) | instid1(VALU_DEP_1)
	v_cndmask_b32_e64 v9, v9, 0, vcc_lo
	v_cndmask_b32_e64 v18, v18, 0, vcc_lo
	v_dual_add_nc_u32 v7, v7, v9 :: v_dual_add_nc_u32 v6, v6, v18
	ds_bpermute_b32 v9, v28, v7
	ds_bpermute_b32 v18, v28, v6
	v_cmp_eq_u32_e32 vcc_lo, 0, v6
	s_wait_dscnt 0x1
	v_cndmask_b32_e32 v9, 0, v9, vcc_lo
	v_cmp_gt_u32_e32 vcc_lo, v29, v19
	s_wait_dscnt 0x0
	v_cndmask_b32_e64 v18, v18, 0, vcc_lo
	s_delay_alu instid0(VALU_DEP_1) | instskip(SKIP_1) | instid1(VALU_DEP_2)
	v_add_nc_u32_e32 v6, v6, v18
	v_cndmask_b32_e64 v9, v9, 0, vcc_lo
	v_cmp_eq_u32_e32 vcc_lo, 0, v6
	s_delay_alu instid0(VALU_DEP_2)
	v_add_nc_u32_e32 v7, v7, v9
	ds_bpermute_b32 v18, v30, v6
	ds_bpermute_b32 v9, v30, v7
	s_wait_dscnt 0x0
	v_cndmask_b32_e32 v9, 0, v9, vcc_lo
	v_cmp_gt_u32_e32 vcc_lo, v31, v19
	s_delay_alu instid0(VALU_DEP_2) | instskip(NEXT) | instid1(VALU_DEP_1)
	v_cndmask_b32_e64 v9, v9, 0, vcc_lo
	v_add_nc_u32_e32 v7, v9, v7
	v_cndmask_b32_e64 v9, v18, 0, vcc_lo
	v_cmp_eq_u32_e32 vcc_lo, 0, v4
	s_delay_alu instid0(VALU_DEP_2) | instskip(NEXT) | instid1(VALU_DEP_4)
	v_add3_u32 v6, v6, v4, v9
	v_cndmask_b32_e32 v7, 0, v7, vcc_lo
	s_delay_alu instid0(VALU_DEP_1)
	v_add_nc_u32_e32 v7, v7, v5
.LBB787_64:                             ;   in Loop: Header=BB787_65 Depth=1
	s_and_b32 vcc_lo, exec_lo, s9
	s_cbranch_vccnz .LBB787_70
.LBB787_65:                             ; =>This Loop Header: Depth=1
                                        ;     Child Loop BB787_68 Depth 2
	v_and_b32_e32 v4, 0xff, v8
	s_delay_alu instid0(VALU_DEP_2) | instskip(SKIP_1) | instid1(VALU_DEP_2)
	v_mov_b32_e32 v5, v7
	s_mov_b32 s9, -1
                                        ; implicit-def: $vgpr7
                                        ; implicit-def: $vgpr8
	v_cmp_ne_u16_e32 vcc_lo, 2, v4
	v_mov_b32_e32 v4, v6
                                        ; implicit-def: $vgpr6
	s_cmp_lg_u32 vcc_lo, exec_lo
	s_cbranch_scc1 .LBB787_64
; %bb.66:                               ;   in Loop: Header=BB787_65 Depth=1
	v_lshl_add_u64 v[18:19], v[16:17], 4, s[16:17]
	;;#ASMSTART
	global_load_b128 v[6:9], v[18:19] off scope:SCOPE_DEV	
s_wait_loadcnt 0x0
	;;#ASMEND
	v_and_b32_e32 v9, 0xff, v8
	s_mov_b32 s9, exec_lo
	s_delay_alu instid0(VALU_DEP_1)
	v_cmpx_eq_u16_e32 0, v9
	s_cbranch_execz .LBB787_63
; %bb.67:                               ;   in Loop: Header=BB787_65 Depth=1
	s_mov_b32 s10, 0
.LBB787_68:                             ;   Parent Loop BB787_65 Depth=1
                                        ; =>  This Inner Loop Header: Depth=2
	;;#ASMSTART
	global_load_b128 v[6:9], v[18:19] off scope:SCOPE_DEV	
s_wait_loadcnt 0x0
	;;#ASMEND
	v_and_b32_e32 v9, 0xff, v8
	s_delay_alu instid0(VALU_DEP_1) | instskip(SKIP_1) | instid1(SALU_CYCLE_1)
	v_cmp_ne_u16_e32 vcc_lo, 0, v9
	s_or_b32 s10, vcc_lo, s10
	s_and_not1_b32 exec_lo, exec_lo, s10
	s_cbranch_execnz .LBB787_68
	s_branch .LBB787_62
.LBB787_69:
                                        ; implicit-def: $vgpr4
                                        ; implicit-def: $vgpr14
                                        ; implicit-def: $vgpr20_vgpr21
                                        ; implicit-def: $vgpr22_vgpr23
                                        ; implicit-def: $vgpr34_vgpr35
                                        ; implicit-def: $vgpr24_vgpr25
                                        ; implicit-def: $vgpr28_vgpr29
                                        ; implicit-def: $vgpr32_vgpr33
                                        ; implicit-def: $vgpr30_vgpr31
                                        ; implicit-def: $vgpr26_vgpr27
                                        ; implicit-def: $vgpr16_vgpr17
                                        ; implicit-def: $vgpr18_vgpr19
	s_cbranch_execnz .LBB787_75
	s_branch .LBB787_86
.LBB787_70:
	s_and_saveexec_b32 s9, s8
	s_cbranch_execz .LBB787_72
; %bb.71:
	v_cmp_eq_u32_e32 vcc_lo, 0, v2
	s_mov_b32 s25, 0
	s_add_co_i32 s24, s28, 32
	v_mov_b32_e32 v9, 0
	s_lshl_b64 s[24:25], s[24:25], 4
	v_dual_cndmask_b32 v7, 0, v5 :: v_dual_add_nc_u32 v6, v4, v2
	s_add_nc_u64 s[24:25], s[16:17], s[24:25]
	v_mov_b32_e32 v8, 2
	v_mov_b64_e32 v[16:17], s[24:25]
	s_delay_alu instid0(VALU_DEP_3)
	v_add_nc_u32_e32 v7, v7, v3
	;;#ASMSTART
	global_store_b128 v[16:17], v[6:9] off scope:SCOPE_DEV	
s_wait_storecnt 0x0
	;;#ASMEND
	ds_store_b128 v9, v[2:5] offset:2048
.LBB787_72:
	s_or_b32 exec_lo, exec_lo, s9
	v_cmp_eq_u32_e32 vcc_lo, 0, v0
	s_and_b32 exec_lo, exec_lo, vcc_lo
; %bb.73:
	v_mov_b32_e32 v2, 0
	ds_store_b64 v2, v[4:5] offset:2184
.LBB787_74:
	s_or_b32 exec_lo, exec_lo, s11
	s_wait_dscnt 0x1
	v_dual_mov_b32 v4, 0 :: v_dual_cndmask_b32 v5, v20, v14, s8
	s_wait_dscnt 0x0
	s_barrier_signal -1
	s_barrier_wait -1
	ds_load_b64 v[2:3], v4 offset:2184
	v_cmp_eq_u32_e32 vcc_lo, 0, v5
	v_cndmask_b32_e64 v6, v21, v15, s8
	v_cmp_eq_u32_e64 s8, 0, v58
	s_wait_dscnt 0x0
	s_barrier_signal -1
	s_barrier_wait -1
	v_cndmask_b32_e32 v7, 0, v3, vcc_lo
	v_cmp_eq_u32_e32 vcc_lo, 0, v0
	s_delay_alu instid0(VALU_DEP_2) | instskip(SKIP_1) | instid1(VALU_DEP_2)
	v_add_nc_u32_e32 v6, v7, v6
	v_cndmask_b32_e64 v5, v5, 0, vcc_lo
	v_cndmask_b32_e32 v29, v6, v3, vcc_lo
	s_delay_alu instid0(VALU_DEP_2) | instskip(SKIP_2) | instid1(VALU_DEP_1)
	v_add_nc_u32_e32 v28, v2, v5
	ds_load_b128 v[4:7], v4 offset:2048
	v_dual_cndmask_b32 v3, 0, v29, s8 :: v_dual_add_nc_u32 v32, v28, v58
	v_add_nc_u32_e32 v33, v3, v39
	s_delay_alu instid0(VALU_DEP_1) | instskip(NEXT) | instid1(VALU_DEP_1)
	v_cndmask_b32_e64 v3, 0, v33, s7
	v_add_nc_u32_e32 v31, v3, v41
	s_wait_dscnt 0x0
	v_cmp_eq_u32_e32 vcc_lo, 0, v4
	s_delay_alu instid0(VALU_DEP_2) | instskip(NEXT) | instid1(VALU_DEP_1)
	v_cndmask_b32_e64 v3, 0, v31, s6
	v_add_nc_u32_e32 v27, v3, v43
	s_delay_alu instid0(VALU_DEP_1) | instskip(NEXT) | instid1(VALU_DEP_1)
	v_cndmask_b32_e64 v3, 0, v27, s5
	v_add_nc_u32_e32 v17, v3, v59
	s_delay_alu instid0(VALU_DEP_1) | instskip(NEXT) | instid1(VALU_DEP_1)
	v_dual_cndmask_b32 v3, 0, v7, vcc_lo :: v_dual_cndmask_b32 v2, 0, v17, s4
	v_dual_add_nc_u32 v14, v3, v5 :: v_dual_add_nc_u32 v19, v2, v42
	s_delay_alu instid0(VALU_DEP_1) | instskip(NEXT) | instid1(VALU_DEP_1)
	v_dual_add_nc_u32 v30, v32, v52 :: v_dual_cndmask_b32 v2, 0, v19, s3
	v_add_nc_u32_e32 v25, v2, v40
	s_delay_alu instid0(VALU_DEP_1) | instskip(NEXT) | instid1(VALU_DEP_1)
	v_dual_add_nc_u32 v26, v30, v51 :: v_dual_cndmask_b32 v2, 0, v25, s2
	v_add_nc_u32_e32 v35, v2, v38
	;; [unrolled: 3-line block ×3, first 2 shown]
	s_delay_alu instid0(VALU_DEP_2) | instskip(NEXT) | instid1(VALU_DEP_2)
	v_add_nc_u32_e32 v23, v2, v37
	v_add_nc_u32_e32 v24, v18, v47
	s_delay_alu instid0(VALU_DEP_1) | instskip(NEXT) | instid1(VALU_DEP_1)
	v_dual_cndmask_b32 v2, 0, v23, s0 :: v_dual_add_nc_u32 v34, v24, v45
	v_add_nc_u32_e32 v21, v2, v36
	s_delay_alu instid0(VALU_DEP_2) | instskip(NEXT) | instid1(VALU_DEP_1)
	v_add_nc_u32_e32 v22, v34, v44
	v_add_nc_u32_e32 v20, v22, v46
	s_branch .LBB787_86
.LBB787_75:
	s_wait_kmcnt 0x0
	s_cmp_eq_u64 s[22:23], 0
	v_mov_b32_e32 v6, v39
	s_cselect_b32 s0, -1, 0
	s_delay_alu instid0(SALU_CYCLE_1) | instskip(NEXT) | instid1(SALU_CYCLE_1)
	s_or_b32 s0, s18, s0
	s_and_b32 vcc_lo, exec_lo, s0
	s_cbranch_vccnz .LBB787_77
; %bb.76:
	v_mov_b32_e32 v2, 0
	global_load_b32 v6, v2, s[22:23]
.LBB787_77:
	v_add3_u32 v3, v64, v49, v47
	v_cmp_eq_u32_e64 s4, 0, v52
	v_cmp_eq_u32_e64 s5, 0, v51
	;; [unrolled: 1-line block ×4, first 2 shown]
	v_add3_u32 v3, v3, v45, v44
	s_wait_xcnt 0x0
	v_dual_cndmask_b32 v2, 0, v39, s4 :: v_dual_bitop2_b32 v5, 15, v61 bitop3:0x40
	v_cmp_eq_u32_e64 s2, 0, v47
	v_cmp_eq_u32_e64 s1, 0, v45
	v_add3_u32 v3, v3, v46, v48
	s_delay_alu instid0(VALU_DEP_4)
	v_add_nc_u32_e32 v2, v2, v41
	v_cmp_eq_u32_e64 s9, 0, v5
	v_cmp_eq_u32_e64 s0, 0, v44
	v_cmp_eq_u32_e32 vcc_lo, 0, v46
	v_mov_b32_dpp v7, v3 row_shr:1 row_mask:0xf bank_mask:0xf
	v_cmp_eq_u32_e64 s7, 0, v48
	s_mov_b32 s19, exec_lo
	v_cndmask_b32_e64 v7, v7, 0, s9
	v_cndmask_b32_e64 v2, 0, v2, s5
	s_delay_alu instid0(VALU_DEP_1) | instskip(NEXT) | instid1(VALU_DEP_1)
	v_add_nc_u32_e32 v2, v2, v43
	v_cndmask_b32_e64 v2, 0, v2, s6
	s_delay_alu instid0(VALU_DEP_1) | instskip(NEXT) | instid1(VALU_DEP_1)
	v_add_nc_u32_e32 v2, v2, v59
	;; [unrolled: 3-line block ×6, first 2 shown]
	v_cndmask_b32_e32 v2, 0, v2, vcc_lo
	s_delay_alu instid0(VALU_DEP_1) | instskip(NEXT) | instid1(VALU_DEP_1)
	v_add_nc_u32_e32 v2, v2, v36
	v_cndmask_b32_e64 v2, 0, v2, s7
	v_cmp_eq_u32_e64 s7, 0, v3
	s_delay_alu instid0(VALU_DEP_2) | instskip(NEXT) | instid1(VALU_DEP_1)
	v_dual_add_nc_u32 v3, v7, v3 :: v_dual_add_nc_u32 v2, v2, v60
	v_cmp_eq_u32_e64 s8, 0, v3
	s_delay_alu instid0(VALU_DEP_2) | instskip(NEXT) | instid1(VALU_DEP_1)
	v_mov_b32_dpp v4, v2 row_shr:1 row_mask:0xf bank_mask:0xf
	v_cndmask_b32_e64 v4, 0, v4, s7
	v_cmp_lt_u32_e64 s7, 1, v5
	s_delay_alu instid0(VALU_DEP_2) | instskip(SKIP_1) | instid1(VALU_DEP_1)
	v_cndmask_b32_e64 v4, v4, 0, s9
	s_and_b32 s8, s7, s8
	v_add_nc_u32_e32 v2, v4, v2
	v_mov_b32_dpp v4, v3 row_shr:2 row_mask:0xf bank_mask:0xf
	s_delay_alu instid0(VALU_DEP_2) | instskip(NEXT) | instid1(VALU_DEP_1)
	v_mov_b32_dpp v7, v2 row_shr:2 row_mask:0xf bank_mask:0xf
	v_dual_cndmask_b32 v4, 0, v4, s7 :: v_dual_cndmask_b32 v7, 0, v7, s8
	s_delay_alu instid0(VALU_DEP_1) | instskip(SKIP_1) | instid1(VALU_DEP_3)
	v_add_nc_u32_e32 v3, v3, v4
	v_cmp_lt_u32_e64 s8, 3, v5
	v_add_nc_u32_e32 v2, v7, v2
	s_delay_alu instid0(VALU_DEP_3) | instskip(SKIP_1) | instid1(VALU_DEP_3)
	v_mov_b32_dpp v4, v3 row_shr:4 row_mask:0xf bank_mask:0xf
	v_cmp_eq_u32_e64 s10, 0, v3
	v_mov_b32_dpp v7, v2 row_shr:4 row_mask:0xf bank_mask:0xf
	s_delay_alu instid0(VALU_DEP_3)
	v_cndmask_b32_e64 v4, 0, v4, s8
	s_and_b32 s10, s8, s10
	s_delay_alu instid0(VALU_DEP_2) | instid1(SALU_CYCLE_1)
	v_cndmask_b32_e64 v7, 0, v7, s10
	s_delay_alu instid0(VALU_DEP_2) | instskip(SKIP_1) | instid1(VALU_DEP_3)
	v_add_nc_u32_e32 v3, v4, v3
	v_cmp_lt_u32_e64 s10, 7, v5
	v_add_nc_u32_e32 v2, v2, v7
	s_delay_alu instid0(VALU_DEP_3) | instskip(SKIP_2) | instid1(VALU_DEP_4)
	v_cmp_eq_u32_e64 s11, 0, v3
	v_mov_b32_dpp v4, v3 row_shr:8 row_mask:0xf bank_mask:0xf
	v_bfe_i32 v7, v61, 4, 1
	v_mov_b32_dpp v5, v2 row_shr:8 row_mask:0xf bank_mask:0xf
	s_and_b32 s11, s10, s11
	s_delay_alu instid0(VALU_DEP_1) | instid1(SALU_CYCLE_1)
	v_dual_cndmask_b32 v4, 0, v4, s10 :: v_dual_cndmask_b32 v5, 0, v5, s11
	s_delay_alu instid0(VALU_DEP_1) | instskip(SKIP_4) | instid1(VALU_DEP_1)
	v_dual_add_nc_u32 v5, v5, v2 :: v_dual_add_nc_u32 v2, v4, v3
	ds_swizzle_b32 v3, v5 offset:swizzle(BROADCAST,32,15)
	ds_swizzle_b32 v4, v2 offset:swizzle(BROADCAST,32,15)
	v_cmp_eq_u32_e64 s11, 0, v2
	s_wait_dscnt 0x0
	v_dual_cndmask_b32 v3, 0, v3, s11 :: v_dual_bitop2_b32 v4, v7, v4 bitop3:0x40
	s_delay_alu instid0(VALU_DEP_1) | instskip(NEXT) | instid1(VALU_DEP_1)
	v_dual_add_nc_u32 v2, v4, v2 :: v_dual_bitop2_b32 v3, v7, v3 bitop3:0x40
	v_dual_add_nc_u32 v3, v3, v5 :: v_dual_lshlrev_b32 v5, 3, v62
	v_cmpx_eq_u32_e64 v0, v63
; %bb.78:
	ds_store_b64 v5, v[2:3] offset:2064
; %bb.79:
	s_or_b32 exec_lo, exec_lo, s19
	s_delay_alu instid0(SALU_CYCLE_1)
	s_mov_b32 s19, exec_lo
	s_wait_loadcnt_dscnt 0x0
	s_barrier_signal -1
	s_barrier_wait -1
	v_cmpx_gt_u32_e32 16, v0
	s_cbranch_execz .LBB787_81
; %bb.80:
	v_lshlrev_b32_e32 v4, 3, v0
	ds_load_b64 v[8:9], v4 offset:2064
	s_wait_dscnt 0x0
	v_mov_b32_dpp v7, v9 row_shr:1 row_mask:0xf bank_mask:0xf
	v_cmp_eq_u32_e64 s11, 0, v8
	v_mov_b32_dpp v14, v8 row_shr:1 row_mask:0xf bank_mask:0xf
	s_delay_alu instid0(VALU_DEP_2) | instskip(NEXT) | instid1(VALU_DEP_2)
	v_cndmask_b32_e64 v7, 0, v7, s11
	v_cndmask_b32_e64 v14, v14, 0, s9
	s_delay_alu instid0(VALU_DEP_2) | instskip(NEXT) | instid1(VALU_DEP_1)
	v_cndmask_b32_e64 v7, v7, 0, s9
	v_dual_add_nc_u32 v8, v14, v8 :: v_dual_add_nc_u32 v7, v7, v9
	s_delay_alu instid0(VALU_DEP_1) | instskip(SKIP_1) | instid1(VALU_DEP_3)
	v_mov_b32_dpp v9, v8 row_shr:2 row_mask:0xf bank_mask:0xf
	v_cmp_eq_u32_e64 s9, 0, v8
	v_mov_b32_dpp v14, v7 row_shr:2 row_mask:0xf bank_mask:0xf
	s_delay_alu instid0(VALU_DEP_3)
	v_cndmask_b32_e64 v9, 0, v9, s7
	s_and_b32 s7, s7, s9
	s_delay_alu instid0(VALU_DEP_1) | instid1(SALU_CYCLE_1)
	v_dual_cndmask_b32 v14, 0, v14, s7 :: v_dual_add_nc_u32 v8, v9, v8
	s_delay_alu instid0(VALU_DEP_1) | instskip(NEXT) | instid1(VALU_DEP_2)
	v_add_nc_u32_e32 v7, v14, v7
	v_mov_b32_dpp v9, v8 row_shr:4 row_mask:0xf bank_mask:0xf
	v_cmp_eq_u32_e64 s7, 0, v8
	s_delay_alu instid0(VALU_DEP_3)
	v_mov_b32_dpp v14, v7 row_shr:4 row_mask:0xf bank_mask:0xf
	s_and_b32 s7, s8, s7
	s_delay_alu instid0(VALU_DEP_1) | instid1(SALU_CYCLE_1)
	v_dual_cndmask_b32 v9, 0, v9, s8 :: v_dual_cndmask_b32 v14, 0, v14, s7
	s_delay_alu instid0(VALU_DEP_1) | instskip(NEXT) | instid1(VALU_DEP_1)
	v_dual_add_nc_u32 v8, v9, v8 :: v_dual_add_nc_u32 v7, v14, v7
	v_cmp_eq_u32_e64 s7, 0, v8
	v_mov_b32_dpp v9, v8 row_shr:8 row_mask:0xf bank_mask:0xf
	s_delay_alu instid0(VALU_DEP_3)
	v_mov_b32_dpp v14, v7 row_shr:8 row_mask:0xf bank_mask:0xf
	s_and_b32 s7, s10, s7
	s_delay_alu instid0(VALU_DEP_1) | instid1(SALU_CYCLE_1)
	v_dual_cndmask_b32 v9, 0, v9, s10 :: v_dual_cndmask_b32 v14, 0, v14, s7
	s_delay_alu instid0(VALU_DEP_1)
	v_dual_add_nc_u32 v8, v9, v8 :: v_dual_add_nc_u32 v9, v14, v7
	ds_store_b64 v4, v[8:9] offset:2064
.LBB787_81:
	s_or_b32 exec_lo, exec_lo, s19
	v_dual_mov_b32 v7, 0 :: v_dual_mov_b32 v4, 0
	v_mov_b32_e32 v8, v6
	s_mov_b32 s8, exec_lo
	s_wait_dscnt 0x0
	s_barrier_signal -1
	s_barrier_wait -1
	v_cmpx_lt_u32_e32 31, v0
	s_cbranch_execz .LBB787_83
; %bb.82:
	ds_load_b64 v[4:5], v5 offset:2056
	s_wait_dscnt 0x0
	v_cmp_eq_u32_e64 s7, 0, v4
	s_delay_alu instid0(VALU_DEP_1) | instskip(NEXT) | instid1(VALU_DEP_1)
	v_cndmask_b32_e64 v8, 0, v6, s7
	v_add_nc_u32_e32 v8, v8, v5
.LBB787_83:
	s_or_b32 exec_lo, exec_lo, s8
	v_sub_co_u32 v5, s7, v61, 1
	s_delay_alu instid0(VALU_DEP_1) | instskip(NEXT) | instid1(VALU_DEP_1)
	v_cmp_gt_i32_e64 s8, 0, v5
	v_cndmask_b32_e64 v5, v5, v61, s8
	v_cmp_eq_u32_e64 s8, 0, v2
	s_delay_alu instid0(VALU_DEP_1) | instskip(NEXT) | instid1(VALU_DEP_3)
	v_dual_cndmask_b32 v9, 0, v8, s8 :: v_dual_add_nc_u32 v2, v4, v2
	v_lshlrev_b32_e32 v5, 2, v5
	v_cmp_eq_u32_e64 s8, 0, v58
	ds_bpermute_b32 v2, v5, v2
	s_wait_dscnt 0x0
	v_dual_add_nc_u32 v3, v9, v3 :: v_dual_cndmask_b32 v2, v2, v4, s7
	ds_bpermute_b32 v3, v5, v3
	ds_load_b64 v[4:5], v7 offset:2184
	s_wait_dscnt 0x1
	v_cndmask_b32_e64 v3, v3, v8, s7
	v_cmp_eq_u32_e64 s7, 0, v0
	s_delay_alu instid0(VALU_DEP_1) | instskip(SKIP_1) | instid1(VALU_DEP_1)
	v_cndmask_b32_e64 v29, v3, v6, s7
	v_cndmask_b32_e64 v28, v2, 0, s7
	v_dual_cndmask_b32 v3, 0, v29, s8 :: v_dual_add_nc_u32 v32, v28, v58
	s_delay_alu instid0(VALU_DEP_1) | instskip(NEXT) | instid1(VALU_DEP_1)
	v_dual_add_nc_u32 v33, v3, v39 :: v_dual_add_nc_u32 v30, v32, v52
	v_dual_cndmask_b32 v3, 0, v33, s4 :: v_dual_add_nc_u32 v26, v30, v51
	s_delay_alu instid0(VALU_DEP_1) | instskip(NEXT) | instid1(VALU_DEP_1)
	v_dual_add_nc_u32 v31, v3, v41 :: v_dual_add_nc_u32 v16, v26, v50
	v_dual_cndmask_b32 v3, 0, v31, s5 :: v_dual_add_nc_u32 v18, v16, v49
	s_delay_alu instid0(VALU_DEP_1) | instskip(NEXT) | instid1(VALU_DEP_2)
	v_add_nc_u32_e32 v27, v3, v43
	v_add_nc_u32_e32 v24, v18, v47
	s_delay_alu instid0(VALU_DEP_1) | instskip(NEXT) | instid1(VALU_DEP_1)
	v_dual_cndmask_b32 v3, 0, v27, s6 :: v_dual_add_nc_u32 v34, v24, v45
	v_dual_add_nc_u32 v17, v3, v59 :: v_dual_add_nc_u32 v22, v34, v44
	s_delay_alu instid0(VALU_DEP_1) | instskip(NEXT) | instid1(VALU_DEP_1)
	v_dual_cndmask_b32 v2, 0, v17, s3 :: v_dual_add_nc_u32 v20, v22, v46
	v_add_nc_u32_e32 v19, v2, v42
	s_delay_alu instid0(VALU_DEP_1) | instskip(NEXT) | instid1(VALU_DEP_1)
	v_cndmask_b32_e64 v2, 0, v19, s2
	v_add_nc_u32_e32 v25, v2, v40
	s_delay_alu instid0(VALU_DEP_1) | instskip(NEXT) | instid1(VALU_DEP_1)
	v_cndmask_b32_e64 v2, 0, v25, s1
	;; [unrolled: 3-line block ×3, first 2 shown]
	v_add_nc_u32_e32 v23, v2, v37
	s_delay_alu instid0(VALU_DEP_1) | instskip(SKIP_2) | instid1(VALU_DEP_2)
	v_cndmask_b32_e32 v2, 0, v23, vcc_lo
	s_wait_dscnt 0x0
	v_cmp_eq_u32_e32 vcc_lo, 0, v4
	v_dual_add_nc_u32 v21, v2, v36 :: v_dual_cndmask_b32 v3, 0, v6, vcc_lo
	s_delay_alu instid0(VALU_DEP_1)
	v_add_nc_u32_e32 v14, v3, v5
	s_and_saveexec_b32 s0, s7
	s_cbranch_execz .LBB787_85
; %bb.84:
	s_add_nc_u64 s[2:3], s[16:17], 0x200
	v_dual_mov_b32 v6, 2 :: v_dual_mov_b32 v7, 0
	v_mov_b32_e32 v5, v14
	v_mov_b64_e32 v[2:3], s[2:3]
	;;#ASMSTART
	global_store_b128 v[2:3], v[4:7] off scope:SCOPE_DEV	
s_wait_storecnt 0x0
	;;#ASMEND
.LBB787_85:
	s_or_b32 exec_lo, exec_lo, s0
	v_mov_b32_e32 v6, 0
.LBB787_86:
	s_cmp_eq_u64 s[26:27], 0
	v_mov_b64_e32 v[36:37], 0
	s_cselect_b32 s0, -1, 0
	s_delay_alu instid0(SALU_CYCLE_1)
	s_or_b32 s0, s18, s0
	s_barrier_signal -1
	s_and_b32 vcc_lo, exec_lo, s0
	s_barrier_wait -1
	s_cbranch_vccnz .LBB787_88
; %bb.87:
	v_mov_b32_e32 v2, 0
	global_load_b64 v[36:37], v2, s[26:27]
.LBB787_88:
	v_cmp_eq_u32_e32 vcc_lo, 0, v58
	s_wait_loadcnt 0x0
	v_lshlrev_b64_e32 v[38:39], 1, v[36:37]
	v_cmp_ne_u32_e64 s9, 0, v58
	v_cmp_ne_u32_e64 s8, 0, v52
	;; [unrolled: 1-line block ×3, first 2 shown]
	v_cndmask_b32_e64 v2, 1, 2, vcc_lo
	v_cmp_eq_u32_e32 vcc_lo, 0, v52
	v_cmp_ne_u32_e64 s6, 0, v50
	v_cmp_ne_u32_e64 s5, 0, v49
	;; [unrolled: 1-line block ×4, first 2 shown]
	v_cndmask_b32_e64 v3, 1, 2, vcc_lo
	v_cmp_eq_u32_e32 vcc_lo, 0, v51
	v_cmp_ne_u32_e64 s2, 0, v44
	v_cmp_ne_u32_e64 s1, 0, v46
	s_delay_alu instid0(VALU_DEP_4) | instskip(SKIP_3) | instid1(VALU_DEP_4)
	v_dual_mov_b32 v7, 0 :: v_dual_bitop2_b32 v2, v3, v2 bitop3:0x40
	v_cndmask_b32_e64 v3, 1, 2, vcc_lo
	v_cmp_eq_u32_e32 vcc_lo, 0, v50
	v_cmp_ne_u32_e64 s0, 0, v48
	v_lshlrev_b64_e32 v[40:41], 1, v[6:7]
	s_mov_b32 s11, -1
	v_cndmask_b32_e64 v5, 1, 2, vcc_lo
	v_cmp_eq_u32_e32 vcc_lo, 0, v49
	s_delay_alu instid0(VALU_DEP_2)
	v_bitop3_b16 v5, v2, v5, v3 bitop3:0x80
	v_cndmask_b32_e64 v8, 1, 2, vcc_lo
	v_cmp_eq_u32_e32 vcc_lo, 0, v47
	s_wait_kmcnt 0x0
	v_add_nc_u64_e32 v[2:3], s[12:13], v[38:39]
	v_cndmask_b32_e64 v9, 1, 2, vcc_lo
	v_cmp_eq_u32_e32 vcc_lo, 0, v45
	s_delay_alu instid0(VALU_DEP_3) | instskip(NEXT) | instid1(VALU_DEP_3)
	v_add_nc_u64_e32 v[42:43], v[2:3], v[40:41]
	v_bitop3_b16 v5, v5, v9, v8 bitop3:0x80
	v_cndmask_b32_e64 v8, 1, 2, vcc_lo
	v_cmp_eq_u32_e32 vcc_lo, 0, v44
	v_cndmask_b32_e64 v9, 1, 2, vcc_lo
	v_cmp_eq_u32_e32 vcc_lo, 0, v46
	s_delay_alu instid0(VALU_DEP_2) | instskip(SKIP_4) | instid1(VALU_DEP_2)
	v_bitop3_b16 v2, v5, v9, v8 bitop3:0x80
	v_cndmask_b32_e64 v3, 1, 2, vcc_lo
	v_cmp_eq_u32_e32 vcc_lo, 0, v48
	v_cndmask_b32_e64 v5, 1, 2, vcc_lo
	v_cmp_gt_u32_e32 vcc_lo, 0x200, v4
	v_bitop3_b16 v2, v2, v5, v3 bitop3:0x80
	s_delay_alu instid0(VALU_DEP_1)
	v_cmp_gt_i16_e64 s10, 2, v2
	s_cbranch_vccz .LBB787_95
; %bb.89:
	s_and_saveexec_b32 s11, s10
	s_cbranch_execz .LBB787_94
; %bb.90:
	s_mov_b32 s16, 0
	s_mov_b32 s10, exec_lo
	v_cmpx_ne_u16_e32 1, v2
	s_xor_b32 s10, exec_lo, s10
	s_cbranch_execnz .LBB787_136
; %bb.91:
	s_and_not1_saveexec_b32 s10, s10
	s_cbranch_execnz .LBB787_147
.LBB787_92:
	s_or_b32 exec_lo, exec_lo, s10
	s_delay_alu instid0(SALU_CYCLE_1)
	s_and_b32 exec_lo, exec_lo, s16
	s_cbranch_execz .LBB787_94
.LBB787_93:
	v_sub_nc_u32_e32 v3, v20, v6
	v_readfirstlane_b32 s16, v42
	v_readfirstlane_b32 s17, v43
	global_store_b16 v3, v53, s[16:17] scale_offset
.LBB787_94:
	s_wait_xcnt 0x0
	s_or_b32 exec_lo, exec_lo, s11
	s_mov_b32 s11, 0
.LBB787_95:
	s_delay_alu instid0(SALU_CYCLE_1)
	s_and_b32 vcc_lo, exec_lo, s11
	s_cbranch_vccz .LBB787_115
; %bb.96:
	s_mov_b32 s10, exec_lo
	v_cmpx_gt_i16_e32 2, v2
	s_cbranch_execz .LBB787_101
; %bb.97:
	s_mov_b32 s16, 0
	s_mov_b32 s11, exec_lo
	v_cmpx_ne_u16_e32 1, v2
	s_xor_b32 s11, exec_lo, s11
	s_cbranch_execnz .LBB787_148
; %bb.98:
	s_and_not1_saveexec_b32 s0, s11
	s_cbranch_execnz .LBB787_159
.LBB787_99:
	s_or_b32 exec_lo, exec_lo, s0
	s_delay_alu instid0(SALU_CYCLE_1)
	s_and_b32 exec_lo, exec_lo, s16
.LBB787_100:
	v_sub_nc_u32_e32 v1, v20, v6
	s_delay_alu instid0(VALU_DEP_1)
	v_lshlrev_b32_e32 v1, 1, v1
	ds_store_b16 v1, v53
.LBB787_101:
	s_or_b32 exec_lo, exec_lo, s10
	s_delay_alu instid0(SALU_CYCLE_1)
	s_mov_b32 s0, exec_lo
	s_wait_storecnt_dscnt 0x0
	s_barrier_signal -1
	s_barrier_wait -1
	v_cmpx_lt_u32_e64 v0, v4
	s_cbranch_execz .LBB787_114
; %bb.102:
	v_xad_u32 v1, v0, -1, v4
	v_mov_b32_e32 v2, v0
	s_mov_b32 s2, -1
	s_mov_b32 s1, exec_lo
	s_delay_alu instid0(VALU_DEP_2)
	v_cmpx_lt_u32_e32 0x5ff, v1
	s_cbranch_execz .LBB787_111
; %bb.103:
	v_lshrrev_b32_e32 v5, 9, v1
	v_or_b32_e32 v3, 0x600, v0
	v_or_b32_e32 v2, 0x400, v0
	;; [unrolled: 1-line block ×3, first 2 shown]
	s_delay_alu instid0(VALU_DEP_4) | instskip(NEXT) | instid1(VALU_DEP_1)
	v_dual_mov_b32 v55, 0 :: v_dual_add_nc_u32 v8, -3, v5
	v_lshrrev_b32_e32 v9, 2, v8
	v_cmp_lt_u32_e32 vcc_lo, 11, v8
	s_delay_alu instid0(VALU_DEP_2)
	v_add_nc_u32_e32 v15, 1, v9
	v_mov_b64_e32 v[10:11], v[2:3]
	v_mov_b64_e32 v[8:9], v[0:1]
	s_and_saveexec_b32 s2, vcc_lo
	s_cbranch_execz .LBB787_107
; %bb.104:
	v_mov_b64_e32 v[10:11], v[2:3]
	v_mov_b64_e32 v[8:9], v[0:1]
	v_and_b32_e32 v53, 0x7ffffffc, v15
	v_dual_mov_b32 v13, 0 :: v_dual_lshlrev_b32 v54, 1, v0
	s_mov_b32 s3, 0
	s_mov_b32 s4, 0
.LBB787_105:                            ; =>This Inner Loop Header: Depth=1
	s_delay_alu instid0(VALU_DEP_1) | instskip(SKIP_2) | instid1(VALU_DEP_3)
	v_dual_mov_b32 v12, v8 :: v_dual_mov_b32 v61, v13
	v_add_nc_u32_e32 v53, -4, v53
	v_dual_mov_b32 v67, v13 :: v_dual_add_nc_u32 v60, 0x800, v9
	v_lshl_add_u64 v[74:75], v[12:13], 1, v[42:43]
	v_mov_b32_e32 v12, v9
	ds_load_u16 v1, v54
	ds_load_u16 v59, v54 offset:1024
	ds_load_u16 v82, v54 offset:2048
	;; [unrolled: 1-line block ×7, first 2 shown]
	v_dual_mov_b32 v73, v13 :: v_dual_add_nc_u32 v66, 0x1000, v9
	s_add_co_i32 s4, s4, 16
	s_delay_alu instid0(SALU_CYCLE_1)
	v_dual_mov_b32 v55, s4 :: v_dual_add_nc_u32 v72, 0x1800, v9
	v_add_nc_u32_e32 v9, 0x2000, v9
	v_lshl_add_u64 v[76:77], v[12:13], 1, v[42:43]
	v_mov_b32_e32 v12, v10
	ds_load_u16 v88, v54 offset:8192
	ds_load_u16 v89, v54 offset:9216
	;; [unrolled: 1-line block ×8, first 2 shown]
	v_dual_mov_b32 v57, v13 :: v_dual_add_nc_u32 v2, 0x800, v11
	v_dual_mov_b32 v65, v13 :: v_dual_add_nc_u32 v62, 0x1000, v11
	v_lshl_add_u64 v[78:79], v[12:13], 1, v[42:43]
	v_mov_b32_e32 v12, v11
	v_dual_mov_b32 v71, v13 :: v_dual_add_nc_u32 v68, 0x1800, v11
	v_add_nc_u32_e32 v11, 0x2000, v11
	s_wait_dscnt 0xf
	global_store_b16 v[74:75], v1, off
	s_wait_dscnt 0xe
	global_store_b16 v[76:77], v59, off
	;; [unrolled: 2-line block ×3, first 2 shown]
	v_lshl_add_u64 v[80:81], v[12:13], 1, v[42:43]
	v_add_nc_u32_e32 v12, 0x800, v8
	v_dual_mov_b32 v3, v13 :: v_dual_add_nc_u32 v56, 0x800, v10
	v_dual_mov_b32 v63, v13 :: v_dual_add_nc_u32 v64, 0x1000, v10
	s_wait_xcnt 0x2
	s_delay_alu instid0(VALU_DEP_3)
	v_lshl_add_u64 v[74:75], v[12:13], 1, v[42:43]
	v_add_nc_u32_e32 v12, 0x1000, v8
	v_cmp_eq_u32_e32 vcc_lo, 0, v53
	v_lshl_add_u64 v[60:61], v[60:61], 1, v[42:43]
	s_wait_dscnt 0xc
	global_store_b16 v[80:81], v83, off
	s_wait_dscnt 0xb
	global_store_b16 v[74:75], v84, off
	v_dual_mov_b32 v69, v13 :: v_dual_add_nc_u32 v70, 0x1800, v10
	s_wait_xcnt 0x0
	v_lshl_add_u64 v[74:75], v[12:13], 1, v[42:43]
	v_add_nc_u32_e32 v12, 0x1800, v8
	v_add_nc_u32_e32 v54, 0x4000, v54
	v_lshl_add_u64 v[56:57], v[56:57], 1, v[42:43]
	v_add_nc_u32_e32 v10, 0x2000, v10
	v_add_nc_u32_e32 v8, 0x2000, v8
	v_lshl_add_u64 v[2:3], v[2:3], 1, v[42:43]
	v_lshl_add_u64 v[66:67], v[66:67], 1, v[42:43]
	v_lshl_add_u64 v[64:65], v[64:65], 1, v[42:43]
	v_lshl_add_u64 v[62:63], v[62:63], 1, v[42:43]
	s_or_b32 s3, vcc_lo, s3
	s_wait_dscnt 0xa
	global_store_b16 v[60:61], v85, off
	s_wait_dscnt 0x9
	global_store_b16 v[56:57], v86, off
	s_wait_dscnt 0x8
	global_store_b16 v[2:3], v87, off
	s_wait_xcnt 0x0
	v_lshl_add_u64 v[2:3], v[12:13], 1, v[42:43]
	v_lshl_add_u64 v[72:73], v[72:73], 1, v[42:43]
	;; [unrolled: 1-line block ×4, first 2 shown]
	s_wait_dscnt 0x7
	global_store_b16 v[74:75], v88, off
	s_wait_dscnt 0x6
	global_store_b16 v[66:67], v89, off
	s_wait_dscnt 0x5
	global_store_b16 v[64:65], v90, off
	s_wait_dscnt 0x4
	global_store_b16 v[62:63], v91, off
	s_wait_dscnt 0x3
	global_store_b16 v[2:3], v92, off
	s_wait_dscnt 0x2
	global_store_b16 v[72:73], v93, off
	s_wait_dscnt 0x1
	global_store_b16 v[70:71], v94, off
	s_wait_dscnt 0x0
	global_store_b16 v[68:69], v95, off
	s_wait_xcnt 0x0
	s_and_not1_b32 exec_lo, exec_lo, s3
	s_cbranch_execnz .LBB787_105
; %bb.106:
	s_or_b32 exec_lo, exec_lo, s3
.LBB787_107:
	s_delay_alu instid0(SALU_CYCLE_1) | instskip(SKIP_3) | instid1(VALU_DEP_1)
	s_or_b32 exec_lo, exec_lo, s2
	v_and_b32_e32 v1, 3, v15
	s_mov_b32 s3, 0
	s_mov_b32 s2, exec_lo
	v_cmpx_ne_u32_e32 0, v1
	s_cbranch_execz .LBB787_110
; %bb.108:
	v_dual_mov_b32 v3, 0 :: v_dual_lshlrev_b32 v2, 1, v0
	s_delay_alu instid0(VALU_DEP_1)
	v_lshl_or_b32 v12, v55, 10, v2
.LBB787_109:                            ; =>This Inner Loop Header: Depth=1
	v_dual_mov_b32 v2, v8 :: v_dual_add_nc_u32 v1, -1, v1
	ds_load_u16 v13, v12
	ds_load_u16 v15, v12 offset:1024
	ds_load_u16 v53, v12 offset:2048
	;; [unrolled: 1-line block ×3, first 2 shown]
	v_add_nc_u32_e32 v8, 0x800, v8
	v_add_nc_u32_e32 v12, 0x1000, v12
	v_lshl_add_u64 v[54:55], v[2:3], 1, v[42:43]
	v_dual_mov_b32 v2, v9 :: v_dual_add_nc_u32 v9, 0x800, v9
	v_cmp_eq_u32_e32 vcc_lo, 0, v1
	s_delay_alu instid0(VALU_DEP_2) | instskip(SKIP_3) | instid1(VALU_DEP_2)
	v_lshl_add_u64 v[56:57], v[2:3], 1, v[42:43]
	v_mov_b32_e32 v2, v10
	v_add_nc_u32_e32 v10, 0x800, v10
	s_or_b32 s3, vcc_lo, s3
	v_lshl_add_u64 v[60:61], v[2:3], 1, v[42:43]
	v_dual_mov_b32 v2, v11 :: v_dual_add_nc_u32 v11, 0x800, v11
	s_delay_alu instid0(VALU_DEP_1)
	v_lshl_add_u64 v[62:63], v[2:3], 1, v[42:43]
	s_wait_dscnt 0x3
	global_store_b16 v[54:55], v13, off
	s_wait_dscnt 0x2
	global_store_b16 v[56:57], v15, off
	s_wait_dscnt 0x1
	global_store_b16 v[60:61], v53, off
	s_wait_dscnt 0x0
	global_store_b16 v[62:63], v59, off
	s_wait_xcnt 0x0
	s_and_not1_b32 exec_lo, exec_lo, s3
	s_cbranch_execnz .LBB787_109
.LBB787_110:
	s_or_b32 exec_lo, exec_lo, s2
	v_add_nc_u32_e32 v1, 1, v5
	s_delay_alu instid0(VALU_DEP_1) | instskip(NEXT) | instid1(VALU_DEP_1)
	v_and_b32_e32 v2, 0xfffffc, v1
	v_cmp_ne_u32_e32 vcc_lo, v1, v2
	v_lshl_or_b32 v2, v2, 9, v0
	s_or_not1_b32 s2, vcc_lo, exec_lo
.LBB787_111:
	s_or_b32 exec_lo, exec_lo, s1
	s_delay_alu instid0(SALU_CYCLE_1)
	s_and_b32 exec_lo, exec_lo, s2
	s_cbranch_execz .LBB787_114
; %bb.112:
	v_add_nc_u64_e32 v[8:9], v[38:39], v[40:41]
	v_dual_mov_b32 v3, 0 :: v_dual_lshlrev_b32 v1, 1, v2
	s_mov_b32 s1, 0
	s_delay_alu instid0(VALU_DEP_2) | instskip(NEXT) | instid1(VALU_DEP_1)
	v_add_nc_u64_e32 v[8:9], s[12:13], v[8:9]
	v_lshl_add_u64 v[8:9], v[2:3], 1, v[8:9]
.LBB787_113:                            ; =>This Inner Loop Header: Depth=1
	ds_load_u16 v3, v1
	v_add_nc_u32_e32 v2, 0x200, v2
	v_add_nc_u32_e32 v1, 0x400, v1
	s_delay_alu instid0(VALU_DEP_2)
	v_cmp_ge_u32_e32 vcc_lo, v2, v4
	s_or_b32 s1, vcc_lo, s1
	s_wait_dscnt 0x0
	global_store_b16 v[8:9], v3, off
	s_wait_xcnt 0x0
	v_add_nc_u64_e32 v[8:9], 0x400, v[8:9]
	s_and_not1_b32 exec_lo, exec_lo, s1
	s_cbranch_execnz .LBB787_113
.LBB787_114:
	s_or_b32 exec_lo, exec_lo, s0
.LBB787_115:
	v_cmp_eq_u32_e32 vcc_lo, 0, v0
	s_cmp_lg_u32 s30, 0x1400
	v_cndmask_b32_e64 v5, 0, 1, s31
	s_cselect_b32 s0, -1, 0
	s_mov_b32 s13, 0
	s_and_b32 s0, s29, s0
	s_and_b32 s1, vcc_lo, s31
	v_cndmask_b32_e64 v1, 0, 1, s0
	v_cndmask_b32_e64 v3, v58, 0, s1
	v_sub_nc_u32_e32 v2, v4, v5
	s_mul_hi_u32 s0, s30, 0xcccccccd
	v_readfirstlane_b32 s12, v5
	s_lshr_b32 s0, s0, 3
	s_mov_b32 s11, -1
	v_add_nc_u32_e32 v1, v2, v1
	v_mad_i32_i24 v2, v0, -10, s30
	v_cmp_eq_u32_e32 vcc_lo, s0, v0
	s_add_nc_u64 s[12:13], s[12:13], -1
	s_wait_storecnt 0x0
	s_barrier_signal -1
	v_cmp_ne_u32_e64 s0, 0, v2
	s_and_b32 vcc_lo, s29, vcc_lo
	s_barrier_wait -1
	v_dual_add_nc_u32 v5, v6, v5 :: v_dual_cndmask_b32 v8, 1, v3, s0
	v_cmp_ne_u32_e64 s0, 1, v2
	s_delay_alu instid0(VALU_DEP_2) | instskip(NEXT) | instid1(VALU_DEP_2)
	v_cndmask_b32_e32 v39, v3, v8, vcc_lo
	v_cndmask_b32_e64 v9, 1, v52, s0
	v_cmp_ne_u32_e64 s0, 2, v2
	s_delay_alu instid0(VALU_DEP_3) | instskip(NEXT) | instid1(VALU_DEP_2)
	v_cmp_ne_u32_e64 s9, 0, v39
	v_dual_cndmask_b32 v41, v52, v9, vcc_lo :: v_dual_cndmask_b32 v10, 1, v51, s0
	v_cmp_ne_u32_e64 s0, 3, v2
	v_lshlrev_b64_e32 v[8:9], 3, v[36:37]
	s_delay_alu instid0(VALU_DEP_3) | instskip(NEXT) | instid1(VALU_DEP_3)
	v_cmp_ne_u32_e64 s8, 0, v41
	v_cndmask_b32_e64 v11, 1, v50, s0
	v_cmp_ne_u32_e64 s0, 4, v2
	s_delay_alu instid0(VALU_DEP_1) | instskip(SKIP_1) | instid1(VALU_DEP_1)
	v_cndmask_b32_e64 v12, 1, v49, s0
	v_cmp_ne_u32_e64 s0, 9, v2
	v_cndmask_b32_e64 v13, 1, v48, s0
	v_cmp_ne_u32_e64 s0, 5, v2
	s_delay_alu instid0(VALU_DEP_2) | instskip(NEXT) | instid1(VALU_DEP_2)
	v_dual_cndmask_b32 v12, v49, v12 :: v_dual_cndmask_b32 v13, v48, v13
	v_cndmask_b32_e64 v15, 1, v47, s0
	v_cmp_ne_u32_e64 s0, 6, v2
	v_cndmask_b32_e32 v48, v50, v11, vcc_lo
	s_delay_alu instid0(VALU_DEP_4) | instskip(NEXT) | instid1(VALU_DEP_3)
	v_cmp_ne_u32_e64 s5, 0, v12
	v_cndmask_b32_e64 v38, 1, v45, s0
	v_cmp_ne_u32_e64 s0, 7, v2
	v_cndmask_b32_e32 v15, v47, v15, vcc_lo
	v_cmp_ne_u32_e64 s6, 0, v48
	s_delay_alu instid0(VALU_DEP_3) | instskip(SKIP_1) | instid1(VALU_DEP_4)
	v_dual_cndmask_b32 v38, v45, v38, vcc_lo :: v_dual_cndmask_b32 v40, 1, v44, s0
	v_cmp_ne_u32_e64 s0, 8, v2
	v_cmp_ne_u32_e64 s4, 0, v15
	s_delay_alu instid0(VALU_DEP_3) | instskip(NEXT) | instid1(VALU_DEP_3)
	v_cmp_ne_u32_e64 s3, 0, v38
	v_dual_cndmask_b32 v40, v44, v40, vcc_lo :: v_dual_cndmask_b32 v2, 1, v46, s0
	v_cmp_eq_u32_e64 s0, 0, v39
	s_delay_alu instid0(VALU_DEP_2) | instskip(NEXT) | instid1(VALU_DEP_3)
	v_cmp_ne_u32_e64 s2, 0, v40
	v_cndmask_b32_e32 v46, v46, v2, vcc_lo
	s_delay_alu instid0(VALU_DEP_3) | instskip(SKIP_1) | instid1(VALU_DEP_3)
	v_cndmask_b32_e64 v3, 1, 2, s0
	v_cmp_eq_u32_e64 s0, 0, v41
	v_cmp_ne_u32_e64 s1, 0, v46
	s_delay_alu instid0(VALU_DEP_2) | instskip(SKIP_3) | instid1(VALU_DEP_4)
	v_cndmask_b32_e64 v42, 1, 2, s0
	v_cndmask_b32_e32 v43, v51, v10, vcc_lo
	v_cmp_eq_u32_e32 vcc_lo, 0, v38
	v_lshlrev_b64_e32 v[10:11], 3, v[6:7]
	v_and_b32_e32 v42, v42, v3
	s_delay_alu instid0(VALU_DEP_4)
	v_cmp_eq_u32_e64 s0, 0, v43
	v_cndmask_b32_e64 v44, 1, 2, vcc_lo
	v_cmp_eq_u32_e32 vcc_lo, 0, v40
	v_add_nc_u64_e32 v[2:3], s[14:15], v[8:9]
	v_cmp_ne_u32_e64 s7, 0, v43
	v_cndmask_b32_e64 v50, 1, 2, s0
	v_cmp_eq_u32_e64 s0, 0, v48
	v_cndmask_b32_e64 v45, 1, 2, vcc_lo
	v_cmp_eq_u32_e32 vcc_lo, 0, v46
	v_add_nc_u64_e32 v[2:3], v[2:3], v[10:11]
	s_delay_alu instid0(VALU_DEP_4) | instskip(SKIP_3) | instid1(VALU_DEP_4)
	v_cndmask_b32_e64 v51, 1, 2, s0
	v_cmp_eq_u32_e64 s0, 0, v12
	v_cndmask_b32_e64 v41, 1, 2, vcc_lo
	v_cmp_eq_u32_e32 vcc_lo, 0, v13
	v_bitop3_b16 v42, v42, v51, v50 bitop3:0x80
	s_delay_alu instid0(VALU_DEP_4) | instskip(SKIP_1) | instid1(VALU_DEP_1)
	v_cndmask_b32_e64 v47, 1, 2, s0
	v_cmp_eq_u32_e64 s0, 0, v15
	v_cndmask_b32_e64 v49, 1, 2, s0
	v_cmp_ne_u32_e64 s0, 0, v13
	s_delay_alu instid0(VALU_DEP_2) | instskip(NEXT) | instid1(VALU_DEP_1)
	v_bitop3_b16 v42, v42, v49, v47 bitop3:0x80
	v_bitop3_b16 v39, v42, v45, v44 bitop3:0x80
	v_cndmask_b32_e64 v42, 1, 2, vcc_lo
	v_cmp_gt_u32_e32 vcc_lo, 0x200, v1
	s_delay_alu instid0(VALU_DEP_2) | instskip(NEXT) | instid1(VALU_DEP_1)
	v_bitop3_b16 v15, v39, v42, v41 bitop3:0x80
	v_cmp_gt_i16_e64 s10, 2, v15
	s_cbranch_vccnz .LBB787_119
; %bb.116:
	s_and_b32 vcc_lo, exec_lo, s11
	s_cbranch_vccnz .LBB787_125
.LBB787_117:
	v_cmp_eq_u32_e32 vcc_lo, 0x1ff, v0
	s_and_b32 s0, vcc_lo, s29
	s_delay_alu instid0(SALU_CYCLE_1)
	s_and_saveexec_b32 s1, s0
	s_cbranch_execnz .LBB787_134
.LBB787_118:
	s_sendmsg sendmsg(MSG_DEALLOC_VGPRS)
	s_endpgm
.LBB787_119:
	s_and_saveexec_b32 s11, s10
	s_cbranch_execz .LBB787_124
; %bb.120:
	s_lshl_b64 s[16:17], s[12:13], 3
	s_mov_b32 s10, exec_lo
	v_add_nc_u64_e32 v[12:13], s[16:17], v[2:3]
	s_mov_b32 s16, 0
	v_cmpx_ne_u16_e32 1, v15
	s_xor_b32 s10, exec_lo, s10
	s_cbranch_execnz .LBB787_160
; %bb.121:
	s_and_not1_saveexec_b32 s10, s10
	s_cbranch_execnz .LBB787_171
.LBB787_122:
	s_or_b32 exec_lo, exec_lo, s10
	s_delay_alu instid0(SALU_CYCLE_1)
	s_and_b32 exec_lo, exec_lo, s16
	s_cbranch_execz .LBB787_124
.LBB787_123:
	v_dual_mov_b32 v39, 0 :: v_dual_mov_b32 v38, v21
	v_sub_nc_u32_e32 v40, v20, v5
	v_readfirstlane_b32 s16, v12
	v_readfirstlane_b32 s17, v13
	global_store_b64 v40, v[38:39], s[16:17] scale_offset
.LBB787_124:
	s_wait_xcnt 0x0
	s_or_b32 exec_lo, exec_lo, s11
	s_branch .LBB787_117
.LBB787_125:
	s_mov_b32 s10, exec_lo
	v_cmpx_gt_i16_e32 2, v15
	s_cbranch_execz .LBB787_130
; %bb.126:
	s_mov_b32 s16, 0
	s_mov_b32 s11, exec_lo
	v_cmpx_ne_u16_e32 1, v15
	s_xor_b32 s11, exec_lo, s11
	s_cbranch_execnz .LBB787_172
; %bb.127:
	s_and_not1_saveexec_b32 s0, s11
	s_cbranch_execnz .LBB787_183
.LBB787_128:
	s_or_b32 exec_lo, exec_lo, s0
	s_delay_alu instid0(SALU_CYCLE_1)
	s_and_b32 exec_lo, exec_lo, s16
.LBB787_129:
	v_sub_nc_u32_e32 v5, v20, v5
	s_delay_alu instid0(VALU_DEP_1)
	v_lshlrev_b32_e32 v5, 2, v5
	ds_store_b32 v5, v21
.LBB787_130:
	s_or_b32 exec_lo, exec_lo, s10
	s_delay_alu instid0(SALU_CYCLE_1)
	s_mov_b32 s0, exec_lo
	s_wait_storecnt_dscnt 0x0
	s_barrier_signal -1
	s_barrier_wait -1
	v_cmpx_lt_u32_e64 v0, v1
	s_cbranch_execz .LBB787_133
; %bb.131:
	s_lshl_b64 s[2:3], s[12:13], 3
	v_dual_mov_b32 v12, v0 :: v_dual_lshlrev_b32 v5, 2, v0
	v_add_nc_u64_e32 v[8:9], s[2:3], v[8:9]
	s_mov_b32 s1, 0
	s_delay_alu instid0(VALU_DEP_1) | instskip(NEXT) | instid1(VALU_DEP_1)
	v_add_nc_u64_e32 v[8:9], v[8:9], v[10:11]
	v_add_nc_u64_e32 v[10:11], s[14:15], v[8:9]
	v_dual_mov_b32 v9, 0 :: v_dual_lshlrev_b32 v8, 3, v0
	s_delay_alu instid0(VALU_DEP_1)
	v_add_nc_u64_e32 v[10:11], v[10:11], v[8:9]
.LBB787_132:                            ; =>This Inner Loop Header: Depth=1
	ds_load_b32 v8, v5
	v_add_nc_u32_e32 v12, 0x200, v12
	v_add_nc_u32_e32 v5, 0x800, v5
	s_delay_alu instid0(VALU_DEP_2)
	v_cmp_ge_u32_e32 vcc_lo, v12, v1
	s_or_b32 s1, vcc_lo, s1
	s_wait_dscnt 0x0
	global_store_b64 v[10:11], v[8:9], off
	s_wait_xcnt 0x0
	v_add_nc_u64_e32 v[10:11], 0x1000, v[10:11]
	s_and_not1_b32 exec_lo, exec_lo, s1
	s_cbranch_execnz .LBB787_132
.LBB787_133:
	s_or_b32 exec_lo, exec_lo, s0
	v_cmp_eq_u32_e32 vcc_lo, 0x1ff, v0
	s_and_b32 s0, vcc_lo, s29
	s_delay_alu instid0(SALU_CYCLE_1)
	s_and_saveexec_b32 s1, s0
	s_cbranch_execz .LBB787_118
.LBB787_134:
	v_mov_b32_e32 v5, 0
	s_cmp_lg_u32 s30, 0x1400
	s_delay_alu instid0(VALU_DEP_1) | instskip(NEXT) | instid1(VALU_DEP_1)
	v_add_nc_u64_e32 v[0:1], v[4:5], v[6:7]
	v_add_nc_u64_e32 v[0:1], v[0:1], v[36:37]
	global_store_b64 v5, v[0:1], s[20:21]
	s_cbranch_scc1 .LBB787_118
; %bb.135:
	s_wait_xcnt 0x0
	v_lshlrev_b64_e32 v[0:1], 3, v[4:5]
	v_mov_b32_e32 v15, v5
	s_delay_alu instid0(VALU_DEP_2)
	v_add_nc_u64_e32 v[0:1], v[2:3], v[0:1]
	global_store_b64 v[0:1], v[14:15], off offset:-8
	s_sendmsg sendmsg(MSG_DEALLOC_VGPRS)
	s_endpgm
.LBB787_136:
	s_and_saveexec_b32 s16, s9
	s_cbranch_execnz .LBB787_184
; %bb.137:
	s_or_b32 exec_lo, exec_lo, s16
	s_and_saveexec_b32 s16, s8
	s_cbranch_execnz .LBB787_185
.LBB787_138:
	s_or_b32 exec_lo, exec_lo, s16
	s_and_saveexec_b32 s16, s7
	s_cbranch_execnz .LBB787_186
.LBB787_139:
	s_or_b32 exec_lo, exec_lo, s16
	s_and_saveexec_b32 s16, s6
	s_cbranch_execnz .LBB787_187
.LBB787_140:
	s_or_b32 exec_lo, exec_lo, s16
	s_and_saveexec_b32 s16, s5
	s_cbranch_execnz .LBB787_188
.LBB787_141:
	s_or_b32 exec_lo, exec_lo, s16
	s_and_saveexec_b32 s16, s4
	s_cbranch_execnz .LBB787_189
.LBB787_142:
	s_or_b32 exec_lo, exec_lo, s16
	s_and_saveexec_b32 s16, s3
	s_cbranch_execnz .LBB787_190
.LBB787_143:
	s_or_b32 exec_lo, exec_lo, s16
	s_and_saveexec_b32 s16, s2
	s_cbranch_execnz .LBB787_191
.LBB787_144:
	s_or_b32 exec_lo, exec_lo, s16
	s_and_saveexec_b32 s16, s1
	s_cbranch_execz .LBB787_146
.LBB787_145:
	v_sub_nc_u32_e32 v3, v22, v6
	v_readfirstlane_b32 s18, v42
	v_readfirstlane_b32 s19, v43
	global_store_b16 v3, v1, s[18:19] scale_offset
.LBB787_146:
	s_wait_xcnt 0x0
	s_or_b32 exec_lo, exec_lo, s16
	s_delay_alu instid0(SALU_CYCLE_1)
	s_and_b32 s16, s0, exec_lo
	s_and_not1_saveexec_b32 s10, s10
	s_cbranch_execz .LBB787_92
.LBB787_147:
	v_dual_sub_nc_u32 v3, v28, v6 :: v_dual_sub_nc_u32 v8, v30, v6
	v_readfirstlane_b32 s18, v42
	v_readfirstlane_b32 s19, v43
	v_dual_sub_nc_u32 v5, v32, v6 :: v_dual_sub_nc_u32 v9, v26, v6
	s_clause 0x2
	global_store_b16 v3, v12, s[18:19] scale_offset
	global_store_b16 v5, v57, s[18:19] scale_offset
	;; [unrolled: 1-line block ×3, first 2 shown]
	s_wait_xcnt 0x1
	v_dual_sub_nc_u32 v3, v16, v6 :: v_dual_sub_nc_u32 v5, v18, v6
	global_store_b16 v9, v56, s[18:19] scale_offset
	s_wait_xcnt 0x0
	v_dual_sub_nc_u32 v8, v24, v6 :: v_dual_sub_nc_u32 v9, v34, v6
	global_store_b16 v3, v10, s[18:19] scale_offset
	s_wait_xcnt 0x0
	v_sub_nc_u32_e32 v3, v22, v6
	s_or_b32 s16, s16, exec_lo
	s_clause 0x3
	global_store_b16 v5, v55, s[18:19] scale_offset
	global_store_b16 v8, v11, s[18:19] scale_offset
	;; [unrolled: 1-line block ×4, first 2 shown]
	s_wait_xcnt 0x0
	s_or_b32 exec_lo, exec_lo, s10
	s_delay_alu instid0(SALU_CYCLE_1)
	s_and_b32 exec_lo, exec_lo, s16
	s_cbranch_execnz .LBB787_93
	s_branch .LBB787_94
.LBB787_148:
	s_and_saveexec_b32 s16, s9
	s_cbranch_execnz .LBB787_192
; %bb.149:
	s_or_b32 exec_lo, exec_lo, s16
	s_and_saveexec_b32 s9, s8
	s_cbranch_execnz .LBB787_193
.LBB787_150:
	s_or_b32 exec_lo, exec_lo, s9
	s_and_saveexec_b32 s8, s7
	s_cbranch_execnz .LBB787_194
.LBB787_151:
	s_or_b32 exec_lo, exec_lo, s8
	s_and_saveexec_b32 s7, s6
	s_cbranch_execnz .LBB787_195
.LBB787_152:
	s_or_b32 exec_lo, exec_lo, s7
	s_and_saveexec_b32 s6, s5
	s_cbranch_execnz .LBB787_196
.LBB787_153:
	s_or_b32 exec_lo, exec_lo, s6
	s_and_saveexec_b32 s5, s4
	s_cbranch_execnz .LBB787_197
.LBB787_154:
	s_or_b32 exec_lo, exec_lo, s5
	s_and_saveexec_b32 s4, s3
	s_cbranch_execnz .LBB787_198
.LBB787_155:
	s_or_b32 exec_lo, exec_lo, s4
	s_and_saveexec_b32 s3, s2
	s_cbranch_execnz .LBB787_199
.LBB787_156:
	s_or_b32 exec_lo, exec_lo, s3
	s_and_saveexec_b32 s2, s1
.LBB787_157:
	v_sub_nc_u32_e32 v2, v22, v6
	s_delay_alu instid0(VALU_DEP_1)
	v_lshlrev_b32_e32 v2, 1, v2
	ds_store_b16 v2, v1
.LBB787_158:
	s_or_b32 exec_lo, exec_lo, s2
	s_delay_alu instid0(SALU_CYCLE_1)
	s_and_b32 s16, s0, exec_lo
                                        ; implicit-def: $vgpr12
                                        ; implicit-def: $vgpr10
                                        ; implicit-def: $vgpr1
                                        ; implicit-def: $vgpr57
                                        ; implicit-def: $vgpr56
                                        ; implicit-def: $vgpr55
                                        ; implicit-def: $vgpr54
	s_and_not1_saveexec_b32 s0, s11
	s_cbranch_execz .LBB787_99
.LBB787_159:
	v_dual_sub_nc_u32 v2, v28, v6 :: v_dual_sub_nc_u32 v5, v30, v6
	v_dual_sub_nc_u32 v3, v32, v6 :: v_dual_sub_nc_u32 v8, v26, v6
	s_or_b32 s16, s16, exec_lo
	s_delay_alu instid0(VALU_DEP_2) | instskip(NEXT) | instid1(VALU_DEP_2)
	v_dual_lshlrev_b32 v2, 1, v2 :: v_dual_lshlrev_b32 v5, 1, v5
	v_dual_lshlrev_b32 v3, 1, v3 :: v_dual_lshlrev_b32 v8, 1, v8
	ds_store_b16 v2, v12
	ds_store_b16 v3, v57
	;; [unrolled: 1-line block ×3, first 2 shown]
	v_dual_sub_nc_u32 v2, v16, v6 :: v_dual_sub_nc_u32 v3, v18, v6
	ds_store_b16 v8, v56
	v_dual_sub_nc_u32 v5, v24, v6 :: v_dual_sub_nc_u32 v8, v34, v6
	v_dual_lshlrev_b32 v2, 1, v2 :: v_dual_lshlrev_b32 v3, 1, v3
	s_delay_alu instid0(VALU_DEP_2) | instskip(NEXT) | instid1(VALU_DEP_3)
	v_dual_sub_nc_u32 v9, v22, v6 :: v_dual_lshlrev_b32 v5, 1, v5
	v_lshlrev_b32_e32 v8, 1, v8
	ds_store_b16 v2, v10
	v_lshlrev_b32_e32 v2, 1, v9
	ds_store_b16 v3, v55
	ds_store_b16 v5, v11
	;; [unrolled: 1-line block ×4, first 2 shown]
	s_or_b32 exec_lo, exec_lo, s0
	s_delay_alu instid0(SALU_CYCLE_1)
	s_and_b32 exec_lo, exec_lo, s16
	s_cbranch_execnz .LBB787_100
	s_branch .LBB787_101
.LBB787_160:
	s_and_saveexec_b32 s16, s9
	s_cbranch_execnz .LBB787_200
; %bb.161:
	s_or_b32 exec_lo, exec_lo, s16
	s_and_saveexec_b32 s16, s8
	s_cbranch_execnz .LBB787_201
.LBB787_162:
	s_or_b32 exec_lo, exec_lo, s16
	s_and_saveexec_b32 s16, s7
	s_cbranch_execnz .LBB787_202
.LBB787_163:
	s_or_b32 exec_lo, exec_lo, s16
	s_and_saveexec_b32 s16, s6
	s_cbranch_execnz .LBB787_203
.LBB787_164:
	s_or_b32 exec_lo, exec_lo, s16
	s_and_saveexec_b32 s16, s5
	s_cbranch_execnz .LBB787_204
.LBB787_165:
	s_or_b32 exec_lo, exec_lo, s16
	s_and_saveexec_b32 s16, s4
	s_cbranch_execnz .LBB787_205
.LBB787_166:
	s_or_b32 exec_lo, exec_lo, s16
	s_and_saveexec_b32 s16, s3
	s_cbranch_execnz .LBB787_206
.LBB787_167:
	s_or_b32 exec_lo, exec_lo, s16
	s_and_saveexec_b32 s16, s2
	s_cbranch_execnz .LBB787_207
.LBB787_168:
	s_or_b32 exec_lo, exec_lo, s16
	s_and_saveexec_b32 s16, s1
	s_cbranch_execz .LBB787_170
.LBB787_169:
	v_dual_mov_b32 v39, 0 :: v_dual_sub_nc_u32 v40, v22, v5
	v_mov_b32_e32 v38, v23
	v_readfirstlane_b32 s18, v12
	v_readfirstlane_b32 s19, v13
	global_store_b64 v40, v[38:39], s[18:19] scale_offset
.LBB787_170:
	s_wait_xcnt 0x0
	s_or_b32 exec_lo, exec_lo, s16
	s_delay_alu instid0(SALU_CYCLE_1)
	s_and_b32 s16, s0, exec_lo
	s_and_not1_saveexec_b32 s10, s10
	s_cbranch_execz .LBB787_122
.LBB787_171:
	v_dual_mov_b32 v39, 0 :: v_dual_mov_b32 v38, v29
	v_sub_nc_u32_e32 v40, v28, v5
	v_readfirstlane_b32 s18, v12
	v_readfirstlane_b32 s19, v13
	v_sub_nc_u32_e32 v41, v30, v5
	s_or_b32 s16, s16, exec_lo
	global_store_b64 v40, v[38:39], s[18:19] scale_offset
	s_wait_xcnt 0x0
	v_dual_sub_nc_u32 v40, v32, v5 :: v_dual_mov_b32 v38, v33
	global_store_b64 v40, v[38:39], s[18:19] scale_offset
	s_wait_xcnt 0x0
	v_dual_mov_b32 v38, v31 :: v_dual_sub_nc_u32 v40, v26, v5
	global_store_b64 v41, v[38:39], s[18:19] scale_offset
	s_wait_xcnt 0x0
	v_dual_mov_b32 v38, v27 :: v_dual_sub_nc_u32 v41, v16, v5
	;; [unrolled: 3-line block ×5, first 2 shown]
	global_store_b64 v41, v[38:39], s[18:19] scale_offset
	s_wait_xcnt 0x0
	v_mov_b32_e32 v38, v35
	global_store_b64 v40, v[38:39], s[18:19] scale_offset
	s_wait_xcnt 0x0
	v_dual_mov_b32 v38, v23 :: v_dual_sub_nc_u32 v40, v22, v5
	global_store_b64 v40, v[38:39], s[18:19] scale_offset
	s_wait_xcnt 0x0
	s_or_b32 exec_lo, exec_lo, s10
	s_delay_alu instid0(SALU_CYCLE_1)
	s_and_b32 exec_lo, exec_lo, s16
	s_cbranch_execnz .LBB787_123
	s_branch .LBB787_124
.LBB787_172:
	s_and_saveexec_b32 s16, s9
	s_cbranch_execnz .LBB787_208
; %bb.173:
	s_or_b32 exec_lo, exec_lo, s16
	s_and_saveexec_b32 s9, s8
	s_cbranch_execnz .LBB787_209
.LBB787_174:
	s_or_b32 exec_lo, exec_lo, s9
	s_and_saveexec_b32 s8, s7
	s_cbranch_execnz .LBB787_210
.LBB787_175:
	s_or_b32 exec_lo, exec_lo, s8
	s_and_saveexec_b32 s7, s6
	s_cbranch_execnz .LBB787_211
.LBB787_176:
	s_or_b32 exec_lo, exec_lo, s7
	s_and_saveexec_b32 s6, s5
	s_cbranch_execnz .LBB787_212
.LBB787_177:
	s_or_b32 exec_lo, exec_lo, s6
	s_and_saveexec_b32 s5, s4
	s_cbranch_execnz .LBB787_213
.LBB787_178:
	s_or_b32 exec_lo, exec_lo, s5
	s_and_saveexec_b32 s4, s3
	s_cbranch_execnz .LBB787_214
.LBB787_179:
	s_or_b32 exec_lo, exec_lo, s4
	s_and_saveexec_b32 s3, s2
	s_cbranch_execnz .LBB787_215
.LBB787_180:
	s_or_b32 exec_lo, exec_lo, s3
	s_and_saveexec_b32 s2, s1
.LBB787_181:
	v_sub_nc_u32_e32 v12, v22, v5
	s_delay_alu instid0(VALU_DEP_1)
	v_lshlrev_b32_e32 v12, 2, v12
	ds_store_b32 v12, v23
.LBB787_182:
	s_or_b32 exec_lo, exec_lo, s2
	s_delay_alu instid0(SALU_CYCLE_1)
	s_and_b32 s16, s0, exec_lo
                                        ; implicit-def: $vgpr22_vgpr23
                                        ; implicit-def: $vgpr34_vgpr35
                                        ; implicit-def: $vgpr24_vgpr25
                                        ; implicit-def: $vgpr28_vgpr29
                                        ; implicit-def: $vgpr32_vgpr33
                                        ; implicit-def: $vgpr30_vgpr31
                                        ; implicit-def: $vgpr26_vgpr27
                                        ; implicit-def: $vgpr16_vgpr17
                                        ; implicit-def: $vgpr18_vgpr19
	s_and_not1_saveexec_b32 s0, s11
	s_cbranch_execz .LBB787_128
.LBB787_183:
	v_dual_sub_nc_u32 v12, v28, v5 :: v_dual_sub_nc_u32 v15, v30, v5
	v_dual_sub_nc_u32 v13, v32, v5 :: v_dual_sub_nc_u32 v26, v26, v5
	s_or_b32 s16, s16, exec_lo
	s_delay_alu instid0(VALU_DEP_2) | instskip(NEXT) | instid1(VALU_DEP_2)
	v_dual_lshlrev_b32 v12, 2, v12 :: v_dual_lshlrev_b32 v15, 2, v15
	v_dual_lshlrev_b32 v13, 2, v13 :: v_dual_lshlrev_b32 v26, 2, v26
	ds_store_b32 v12, v29
	ds_store_b32 v13, v33
	;; [unrolled: 1-line block ×3, first 2 shown]
	v_dual_sub_nc_u32 v12, v16, v5 :: v_dual_sub_nc_u32 v13, v18, v5
	v_dual_sub_nc_u32 v15, v24, v5 :: v_dual_sub_nc_u32 v16, v34, v5
	s_delay_alu instid0(VALU_DEP_2)
	v_dual_sub_nc_u32 v18, v22, v5 :: v_dual_lshlrev_b32 v12, 2, v12
	ds_store_b32 v26, v27
	v_dual_lshlrev_b32 v13, 2, v13 :: v_dual_lshlrev_b32 v15, 2, v15
	v_lshlrev_b32_e32 v16, 2, v16
	ds_store_b32 v12, v17
	v_lshlrev_b32_e32 v12, 2, v18
	ds_store_b32 v13, v19
	ds_store_b32 v15, v25
	;; [unrolled: 1-line block ×4, first 2 shown]
	s_or_b32 exec_lo, exec_lo, s0
	s_delay_alu instid0(SALU_CYCLE_1)
	s_and_b32 exec_lo, exec_lo, s16
	s_cbranch_execnz .LBB787_129
	s_branch .LBB787_130
.LBB787_184:
	v_sub_nc_u32_e32 v3, v28, v6
	v_readfirstlane_b32 s18, v42
	v_readfirstlane_b32 s19, v43
	global_store_b16 v3, v12, s[18:19] scale_offset
	s_wait_xcnt 0x0
	s_or_b32 exec_lo, exec_lo, s16
	s_and_saveexec_b32 s16, s8
	s_cbranch_execz .LBB787_138
.LBB787_185:
	v_sub_nc_u32_e32 v3, v32, v6
	v_readfirstlane_b32 s18, v42
	v_readfirstlane_b32 s19, v43
	global_store_b16 v3, v57, s[18:19] scale_offset
	s_wait_xcnt 0x0
	s_or_b32 exec_lo, exec_lo, s16
	s_and_saveexec_b32 s16, s7
	s_cbranch_execz .LBB787_139
.LBB787_186:
	v_sub_nc_u32_e32 v3, v30, v6
	v_readfirstlane_b32 s18, v42
	v_readfirstlane_b32 s19, v43
	global_store_b16 v3, v13, s[18:19] scale_offset
	s_wait_xcnt 0x0
	s_or_b32 exec_lo, exec_lo, s16
	s_and_saveexec_b32 s16, s6
	s_cbranch_execz .LBB787_140
.LBB787_187:
	v_sub_nc_u32_e32 v3, v26, v6
	v_readfirstlane_b32 s18, v42
	v_readfirstlane_b32 s19, v43
	global_store_b16 v3, v56, s[18:19] scale_offset
	s_wait_xcnt 0x0
	s_or_b32 exec_lo, exec_lo, s16
	s_and_saveexec_b32 s16, s5
	s_cbranch_execz .LBB787_141
.LBB787_188:
	v_sub_nc_u32_e32 v3, v16, v6
	v_readfirstlane_b32 s18, v42
	v_readfirstlane_b32 s19, v43
	global_store_b16 v3, v10, s[18:19] scale_offset
	s_wait_xcnt 0x0
	s_or_b32 exec_lo, exec_lo, s16
	s_and_saveexec_b32 s16, s4
	s_cbranch_execz .LBB787_142
.LBB787_189:
	v_sub_nc_u32_e32 v3, v18, v6
	v_readfirstlane_b32 s18, v42
	v_readfirstlane_b32 s19, v43
	global_store_b16 v3, v55, s[18:19] scale_offset
	s_wait_xcnt 0x0
	s_or_b32 exec_lo, exec_lo, s16
	s_and_saveexec_b32 s16, s3
	s_cbranch_execz .LBB787_143
.LBB787_190:
	v_sub_nc_u32_e32 v3, v24, v6
	v_readfirstlane_b32 s18, v42
	v_readfirstlane_b32 s19, v43
	global_store_b16 v3, v11, s[18:19] scale_offset
	s_wait_xcnt 0x0
	s_or_b32 exec_lo, exec_lo, s16
	s_and_saveexec_b32 s16, s2
	s_cbranch_execz .LBB787_144
.LBB787_191:
	v_sub_nc_u32_e32 v3, v34, v6
	v_readfirstlane_b32 s18, v42
	v_readfirstlane_b32 s19, v43
	global_store_b16 v3, v54, s[18:19] scale_offset
	s_wait_xcnt 0x0
	s_or_b32 exec_lo, exec_lo, s16
	s_and_saveexec_b32 s16, s1
	s_cbranch_execnz .LBB787_145
	s_branch .LBB787_146
.LBB787_192:
	v_sub_nc_u32_e32 v2, v28, v6
	s_delay_alu instid0(VALU_DEP_1)
	v_lshlrev_b32_e32 v2, 1, v2
	ds_store_b16 v2, v12
	s_or_b32 exec_lo, exec_lo, s16
	s_and_saveexec_b32 s9, s8
	s_cbranch_execz .LBB787_150
.LBB787_193:
	v_sub_nc_u32_e32 v2, v32, v6
	s_delay_alu instid0(VALU_DEP_1)
	v_lshlrev_b32_e32 v2, 1, v2
	ds_store_b16 v2, v57
	s_or_b32 exec_lo, exec_lo, s9
	s_and_saveexec_b32 s8, s7
	s_cbranch_execz .LBB787_151
.LBB787_194:
	v_sub_nc_u32_e32 v2, v30, v6
	s_delay_alu instid0(VALU_DEP_1)
	v_lshlrev_b32_e32 v2, 1, v2
	ds_store_b16 v2, v13
	s_or_b32 exec_lo, exec_lo, s8
	s_and_saveexec_b32 s7, s6
	s_cbranch_execz .LBB787_152
.LBB787_195:
	v_sub_nc_u32_e32 v2, v26, v6
	s_delay_alu instid0(VALU_DEP_1)
	v_lshlrev_b32_e32 v2, 1, v2
	ds_store_b16 v2, v56
	s_or_b32 exec_lo, exec_lo, s7
	s_and_saveexec_b32 s6, s5
	s_cbranch_execz .LBB787_153
.LBB787_196:
	v_sub_nc_u32_e32 v2, v16, v6
	s_delay_alu instid0(VALU_DEP_1)
	v_lshlrev_b32_e32 v2, 1, v2
	ds_store_b16 v2, v10
	s_or_b32 exec_lo, exec_lo, s6
	s_and_saveexec_b32 s5, s4
	s_cbranch_execz .LBB787_154
.LBB787_197:
	v_sub_nc_u32_e32 v2, v18, v6
	s_delay_alu instid0(VALU_DEP_1)
	v_lshlrev_b32_e32 v2, 1, v2
	ds_store_b16 v2, v55
	s_or_b32 exec_lo, exec_lo, s5
	s_and_saveexec_b32 s4, s3
	s_cbranch_execz .LBB787_155
.LBB787_198:
	v_sub_nc_u32_e32 v2, v24, v6
	s_delay_alu instid0(VALU_DEP_1)
	v_lshlrev_b32_e32 v2, 1, v2
	ds_store_b16 v2, v11
	s_or_b32 exec_lo, exec_lo, s4
	s_and_saveexec_b32 s3, s2
	s_cbranch_execz .LBB787_156
.LBB787_199:
	v_sub_nc_u32_e32 v2, v34, v6
	s_delay_alu instid0(VALU_DEP_1)
	v_lshlrev_b32_e32 v2, 1, v2
	ds_store_b16 v2, v54
	s_or_b32 exec_lo, exec_lo, s3
	s_and_saveexec_b32 s2, s1
	s_cbranch_execnz .LBB787_157
	s_branch .LBB787_158
.LBB787_200:
	v_dual_mov_b32 v39, 0 :: v_dual_sub_nc_u32 v40, v28, v5
	v_mov_b32_e32 v38, v29
	v_readfirstlane_b32 s18, v12
	v_readfirstlane_b32 s19, v13
	global_store_b64 v40, v[38:39], s[18:19] scale_offset
	s_wait_xcnt 0x0
	s_or_b32 exec_lo, exec_lo, s16
	s_and_saveexec_b32 s16, s8
	s_cbranch_execz .LBB787_162
.LBB787_201:
	v_dual_mov_b32 v39, 0 :: v_dual_sub_nc_u32 v40, v32, v5
	v_mov_b32_e32 v38, v33
	v_readfirstlane_b32 s18, v12
	v_readfirstlane_b32 s19, v13
	global_store_b64 v40, v[38:39], s[18:19] scale_offset
	s_wait_xcnt 0x0
	s_or_b32 exec_lo, exec_lo, s16
	s_and_saveexec_b32 s16, s7
	s_cbranch_execz .LBB787_163
.LBB787_202:
	v_dual_mov_b32 v39, 0 :: v_dual_sub_nc_u32 v40, v30, v5
	v_mov_b32_e32 v38, v31
	v_readfirstlane_b32 s18, v12
	v_readfirstlane_b32 s19, v13
	global_store_b64 v40, v[38:39], s[18:19] scale_offset
	s_wait_xcnt 0x0
	s_or_b32 exec_lo, exec_lo, s16
	s_and_saveexec_b32 s16, s6
	s_cbranch_execz .LBB787_164
.LBB787_203:
	v_dual_mov_b32 v39, 0 :: v_dual_sub_nc_u32 v40, v26, v5
	v_mov_b32_e32 v38, v27
	v_readfirstlane_b32 s18, v12
	v_readfirstlane_b32 s19, v13
	global_store_b64 v40, v[38:39], s[18:19] scale_offset
	s_wait_xcnt 0x0
	s_or_b32 exec_lo, exec_lo, s16
	s_and_saveexec_b32 s16, s5
	s_cbranch_execz .LBB787_165
.LBB787_204:
	v_dual_mov_b32 v39, 0 :: v_dual_sub_nc_u32 v40, v16, v5
	v_mov_b32_e32 v38, v17
	v_readfirstlane_b32 s18, v12
	v_readfirstlane_b32 s19, v13
	global_store_b64 v40, v[38:39], s[18:19] scale_offset
	s_wait_xcnt 0x0
	s_or_b32 exec_lo, exec_lo, s16
	s_and_saveexec_b32 s16, s4
	s_cbranch_execz .LBB787_166
.LBB787_205:
	v_dual_mov_b32 v39, 0 :: v_dual_sub_nc_u32 v40, v18, v5
	v_mov_b32_e32 v38, v19
	v_readfirstlane_b32 s18, v12
	v_readfirstlane_b32 s19, v13
	global_store_b64 v40, v[38:39], s[18:19] scale_offset
	s_wait_xcnt 0x0
	s_or_b32 exec_lo, exec_lo, s16
	s_and_saveexec_b32 s16, s3
	s_cbranch_execz .LBB787_167
.LBB787_206:
	v_dual_mov_b32 v39, 0 :: v_dual_sub_nc_u32 v40, v24, v5
	v_mov_b32_e32 v38, v25
	v_readfirstlane_b32 s18, v12
	v_readfirstlane_b32 s19, v13
	global_store_b64 v40, v[38:39], s[18:19] scale_offset
	s_wait_xcnt 0x0
	s_or_b32 exec_lo, exec_lo, s16
	s_and_saveexec_b32 s16, s2
	s_cbranch_execz .LBB787_168
.LBB787_207:
	v_dual_mov_b32 v39, 0 :: v_dual_sub_nc_u32 v40, v34, v5
	v_mov_b32_e32 v38, v35
	v_readfirstlane_b32 s18, v12
	v_readfirstlane_b32 s19, v13
	global_store_b64 v40, v[38:39], s[18:19] scale_offset
	s_wait_xcnt 0x0
	s_or_b32 exec_lo, exec_lo, s16
	s_and_saveexec_b32 s16, s1
	s_cbranch_execnz .LBB787_169
	s_branch .LBB787_170
.LBB787_208:
	v_sub_nc_u32_e32 v12, v28, v5
	s_delay_alu instid0(VALU_DEP_1)
	v_lshlrev_b32_e32 v12, 2, v12
	ds_store_b32 v12, v29
	s_or_b32 exec_lo, exec_lo, s16
	s_and_saveexec_b32 s9, s8
	s_cbranch_execz .LBB787_174
.LBB787_209:
	v_sub_nc_u32_e32 v12, v32, v5
	s_delay_alu instid0(VALU_DEP_1)
	v_lshlrev_b32_e32 v12, 2, v12
	ds_store_b32 v12, v33
	s_or_b32 exec_lo, exec_lo, s9
	s_and_saveexec_b32 s8, s7
	s_cbranch_execz .LBB787_175
.LBB787_210:
	v_sub_nc_u32_e32 v12, v30, v5
	s_delay_alu instid0(VALU_DEP_1)
	v_lshlrev_b32_e32 v12, 2, v12
	ds_store_b32 v12, v31
	s_or_b32 exec_lo, exec_lo, s8
	s_and_saveexec_b32 s7, s6
	s_cbranch_execz .LBB787_176
.LBB787_211:
	v_sub_nc_u32_e32 v12, v26, v5
	s_delay_alu instid0(VALU_DEP_1)
	v_lshlrev_b32_e32 v12, 2, v12
	ds_store_b32 v12, v27
	s_or_b32 exec_lo, exec_lo, s7
	s_and_saveexec_b32 s6, s5
	s_cbranch_execz .LBB787_177
.LBB787_212:
	v_sub_nc_u32_e32 v12, v16, v5
	s_delay_alu instid0(VALU_DEP_1)
	v_lshlrev_b32_e32 v12, 2, v12
	ds_store_b32 v12, v17
	s_or_b32 exec_lo, exec_lo, s6
	s_and_saveexec_b32 s5, s4
	s_cbranch_execz .LBB787_178
.LBB787_213:
	v_sub_nc_u32_e32 v12, v18, v5
	s_delay_alu instid0(VALU_DEP_1)
	v_lshlrev_b32_e32 v12, 2, v12
	ds_store_b32 v12, v19
	s_or_b32 exec_lo, exec_lo, s5
	s_and_saveexec_b32 s4, s3
	s_cbranch_execz .LBB787_179
.LBB787_214:
	v_sub_nc_u32_e32 v12, v24, v5
	s_delay_alu instid0(VALU_DEP_1)
	v_lshlrev_b32_e32 v12, 2, v12
	ds_store_b32 v12, v25
	s_or_b32 exec_lo, exec_lo, s4
	s_and_saveexec_b32 s3, s2
	s_cbranch_execz .LBB787_180
.LBB787_215:
	v_sub_nc_u32_e32 v12, v34, v5
	s_delay_alu instid0(VALU_DEP_1)
	v_lshlrev_b32_e32 v12, 2, v12
	ds_store_b32 v12, v35
	s_or_b32 exec_lo, exec_lo, s3
	s_and_saveexec_b32 s2, s1
	s_cbranch_execnz .LBB787_181
	s_branch .LBB787_182
	.section	.rodata,"a",@progbits
	.p2align	6, 0x0
	.amdhsa_kernel _ZN7rocprim17ROCPRIM_400000_NS6detail17trampoline_kernelINS0_14default_configENS1_33run_length_encode_config_selectorItjNS0_4plusIjEEEEZZNS1_33reduce_by_key_impl_wrapped_configILNS1_25lookback_scan_determinismE0ES3_S7_PKtNS0_17constant_iteratorIjlEEPtPlSF_S6_NS0_8equal_toItEEEE10hipError_tPvRmT2_T3_mT4_T5_T6_T7_T8_P12ihipStream_tbENKUlT_T0_E_clISt17integral_constantIbLb0EESZ_EEDaSU_SV_EUlSU_E_NS1_11comp_targetILNS1_3genE0ELNS1_11target_archE4294967295ELNS1_3gpuE0ELNS1_3repE0EEENS1_30default_config_static_selectorELNS0_4arch9wavefront6targetE0EEEvT1_
		.amdhsa_group_segment_fixed_size 20480
		.amdhsa_private_segment_fixed_size 0
		.amdhsa_kernarg_size 128
		.amdhsa_user_sgpr_count 2
		.amdhsa_user_sgpr_dispatch_ptr 0
		.amdhsa_user_sgpr_queue_ptr 0
		.amdhsa_user_sgpr_kernarg_segment_ptr 1
		.amdhsa_user_sgpr_dispatch_id 0
		.amdhsa_user_sgpr_kernarg_preload_length 0
		.amdhsa_user_sgpr_kernarg_preload_offset 0
		.amdhsa_user_sgpr_private_segment_size 0
		.amdhsa_wavefront_size32 1
		.amdhsa_uses_dynamic_stack 0
		.amdhsa_enable_private_segment 0
		.amdhsa_system_sgpr_workgroup_id_x 1
		.amdhsa_system_sgpr_workgroup_id_y 0
		.amdhsa_system_sgpr_workgroup_id_z 0
		.amdhsa_system_sgpr_workgroup_info 0
		.amdhsa_system_vgpr_workitem_id 0
		.amdhsa_next_free_vgpr 96
		.amdhsa_next_free_sgpr 34
		.amdhsa_named_barrier_count 0
		.amdhsa_reserve_vcc 1
		.amdhsa_float_round_mode_32 0
		.amdhsa_float_round_mode_16_64 0
		.amdhsa_float_denorm_mode_32 3
		.amdhsa_float_denorm_mode_16_64 3
		.amdhsa_fp16_overflow 0
		.amdhsa_memory_ordered 1
		.amdhsa_forward_progress 1
		.amdhsa_inst_pref_size 100
		.amdhsa_round_robin_scheduling 0
		.amdhsa_exception_fp_ieee_invalid_op 0
		.amdhsa_exception_fp_denorm_src 0
		.amdhsa_exception_fp_ieee_div_zero 0
		.amdhsa_exception_fp_ieee_overflow 0
		.amdhsa_exception_fp_ieee_underflow 0
		.amdhsa_exception_fp_ieee_inexact 0
		.amdhsa_exception_int_div_zero 0
	.end_amdhsa_kernel
	.section	.text._ZN7rocprim17ROCPRIM_400000_NS6detail17trampoline_kernelINS0_14default_configENS1_33run_length_encode_config_selectorItjNS0_4plusIjEEEEZZNS1_33reduce_by_key_impl_wrapped_configILNS1_25lookback_scan_determinismE0ES3_S7_PKtNS0_17constant_iteratorIjlEEPtPlSF_S6_NS0_8equal_toItEEEE10hipError_tPvRmT2_T3_mT4_T5_T6_T7_T8_P12ihipStream_tbENKUlT_T0_E_clISt17integral_constantIbLb0EESZ_EEDaSU_SV_EUlSU_E_NS1_11comp_targetILNS1_3genE0ELNS1_11target_archE4294967295ELNS1_3gpuE0ELNS1_3repE0EEENS1_30default_config_static_selectorELNS0_4arch9wavefront6targetE0EEEvT1_,"axG",@progbits,_ZN7rocprim17ROCPRIM_400000_NS6detail17trampoline_kernelINS0_14default_configENS1_33run_length_encode_config_selectorItjNS0_4plusIjEEEEZZNS1_33reduce_by_key_impl_wrapped_configILNS1_25lookback_scan_determinismE0ES3_S7_PKtNS0_17constant_iteratorIjlEEPtPlSF_S6_NS0_8equal_toItEEEE10hipError_tPvRmT2_T3_mT4_T5_T6_T7_T8_P12ihipStream_tbENKUlT_T0_E_clISt17integral_constantIbLb0EESZ_EEDaSU_SV_EUlSU_E_NS1_11comp_targetILNS1_3genE0ELNS1_11target_archE4294967295ELNS1_3gpuE0ELNS1_3repE0EEENS1_30default_config_static_selectorELNS0_4arch9wavefront6targetE0EEEvT1_,comdat
.Lfunc_end787:
	.size	_ZN7rocprim17ROCPRIM_400000_NS6detail17trampoline_kernelINS0_14default_configENS1_33run_length_encode_config_selectorItjNS0_4plusIjEEEEZZNS1_33reduce_by_key_impl_wrapped_configILNS1_25lookback_scan_determinismE0ES3_S7_PKtNS0_17constant_iteratorIjlEEPtPlSF_S6_NS0_8equal_toItEEEE10hipError_tPvRmT2_T3_mT4_T5_T6_T7_T8_P12ihipStream_tbENKUlT_T0_E_clISt17integral_constantIbLb0EESZ_EEDaSU_SV_EUlSU_E_NS1_11comp_targetILNS1_3genE0ELNS1_11target_archE4294967295ELNS1_3gpuE0ELNS1_3repE0EEENS1_30default_config_static_selectorELNS0_4arch9wavefront6targetE0EEEvT1_, .Lfunc_end787-_ZN7rocprim17ROCPRIM_400000_NS6detail17trampoline_kernelINS0_14default_configENS1_33run_length_encode_config_selectorItjNS0_4plusIjEEEEZZNS1_33reduce_by_key_impl_wrapped_configILNS1_25lookback_scan_determinismE0ES3_S7_PKtNS0_17constant_iteratorIjlEEPtPlSF_S6_NS0_8equal_toItEEEE10hipError_tPvRmT2_T3_mT4_T5_T6_T7_T8_P12ihipStream_tbENKUlT_T0_E_clISt17integral_constantIbLb0EESZ_EEDaSU_SV_EUlSU_E_NS1_11comp_targetILNS1_3genE0ELNS1_11target_archE4294967295ELNS1_3gpuE0ELNS1_3repE0EEENS1_30default_config_static_selectorELNS0_4arch9wavefront6targetE0EEEvT1_
                                        ; -- End function
	.set _ZN7rocprim17ROCPRIM_400000_NS6detail17trampoline_kernelINS0_14default_configENS1_33run_length_encode_config_selectorItjNS0_4plusIjEEEEZZNS1_33reduce_by_key_impl_wrapped_configILNS1_25lookback_scan_determinismE0ES3_S7_PKtNS0_17constant_iteratorIjlEEPtPlSF_S6_NS0_8equal_toItEEEE10hipError_tPvRmT2_T3_mT4_T5_T6_T7_T8_P12ihipStream_tbENKUlT_T0_E_clISt17integral_constantIbLb0EESZ_EEDaSU_SV_EUlSU_E_NS1_11comp_targetILNS1_3genE0ELNS1_11target_archE4294967295ELNS1_3gpuE0ELNS1_3repE0EEENS1_30default_config_static_selectorELNS0_4arch9wavefront6targetE0EEEvT1_.num_vgpr, 96
	.set _ZN7rocprim17ROCPRIM_400000_NS6detail17trampoline_kernelINS0_14default_configENS1_33run_length_encode_config_selectorItjNS0_4plusIjEEEEZZNS1_33reduce_by_key_impl_wrapped_configILNS1_25lookback_scan_determinismE0ES3_S7_PKtNS0_17constant_iteratorIjlEEPtPlSF_S6_NS0_8equal_toItEEEE10hipError_tPvRmT2_T3_mT4_T5_T6_T7_T8_P12ihipStream_tbENKUlT_T0_E_clISt17integral_constantIbLb0EESZ_EEDaSU_SV_EUlSU_E_NS1_11comp_targetILNS1_3genE0ELNS1_11target_archE4294967295ELNS1_3gpuE0ELNS1_3repE0EEENS1_30default_config_static_selectorELNS0_4arch9wavefront6targetE0EEEvT1_.num_agpr, 0
	.set _ZN7rocprim17ROCPRIM_400000_NS6detail17trampoline_kernelINS0_14default_configENS1_33run_length_encode_config_selectorItjNS0_4plusIjEEEEZZNS1_33reduce_by_key_impl_wrapped_configILNS1_25lookback_scan_determinismE0ES3_S7_PKtNS0_17constant_iteratorIjlEEPtPlSF_S6_NS0_8equal_toItEEEE10hipError_tPvRmT2_T3_mT4_T5_T6_T7_T8_P12ihipStream_tbENKUlT_T0_E_clISt17integral_constantIbLb0EESZ_EEDaSU_SV_EUlSU_E_NS1_11comp_targetILNS1_3genE0ELNS1_11target_archE4294967295ELNS1_3gpuE0ELNS1_3repE0EEENS1_30default_config_static_selectorELNS0_4arch9wavefront6targetE0EEEvT1_.numbered_sgpr, 34
	.set _ZN7rocprim17ROCPRIM_400000_NS6detail17trampoline_kernelINS0_14default_configENS1_33run_length_encode_config_selectorItjNS0_4plusIjEEEEZZNS1_33reduce_by_key_impl_wrapped_configILNS1_25lookback_scan_determinismE0ES3_S7_PKtNS0_17constant_iteratorIjlEEPtPlSF_S6_NS0_8equal_toItEEEE10hipError_tPvRmT2_T3_mT4_T5_T6_T7_T8_P12ihipStream_tbENKUlT_T0_E_clISt17integral_constantIbLb0EESZ_EEDaSU_SV_EUlSU_E_NS1_11comp_targetILNS1_3genE0ELNS1_11target_archE4294967295ELNS1_3gpuE0ELNS1_3repE0EEENS1_30default_config_static_selectorELNS0_4arch9wavefront6targetE0EEEvT1_.num_named_barrier, 0
	.set _ZN7rocprim17ROCPRIM_400000_NS6detail17trampoline_kernelINS0_14default_configENS1_33run_length_encode_config_selectorItjNS0_4plusIjEEEEZZNS1_33reduce_by_key_impl_wrapped_configILNS1_25lookback_scan_determinismE0ES3_S7_PKtNS0_17constant_iteratorIjlEEPtPlSF_S6_NS0_8equal_toItEEEE10hipError_tPvRmT2_T3_mT4_T5_T6_T7_T8_P12ihipStream_tbENKUlT_T0_E_clISt17integral_constantIbLb0EESZ_EEDaSU_SV_EUlSU_E_NS1_11comp_targetILNS1_3genE0ELNS1_11target_archE4294967295ELNS1_3gpuE0ELNS1_3repE0EEENS1_30default_config_static_selectorELNS0_4arch9wavefront6targetE0EEEvT1_.private_seg_size, 0
	.set _ZN7rocprim17ROCPRIM_400000_NS6detail17trampoline_kernelINS0_14default_configENS1_33run_length_encode_config_selectorItjNS0_4plusIjEEEEZZNS1_33reduce_by_key_impl_wrapped_configILNS1_25lookback_scan_determinismE0ES3_S7_PKtNS0_17constant_iteratorIjlEEPtPlSF_S6_NS0_8equal_toItEEEE10hipError_tPvRmT2_T3_mT4_T5_T6_T7_T8_P12ihipStream_tbENKUlT_T0_E_clISt17integral_constantIbLb0EESZ_EEDaSU_SV_EUlSU_E_NS1_11comp_targetILNS1_3genE0ELNS1_11target_archE4294967295ELNS1_3gpuE0ELNS1_3repE0EEENS1_30default_config_static_selectorELNS0_4arch9wavefront6targetE0EEEvT1_.uses_vcc, 1
	.set _ZN7rocprim17ROCPRIM_400000_NS6detail17trampoline_kernelINS0_14default_configENS1_33run_length_encode_config_selectorItjNS0_4plusIjEEEEZZNS1_33reduce_by_key_impl_wrapped_configILNS1_25lookback_scan_determinismE0ES3_S7_PKtNS0_17constant_iteratorIjlEEPtPlSF_S6_NS0_8equal_toItEEEE10hipError_tPvRmT2_T3_mT4_T5_T6_T7_T8_P12ihipStream_tbENKUlT_T0_E_clISt17integral_constantIbLb0EESZ_EEDaSU_SV_EUlSU_E_NS1_11comp_targetILNS1_3genE0ELNS1_11target_archE4294967295ELNS1_3gpuE0ELNS1_3repE0EEENS1_30default_config_static_selectorELNS0_4arch9wavefront6targetE0EEEvT1_.uses_flat_scratch, 0
	.set _ZN7rocprim17ROCPRIM_400000_NS6detail17trampoline_kernelINS0_14default_configENS1_33run_length_encode_config_selectorItjNS0_4plusIjEEEEZZNS1_33reduce_by_key_impl_wrapped_configILNS1_25lookback_scan_determinismE0ES3_S7_PKtNS0_17constant_iteratorIjlEEPtPlSF_S6_NS0_8equal_toItEEEE10hipError_tPvRmT2_T3_mT4_T5_T6_T7_T8_P12ihipStream_tbENKUlT_T0_E_clISt17integral_constantIbLb0EESZ_EEDaSU_SV_EUlSU_E_NS1_11comp_targetILNS1_3genE0ELNS1_11target_archE4294967295ELNS1_3gpuE0ELNS1_3repE0EEENS1_30default_config_static_selectorELNS0_4arch9wavefront6targetE0EEEvT1_.has_dyn_sized_stack, 0
	.set _ZN7rocprim17ROCPRIM_400000_NS6detail17trampoline_kernelINS0_14default_configENS1_33run_length_encode_config_selectorItjNS0_4plusIjEEEEZZNS1_33reduce_by_key_impl_wrapped_configILNS1_25lookback_scan_determinismE0ES3_S7_PKtNS0_17constant_iteratorIjlEEPtPlSF_S6_NS0_8equal_toItEEEE10hipError_tPvRmT2_T3_mT4_T5_T6_T7_T8_P12ihipStream_tbENKUlT_T0_E_clISt17integral_constantIbLb0EESZ_EEDaSU_SV_EUlSU_E_NS1_11comp_targetILNS1_3genE0ELNS1_11target_archE4294967295ELNS1_3gpuE0ELNS1_3repE0EEENS1_30default_config_static_selectorELNS0_4arch9wavefront6targetE0EEEvT1_.has_recursion, 0
	.set _ZN7rocprim17ROCPRIM_400000_NS6detail17trampoline_kernelINS0_14default_configENS1_33run_length_encode_config_selectorItjNS0_4plusIjEEEEZZNS1_33reduce_by_key_impl_wrapped_configILNS1_25lookback_scan_determinismE0ES3_S7_PKtNS0_17constant_iteratorIjlEEPtPlSF_S6_NS0_8equal_toItEEEE10hipError_tPvRmT2_T3_mT4_T5_T6_T7_T8_P12ihipStream_tbENKUlT_T0_E_clISt17integral_constantIbLb0EESZ_EEDaSU_SV_EUlSU_E_NS1_11comp_targetILNS1_3genE0ELNS1_11target_archE4294967295ELNS1_3gpuE0ELNS1_3repE0EEENS1_30default_config_static_selectorELNS0_4arch9wavefront6targetE0EEEvT1_.has_indirect_call, 0
	.section	.AMDGPU.csdata,"",@progbits
; Kernel info:
; codeLenInByte = 12752
; TotalNumSgprs: 36
; NumVgprs: 96
; ScratchSize: 0
; MemoryBound: 0
; FloatMode: 240
; IeeeMode: 1
; LDSByteSize: 20480 bytes/workgroup (compile time only)
; SGPRBlocks: 0
; VGPRBlocks: 5
; NumSGPRsForWavesPerEU: 36
; NumVGPRsForWavesPerEU: 96
; NamedBarCnt: 0
; Occupancy: 10
; WaveLimiterHint : 1
; COMPUTE_PGM_RSRC2:SCRATCH_EN: 0
; COMPUTE_PGM_RSRC2:USER_SGPR: 2
; COMPUTE_PGM_RSRC2:TRAP_HANDLER: 0
; COMPUTE_PGM_RSRC2:TGID_X_EN: 1
; COMPUTE_PGM_RSRC2:TGID_Y_EN: 0
; COMPUTE_PGM_RSRC2:TGID_Z_EN: 0
; COMPUTE_PGM_RSRC2:TIDIG_COMP_CNT: 0
	.section	.text._ZN7rocprim17ROCPRIM_400000_NS6detail17trampoline_kernelINS0_14default_configENS1_33run_length_encode_config_selectorItjNS0_4plusIjEEEEZZNS1_33reduce_by_key_impl_wrapped_configILNS1_25lookback_scan_determinismE0ES3_S7_PKtNS0_17constant_iteratorIjlEEPtPlSF_S6_NS0_8equal_toItEEEE10hipError_tPvRmT2_T3_mT4_T5_T6_T7_T8_P12ihipStream_tbENKUlT_T0_E_clISt17integral_constantIbLb0EESZ_EEDaSU_SV_EUlSU_E_NS1_11comp_targetILNS1_3genE5ELNS1_11target_archE942ELNS1_3gpuE9ELNS1_3repE0EEENS1_30default_config_static_selectorELNS0_4arch9wavefront6targetE0EEEvT1_,"axG",@progbits,_ZN7rocprim17ROCPRIM_400000_NS6detail17trampoline_kernelINS0_14default_configENS1_33run_length_encode_config_selectorItjNS0_4plusIjEEEEZZNS1_33reduce_by_key_impl_wrapped_configILNS1_25lookback_scan_determinismE0ES3_S7_PKtNS0_17constant_iteratorIjlEEPtPlSF_S6_NS0_8equal_toItEEEE10hipError_tPvRmT2_T3_mT4_T5_T6_T7_T8_P12ihipStream_tbENKUlT_T0_E_clISt17integral_constantIbLb0EESZ_EEDaSU_SV_EUlSU_E_NS1_11comp_targetILNS1_3genE5ELNS1_11target_archE942ELNS1_3gpuE9ELNS1_3repE0EEENS1_30default_config_static_selectorELNS0_4arch9wavefront6targetE0EEEvT1_,comdat
	.protected	_ZN7rocprim17ROCPRIM_400000_NS6detail17trampoline_kernelINS0_14default_configENS1_33run_length_encode_config_selectorItjNS0_4plusIjEEEEZZNS1_33reduce_by_key_impl_wrapped_configILNS1_25lookback_scan_determinismE0ES3_S7_PKtNS0_17constant_iteratorIjlEEPtPlSF_S6_NS0_8equal_toItEEEE10hipError_tPvRmT2_T3_mT4_T5_T6_T7_T8_P12ihipStream_tbENKUlT_T0_E_clISt17integral_constantIbLb0EESZ_EEDaSU_SV_EUlSU_E_NS1_11comp_targetILNS1_3genE5ELNS1_11target_archE942ELNS1_3gpuE9ELNS1_3repE0EEENS1_30default_config_static_selectorELNS0_4arch9wavefront6targetE0EEEvT1_ ; -- Begin function _ZN7rocprim17ROCPRIM_400000_NS6detail17trampoline_kernelINS0_14default_configENS1_33run_length_encode_config_selectorItjNS0_4plusIjEEEEZZNS1_33reduce_by_key_impl_wrapped_configILNS1_25lookback_scan_determinismE0ES3_S7_PKtNS0_17constant_iteratorIjlEEPtPlSF_S6_NS0_8equal_toItEEEE10hipError_tPvRmT2_T3_mT4_T5_T6_T7_T8_P12ihipStream_tbENKUlT_T0_E_clISt17integral_constantIbLb0EESZ_EEDaSU_SV_EUlSU_E_NS1_11comp_targetILNS1_3genE5ELNS1_11target_archE942ELNS1_3gpuE9ELNS1_3repE0EEENS1_30default_config_static_selectorELNS0_4arch9wavefront6targetE0EEEvT1_
	.globl	_ZN7rocprim17ROCPRIM_400000_NS6detail17trampoline_kernelINS0_14default_configENS1_33run_length_encode_config_selectorItjNS0_4plusIjEEEEZZNS1_33reduce_by_key_impl_wrapped_configILNS1_25lookback_scan_determinismE0ES3_S7_PKtNS0_17constant_iteratorIjlEEPtPlSF_S6_NS0_8equal_toItEEEE10hipError_tPvRmT2_T3_mT4_T5_T6_T7_T8_P12ihipStream_tbENKUlT_T0_E_clISt17integral_constantIbLb0EESZ_EEDaSU_SV_EUlSU_E_NS1_11comp_targetILNS1_3genE5ELNS1_11target_archE942ELNS1_3gpuE9ELNS1_3repE0EEENS1_30default_config_static_selectorELNS0_4arch9wavefront6targetE0EEEvT1_
	.p2align	8
	.type	_ZN7rocprim17ROCPRIM_400000_NS6detail17trampoline_kernelINS0_14default_configENS1_33run_length_encode_config_selectorItjNS0_4plusIjEEEEZZNS1_33reduce_by_key_impl_wrapped_configILNS1_25lookback_scan_determinismE0ES3_S7_PKtNS0_17constant_iteratorIjlEEPtPlSF_S6_NS0_8equal_toItEEEE10hipError_tPvRmT2_T3_mT4_T5_T6_T7_T8_P12ihipStream_tbENKUlT_T0_E_clISt17integral_constantIbLb0EESZ_EEDaSU_SV_EUlSU_E_NS1_11comp_targetILNS1_3genE5ELNS1_11target_archE942ELNS1_3gpuE9ELNS1_3repE0EEENS1_30default_config_static_selectorELNS0_4arch9wavefront6targetE0EEEvT1_,@function
_ZN7rocprim17ROCPRIM_400000_NS6detail17trampoline_kernelINS0_14default_configENS1_33run_length_encode_config_selectorItjNS0_4plusIjEEEEZZNS1_33reduce_by_key_impl_wrapped_configILNS1_25lookback_scan_determinismE0ES3_S7_PKtNS0_17constant_iteratorIjlEEPtPlSF_S6_NS0_8equal_toItEEEE10hipError_tPvRmT2_T3_mT4_T5_T6_T7_T8_P12ihipStream_tbENKUlT_T0_E_clISt17integral_constantIbLb0EESZ_EEDaSU_SV_EUlSU_E_NS1_11comp_targetILNS1_3genE5ELNS1_11target_archE942ELNS1_3gpuE9ELNS1_3repE0EEENS1_30default_config_static_selectorELNS0_4arch9wavefront6targetE0EEEvT1_: ; @_ZN7rocprim17ROCPRIM_400000_NS6detail17trampoline_kernelINS0_14default_configENS1_33run_length_encode_config_selectorItjNS0_4plusIjEEEEZZNS1_33reduce_by_key_impl_wrapped_configILNS1_25lookback_scan_determinismE0ES3_S7_PKtNS0_17constant_iteratorIjlEEPtPlSF_S6_NS0_8equal_toItEEEE10hipError_tPvRmT2_T3_mT4_T5_T6_T7_T8_P12ihipStream_tbENKUlT_T0_E_clISt17integral_constantIbLb0EESZ_EEDaSU_SV_EUlSU_E_NS1_11comp_targetILNS1_3genE5ELNS1_11target_archE942ELNS1_3gpuE9ELNS1_3repE0EEENS1_30default_config_static_selectorELNS0_4arch9wavefront6targetE0EEEvT1_
; %bb.0:
	.section	.rodata,"a",@progbits
	.p2align	6, 0x0
	.amdhsa_kernel _ZN7rocprim17ROCPRIM_400000_NS6detail17trampoline_kernelINS0_14default_configENS1_33run_length_encode_config_selectorItjNS0_4plusIjEEEEZZNS1_33reduce_by_key_impl_wrapped_configILNS1_25lookback_scan_determinismE0ES3_S7_PKtNS0_17constant_iteratorIjlEEPtPlSF_S6_NS0_8equal_toItEEEE10hipError_tPvRmT2_T3_mT4_T5_T6_T7_T8_P12ihipStream_tbENKUlT_T0_E_clISt17integral_constantIbLb0EESZ_EEDaSU_SV_EUlSU_E_NS1_11comp_targetILNS1_3genE5ELNS1_11target_archE942ELNS1_3gpuE9ELNS1_3repE0EEENS1_30default_config_static_selectorELNS0_4arch9wavefront6targetE0EEEvT1_
		.amdhsa_group_segment_fixed_size 0
		.amdhsa_private_segment_fixed_size 0
		.amdhsa_kernarg_size 128
		.amdhsa_user_sgpr_count 2
		.amdhsa_user_sgpr_dispatch_ptr 0
		.amdhsa_user_sgpr_queue_ptr 0
		.amdhsa_user_sgpr_kernarg_segment_ptr 1
		.amdhsa_user_sgpr_dispatch_id 0
		.amdhsa_user_sgpr_kernarg_preload_length 0
		.amdhsa_user_sgpr_kernarg_preload_offset 0
		.amdhsa_user_sgpr_private_segment_size 0
		.amdhsa_wavefront_size32 1
		.amdhsa_uses_dynamic_stack 0
		.amdhsa_enable_private_segment 0
		.amdhsa_system_sgpr_workgroup_id_x 1
		.amdhsa_system_sgpr_workgroup_id_y 0
		.amdhsa_system_sgpr_workgroup_id_z 0
		.amdhsa_system_sgpr_workgroup_info 0
		.amdhsa_system_vgpr_workitem_id 0
		.amdhsa_next_free_vgpr 1
		.amdhsa_next_free_sgpr 1
		.amdhsa_named_barrier_count 0
		.amdhsa_reserve_vcc 0
		.amdhsa_float_round_mode_32 0
		.amdhsa_float_round_mode_16_64 0
		.amdhsa_float_denorm_mode_32 3
		.amdhsa_float_denorm_mode_16_64 3
		.amdhsa_fp16_overflow 0
		.amdhsa_memory_ordered 1
		.amdhsa_forward_progress 1
		.amdhsa_inst_pref_size 0
		.amdhsa_round_robin_scheduling 0
		.amdhsa_exception_fp_ieee_invalid_op 0
		.amdhsa_exception_fp_denorm_src 0
		.amdhsa_exception_fp_ieee_div_zero 0
		.amdhsa_exception_fp_ieee_overflow 0
		.amdhsa_exception_fp_ieee_underflow 0
		.amdhsa_exception_fp_ieee_inexact 0
		.amdhsa_exception_int_div_zero 0
	.end_amdhsa_kernel
	.section	.text._ZN7rocprim17ROCPRIM_400000_NS6detail17trampoline_kernelINS0_14default_configENS1_33run_length_encode_config_selectorItjNS0_4plusIjEEEEZZNS1_33reduce_by_key_impl_wrapped_configILNS1_25lookback_scan_determinismE0ES3_S7_PKtNS0_17constant_iteratorIjlEEPtPlSF_S6_NS0_8equal_toItEEEE10hipError_tPvRmT2_T3_mT4_T5_T6_T7_T8_P12ihipStream_tbENKUlT_T0_E_clISt17integral_constantIbLb0EESZ_EEDaSU_SV_EUlSU_E_NS1_11comp_targetILNS1_3genE5ELNS1_11target_archE942ELNS1_3gpuE9ELNS1_3repE0EEENS1_30default_config_static_selectorELNS0_4arch9wavefront6targetE0EEEvT1_,"axG",@progbits,_ZN7rocprim17ROCPRIM_400000_NS6detail17trampoline_kernelINS0_14default_configENS1_33run_length_encode_config_selectorItjNS0_4plusIjEEEEZZNS1_33reduce_by_key_impl_wrapped_configILNS1_25lookback_scan_determinismE0ES3_S7_PKtNS0_17constant_iteratorIjlEEPtPlSF_S6_NS0_8equal_toItEEEE10hipError_tPvRmT2_T3_mT4_T5_T6_T7_T8_P12ihipStream_tbENKUlT_T0_E_clISt17integral_constantIbLb0EESZ_EEDaSU_SV_EUlSU_E_NS1_11comp_targetILNS1_3genE5ELNS1_11target_archE942ELNS1_3gpuE9ELNS1_3repE0EEENS1_30default_config_static_selectorELNS0_4arch9wavefront6targetE0EEEvT1_,comdat
.Lfunc_end788:
	.size	_ZN7rocprim17ROCPRIM_400000_NS6detail17trampoline_kernelINS0_14default_configENS1_33run_length_encode_config_selectorItjNS0_4plusIjEEEEZZNS1_33reduce_by_key_impl_wrapped_configILNS1_25lookback_scan_determinismE0ES3_S7_PKtNS0_17constant_iteratorIjlEEPtPlSF_S6_NS0_8equal_toItEEEE10hipError_tPvRmT2_T3_mT4_T5_T6_T7_T8_P12ihipStream_tbENKUlT_T0_E_clISt17integral_constantIbLb0EESZ_EEDaSU_SV_EUlSU_E_NS1_11comp_targetILNS1_3genE5ELNS1_11target_archE942ELNS1_3gpuE9ELNS1_3repE0EEENS1_30default_config_static_selectorELNS0_4arch9wavefront6targetE0EEEvT1_, .Lfunc_end788-_ZN7rocprim17ROCPRIM_400000_NS6detail17trampoline_kernelINS0_14default_configENS1_33run_length_encode_config_selectorItjNS0_4plusIjEEEEZZNS1_33reduce_by_key_impl_wrapped_configILNS1_25lookback_scan_determinismE0ES3_S7_PKtNS0_17constant_iteratorIjlEEPtPlSF_S6_NS0_8equal_toItEEEE10hipError_tPvRmT2_T3_mT4_T5_T6_T7_T8_P12ihipStream_tbENKUlT_T0_E_clISt17integral_constantIbLb0EESZ_EEDaSU_SV_EUlSU_E_NS1_11comp_targetILNS1_3genE5ELNS1_11target_archE942ELNS1_3gpuE9ELNS1_3repE0EEENS1_30default_config_static_selectorELNS0_4arch9wavefront6targetE0EEEvT1_
                                        ; -- End function
	.set _ZN7rocprim17ROCPRIM_400000_NS6detail17trampoline_kernelINS0_14default_configENS1_33run_length_encode_config_selectorItjNS0_4plusIjEEEEZZNS1_33reduce_by_key_impl_wrapped_configILNS1_25lookback_scan_determinismE0ES3_S7_PKtNS0_17constant_iteratorIjlEEPtPlSF_S6_NS0_8equal_toItEEEE10hipError_tPvRmT2_T3_mT4_T5_T6_T7_T8_P12ihipStream_tbENKUlT_T0_E_clISt17integral_constantIbLb0EESZ_EEDaSU_SV_EUlSU_E_NS1_11comp_targetILNS1_3genE5ELNS1_11target_archE942ELNS1_3gpuE9ELNS1_3repE0EEENS1_30default_config_static_selectorELNS0_4arch9wavefront6targetE0EEEvT1_.num_vgpr, 0
	.set _ZN7rocprim17ROCPRIM_400000_NS6detail17trampoline_kernelINS0_14default_configENS1_33run_length_encode_config_selectorItjNS0_4plusIjEEEEZZNS1_33reduce_by_key_impl_wrapped_configILNS1_25lookback_scan_determinismE0ES3_S7_PKtNS0_17constant_iteratorIjlEEPtPlSF_S6_NS0_8equal_toItEEEE10hipError_tPvRmT2_T3_mT4_T5_T6_T7_T8_P12ihipStream_tbENKUlT_T0_E_clISt17integral_constantIbLb0EESZ_EEDaSU_SV_EUlSU_E_NS1_11comp_targetILNS1_3genE5ELNS1_11target_archE942ELNS1_3gpuE9ELNS1_3repE0EEENS1_30default_config_static_selectorELNS0_4arch9wavefront6targetE0EEEvT1_.num_agpr, 0
	.set _ZN7rocprim17ROCPRIM_400000_NS6detail17trampoline_kernelINS0_14default_configENS1_33run_length_encode_config_selectorItjNS0_4plusIjEEEEZZNS1_33reduce_by_key_impl_wrapped_configILNS1_25lookback_scan_determinismE0ES3_S7_PKtNS0_17constant_iteratorIjlEEPtPlSF_S6_NS0_8equal_toItEEEE10hipError_tPvRmT2_T3_mT4_T5_T6_T7_T8_P12ihipStream_tbENKUlT_T0_E_clISt17integral_constantIbLb0EESZ_EEDaSU_SV_EUlSU_E_NS1_11comp_targetILNS1_3genE5ELNS1_11target_archE942ELNS1_3gpuE9ELNS1_3repE0EEENS1_30default_config_static_selectorELNS0_4arch9wavefront6targetE0EEEvT1_.numbered_sgpr, 0
	.set _ZN7rocprim17ROCPRIM_400000_NS6detail17trampoline_kernelINS0_14default_configENS1_33run_length_encode_config_selectorItjNS0_4plusIjEEEEZZNS1_33reduce_by_key_impl_wrapped_configILNS1_25lookback_scan_determinismE0ES3_S7_PKtNS0_17constant_iteratorIjlEEPtPlSF_S6_NS0_8equal_toItEEEE10hipError_tPvRmT2_T3_mT4_T5_T6_T7_T8_P12ihipStream_tbENKUlT_T0_E_clISt17integral_constantIbLb0EESZ_EEDaSU_SV_EUlSU_E_NS1_11comp_targetILNS1_3genE5ELNS1_11target_archE942ELNS1_3gpuE9ELNS1_3repE0EEENS1_30default_config_static_selectorELNS0_4arch9wavefront6targetE0EEEvT1_.num_named_barrier, 0
	.set _ZN7rocprim17ROCPRIM_400000_NS6detail17trampoline_kernelINS0_14default_configENS1_33run_length_encode_config_selectorItjNS0_4plusIjEEEEZZNS1_33reduce_by_key_impl_wrapped_configILNS1_25lookback_scan_determinismE0ES3_S7_PKtNS0_17constant_iteratorIjlEEPtPlSF_S6_NS0_8equal_toItEEEE10hipError_tPvRmT2_T3_mT4_T5_T6_T7_T8_P12ihipStream_tbENKUlT_T0_E_clISt17integral_constantIbLb0EESZ_EEDaSU_SV_EUlSU_E_NS1_11comp_targetILNS1_3genE5ELNS1_11target_archE942ELNS1_3gpuE9ELNS1_3repE0EEENS1_30default_config_static_selectorELNS0_4arch9wavefront6targetE0EEEvT1_.private_seg_size, 0
	.set _ZN7rocprim17ROCPRIM_400000_NS6detail17trampoline_kernelINS0_14default_configENS1_33run_length_encode_config_selectorItjNS0_4plusIjEEEEZZNS1_33reduce_by_key_impl_wrapped_configILNS1_25lookback_scan_determinismE0ES3_S7_PKtNS0_17constant_iteratorIjlEEPtPlSF_S6_NS0_8equal_toItEEEE10hipError_tPvRmT2_T3_mT4_T5_T6_T7_T8_P12ihipStream_tbENKUlT_T0_E_clISt17integral_constantIbLb0EESZ_EEDaSU_SV_EUlSU_E_NS1_11comp_targetILNS1_3genE5ELNS1_11target_archE942ELNS1_3gpuE9ELNS1_3repE0EEENS1_30default_config_static_selectorELNS0_4arch9wavefront6targetE0EEEvT1_.uses_vcc, 0
	.set _ZN7rocprim17ROCPRIM_400000_NS6detail17trampoline_kernelINS0_14default_configENS1_33run_length_encode_config_selectorItjNS0_4plusIjEEEEZZNS1_33reduce_by_key_impl_wrapped_configILNS1_25lookback_scan_determinismE0ES3_S7_PKtNS0_17constant_iteratorIjlEEPtPlSF_S6_NS0_8equal_toItEEEE10hipError_tPvRmT2_T3_mT4_T5_T6_T7_T8_P12ihipStream_tbENKUlT_T0_E_clISt17integral_constantIbLb0EESZ_EEDaSU_SV_EUlSU_E_NS1_11comp_targetILNS1_3genE5ELNS1_11target_archE942ELNS1_3gpuE9ELNS1_3repE0EEENS1_30default_config_static_selectorELNS0_4arch9wavefront6targetE0EEEvT1_.uses_flat_scratch, 0
	.set _ZN7rocprim17ROCPRIM_400000_NS6detail17trampoline_kernelINS0_14default_configENS1_33run_length_encode_config_selectorItjNS0_4plusIjEEEEZZNS1_33reduce_by_key_impl_wrapped_configILNS1_25lookback_scan_determinismE0ES3_S7_PKtNS0_17constant_iteratorIjlEEPtPlSF_S6_NS0_8equal_toItEEEE10hipError_tPvRmT2_T3_mT4_T5_T6_T7_T8_P12ihipStream_tbENKUlT_T0_E_clISt17integral_constantIbLb0EESZ_EEDaSU_SV_EUlSU_E_NS1_11comp_targetILNS1_3genE5ELNS1_11target_archE942ELNS1_3gpuE9ELNS1_3repE0EEENS1_30default_config_static_selectorELNS0_4arch9wavefront6targetE0EEEvT1_.has_dyn_sized_stack, 0
	.set _ZN7rocprim17ROCPRIM_400000_NS6detail17trampoline_kernelINS0_14default_configENS1_33run_length_encode_config_selectorItjNS0_4plusIjEEEEZZNS1_33reduce_by_key_impl_wrapped_configILNS1_25lookback_scan_determinismE0ES3_S7_PKtNS0_17constant_iteratorIjlEEPtPlSF_S6_NS0_8equal_toItEEEE10hipError_tPvRmT2_T3_mT4_T5_T6_T7_T8_P12ihipStream_tbENKUlT_T0_E_clISt17integral_constantIbLb0EESZ_EEDaSU_SV_EUlSU_E_NS1_11comp_targetILNS1_3genE5ELNS1_11target_archE942ELNS1_3gpuE9ELNS1_3repE0EEENS1_30default_config_static_selectorELNS0_4arch9wavefront6targetE0EEEvT1_.has_recursion, 0
	.set _ZN7rocprim17ROCPRIM_400000_NS6detail17trampoline_kernelINS0_14default_configENS1_33run_length_encode_config_selectorItjNS0_4plusIjEEEEZZNS1_33reduce_by_key_impl_wrapped_configILNS1_25lookback_scan_determinismE0ES3_S7_PKtNS0_17constant_iteratorIjlEEPtPlSF_S6_NS0_8equal_toItEEEE10hipError_tPvRmT2_T3_mT4_T5_T6_T7_T8_P12ihipStream_tbENKUlT_T0_E_clISt17integral_constantIbLb0EESZ_EEDaSU_SV_EUlSU_E_NS1_11comp_targetILNS1_3genE5ELNS1_11target_archE942ELNS1_3gpuE9ELNS1_3repE0EEENS1_30default_config_static_selectorELNS0_4arch9wavefront6targetE0EEEvT1_.has_indirect_call, 0
	.section	.AMDGPU.csdata,"",@progbits
; Kernel info:
; codeLenInByte = 0
; TotalNumSgprs: 0
; NumVgprs: 0
; ScratchSize: 0
; MemoryBound: 0
; FloatMode: 240
; IeeeMode: 1
; LDSByteSize: 0 bytes/workgroup (compile time only)
; SGPRBlocks: 0
; VGPRBlocks: 0
; NumSGPRsForWavesPerEU: 1
; NumVGPRsForWavesPerEU: 1
; NamedBarCnt: 0
; Occupancy: 16
; WaveLimiterHint : 0
; COMPUTE_PGM_RSRC2:SCRATCH_EN: 0
; COMPUTE_PGM_RSRC2:USER_SGPR: 2
; COMPUTE_PGM_RSRC2:TRAP_HANDLER: 0
; COMPUTE_PGM_RSRC2:TGID_X_EN: 1
; COMPUTE_PGM_RSRC2:TGID_Y_EN: 0
; COMPUTE_PGM_RSRC2:TGID_Z_EN: 0
; COMPUTE_PGM_RSRC2:TIDIG_COMP_CNT: 0
	.section	.text._ZN7rocprim17ROCPRIM_400000_NS6detail17trampoline_kernelINS0_14default_configENS1_33run_length_encode_config_selectorItjNS0_4plusIjEEEEZZNS1_33reduce_by_key_impl_wrapped_configILNS1_25lookback_scan_determinismE0ES3_S7_PKtNS0_17constant_iteratorIjlEEPtPlSF_S6_NS0_8equal_toItEEEE10hipError_tPvRmT2_T3_mT4_T5_T6_T7_T8_P12ihipStream_tbENKUlT_T0_E_clISt17integral_constantIbLb0EESZ_EEDaSU_SV_EUlSU_E_NS1_11comp_targetILNS1_3genE4ELNS1_11target_archE910ELNS1_3gpuE8ELNS1_3repE0EEENS1_30default_config_static_selectorELNS0_4arch9wavefront6targetE0EEEvT1_,"axG",@progbits,_ZN7rocprim17ROCPRIM_400000_NS6detail17trampoline_kernelINS0_14default_configENS1_33run_length_encode_config_selectorItjNS0_4plusIjEEEEZZNS1_33reduce_by_key_impl_wrapped_configILNS1_25lookback_scan_determinismE0ES3_S7_PKtNS0_17constant_iteratorIjlEEPtPlSF_S6_NS0_8equal_toItEEEE10hipError_tPvRmT2_T3_mT4_T5_T6_T7_T8_P12ihipStream_tbENKUlT_T0_E_clISt17integral_constantIbLb0EESZ_EEDaSU_SV_EUlSU_E_NS1_11comp_targetILNS1_3genE4ELNS1_11target_archE910ELNS1_3gpuE8ELNS1_3repE0EEENS1_30default_config_static_selectorELNS0_4arch9wavefront6targetE0EEEvT1_,comdat
	.protected	_ZN7rocprim17ROCPRIM_400000_NS6detail17trampoline_kernelINS0_14default_configENS1_33run_length_encode_config_selectorItjNS0_4plusIjEEEEZZNS1_33reduce_by_key_impl_wrapped_configILNS1_25lookback_scan_determinismE0ES3_S7_PKtNS0_17constant_iteratorIjlEEPtPlSF_S6_NS0_8equal_toItEEEE10hipError_tPvRmT2_T3_mT4_T5_T6_T7_T8_P12ihipStream_tbENKUlT_T0_E_clISt17integral_constantIbLb0EESZ_EEDaSU_SV_EUlSU_E_NS1_11comp_targetILNS1_3genE4ELNS1_11target_archE910ELNS1_3gpuE8ELNS1_3repE0EEENS1_30default_config_static_selectorELNS0_4arch9wavefront6targetE0EEEvT1_ ; -- Begin function _ZN7rocprim17ROCPRIM_400000_NS6detail17trampoline_kernelINS0_14default_configENS1_33run_length_encode_config_selectorItjNS0_4plusIjEEEEZZNS1_33reduce_by_key_impl_wrapped_configILNS1_25lookback_scan_determinismE0ES3_S7_PKtNS0_17constant_iteratorIjlEEPtPlSF_S6_NS0_8equal_toItEEEE10hipError_tPvRmT2_T3_mT4_T5_T6_T7_T8_P12ihipStream_tbENKUlT_T0_E_clISt17integral_constantIbLb0EESZ_EEDaSU_SV_EUlSU_E_NS1_11comp_targetILNS1_3genE4ELNS1_11target_archE910ELNS1_3gpuE8ELNS1_3repE0EEENS1_30default_config_static_selectorELNS0_4arch9wavefront6targetE0EEEvT1_
	.globl	_ZN7rocprim17ROCPRIM_400000_NS6detail17trampoline_kernelINS0_14default_configENS1_33run_length_encode_config_selectorItjNS0_4plusIjEEEEZZNS1_33reduce_by_key_impl_wrapped_configILNS1_25lookback_scan_determinismE0ES3_S7_PKtNS0_17constant_iteratorIjlEEPtPlSF_S6_NS0_8equal_toItEEEE10hipError_tPvRmT2_T3_mT4_T5_T6_T7_T8_P12ihipStream_tbENKUlT_T0_E_clISt17integral_constantIbLb0EESZ_EEDaSU_SV_EUlSU_E_NS1_11comp_targetILNS1_3genE4ELNS1_11target_archE910ELNS1_3gpuE8ELNS1_3repE0EEENS1_30default_config_static_selectorELNS0_4arch9wavefront6targetE0EEEvT1_
	.p2align	8
	.type	_ZN7rocprim17ROCPRIM_400000_NS6detail17trampoline_kernelINS0_14default_configENS1_33run_length_encode_config_selectorItjNS0_4plusIjEEEEZZNS1_33reduce_by_key_impl_wrapped_configILNS1_25lookback_scan_determinismE0ES3_S7_PKtNS0_17constant_iteratorIjlEEPtPlSF_S6_NS0_8equal_toItEEEE10hipError_tPvRmT2_T3_mT4_T5_T6_T7_T8_P12ihipStream_tbENKUlT_T0_E_clISt17integral_constantIbLb0EESZ_EEDaSU_SV_EUlSU_E_NS1_11comp_targetILNS1_3genE4ELNS1_11target_archE910ELNS1_3gpuE8ELNS1_3repE0EEENS1_30default_config_static_selectorELNS0_4arch9wavefront6targetE0EEEvT1_,@function
_ZN7rocprim17ROCPRIM_400000_NS6detail17trampoline_kernelINS0_14default_configENS1_33run_length_encode_config_selectorItjNS0_4plusIjEEEEZZNS1_33reduce_by_key_impl_wrapped_configILNS1_25lookback_scan_determinismE0ES3_S7_PKtNS0_17constant_iteratorIjlEEPtPlSF_S6_NS0_8equal_toItEEEE10hipError_tPvRmT2_T3_mT4_T5_T6_T7_T8_P12ihipStream_tbENKUlT_T0_E_clISt17integral_constantIbLb0EESZ_EEDaSU_SV_EUlSU_E_NS1_11comp_targetILNS1_3genE4ELNS1_11target_archE910ELNS1_3gpuE8ELNS1_3repE0EEENS1_30default_config_static_selectorELNS0_4arch9wavefront6targetE0EEEvT1_: ; @_ZN7rocprim17ROCPRIM_400000_NS6detail17trampoline_kernelINS0_14default_configENS1_33run_length_encode_config_selectorItjNS0_4plusIjEEEEZZNS1_33reduce_by_key_impl_wrapped_configILNS1_25lookback_scan_determinismE0ES3_S7_PKtNS0_17constant_iteratorIjlEEPtPlSF_S6_NS0_8equal_toItEEEE10hipError_tPvRmT2_T3_mT4_T5_T6_T7_T8_P12ihipStream_tbENKUlT_T0_E_clISt17integral_constantIbLb0EESZ_EEDaSU_SV_EUlSU_E_NS1_11comp_targetILNS1_3genE4ELNS1_11target_archE910ELNS1_3gpuE8ELNS1_3repE0EEENS1_30default_config_static_selectorELNS0_4arch9wavefront6targetE0EEEvT1_
; %bb.0:
	.section	.rodata,"a",@progbits
	.p2align	6, 0x0
	.amdhsa_kernel _ZN7rocprim17ROCPRIM_400000_NS6detail17trampoline_kernelINS0_14default_configENS1_33run_length_encode_config_selectorItjNS0_4plusIjEEEEZZNS1_33reduce_by_key_impl_wrapped_configILNS1_25lookback_scan_determinismE0ES3_S7_PKtNS0_17constant_iteratorIjlEEPtPlSF_S6_NS0_8equal_toItEEEE10hipError_tPvRmT2_T3_mT4_T5_T6_T7_T8_P12ihipStream_tbENKUlT_T0_E_clISt17integral_constantIbLb0EESZ_EEDaSU_SV_EUlSU_E_NS1_11comp_targetILNS1_3genE4ELNS1_11target_archE910ELNS1_3gpuE8ELNS1_3repE0EEENS1_30default_config_static_selectorELNS0_4arch9wavefront6targetE0EEEvT1_
		.amdhsa_group_segment_fixed_size 0
		.amdhsa_private_segment_fixed_size 0
		.amdhsa_kernarg_size 128
		.amdhsa_user_sgpr_count 2
		.amdhsa_user_sgpr_dispatch_ptr 0
		.amdhsa_user_sgpr_queue_ptr 0
		.amdhsa_user_sgpr_kernarg_segment_ptr 1
		.amdhsa_user_sgpr_dispatch_id 0
		.amdhsa_user_sgpr_kernarg_preload_length 0
		.amdhsa_user_sgpr_kernarg_preload_offset 0
		.amdhsa_user_sgpr_private_segment_size 0
		.amdhsa_wavefront_size32 1
		.amdhsa_uses_dynamic_stack 0
		.amdhsa_enable_private_segment 0
		.amdhsa_system_sgpr_workgroup_id_x 1
		.amdhsa_system_sgpr_workgroup_id_y 0
		.amdhsa_system_sgpr_workgroup_id_z 0
		.amdhsa_system_sgpr_workgroup_info 0
		.amdhsa_system_vgpr_workitem_id 0
		.amdhsa_next_free_vgpr 1
		.amdhsa_next_free_sgpr 1
		.amdhsa_named_barrier_count 0
		.amdhsa_reserve_vcc 0
		.amdhsa_float_round_mode_32 0
		.amdhsa_float_round_mode_16_64 0
		.amdhsa_float_denorm_mode_32 3
		.amdhsa_float_denorm_mode_16_64 3
		.amdhsa_fp16_overflow 0
		.amdhsa_memory_ordered 1
		.amdhsa_forward_progress 1
		.amdhsa_inst_pref_size 0
		.amdhsa_round_robin_scheduling 0
		.amdhsa_exception_fp_ieee_invalid_op 0
		.amdhsa_exception_fp_denorm_src 0
		.amdhsa_exception_fp_ieee_div_zero 0
		.amdhsa_exception_fp_ieee_overflow 0
		.amdhsa_exception_fp_ieee_underflow 0
		.amdhsa_exception_fp_ieee_inexact 0
		.amdhsa_exception_int_div_zero 0
	.end_amdhsa_kernel
	.section	.text._ZN7rocprim17ROCPRIM_400000_NS6detail17trampoline_kernelINS0_14default_configENS1_33run_length_encode_config_selectorItjNS0_4plusIjEEEEZZNS1_33reduce_by_key_impl_wrapped_configILNS1_25lookback_scan_determinismE0ES3_S7_PKtNS0_17constant_iteratorIjlEEPtPlSF_S6_NS0_8equal_toItEEEE10hipError_tPvRmT2_T3_mT4_T5_T6_T7_T8_P12ihipStream_tbENKUlT_T0_E_clISt17integral_constantIbLb0EESZ_EEDaSU_SV_EUlSU_E_NS1_11comp_targetILNS1_3genE4ELNS1_11target_archE910ELNS1_3gpuE8ELNS1_3repE0EEENS1_30default_config_static_selectorELNS0_4arch9wavefront6targetE0EEEvT1_,"axG",@progbits,_ZN7rocprim17ROCPRIM_400000_NS6detail17trampoline_kernelINS0_14default_configENS1_33run_length_encode_config_selectorItjNS0_4plusIjEEEEZZNS1_33reduce_by_key_impl_wrapped_configILNS1_25lookback_scan_determinismE0ES3_S7_PKtNS0_17constant_iteratorIjlEEPtPlSF_S6_NS0_8equal_toItEEEE10hipError_tPvRmT2_T3_mT4_T5_T6_T7_T8_P12ihipStream_tbENKUlT_T0_E_clISt17integral_constantIbLb0EESZ_EEDaSU_SV_EUlSU_E_NS1_11comp_targetILNS1_3genE4ELNS1_11target_archE910ELNS1_3gpuE8ELNS1_3repE0EEENS1_30default_config_static_selectorELNS0_4arch9wavefront6targetE0EEEvT1_,comdat
.Lfunc_end789:
	.size	_ZN7rocprim17ROCPRIM_400000_NS6detail17trampoline_kernelINS0_14default_configENS1_33run_length_encode_config_selectorItjNS0_4plusIjEEEEZZNS1_33reduce_by_key_impl_wrapped_configILNS1_25lookback_scan_determinismE0ES3_S7_PKtNS0_17constant_iteratorIjlEEPtPlSF_S6_NS0_8equal_toItEEEE10hipError_tPvRmT2_T3_mT4_T5_T6_T7_T8_P12ihipStream_tbENKUlT_T0_E_clISt17integral_constantIbLb0EESZ_EEDaSU_SV_EUlSU_E_NS1_11comp_targetILNS1_3genE4ELNS1_11target_archE910ELNS1_3gpuE8ELNS1_3repE0EEENS1_30default_config_static_selectorELNS0_4arch9wavefront6targetE0EEEvT1_, .Lfunc_end789-_ZN7rocprim17ROCPRIM_400000_NS6detail17trampoline_kernelINS0_14default_configENS1_33run_length_encode_config_selectorItjNS0_4plusIjEEEEZZNS1_33reduce_by_key_impl_wrapped_configILNS1_25lookback_scan_determinismE0ES3_S7_PKtNS0_17constant_iteratorIjlEEPtPlSF_S6_NS0_8equal_toItEEEE10hipError_tPvRmT2_T3_mT4_T5_T6_T7_T8_P12ihipStream_tbENKUlT_T0_E_clISt17integral_constantIbLb0EESZ_EEDaSU_SV_EUlSU_E_NS1_11comp_targetILNS1_3genE4ELNS1_11target_archE910ELNS1_3gpuE8ELNS1_3repE0EEENS1_30default_config_static_selectorELNS0_4arch9wavefront6targetE0EEEvT1_
                                        ; -- End function
	.set _ZN7rocprim17ROCPRIM_400000_NS6detail17trampoline_kernelINS0_14default_configENS1_33run_length_encode_config_selectorItjNS0_4plusIjEEEEZZNS1_33reduce_by_key_impl_wrapped_configILNS1_25lookback_scan_determinismE0ES3_S7_PKtNS0_17constant_iteratorIjlEEPtPlSF_S6_NS0_8equal_toItEEEE10hipError_tPvRmT2_T3_mT4_T5_T6_T7_T8_P12ihipStream_tbENKUlT_T0_E_clISt17integral_constantIbLb0EESZ_EEDaSU_SV_EUlSU_E_NS1_11comp_targetILNS1_3genE4ELNS1_11target_archE910ELNS1_3gpuE8ELNS1_3repE0EEENS1_30default_config_static_selectorELNS0_4arch9wavefront6targetE0EEEvT1_.num_vgpr, 0
	.set _ZN7rocprim17ROCPRIM_400000_NS6detail17trampoline_kernelINS0_14default_configENS1_33run_length_encode_config_selectorItjNS0_4plusIjEEEEZZNS1_33reduce_by_key_impl_wrapped_configILNS1_25lookback_scan_determinismE0ES3_S7_PKtNS0_17constant_iteratorIjlEEPtPlSF_S6_NS0_8equal_toItEEEE10hipError_tPvRmT2_T3_mT4_T5_T6_T7_T8_P12ihipStream_tbENKUlT_T0_E_clISt17integral_constantIbLb0EESZ_EEDaSU_SV_EUlSU_E_NS1_11comp_targetILNS1_3genE4ELNS1_11target_archE910ELNS1_3gpuE8ELNS1_3repE0EEENS1_30default_config_static_selectorELNS0_4arch9wavefront6targetE0EEEvT1_.num_agpr, 0
	.set _ZN7rocprim17ROCPRIM_400000_NS6detail17trampoline_kernelINS0_14default_configENS1_33run_length_encode_config_selectorItjNS0_4plusIjEEEEZZNS1_33reduce_by_key_impl_wrapped_configILNS1_25lookback_scan_determinismE0ES3_S7_PKtNS0_17constant_iteratorIjlEEPtPlSF_S6_NS0_8equal_toItEEEE10hipError_tPvRmT2_T3_mT4_T5_T6_T7_T8_P12ihipStream_tbENKUlT_T0_E_clISt17integral_constantIbLb0EESZ_EEDaSU_SV_EUlSU_E_NS1_11comp_targetILNS1_3genE4ELNS1_11target_archE910ELNS1_3gpuE8ELNS1_3repE0EEENS1_30default_config_static_selectorELNS0_4arch9wavefront6targetE0EEEvT1_.numbered_sgpr, 0
	.set _ZN7rocprim17ROCPRIM_400000_NS6detail17trampoline_kernelINS0_14default_configENS1_33run_length_encode_config_selectorItjNS0_4plusIjEEEEZZNS1_33reduce_by_key_impl_wrapped_configILNS1_25lookback_scan_determinismE0ES3_S7_PKtNS0_17constant_iteratorIjlEEPtPlSF_S6_NS0_8equal_toItEEEE10hipError_tPvRmT2_T3_mT4_T5_T6_T7_T8_P12ihipStream_tbENKUlT_T0_E_clISt17integral_constantIbLb0EESZ_EEDaSU_SV_EUlSU_E_NS1_11comp_targetILNS1_3genE4ELNS1_11target_archE910ELNS1_3gpuE8ELNS1_3repE0EEENS1_30default_config_static_selectorELNS0_4arch9wavefront6targetE0EEEvT1_.num_named_barrier, 0
	.set _ZN7rocprim17ROCPRIM_400000_NS6detail17trampoline_kernelINS0_14default_configENS1_33run_length_encode_config_selectorItjNS0_4plusIjEEEEZZNS1_33reduce_by_key_impl_wrapped_configILNS1_25lookback_scan_determinismE0ES3_S7_PKtNS0_17constant_iteratorIjlEEPtPlSF_S6_NS0_8equal_toItEEEE10hipError_tPvRmT2_T3_mT4_T5_T6_T7_T8_P12ihipStream_tbENKUlT_T0_E_clISt17integral_constantIbLb0EESZ_EEDaSU_SV_EUlSU_E_NS1_11comp_targetILNS1_3genE4ELNS1_11target_archE910ELNS1_3gpuE8ELNS1_3repE0EEENS1_30default_config_static_selectorELNS0_4arch9wavefront6targetE0EEEvT1_.private_seg_size, 0
	.set _ZN7rocprim17ROCPRIM_400000_NS6detail17trampoline_kernelINS0_14default_configENS1_33run_length_encode_config_selectorItjNS0_4plusIjEEEEZZNS1_33reduce_by_key_impl_wrapped_configILNS1_25lookback_scan_determinismE0ES3_S7_PKtNS0_17constant_iteratorIjlEEPtPlSF_S6_NS0_8equal_toItEEEE10hipError_tPvRmT2_T3_mT4_T5_T6_T7_T8_P12ihipStream_tbENKUlT_T0_E_clISt17integral_constantIbLb0EESZ_EEDaSU_SV_EUlSU_E_NS1_11comp_targetILNS1_3genE4ELNS1_11target_archE910ELNS1_3gpuE8ELNS1_3repE0EEENS1_30default_config_static_selectorELNS0_4arch9wavefront6targetE0EEEvT1_.uses_vcc, 0
	.set _ZN7rocprim17ROCPRIM_400000_NS6detail17trampoline_kernelINS0_14default_configENS1_33run_length_encode_config_selectorItjNS0_4plusIjEEEEZZNS1_33reduce_by_key_impl_wrapped_configILNS1_25lookback_scan_determinismE0ES3_S7_PKtNS0_17constant_iteratorIjlEEPtPlSF_S6_NS0_8equal_toItEEEE10hipError_tPvRmT2_T3_mT4_T5_T6_T7_T8_P12ihipStream_tbENKUlT_T0_E_clISt17integral_constantIbLb0EESZ_EEDaSU_SV_EUlSU_E_NS1_11comp_targetILNS1_3genE4ELNS1_11target_archE910ELNS1_3gpuE8ELNS1_3repE0EEENS1_30default_config_static_selectorELNS0_4arch9wavefront6targetE0EEEvT1_.uses_flat_scratch, 0
	.set _ZN7rocprim17ROCPRIM_400000_NS6detail17trampoline_kernelINS0_14default_configENS1_33run_length_encode_config_selectorItjNS0_4plusIjEEEEZZNS1_33reduce_by_key_impl_wrapped_configILNS1_25lookback_scan_determinismE0ES3_S7_PKtNS0_17constant_iteratorIjlEEPtPlSF_S6_NS0_8equal_toItEEEE10hipError_tPvRmT2_T3_mT4_T5_T6_T7_T8_P12ihipStream_tbENKUlT_T0_E_clISt17integral_constantIbLb0EESZ_EEDaSU_SV_EUlSU_E_NS1_11comp_targetILNS1_3genE4ELNS1_11target_archE910ELNS1_3gpuE8ELNS1_3repE0EEENS1_30default_config_static_selectorELNS0_4arch9wavefront6targetE0EEEvT1_.has_dyn_sized_stack, 0
	.set _ZN7rocprim17ROCPRIM_400000_NS6detail17trampoline_kernelINS0_14default_configENS1_33run_length_encode_config_selectorItjNS0_4plusIjEEEEZZNS1_33reduce_by_key_impl_wrapped_configILNS1_25lookback_scan_determinismE0ES3_S7_PKtNS0_17constant_iteratorIjlEEPtPlSF_S6_NS0_8equal_toItEEEE10hipError_tPvRmT2_T3_mT4_T5_T6_T7_T8_P12ihipStream_tbENKUlT_T0_E_clISt17integral_constantIbLb0EESZ_EEDaSU_SV_EUlSU_E_NS1_11comp_targetILNS1_3genE4ELNS1_11target_archE910ELNS1_3gpuE8ELNS1_3repE0EEENS1_30default_config_static_selectorELNS0_4arch9wavefront6targetE0EEEvT1_.has_recursion, 0
	.set _ZN7rocprim17ROCPRIM_400000_NS6detail17trampoline_kernelINS0_14default_configENS1_33run_length_encode_config_selectorItjNS0_4plusIjEEEEZZNS1_33reduce_by_key_impl_wrapped_configILNS1_25lookback_scan_determinismE0ES3_S7_PKtNS0_17constant_iteratorIjlEEPtPlSF_S6_NS0_8equal_toItEEEE10hipError_tPvRmT2_T3_mT4_T5_T6_T7_T8_P12ihipStream_tbENKUlT_T0_E_clISt17integral_constantIbLb0EESZ_EEDaSU_SV_EUlSU_E_NS1_11comp_targetILNS1_3genE4ELNS1_11target_archE910ELNS1_3gpuE8ELNS1_3repE0EEENS1_30default_config_static_selectorELNS0_4arch9wavefront6targetE0EEEvT1_.has_indirect_call, 0
	.section	.AMDGPU.csdata,"",@progbits
; Kernel info:
; codeLenInByte = 0
; TotalNumSgprs: 0
; NumVgprs: 0
; ScratchSize: 0
; MemoryBound: 0
; FloatMode: 240
; IeeeMode: 1
; LDSByteSize: 0 bytes/workgroup (compile time only)
; SGPRBlocks: 0
; VGPRBlocks: 0
; NumSGPRsForWavesPerEU: 1
; NumVGPRsForWavesPerEU: 1
; NamedBarCnt: 0
; Occupancy: 16
; WaveLimiterHint : 0
; COMPUTE_PGM_RSRC2:SCRATCH_EN: 0
; COMPUTE_PGM_RSRC2:USER_SGPR: 2
; COMPUTE_PGM_RSRC2:TRAP_HANDLER: 0
; COMPUTE_PGM_RSRC2:TGID_X_EN: 1
; COMPUTE_PGM_RSRC2:TGID_Y_EN: 0
; COMPUTE_PGM_RSRC2:TGID_Z_EN: 0
; COMPUTE_PGM_RSRC2:TIDIG_COMP_CNT: 0
	.section	.text._ZN7rocprim17ROCPRIM_400000_NS6detail17trampoline_kernelINS0_14default_configENS1_33run_length_encode_config_selectorItjNS0_4plusIjEEEEZZNS1_33reduce_by_key_impl_wrapped_configILNS1_25lookback_scan_determinismE0ES3_S7_PKtNS0_17constant_iteratorIjlEEPtPlSF_S6_NS0_8equal_toItEEEE10hipError_tPvRmT2_T3_mT4_T5_T6_T7_T8_P12ihipStream_tbENKUlT_T0_E_clISt17integral_constantIbLb0EESZ_EEDaSU_SV_EUlSU_E_NS1_11comp_targetILNS1_3genE3ELNS1_11target_archE908ELNS1_3gpuE7ELNS1_3repE0EEENS1_30default_config_static_selectorELNS0_4arch9wavefront6targetE0EEEvT1_,"axG",@progbits,_ZN7rocprim17ROCPRIM_400000_NS6detail17trampoline_kernelINS0_14default_configENS1_33run_length_encode_config_selectorItjNS0_4plusIjEEEEZZNS1_33reduce_by_key_impl_wrapped_configILNS1_25lookback_scan_determinismE0ES3_S7_PKtNS0_17constant_iteratorIjlEEPtPlSF_S6_NS0_8equal_toItEEEE10hipError_tPvRmT2_T3_mT4_T5_T6_T7_T8_P12ihipStream_tbENKUlT_T0_E_clISt17integral_constantIbLb0EESZ_EEDaSU_SV_EUlSU_E_NS1_11comp_targetILNS1_3genE3ELNS1_11target_archE908ELNS1_3gpuE7ELNS1_3repE0EEENS1_30default_config_static_selectorELNS0_4arch9wavefront6targetE0EEEvT1_,comdat
	.protected	_ZN7rocprim17ROCPRIM_400000_NS6detail17trampoline_kernelINS0_14default_configENS1_33run_length_encode_config_selectorItjNS0_4plusIjEEEEZZNS1_33reduce_by_key_impl_wrapped_configILNS1_25lookback_scan_determinismE0ES3_S7_PKtNS0_17constant_iteratorIjlEEPtPlSF_S6_NS0_8equal_toItEEEE10hipError_tPvRmT2_T3_mT4_T5_T6_T7_T8_P12ihipStream_tbENKUlT_T0_E_clISt17integral_constantIbLb0EESZ_EEDaSU_SV_EUlSU_E_NS1_11comp_targetILNS1_3genE3ELNS1_11target_archE908ELNS1_3gpuE7ELNS1_3repE0EEENS1_30default_config_static_selectorELNS0_4arch9wavefront6targetE0EEEvT1_ ; -- Begin function _ZN7rocprim17ROCPRIM_400000_NS6detail17trampoline_kernelINS0_14default_configENS1_33run_length_encode_config_selectorItjNS0_4plusIjEEEEZZNS1_33reduce_by_key_impl_wrapped_configILNS1_25lookback_scan_determinismE0ES3_S7_PKtNS0_17constant_iteratorIjlEEPtPlSF_S6_NS0_8equal_toItEEEE10hipError_tPvRmT2_T3_mT4_T5_T6_T7_T8_P12ihipStream_tbENKUlT_T0_E_clISt17integral_constantIbLb0EESZ_EEDaSU_SV_EUlSU_E_NS1_11comp_targetILNS1_3genE3ELNS1_11target_archE908ELNS1_3gpuE7ELNS1_3repE0EEENS1_30default_config_static_selectorELNS0_4arch9wavefront6targetE0EEEvT1_
	.globl	_ZN7rocprim17ROCPRIM_400000_NS6detail17trampoline_kernelINS0_14default_configENS1_33run_length_encode_config_selectorItjNS0_4plusIjEEEEZZNS1_33reduce_by_key_impl_wrapped_configILNS1_25lookback_scan_determinismE0ES3_S7_PKtNS0_17constant_iteratorIjlEEPtPlSF_S6_NS0_8equal_toItEEEE10hipError_tPvRmT2_T3_mT4_T5_T6_T7_T8_P12ihipStream_tbENKUlT_T0_E_clISt17integral_constantIbLb0EESZ_EEDaSU_SV_EUlSU_E_NS1_11comp_targetILNS1_3genE3ELNS1_11target_archE908ELNS1_3gpuE7ELNS1_3repE0EEENS1_30default_config_static_selectorELNS0_4arch9wavefront6targetE0EEEvT1_
	.p2align	8
	.type	_ZN7rocprim17ROCPRIM_400000_NS6detail17trampoline_kernelINS0_14default_configENS1_33run_length_encode_config_selectorItjNS0_4plusIjEEEEZZNS1_33reduce_by_key_impl_wrapped_configILNS1_25lookback_scan_determinismE0ES3_S7_PKtNS0_17constant_iteratorIjlEEPtPlSF_S6_NS0_8equal_toItEEEE10hipError_tPvRmT2_T3_mT4_T5_T6_T7_T8_P12ihipStream_tbENKUlT_T0_E_clISt17integral_constantIbLb0EESZ_EEDaSU_SV_EUlSU_E_NS1_11comp_targetILNS1_3genE3ELNS1_11target_archE908ELNS1_3gpuE7ELNS1_3repE0EEENS1_30default_config_static_selectorELNS0_4arch9wavefront6targetE0EEEvT1_,@function
_ZN7rocprim17ROCPRIM_400000_NS6detail17trampoline_kernelINS0_14default_configENS1_33run_length_encode_config_selectorItjNS0_4plusIjEEEEZZNS1_33reduce_by_key_impl_wrapped_configILNS1_25lookback_scan_determinismE0ES3_S7_PKtNS0_17constant_iteratorIjlEEPtPlSF_S6_NS0_8equal_toItEEEE10hipError_tPvRmT2_T3_mT4_T5_T6_T7_T8_P12ihipStream_tbENKUlT_T0_E_clISt17integral_constantIbLb0EESZ_EEDaSU_SV_EUlSU_E_NS1_11comp_targetILNS1_3genE3ELNS1_11target_archE908ELNS1_3gpuE7ELNS1_3repE0EEENS1_30default_config_static_selectorELNS0_4arch9wavefront6targetE0EEEvT1_: ; @_ZN7rocprim17ROCPRIM_400000_NS6detail17trampoline_kernelINS0_14default_configENS1_33run_length_encode_config_selectorItjNS0_4plusIjEEEEZZNS1_33reduce_by_key_impl_wrapped_configILNS1_25lookback_scan_determinismE0ES3_S7_PKtNS0_17constant_iteratorIjlEEPtPlSF_S6_NS0_8equal_toItEEEE10hipError_tPvRmT2_T3_mT4_T5_T6_T7_T8_P12ihipStream_tbENKUlT_T0_E_clISt17integral_constantIbLb0EESZ_EEDaSU_SV_EUlSU_E_NS1_11comp_targetILNS1_3genE3ELNS1_11target_archE908ELNS1_3gpuE7ELNS1_3repE0EEENS1_30default_config_static_selectorELNS0_4arch9wavefront6targetE0EEEvT1_
; %bb.0:
	.section	.rodata,"a",@progbits
	.p2align	6, 0x0
	.amdhsa_kernel _ZN7rocprim17ROCPRIM_400000_NS6detail17trampoline_kernelINS0_14default_configENS1_33run_length_encode_config_selectorItjNS0_4plusIjEEEEZZNS1_33reduce_by_key_impl_wrapped_configILNS1_25lookback_scan_determinismE0ES3_S7_PKtNS0_17constant_iteratorIjlEEPtPlSF_S6_NS0_8equal_toItEEEE10hipError_tPvRmT2_T3_mT4_T5_T6_T7_T8_P12ihipStream_tbENKUlT_T0_E_clISt17integral_constantIbLb0EESZ_EEDaSU_SV_EUlSU_E_NS1_11comp_targetILNS1_3genE3ELNS1_11target_archE908ELNS1_3gpuE7ELNS1_3repE0EEENS1_30default_config_static_selectorELNS0_4arch9wavefront6targetE0EEEvT1_
		.amdhsa_group_segment_fixed_size 0
		.amdhsa_private_segment_fixed_size 0
		.amdhsa_kernarg_size 128
		.amdhsa_user_sgpr_count 2
		.amdhsa_user_sgpr_dispatch_ptr 0
		.amdhsa_user_sgpr_queue_ptr 0
		.amdhsa_user_sgpr_kernarg_segment_ptr 1
		.amdhsa_user_sgpr_dispatch_id 0
		.amdhsa_user_sgpr_kernarg_preload_length 0
		.amdhsa_user_sgpr_kernarg_preload_offset 0
		.amdhsa_user_sgpr_private_segment_size 0
		.amdhsa_wavefront_size32 1
		.amdhsa_uses_dynamic_stack 0
		.amdhsa_enable_private_segment 0
		.amdhsa_system_sgpr_workgroup_id_x 1
		.amdhsa_system_sgpr_workgroup_id_y 0
		.amdhsa_system_sgpr_workgroup_id_z 0
		.amdhsa_system_sgpr_workgroup_info 0
		.amdhsa_system_vgpr_workitem_id 0
		.amdhsa_next_free_vgpr 1
		.amdhsa_next_free_sgpr 1
		.amdhsa_named_barrier_count 0
		.amdhsa_reserve_vcc 0
		.amdhsa_float_round_mode_32 0
		.amdhsa_float_round_mode_16_64 0
		.amdhsa_float_denorm_mode_32 3
		.amdhsa_float_denorm_mode_16_64 3
		.amdhsa_fp16_overflow 0
		.amdhsa_memory_ordered 1
		.amdhsa_forward_progress 1
		.amdhsa_inst_pref_size 0
		.amdhsa_round_robin_scheduling 0
		.amdhsa_exception_fp_ieee_invalid_op 0
		.amdhsa_exception_fp_denorm_src 0
		.amdhsa_exception_fp_ieee_div_zero 0
		.amdhsa_exception_fp_ieee_overflow 0
		.amdhsa_exception_fp_ieee_underflow 0
		.amdhsa_exception_fp_ieee_inexact 0
		.amdhsa_exception_int_div_zero 0
	.end_amdhsa_kernel
	.section	.text._ZN7rocprim17ROCPRIM_400000_NS6detail17trampoline_kernelINS0_14default_configENS1_33run_length_encode_config_selectorItjNS0_4plusIjEEEEZZNS1_33reduce_by_key_impl_wrapped_configILNS1_25lookback_scan_determinismE0ES3_S7_PKtNS0_17constant_iteratorIjlEEPtPlSF_S6_NS0_8equal_toItEEEE10hipError_tPvRmT2_T3_mT4_T5_T6_T7_T8_P12ihipStream_tbENKUlT_T0_E_clISt17integral_constantIbLb0EESZ_EEDaSU_SV_EUlSU_E_NS1_11comp_targetILNS1_3genE3ELNS1_11target_archE908ELNS1_3gpuE7ELNS1_3repE0EEENS1_30default_config_static_selectorELNS0_4arch9wavefront6targetE0EEEvT1_,"axG",@progbits,_ZN7rocprim17ROCPRIM_400000_NS6detail17trampoline_kernelINS0_14default_configENS1_33run_length_encode_config_selectorItjNS0_4plusIjEEEEZZNS1_33reduce_by_key_impl_wrapped_configILNS1_25lookback_scan_determinismE0ES3_S7_PKtNS0_17constant_iteratorIjlEEPtPlSF_S6_NS0_8equal_toItEEEE10hipError_tPvRmT2_T3_mT4_T5_T6_T7_T8_P12ihipStream_tbENKUlT_T0_E_clISt17integral_constantIbLb0EESZ_EEDaSU_SV_EUlSU_E_NS1_11comp_targetILNS1_3genE3ELNS1_11target_archE908ELNS1_3gpuE7ELNS1_3repE0EEENS1_30default_config_static_selectorELNS0_4arch9wavefront6targetE0EEEvT1_,comdat
.Lfunc_end790:
	.size	_ZN7rocprim17ROCPRIM_400000_NS6detail17trampoline_kernelINS0_14default_configENS1_33run_length_encode_config_selectorItjNS0_4plusIjEEEEZZNS1_33reduce_by_key_impl_wrapped_configILNS1_25lookback_scan_determinismE0ES3_S7_PKtNS0_17constant_iteratorIjlEEPtPlSF_S6_NS0_8equal_toItEEEE10hipError_tPvRmT2_T3_mT4_T5_T6_T7_T8_P12ihipStream_tbENKUlT_T0_E_clISt17integral_constantIbLb0EESZ_EEDaSU_SV_EUlSU_E_NS1_11comp_targetILNS1_3genE3ELNS1_11target_archE908ELNS1_3gpuE7ELNS1_3repE0EEENS1_30default_config_static_selectorELNS0_4arch9wavefront6targetE0EEEvT1_, .Lfunc_end790-_ZN7rocprim17ROCPRIM_400000_NS6detail17trampoline_kernelINS0_14default_configENS1_33run_length_encode_config_selectorItjNS0_4plusIjEEEEZZNS1_33reduce_by_key_impl_wrapped_configILNS1_25lookback_scan_determinismE0ES3_S7_PKtNS0_17constant_iteratorIjlEEPtPlSF_S6_NS0_8equal_toItEEEE10hipError_tPvRmT2_T3_mT4_T5_T6_T7_T8_P12ihipStream_tbENKUlT_T0_E_clISt17integral_constantIbLb0EESZ_EEDaSU_SV_EUlSU_E_NS1_11comp_targetILNS1_3genE3ELNS1_11target_archE908ELNS1_3gpuE7ELNS1_3repE0EEENS1_30default_config_static_selectorELNS0_4arch9wavefront6targetE0EEEvT1_
                                        ; -- End function
	.set _ZN7rocprim17ROCPRIM_400000_NS6detail17trampoline_kernelINS0_14default_configENS1_33run_length_encode_config_selectorItjNS0_4plusIjEEEEZZNS1_33reduce_by_key_impl_wrapped_configILNS1_25lookback_scan_determinismE0ES3_S7_PKtNS0_17constant_iteratorIjlEEPtPlSF_S6_NS0_8equal_toItEEEE10hipError_tPvRmT2_T3_mT4_T5_T6_T7_T8_P12ihipStream_tbENKUlT_T0_E_clISt17integral_constantIbLb0EESZ_EEDaSU_SV_EUlSU_E_NS1_11comp_targetILNS1_3genE3ELNS1_11target_archE908ELNS1_3gpuE7ELNS1_3repE0EEENS1_30default_config_static_selectorELNS0_4arch9wavefront6targetE0EEEvT1_.num_vgpr, 0
	.set _ZN7rocprim17ROCPRIM_400000_NS6detail17trampoline_kernelINS0_14default_configENS1_33run_length_encode_config_selectorItjNS0_4plusIjEEEEZZNS1_33reduce_by_key_impl_wrapped_configILNS1_25lookback_scan_determinismE0ES3_S7_PKtNS0_17constant_iteratorIjlEEPtPlSF_S6_NS0_8equal_toItEEEE10hipError_tPvRmT2_T3_mT4_T5_T6_T7_T8_P12ihipStream_tbENKUlT_T0_E_clISt17integral_constantIbLb0EESZ_EEDaSU_SV_EUlSU_E_NS1_11comp_targetILNS1_3genE3ELNS1_11target_archE908ELNS1_3gpuE7ELNS1_3repE0EEENS1_30default_config_static_selectorELNS0_4arch9wavefront6targetE0EEEvT1_.num_agpr, 0
	.set _ZN7rocprim17ROCPRIM_400000_NS6detail17trampoline_kernelINS0_14default_configENS1_33run_length_encode_config_selectorItjNS0_4plusIjEEEEZZNS1_33reduce_by_key_impl_wrapped_configILNS1_25lookback_scan_determinismE0ES3_S7_PKtNS0_17constant_iteratorIjlEEPtPlSF_S6_NS0_8equal_toItEEEE10hipError_tPvRmT2_T3_mT4_T5_T6_T7_T8_P12ihipStream_tbENKUlT_T0_E_clISt17integral_constantIbLb0EESZ_EEDaSU_SV_EUlSU_E_NS1_11comp_targetILNS1_3genE3ELNS1_11target_archE908ELNS1_3gpuE7ELNS1_3repE0EEENS1_30default_config_static_selectorELNS0_4arch9wavefront6targetE0EEEvT1_.numbered_sgpr, 0
	.set _ZN7rocprim17ROCPRIM_400000_NS6detail17trampoline_kernelINS0_14default_configENS1_33run_length_encode_config_selectorItjNS0_4plusIjEEEEZZNS1_33reduce_by_key_impl_wrapped_configILNS1_25lookback_scan_determinismE0ES3_S7_PKtNS0_17constant_iteratorIjlEEPtPlSF_S6_NS0_8equal_toItEEEE10hipError_tPvRmT2_T3_mT4_T5_T6_T7_T8_P12ihipStream_tbENKUlT_T0_E_clISt17integral_constantIbLb0EESZ_EEDaSU_SV_EUlSU_E_NS1_11comp_targetILNS1_3genE3ELNS1_11target_archE908ELNS1_3gpuE7ELNS1_3repE0EEENS1_30default_config_static_selectorELNS0_4arch9wavefront6targetE0EEEvT1_.num_named_barrier, 0
	.set _ZN7rocprim17ROCPRIM_400000_NS6detail17trampoline_kernelINS0_14default_configENS1_33run_length_encode_config_selectorItjNS0_4plusIjEEEEZZNS1_33reduce_by_key_impl_wrapped_configILNS1_25lookback_scan_determinismE0ES3_S7_PKtNS0_17constant_iteratorIjlEEPtPlSF_S6_NS0_8equal_toItEEEE10hipError_tPvRmT2_T3_mT4_T5_T6_T7_T8_P12ihipStream_tbENKUlT_T0_E_clISt17integral_constantIbLb0EESZ_EEDaSU_SV_EUlSU_E_NS1_11comp_targetILNS1_3genE3ELNS1_11target_archE908ELNS1_3gpuE7ELNS1_3repE0EEENS1_30default_config_static_selectorELNS0_4arch9wavefront6targetE0EEEvT1_.private_seg_size, 0
	.set _ZN7rocprim17ROCPRIM_400000_NS6detail17trampoline_kernelINS0_14default_configENS1_33run_length_encode_config_selectorItjNS0_4plusIjEEEEZZNS1_33reduce_by_key_impl_wrapped_configILNS1_25lookback_scan_determinismE0ES3_S7_PKtNS0_17constant_iteratorIjlEEPtPlSF_S6_NS0_8equal_toItEEEE10hipError_tPvRmT2_T3_mT4_T5_T6_T7_T8_P12ihipStream_tbENKUlT_T0_E_clISt17integral_constantIbLb0EESZ_EEDaSU_SV_EUlSU_E_NS1_11comp_targetILNS1_3genE3ELNS1_11target_archE908ELNS1_3gpuE7ELNS1_3repE0EEENS1_30default_config_static_selectorELNS0_4arch9wavefront6targetE0EEEvT1_.uses_vcc, 0
	.set _ZN7rocprim17ROCPRIM_400000_NS6detail17trampoline_kernelINS0_14default_configENS1_33run_length_encode_config_selectorItjNS0_4plusIjEEEEZZNS1_33reduce_by_key_impl_wrapped_configILNS1_25lookback_scan_determinismE0ES3_S7_PKtNS0_17constant_iteratorIjlEEPtPlSF_S6_NS0_8equal_toItEEEE10hipError_tPvRmT2_T3_mT4_T5_T6_T7_T8_P12ihipStream_tbENKUlT_T0_E_clISt17integral_constantIbLb0EESZ_EEDaSU_SV_EUlSU_E_NS1_11comp_targetILNS1_3genE3ELNS1_11target_archE908ELNS1_3gpuE7ELNS1_3repE0EEENS1_30default_config_static_selectorELNS0_4arch9wavefront6targetE0EEEvT1_.uses_flat_scratch, 0
	.set _ZN7rocprim17ROCPRIM_400000_NS6detail17trampoline_kernelINS0_14default_configENS1_33run_length_encode_config_selectorItjNS0_4plusIjEEEEZZNS1_33reduce_by_key_impl_wrapped_configILNS1_25lookback_scan_determinismE0ES3_S7_PKtNS0_17constant_iteratorIjlEEPtPlSF_S6_NS0_8equal_toItEEEE10hipError_tPvRmT2_T3_mT4_T5_T6_T7_T8_P12ihipStream_tbENKUlT_T0_E_clISt17integral_constantIbLb0EESZ_EEDaSU_SV_EUlSU_E_NS1_11comp_targetILNS1_3genE3ELNS1_11target_archE908ELNS1_3gpuE7ELNS1_3repE0EEENS1_30default_config_static_selectorELNS0_4arch9wavefront6targetE0EEEvT1_.has_dyn_sized_stack, 0
	.set _ZN7rocprim17ROCPRIM_400000_NS6detail17trampoline_kernelINS0_14default_configENS1_33run_length_encode_config_selectorItjNS0_4plusIjEEEEZZNS1_33reduce_by_key_impl_wrapped_configILNS1_25lookback_scan_determinismE0ES3_S7_PKtNS0_17constant_iteratorIjlEEPtPlSF_S6_NS0_8equal_toItEEEE10hipError_tPvRmT2_T3_mT4_T5_T6_T7_T8_P12ihipStream_tbENKUlT_T0_E_clISt17integral_constantIbLb0EESZ_EEDaSU_SV_EUlSU_E_NS1_11comp_targetILNS1_3genE3ELNS1_11target_archE908ELNS1_3gpuE7ELNS1_3repE0EEENS1_30default_config_static_selectorELNS0_4arch9wavefront6targetE0EEEvT1_.has_recursion, 0
	.set _ZN7rocprim17ROCPRIM_400000_NS6detail17trampoline_kernelINS0_14default_configENS1_33run_length_encode_config_selectorItjNS0_4plusIjEEEEZZNS1_33reduce_by_key_impl_wrapped_configILNS1_25lookback_scan_determinismE0ES3_S7_PKtNS0_17constant_iteratorIjlEEPtPlSF_S6_NS0_8equal_toItEEEE10hipError_tPvRmT2_T3_mT4_T5_T6_T7_T8_P12ihipStream_tbENKUlT_T0_E_clISt17integral_constantIbLb0EESZ_EEDaSU_SV_EUlSU_E_NS1_11comp_targetILNS1_3genE3ELNS1_11target_archE908ELNS1_3gpuE7ELNS1_3repE0EEENS1_30default_config_static_selectorELNS0_4arch9wavefront6targetE0EEEvT1_.has_indirect_call, 0
	.section	.AMDGPU.csdata,"",@progbits
; Kernel info:
; codeLenInByte = 0
; TotalNumSgprs: 0
; NumVgprs: 0
; ScratchSize: 0
; MemoryBound: 0
; FloatMode: 240
; IeeeMode: 1
; LDSByteSize: 0 bytes/workgroup (compile time only)
; SGPRBlocks: 0
; VGPRBlocks: 0
; NumSGPRsForWavesPerEU: 1
; NumVGPRsForWavesPerEU: 1
; NamedBarCnt: 0
; Occupancy: 16
; WaveLimiterHint : 0
; COMPUTE_PGM_RSRC2:SCRATCH_EN: 0
; COMPUTE_PGM_RSRC2:USER_SGPR: 2
; COMPUTE_PGM_RSRC2:TRAP_HANDLER: 0
; COMPUTE_PGM_RSRC2:TGID_X_EN: 1
; COMPUTE_PGM_RSRC2:TGID_Y_EN: 0
; COMPUTE_PGM_RSRC2:TGID_Z_EN: 0
; COMPUTE_PGM_RSRC2:TIDIG_COMP_CNT: 0
	.section	.text._ZN7rocprim17ROCPRIM_400000_NS6detail17trampoline_kernelINS0_14default_configENS1_33run_length_encode_config_selectorItjNS0_4plusIjEEEEZZNS1_33reduce_by_key_impl_wrapped_configILNS1_25lookback_scan_determinismE0ES3_S7_PKtNS0_17constant_iteratorIjlEEPtPlSF_S6_NS0_8equal_toItEEEE10hipError_tPvRmT2_T3_mT4_T5_T6_T7_T8_P12ihipStream_tbENKUlT_T0_E_clISt17integral_constantIbLb0EESZ_EEDaSU_SV_EUlSU_E_NS1_11comp_targetILNS1_3genE2ELNS1_11target_archE906ELNS1_3gpuE6ELNS1_3repE0EEENS1_30default_config_static_selectorELNS0_4arch9wavefront6targetE0EEEvT1_,"axG",@progbits,_ZN7rocprim17ROCPRIM_400000_NS6detail17trampoline_kernelINS0_14default_configENS1_33run_length_encode_config_selectorItjNS0_4plusIjEEEEZZNS1_33reduce_by_key_impl_wrapped_configILNS1_25lookback_scan_determinismE0ES3_S7_PKtNS0_17constant_iteratorIjlEEPtPlSF_S6_NS0_8equal_toItEEEE10hipError_tPvRmT2_T3_mT4_T5_T6_T7_T8_P12ihipStream_tbENKUlT_T0_E_clISt17integral_constantIbLb0EESZ_EEDaSU_SV_EUlSU_E_NS1_11comp_targetILNS1_3genE2ELNS1_11target_archE906ELNS1_3gpuE6ELNS1_3repE0EEENS1_30default_config_static_selectorELNS0_4arch9wavefront6targetE0EEEvT1_,comdat
	.protected	_ZN7rocprim17ROCPRIM_400000_NS6detail17trampoline_kernelINS0_14default_configENS1_33run_length_encode_config_selectorItjNS0_4plusIjEEEEZZNS1_33reduce_by_key_impl_wrapped_configILNS1_25lookback_scan_determinismE0ES3_S7_PKtNS0_17constant_iteratorIjlEEPtPlSF_S6_NS0_8equal_toItEEEE10hipError_tPvRmT2_T3_mT4_T5_T6_T7_T8_P12ihipStream_tbENKUlT_T0_E_clISt17integral_constantIbLb0EESZ_EEDaSU_SV_EUlSU_E_NS1_11comp_targetILNS1_3genE2ELNS1_11target_archE906ELNS1_3gpuE6ELNS1_3repE0EEENS1_30default_config_static_selectorELNS0_4arch9wavefront6targetE0EEEvT1_ ; -- Begin function _ZN7rocprim17ROCPRIM_400000_NS6detail17trampoline_kernelINS0_14default_configENS1_33run_length_encode_config_selectorItjNS0_4plusIjEEEEZZNS1_33reduce_by_key_impl_wrapped_configILNS1_25lookback_scan_determinismE0ES3_S7_PKtNS0_17constant_iteratorIjlEEPtPlSF_S6_NS0_8equal_toItEEEE10hipError_tPvRmT2_T3_mT4_T5_T6_T7_T8_P12ihipStream_tbENKUlT_T0_E_clISt17integral_constantIbLb0EESZ_EEDaSU_SV_EUlSU_E_NS1_11comp_targetILNS1_3genE2ELNS1_11target_archE906ELNS1_3gpuE6ELNS1_3repE0EEENS1_30default_config_static_selectorELNS0_4arch9wavefront6targetE0EEEvT1_
	.globl	_ZN7rocprim17ROCPRIM_400000_NS6detail17trampoline_kernelINS0_14default_configENS1_33run_length_encode_config_selectorItjNS0_4plusIjEEEEZZNS1_33reduce_by_key_impl_wrapped_configILNS1_25lookback_scan_determinismE0ES3_S7_PKtNS0_17constant_iteratorIjlEEPtPlSF_S6_NS0_8equal_toItEEEE10hipError_tPvRmT2_T3_mT4_T5_T6_T7_T8_P12ihipStream_tbENKUlT_T0_E_clISt17integral_constantIbLb0EESZ_EEDaSU_SV_EUlSU_E_NS1_11comp_targetILNS1_3genE2ELNS1_11target_archE906ELNS1_3gpuE6ELNS1_3repE0EEENS1_30default_config_static_selectorELNS0_4arch9wavefront6targetE0EEEvT1_
	.p2align	8
	.type	_ZN7rocprim17ROCPRIM_400000_NS6detail17trampoline_kernelINS0_14default_configENS1_33run_length_encode_config_selectorItjNS0_4plusIjEEEEZZNS1_33reduce_by_key_impl_wrapped_configILNS1_25lookback_scan_determinismE0ES3_S7_PKtNS0_17constant_iteratorIjlEEPtPlSF_S6_NS0_8equal_toItEEEE10hipError_tPvRmT2_T3_mT4_T5_T6_T7_T8_P12ihipStream_tbENKUlT_T0_E_clISt17integral_constantIbLb0EESZ_EEDaSU_SV_EUlSU_E_NS1_11comp_targetILNS1_3genE2ELNS1_11target_archE906ELNS1_3gpuE6ELNS1_3repE0EEENS1_30default_config_static_selectorELNS0_4arch9wavefront6targetE0EEEvT1_,@function
_ZN7rocprim17ROCPRIM_400000_NS6detail17trampoline_kernelINS0_14default_configENS1_33run_length_encode_config_selectorItjNS0_4plusIjEEEEZZNS1_33reduce_by_key_impl_wrapped_configILNS1_25lookback_scan_determinismE0ES3_S7_PKtNS0_17constant_iteratorIjlEEPtPlSF_S6_NS0_8equal_toItEEEE10hipError_tPvRmT2_T3_mT4_T5_T6_T7_T8_P12ihipStream_tbENKUlT_T0_E_clISt17integral_constantIbLb0EESZ_EEDaSU_SV_EUlSU_E_NS1_11comp_targetILNS1_3genE2ELNS1_11target_archE906ELNS1_3gpuE6ELNS1_3repE0EEENS1_30default_config_static_selectorELNS0_4arch9wavefront6targetE0EEEvT1_: ; @_ZN7rocprim17ROCPRIM_400000_NS6detail17trampoline_kernelINS0_14default_configENS1_33run_length_encode_config_selectorItjNS0_4plusIjEEEEZZNS1_33reduce_by_key_impl_wrapped_configILNS1_25lookback_scan_determinismE0ES3_S7_PKtNS0_17constant_iteratorIjlEEPtPlSF_S6_NS0_8equal_toItEEEE10hipError_tPvRmT2_T3_mT4_T5_T6_T7_T8_P12ihipStream_tbENKUlT_T0_E_clISt17integral_constantIbLb0EESZ_EEDaSU_SV_EUlSU_E_NS1_11comp_targetILNS1_3genE2ELNS1_11target_archE906ELNS1_3gpuE6ELNS1_3repE0EEENS1_30default_config_static_selectorELNS0_4arch9wavefront6targetE0EEEvT1_
; %bb.0:
	.section	.rodata,"a",@progbits
	.p2align	6, 0x0
	.amdhsa_kernel _ZN7rocprim17ROCPRIM_400000_NS6detail17trampoline_kernelINS0_14default_configENS1_33run_length_encode_config_selectorItjNS0_4plusIjEEEEZZNS1_33reduce_by_key_impl_wrapped_configILNS1_25lookback_scan_determinismE0ES3_S7_PKtNS0_17constant_iteratorIjlEEPtPlSF_S6_NS0_8equal_toItEEEE10hipError_tPvRmT2_T3_mT4_T5_T6_T7_T8_P12ihipStream_tbENKUlT_T0_E_clISt17integral_constantIbLb0EESZ_EEDaSU_SV_EUlSU_E_NS1_11comp_targetILNS1_3genE2ELNS1_11target_archE906ELNS1_3gpuE6ELNS1_3repE0EEENS1_30default_config_static_selectorELNS0_4arch9wavefront6targetE0EEEvT1_
		.amdhsa_group_segment_fixed_size 0
		.amdhsa_private_segment_fixed_size 0
		.amdhsa_kernarg_size 128
		.amdhsa_user_sgpr_count 2
		.amdhsa_user_sgpr_dispatch_ptr 0
		.amdhsa_user_sgpr_queue_ptr 0
		.amdhsa_user_sgpr_kernarg_segment_ptr 1
		.amdhsa_user_sgpr_dispatch_id 0
		.amdhsa_user_sgpr_kernarg_preload_length 0
		.amdhsa_user_sgpr_kernarg_preload_offset 0
		.amdhsa_user_sgpr_private_segment_size 0
		.amdhsa_wavefront_size32 1
		.amdhsa_uses_dynamic_stack 0
		.amdhsa_enable_private_segment 0
		.amdhsa_system_sgpr_workgroup_id_x 1
		.amdhsa_system_sgpr_workgroup_id_y 0
		.amdhsa_system_sgpr_workgroup_id_z 0
		.amdhsa_system_sgpr_workgroup_info 0
		.amdhsa_system_vgpr_workitem_id 0
		.amdhsa_next_free_vgpr 1
		.amdhsa_next_free_sgpr 1
		.amdhsa_named_barrier_count 0
		.amdhsa_reserve_vcc 0
		.amdhsa_float_round_mode_32 0
		.amdhsa_float_round_mode_16_64 0
		.amdhsa_float_denorm_mode_32 3
		.amdhsa_float_denorm_mode_16_64 3
		.amdhsa_fp16_overflow 0
		.amdhsa_memory_ordered 1
		.amdhsa_forward_progress 1
		.amdhsa_inst_pref_size 0
		.amdhsa_round_robin_scheduling 0
		.amdhsa_exception_fp_ieee_invalid_op 0
		.amdhsa_exception_fp_denorm_src 0
		.amdhsa_exception_fp_ieee_div_zero 0
		.amdhsa_exception_fp_ieee_overflow 0
		.amdhsa_exception_fp_ieee_underflow 0
		.amdhsa_exception_fp_ieee_inexact 0
		.amdhsa_exception_int_div_zero 0
	.end_amdhsa_kernel
	.section	.text._ZN7rocprim17ROCPRIM_400000_NS6detail17trampoline_kernelINS0_14default_configENS1_33run_length_encode_config_selectorItjNS0_4plusIjEEEEZZNS1_33reduce_by_key_impl_wrapped_configILNS1_25lookback_scan_determinismE0ES3_S7_PKtNS0_17constant_iteratorIjlEEPtPlSF_S6_NS0_8equal_toItEEEE10hipError_tPvRmT2_T3_mT4_T5_T6_T7_T8_P12ihipStream_tbENKUlT_T0_E_clISt17integral_constantIbLb0EESZ_EEDaSU_SV_EUlSU_E_NS1_11comp_targetILNS1_3genE2ELNS1_11target_archE906ELNS1_3gpuE6ELNS1_3repE0EEENS1_30default_config_static_selectorELNS0_4arch9wavefront6targetE0EEEvT1_,"axG",@progbits,_ZN7rocprim17ROCPRIM_400000_NS6detail17trampoline_kernelINS0_14default_configENS1_33run_length_encode_config_selectorItjNS0_4plusIjEEEEZZNS1_33reduce_by_key_impl_wrapped_configILNS1_25lookback_scan_determinismE0ES3_S7_PKtNS0_17constant_iteratorIjlEEPtPlSF_S6_NS0_8equal_toItEEEE10hipError_tPvRmT2_T3_mT4_T5_T6_T7_T8_P12ihipStream_tbENKUlT_T0_E_clISt17integral_constantIbLb0EESZ_EEDaSU_SV_EUlSU_E_NS1_11comp_targetILNS1_3genE2ELNS1_11target_archE906ELNS1_3gpuE6ELNS1_3repE0EEENS1_30default_config_static_selectorELNS0_4arch9wavefront6targetE0EEEvT1_,comdat
.Lfunc_end791:
	.size	_ZN7rocprim17ROCPRIM_400000_NS6detail17trampoline_kernelINS0_14default_configENS1_33run_length_encode_config_selectorItjNS0_4plusIjEEEEZZNS1_33reduce_by_key_impl_wrapped_configILNS1_25lookback_scan_determinismE0ES3_S7_PKtNS0_17constant_iteratorIjlEEPtPlSF_S6_NS0_8equal_toItEEEE10hipError_tPvRmT2_T3_mT4_T5_T6_T7_T8_P12ihipStream_tbENKUlT_T0_E_clISt17integral_constantIbLb0EESZ_EEDaSU_SV_EUlSU_E_NS1_11comp_targetILNS1_3genE2ELNS1_11target_archE906ELNS1_3gpuE6ELNS1_3repE0EEENS1_30default_config_static_selectorELNS0_4arch9wavefront6targetE0EEEvT1_, .Lfunc_end791-_ZN7rocprim17ROCPRIM_400000_NS6detail17trampoline_kernelINS0_14default_configENS1_33run_length_encode_config_selectorItjNS0_4plusIjEEEEZZNS1_33reduce_by_key_impl_wrapped_configILNS1_25lookback_scan_determinismE0ES3_S7_PKtNS0_17constant_iteratorIjlEEPtPlSF_S6_NS0_8equal_toItEEEE10hipError_tPvRmT2_T3_mT4_T5_T6_T7_T8_P12ihipStream_tbENKUlT_T0_E_clISt17integral_constantIbLb0EESZ_EEDaSU_SV_EUlSU_E_NS1_11comp_targetILNS1_3genE2ELNS1_11target_archE906ELNS1_3gpuE6ELNS1_3repE0EEENS1_30default_config_static_selectorELNS0_4arch9wavefront6targetE0EEEvT1_
                                        ; -- End function
	.set _ZN7rocprim17ROCPRIM_400000_NS6detail17trampoline_kernelINS0_14default_configENS1_33run_length_encode_config_selectorItjNS0_4plusIjEEEEZZNS1_33reduce_by_key_impl_wrapped_configILNS1_25lookback_scan_determinismE0ES3_S7_PKtNS0_17constant_iteratorIjlEEPtPlSF_S6_NS0_8equal_toItEEEE10hipError_tPvRmT2_T3_mT4_T5_T6_T7_T8_P12ihipStream_tbENKUlT_T0_E_clISt17integral_constantIbLb0EESZ_EEDaSU_SV_EUlSU_E_NS1_11comp_targetILNS1_3genE2ELNS1_11target_archE906ELNS1_3gpuE6ELNS1_3repE0EEENS1_30default_config_static_selectorELNS0_4arch9wavefront6targetE0EEEvT1_.num_vgpr, 0
	.set _ZN7rocprim17ROCPRIM_400000_NS6detail17trampoline_kernelINS0_14default_configENS1_33run_length_encode_config_selectorItjNS0_4plusIjEEEEZZNS1_33reduce_by_key_impl_wrapped_configILNS1_25lookback_scan_determinismE0ES3_S7_PKtNS0_17constant_iteratorIjlEEPtPlSF_S6_NS0_8equal_toItEEEE10hipError_tPvRmT2_T3_mT4_T5_T6_T7_T8_P12ihipStream_tbENKUlT_T0_E_clISt17integral_constantIbLb0EESZ_EEDaSU_SV_EUlSU_E_NS1_11comp_targetILNS1_3genE2ELNS1_11target_archE906ELNS1_3gpuE6ELNS1_3repE0EEENS1_30default_config_static_selectorELNS0_4arch9wavefront6targetE0EEEvT1_.num_agpr, 0
	.set _ZN7rocprim17ROCPRIM_400000_NS6detail17trampoline_kernelINS0_14default_configENS1_33run_length_encode_config_selectorItjNS0_4plusIjEEEEZZNS1_33reduce_by_key_impl_wrapped_configILNS1_25lookback_scan_determinismE0ES3_S7_PKtNS0_17constant_iteratorIjlEEPtPlSF_S6_NS0_8equal_toItEEEE10hipError_tPvRmT2_T3_mT4_T5_T6_T7_T8_P12ihipStream_tbENKUlT_T0_E_clISt17integral_constantIbLb0EESZ_EEDaSU_SV_EUlSU_E_NS1_11comp_targetILNS1_3genE2ELNS1_11target_archE906ELNS1_3gpuE6ELNS1_3repE0EEENS1_30default_config_static_selectorELNS0_4arch9wavefront6targetE0EEEvT1_.numbered_sgpr, 0
	.set _ZN7rocprim17ROCPRIM_400000_NS6detail17trampoline_kernelINS0_14default_configENS1_33run_length_encode_config_selectorItjNS0_4plusIjEEEEZZNS1_33reduce_by_key_impl_wrapped_configILNS1_25lookback_scan_determinismE0ES3_S7_PKtNS0_17constant_iteratorIjlEEPtPlSF_S6_NS0_8equal_toItEEEE10hipError_tPvRmT2_T3_mT4_T5_T6_T7_T8_P12ihipStream_tbENKUlT_T0_E_clISt17integral_constantIbLb0EESZ_EEDaSU_SV_EUlSU_E_NS1_11comp_targetILNS1_3genE2ELNS1_11target_archE906ELNS1_3gpuE6ELNS1_3repE0EEENS1_30default_config_static_selectorELNS0_4arch9wavefront6targetE0EEEvT1_.num_named_barrier, 0
	.set _ZN7rocprim17ROCPRIM_400000_NS6detail17trampoline_kernelINS0_14default_configENS1_33run_length_encode_config_selectorItjNS0_4plusIjEEEEZZNS1_33reduce_by_key_impl_wrapped_configILNS1_25lookback_scan_determinismE0ES3_S7_PKtNS0_17constant_iteratorIjlEEPtPlSF_S6_NS0_8equal_toItEEEE10hipError_tPvRmT2_T3_mT4_T5_T6_T7_T8_P12ihipStream_tbENKUlT_T0_E_clISt17integral_constantIbLb0EESZ_EEDaSU_SV_EUlSU_E_NS1_11comp_targetILNS1_3genE2ELNS1_11target_archE906ELNS1_3gpuE6ELNS1_3repE0EEENS1_30default_config_static_selectorELNS0_4arch9wavefront6targetE0EEEvT1_.private_seg_size, 0
	.set _ZN7rocprim17ROCPRIM_400000_NS6detail17trampoline_kernelINS0_14default_configENS1_33run_length_encode_config_selectorItjNS0_4plusIjEEEEZZNS1_33reduce_by_key_impl_wrapped_configILNS1_25lookback_scan_determinismE0ES3_S7_PKtNS0_17constant_iteratorIjlEEPtPlSF_S6_NS0_8equal_toItEEEE10hipError_tPvRmT2_T3_mT4_T5_T6_T7_T8_P12ihipStream_tbENKUlT_T0_E_clISt17integral_constantIbLb0EESZ_EEDaSU_SV_EUlSU_E_NS1_11comp_targetILNS1_3genE2ELNS1_11target_archE906ELNS1_3gpuE6ELNS1_3repE0EEENS1_30default_config_static_selectorELNS0_4arch9wavefront6targetE0EEEvT1_.uses_vcc, 0
	.set _ZN7rocprim17ROCPRIM_400000_NS6detail17trampoline_kernelINS0_14default_configENS1_33run_length_encode_config_selectorItjNS0_4plusIjEEEEZZNS1_33reduce_by_key_impl_wrapped_configILNS1_25lookback_scan_determinismE0ES3_S7_PKtNS0_17constant_iteratorIjlEEPtPlSF_S6_NS0_8equal_toItEEEE10hipError_tPvRmT2_T3_mT4_T5_T6_T7_T8_P12ihipStream_tbENKUlT_T0_E_clISt17integral_constantIbLb0EESZ_EEDaSU_SV_EUlSU_E_NS1_11comp_targetILNS1_3genE2ELNS1_11target_archE906ELNS1_3gpuE6ELNS1_3repE0EEENS1_30default_config_static_selectorELNS0_4arch9wavefront6targetE0EEEvT1_.uses_flat_scratch, 0
	.set _ZN7rocprim17ROCPRIM_400000_NS6detail17trampoline_kernelINS0_14default_configENS1_33run_length_encode_config_selectorItjNS0_4plusIjEEEEZZNS1_33reduce_by_key_impl_wrapped_configILNS1_25lookback_scan_determinismE0ES3_S7_PKtNS0_17constant_iteratorIjlEEPtPlSF_S6_NS0_8equal_toItEEEE10hipError_tPvRmT2_T3_mT4_T5_T6_T7_T8_P12ihipStream_tbENKUlT_T0_E_clISt17integral_constantIbLb0EESZ_EEDaSU_SV_EUlSU_E_NS1_11comp_targetILNS1_3genE2ELNS1_11target_archE906ELNS1_3gpuE6ELNS1_3repE0EEENS1_30default_config_static_selectorELNS0_4arch9wavefront6targetE0EEEvT1_.has_dyn_sized_stack, 0
	.set _ZN7rocprim17ROCPRIM_400000_NS6detail17trampoline_kernelINS0_14default_configENS1_33run_length_encode_config_selectorItjNS0_4plusIjEEEEZZNS1_33reduce_by_key_impl_wrapped_configILNS1_25lookback_scan_determinismE0ES3_S7_PKtNS0_17constant_iteratorIjlEEPtPlSF_S6_NS0_8equal_toItEEEE10hipError_tPvRmT2_T3_mT4_T5_T6_T7_T8_P12ihipStream_tbENKUlT_T0_E_clISt17integral_constantIbLb0EESZ_EEDaSU_SV_EUlSU_E_NS1_11comp_targetILNS1_3genE2ELNS1_11target_archE906ELNS1_3gpuE6ELNS1_3repE0EEENS1_30default_config_static_selectorELNS0_4arch9wavefront6targetE0EEEvT1_.has_recursion, 0
	.set _ZN7rocprim17ROCPRIM_400000_NS6detail17trampoline_kernelINS0_14default_configENS1_33run_length_encode_config_selectorItjNS0_4plusIjEEEEZZNS1_33reduce_by_key_impl_wrapped_configILNS1_25lookback_scan_determinismE0ES3_S7_PKtNS0_17constant_iteratorIjlEEPtPlSF_S6_NS0_8equal_toItEEEE10hipError_tPvRmT2_T3_mT4_T5_T6_T7_T8_P12ihipStream_tbENKUlT_T0_E_clISt17integral_constantIbLb0EESZ_EEDaSU_SV_EUlSU_E_NS1_11comp_targetILNS1_3genE2ELNS1_11target_archE906ELNS1_3gpuE6ELNS1_3repE0EEENS1_30default_config_static_selectorELNS0_4arch9wavefront6targetE0EEEvT1_.has_indirect_call, 0
	.section	.AMDGPU.csdata,"",@progbits
; Kernel info:
; codeLenInByte = 0
; TotalNumSgprs: 0
; NumVgprs: 0
; ScratchSize: 0
; MemoryBound: 0
; FloatMode: 240
; IeeeMode: 1
; LDSByteSize: 0 bytes/workgroup (compile time only)
; SGPRBlocks: 0
; VGPRBlocks: 0
; NumSGPRsForWavesPerEU: 1
; NumVGPRsForWavesPerEU: 1
; NamedBarCnt: 0
; Occupancy: 16
; WaveLimiterHint : 0
; COMPUTE_PGM_RSRC2:SCRATCH_EN: 0
; COMPUTE_PGM_RSRC2:USER_SGPR: 2
; COMPUTE_PGM_RSRC2:TRAP_HANDLER: 0
; COMPUTE_PGM_RSRC2:TGID_X_EN: 1
; COMPUTE_PGM_RSRC2:TGID_Y_EN: 0
; COMPUTE_PGM_RSRC2:TGID_Z_EN: 0
; COMPUTE_PGM_RSRC2:TIDIG_COMP_CNT: 0
	.section	.text._ZN7rocprim17ROCPRIM_400000_NS6detail17trampoline_kernelINS0_14default_configENS1_33run_length_encode_config_selectorItjNS0_4plusIjEEEEZZNS1_33reduce_by_key_impl_wrapped_configILNS1_25lookback_scan_determinismE0ES3_S7_PKtNS0_17constant_iteratorIjlEEPtPlSF_S6_NS0_8equal_toItEEEE10hipError_tPvRmT2_T3_mT4_T5_T6_T7_T8_P12ihipStream_tbENKUlT_T0_E_clISt17integral_constantIbLb0EESZ_EEDaSU_SV_EUlSU_E_NS1_11comp_targetILNS1_3genE10ELNS1_11target_archE1201ELNS1_3gpuE5ELNS1_3repE0EEENS1_30default_config_static_selectorELNS0_4arch9wavefront6targetE0EEEvT1_,"axG",@progbits,_ZN7rocprim17ROCPRIM_400000_NS6detail17trampoline_kernelINS0_14default_configENS1_33run_length_encode_config_selectorItjNS0_4plusIjEEEEZZNS1_33reduce_by_key_impl_wrapped_configILNS1_25lookback_scan_determinismE0ES3_S7_PKtNS0_17constant_iteratorIjlEEPtPlSF_S6_NS0_8equal_toItEEEE10hipError_tPvRmT2_T3_mT4_T5_T6_T7_T8_P12ihipStream_tbENKUlT_T0_E_clISt17integral_constantIbLb0EESZ_EEDaSU_SV_EUlSU_E_NS1_11comp_targetILNS1_3genE10ELNS1_11target_archE1201ELNS1_3gpuE5ELNS1_3repE0EEENS1_30default_config_static_selectorELNS0_4arch9wavefront6targetE0EEEvT1_,comdat
	.protected	_ZN7rocprim17ROCPRIM_400000_NS6detail17trampoline_kernelINS0_14default_configENS1_33run_length_encode_config_selectorItjNS0_4plusIjEEEEZZNS1_33reduce_by_key_impl_wrapped_configILNS1_25lookback_scan_determinismE0ES3_S7_PKtNS0_17constant_iteratorIjlEEPtPlSF_S6_NS0_8equal_toItEEEE10hipError_tPvRmT2_T3_mT4_T5_T6_T7_T8_P12ihipStream_tbENKUlT_T0_E_clISt17integral_constantIbLb0EESZ_EEDaSU_SV_EUlSU_E_NS1_11comp_targetILNS1_3genE10ELNS1_11target_archE1201ELNS1_3gpuE5ELNS1_3repE0EEENS1_30default_config_static_selectorELNS0_4arch9wavefront6targetE0EEEvT1_ ; -- Begin function _ZN7rocprim17ROCPRIM_400000_NS6detail17trampoline_kernelINS0_14default_configENS1_33run_length_encode_config_selectorItjNS0_4plusIjEEEEZZNS1_33reduce_by_key_impl_wrapped_configILNS1_25lookback_scan_determinismE0ES3_S7_PKtNS0_17constant_iteratorIjlEEPtPlSF_S6_NS0_8equal_toItEEEE10hipError_tPvRmT2_T3_mT4_T5_T6_T7_T8_P12ihipStream_tbENKUlT_T0_E_clISt17integral_constantIbLb0EESZ_EEDaSU_SV_EUlSU_E_NS1_11comp_targetILNS1_3genE10ELNS1_11target_archE1201ELNS1_3gpuE5ELNS1_3repE0EEENS1_30default_config_static_selectorELNS0_4arch9wavefront6targetE0EEEvT1_
	.globl	_ZN7rocprim17ROCPRIM_400000_NS6detail17trampoline_kernelINS0_14default_configENS1_33run_length_encode_config_selectorItjNS0_4plusIjEEEEZZNS1_33reduce_by_key_impl_wrapped_configILNS1_25lookback_scan_determinismE0ES3_S7_PKtNS0_17constant_iteratorIjlEEPtPlSF_S6_NS0_8equal_toItEEEE10hipError_tPvRmT2_T3_mT4_T5_T6_T7_T8_P12ihipStream_tbENKUlT_T0_E_clISt17integral_constantIbLb0EESZ_EEDaSU_SV_EUlSU_E_NS1_11comp_targetILNS1_3genE10ELNS1_11target_archE1201ELNS1_3gpuE5ELNS1_3repE0EEENS1_30default_config_static_selectorELNS0_4arch9wavefront6targetE0EEEvT1_
	.p2align	8
	.type	_ZN7rocprim17ROCPRIM_400000_NS6detail17trampoline_kernelINS0_14default_configENS1_33run_length_encode_config_selectorItjNS0_4plusIjEEEEZZNS1_33reduce_by_key_impl_wrapped_configILNS1_25lookback_scan_determinismE0ES3_S7_PKtNS0_17constant_iteratorIjlEEPtPlSF_S6_NS0_8equal_toItEEEE10hipError_tPvRmT2_T3_mT4_T5_T6_T7_T8_P12ihipStream_tbENKUlT_T0_E_clISt17integral_constantIbLb0EESZ_EEDaSU_SV_EUlSU_E_NS1_11comp_targetILNS1_3genE10ELNS1_11target_archE1201ELNS1_3gpuE5ELNS1_3repE0EEENS1_30default_config_static_selectorELNS0_4arch9wavefront6targetE0EEEvT1_,@function
_ZN7rocprim17ROCPRIM_400000_NS6detail17trampoline_kernelINS0_14default_configENS1_33run_length_encode_config_selectorItjNS0_4plusIjEEEEZZNS1_33reduce_by_key_impl_wrapped_configILNS1_25lookback_scan_determinismE0ES3_S7_PKtNS0_17constant_iteratorIjlEEPtPlSF_S6_NS0_8equal_toItEEEE10hipError_tPvRmT2_T3_mT4_T5_T6_T7_T8_P12ihipStream_tbENKUlT_T0_E_clISt17integral_constantIbLb0EESZ_EEDaSU_SV_EUlSU_E_NS1_11comp_targetILNS1_3genE10ELNS1_11target_archE1201ELNS1_3gpuE5ELNS1_3repE0EEENS1_30default_config_static_selectorELNS0_4arch9wavefront6targetE0EEEvT1_: ; @_ZN7rocprim17ROCPRIM_400000_NS6detail17trampoline_kernelINS0_14default_configENS1_33run_length_encode_config_selectorItjNS0_4plusIjEEEEZZNS1_33reduce_by_key_impl_wrapped_configILNS1_25lookback_scan_determinismE0ES3_S7_PKtNS0_17constant_iteratorIjlEEPtPlSF_S6_NS0_8equal_toItEEEE10hipError_tPvRmT2_T3_mT4_T5_T6_T7_T8_P12ihipStream_tbENKUlT_T0_E_clISt17integral_constantIbLb0EESZ_EEDaSU_SV_EUlSU_E_NS1_11comp_targetILNS1_3genE10ELNS1_11target_archE1201ELNS1_3gpuE5ELNS1_3repE0EEENS1_30default_config_static_selectorELNS0_4arch9wavefront6targetE0EEEvT1_
; %bb.0:
	.section	.rodata,"a",@progbits
	.p2align	6, 0x0
	.amdhsa_kernel _ZN7rocprim17ROCPRIM_400000_NS6detail17trampoline_kernelINS0_14default_configENS1_33run_length_encode_config_selectorItjNS0_4plusIjEEEEZZNS1_33reduce_by_key_impl_wrapped_configILNS1_25lookback_scan_determinismE0ES3_S7_PKtNS0_17constant_iteratorIjlEEPtPlSF_S6_NS0_8equal_toItEEEE10hipError_tPvRmT2_T3_mT4_T5_T6_T7_T8_P12ihipStream_tbENKUlT_T0_E_clISt17integral_constantIbLb0EESZ_EEDaSU_SV_EUlSU_E_NS1_11comp_targetILNS1_3genE10ELNS1_11target_archE1201ELNS1_3gpuE5ELNS1_3repE0EEENS1_30default_config_static_selectorELNS0_4arch9wavefront6targetE0EEEvT1_
		.amdhsa_group_segment_fixed_size 0
		.amdhsa_private_segment_fixed_size 0
		.amdhsa_kernarg_size 128
		.amdhsa_user_sgpr_count 2
		.amdhsa_user_sgpr_dispatch_ptr 0
		.amdhsa_user_sgpr_queue_ptr 0
		.amdhsa_user_sgpr_kernarg_segment_ptr 1
		.amdhsa_user_sgpr_dispatch_id 0
		.amdhsa_user_sgpr_kernarg_preload_length 0
		.amdhsa_user_sgpr_kernarg_preload_offset 0
		.amdhsa_user_sgpr_private_segment_size 0
		.amdhsa_wavefront_size32 1
		.amdhsa_uses_dynamic_stack 0
		.amdhsa_enable_private_segment 0
		.amdhsa_system_sgpr_workgroup_id_x 1
		.amdhsa_system_sgpr_workgroup_id_y 0
		.amdhsa_system_sgpr_workgroup_id_z 0
		.amdhsa_system_sgpr_workgroup_info 0
		.amdhsa_system_vgpr_workitem_id 0
		.amdhsa_next_free_vgpr 1
		.amdhsa_next_free_sgpr 1
		.amdhsa_named_barrier_count 0
		.amdhsa_reserve_vcc 0
		.amdhsa_float_round_mode_32 0
		.amdhsa_float_round_mode_16_64 0
		.amdhsa_float_denorm_mode_32 3
		.amdhsa_float_denorm_mode_16_64 3
		.amdhsa_fp16_overflow 0
		.amdhsa_memory_ordered 1
		.amdhsa_forward_progress 1
		.amdhsa_inst_pref_size 0
		.amdhsa_round_robin_scheduling 0
		.amdhsa_exception_fp_ieee_invalid_op 0
		.amdhsa_exception_fp_denorm_src 0
		.amdhsa_exception_fp_ieee_div_zero 0
		.amdhsa_exception_fp_ieee_overflow 0
		.amdhsa_exception_fp_ieee_underflow 0
		.amdhsa_exception_fp_ieee_inexact 0
		.amdhsa_exception_int_div_zero 0
	.end_amdhsa_kernel
	.section	.text._ZN7rocprim17ROCPRIM_400000_NS6detail17trampoline_kernelINS0_14default_configENS1_33run_length_encode_config_selectorItjNS0_4plusIjEEEEZZNS1_33reduce_by_key_impl_wrapped_configILNS1_25lookback_scan_determinismE0ES3_S7_PKtNS0_17constant_iteratorIjlEEPtPlSF_S6_NS0_8equal_toItEEEE10hipError_tPvRmT2_T3_mT4_T5_T6_T7_T8_P12ihipStream_tbENKUlT_T0_E_clISt17integral_constantIbLb0EESZ_EEDaSU_SV_EUlSU_E_NS1_11comp_targetILNS1_3genE10ELNS1_11target_archE1201ELNS1_3gpuE5ELNS1_3repE0EEENS1_30default_config_static_selectorELNS0_4arch9wavefront6targetE0EEEvT1_,"axG",@progbits,_ZN7rocprim17ROCPRIM_400000_NS6detail17trampoline_kernelINS0_14default_configENS1_33run_length_encode_config_selectorItjNS0_4plusIjEEEEZZNS1_33reduce_by_key_impl_wrapped_configILNS1_25lookback_scan_determinismE0ES3_S7_PKtNS0_17constant_iteratorIjlEEPtPlSF_S6_NS0_8equal_toItEEEE10hipError_tPvRmT2_T3_mT4_T5_T6_T7_T8_P12ihipStream_tbENKUlT_T0_E_clISt17integral_constantIbLb0EESZ_EEDaSU_SV_EUlSU_E_NS1_11comp_targetILNS1_3genE10ELNS1_11target_archE1201ELNS1_3gpuE5ELNS1_3repE0EEENS1_30default_config_static_selectorELNS0_4arch9wavefront6targetE0EEEvT1_,comdat
.Lfunc_end792:
	.size	_ZN7rocprim17ROCPRIM_400000_NS6detail17trampoline_kernelINS0_14default_configENS1_33run_length_encode_config_selectorItjNS0_4plusIjEEEEZZNS1_33reduce_by_key_impl_wrapped_configILNS1_25lookback_scan_determinismE0ES3_S7_PKtNS0_17constant_iteratorIjlEEPtPlSF_S6_NS0_8equal_toItEEEE10hipError_tPvRmT2_T3_mT4_T5_T6_T7_T8_P12ihipStream_tbENKUlT_T0_E_clISt17integral_constantIbLb0EESZ_EEDaSU_SV_EUlSU_E_NS1_11comp_targetILNS1_3genE10ELNS1_11target_archE1201ELNS1_3gpuE5ELNS1_3repE0EEENS1_30default_config_static_selectorELNS0_4arch9wavefront6targetE0EEEvT1_, .Lfunc_end792-_ZN7rocprim17ROCPRIM_400000_NS6detail17trampoline_kernelINS0_14default_configENS1_33run_length_encode_config_selectorItjNS0_4plusIjEEEEZZNS1_33reduce_by_key_impl_wrapped_configILNS1_25lookback_scan_determinismE0ES3_S7_PKtNS0_17constant_iteratorIjlEEPtPlSF_S6_NS0_8equal_toItEEEE10hipError_tPvRmT2_T3_mT4_T5_T6_T7_T8_P12ihipStream_tbENKUlT_T0_E_clISt17integral_constantIbLb0EESZ_EEDaSU_SV_EUlSU_E_NS1_11comp_targetILNS1_3genE10ELNS1_11target_archE1201ELNS1_3gpuE5ELNS1_3repE0EEENS1_30default_config_static_selectorELNS0_4arch9wavefront6targetE0EEEvT1_
                                        ; -- End function
	.set _ZN7rocprim17ROCPRIM_400000_NS6detail17trampoline_kernelINS0_14default_configENS1_33run_length_encode_config_selectorItjNS0_4plusIjEEEEZZNS1_33reduce_by_key_impl_wrapped_configILNS1_25lookback_scan_determinismE0ES3_S7_PKtNS0_17constant_iteratorIjlEEPtPlSF_S6_NS0_8equal_toItEEEE10hipError_tPvRmT2_T3_mT4_T5_T6_T7_T8_P12ihipStream_tbENKUlT_T0_E_clISt17integral_constantIbLb0EESZ_EEDaSU_SV_EUlSU_E_NS1_11comp_targetILNS1_3genE10ELNS1_11target_archE1201ELNS1_3gpuE5ELNS1_3repE0EEENS1_30default_config_static_selectorELNS0_4arch9wavefront6targetE0EEEvT1_.num_vgpr, 0
	.set _ZN7rocprim17ROCPRIM_400000_NS6detail17trampoline_kernelINS0_14default_configENS1_33run_length_encode_config_selectorItjNS0_4plusIjEEEEZZNS1_33reduce_by_key_impl_wrapped_configILNS1_25lookback_scan_determinismE0ES3_S7_PKtNS0_17constant_iteratorIjlEEPtPlSF_S6_NS0_8equal_toItEEEE10hipError_tPvRmT2_T3_mT4_T5_T6_T7_T8_P12ihipStream_tbENKUlT_T0_E_clISt17integral_constantIbLb0EESZ_EEDaSU_SV_EUlSU_E_NS1_11comp_targetILNS1_3genE10ELNS1_11target_archE1201ELNS1_3gpuE5ELNS1_3repE0EEENS1_30default_config_static_selectorELNS0_4arch9wavefront6targetE0EEEvT1_.num_agpr, 0
	.set _ZN7rocprim17ROCPRIM_400000_NS6detail17trampoline_kernelINS0_14default_configENS1_33run_length_encode_config_selectorItjNS0_4plusIjEEEEZZNS1_33reduce_by_key_impl_wrapped_configILNS1_25lookback_scan_determinismE0ES3_S7_PKtNS0_17constant_iteratorIjlEEPtPlSF_S6_NS0_8equal_toItEEEE10hipError_tPvRmT2_T3_mT4_T5_T6_T7_T8_P12ihipStream_tbENKUlT_T0_E_clISt17integral_constantIbLb0EESZ_EEDaSU_SV_EUlSU_E_NS1_11comp_targetILNS1_3genE10ELNS1_11target_archE1201ELNS1_3gpuE5ELNS1_3repE0EEENS1_30default_config_static_selectorELNS0_4arch9wavefront6targetE0EEEvT1_.numbered_sgpr, 0
	.set _ZN7rocprim17ROCPRIM_400000_NS6detail17trampoline_kernelINS0_14default_configENS1_33run_length_encode_config_selectorItjNS0_4plusIjEEEEZZNS1_33reduce_by_key_impl_wrapped_configILNS1_25lookback_scan_determinismE0ES3_S7_PKtNS0_17constant_iteratorIjlEEPtPlSF_S6_NS0_8equal_toItEEEE10hipError_tPvRmT2_T3_mT4_T5_T6_T7_T8_P12ihipStream_tbENKUlT_T0_E_clISt17integral_constantIbLb0EESZ_EEDaSU_SV_EUlSU_E_NS1_11comp_targetILNS1_3genE10ELNS1_11target_archE1201ELNS1_3gpuE5ELNS1_3repE0EEENS1_30default_config_static_selectorELNS0_4arch9wavefront6targetE0EEEvT1_.num_named_barrier, 0
	.set _ZN7rocprim17ROCPRIM_400000_NS6detail17trampoline_kernelINS0_14default_configENS1_33run_length_encode_config_selectorItjNS0_4plusIjEEEEZZNS1_33reduce_by_key_impl_wrapped_configILNS1_25lookback_scan_determinismE0ES3_S7_PKtNS0_17constant_iteratorIjlEEPtPlSF_S6_NS0_8equal_toItEEEE10hipError_tPvRmT2_T3_mT4_T5_T6_T7_T8_P12ihipStream_tbENKUlT_T0_E_clISt17integral_constantIbLb0EESZ_EEDaSU_SV_EUlSU_E_NS1_11comp_targetILNS1_3genE10ELNS1_11target_archE1201ELNS1_3gpuE5ELNS1_3repE0EEENS1_30default_config_static_selectorELNS0_4arch9wavefront6targetE0EEEvT1_.private_seg_size, 0
	.set _ZN7rocprim17ROCPRIM_400000_NS6detail17trampoline_kernelINS0_14default_configENS1_33run_length_encode_config_selectorItjNS0_4plusIjEEEEZZNS1_33reduce_by_key_impl_wrapped_configILNS1_25lookback_scan_determinismE0ES3_S7_PKtNS0_17constant_iteratorIjlEEPtPlSF_S6_NS0_8equal_toItEEEE10hipError_tPvRmT2_T3_mT4_T5_T6_T7_T8_P12ihipStream_tbENKUlT_T0_E_clISt17integral_constantIbLb0EESZ_EEDaSU_SV_EUlSU_E_NS1_11comp_targetILNS1_3genE10ELNS1_11target_archE1201ELNS1_3gpuE5ELNS1_3repE0EEENS1_30default_config_static_selectorELNS0_4arch9wavefront6targetE0EEEvT1_.uses_vcc, 0
	.set _ZN7rocprim17ROCPRIM_400000_NS6detail17trampoline_kernelINS0_14default_configENS1_33run_length_encode_config_selectorItjNS0_4plusIjEEEEZZNS1_33reduce_by_key_impl_wrapped_configILNS1_25lookback_scan_determinismE0ES3_S7_PKtNS0_17constant_iteratorIjlEEPtPlSF_S6_NS0_8equal_toItEEEE10hipError_tPvRmT2_T3_mT4_T5_T6_T7_T8_P12ihipStream_tbENKUlT_T0_E_clISt17integral_constantIbLb0EESZ_EEDaSU_SV_EUlSU_E_NS1_11comp_targetILNS1_3genE10ELNS1_11target_archE1201ELNS1_3gpuE5ELNS1_3repE0EEENS1_30default_config_static_selectorELNS0_4arch9wavefront6targetE0EEEvT1_.uses_flat_scratch, 0
	.set _ZN7rocprim17ROCPRIM_400000_NS6detail17trampoline_kernelINS0_14default_configENS1_33run_length_encode_config_selectorItjNS0_4plusIjEEEEZZNS1_33reduce_by_key_impl_wrapped_configILNS1_25lookback_scan_determinismE0ES3_S7_PKtNS0_17constant_iteratorIjlEEPtPlSF_S6_NS0_8equal_toItEEEE10hipError_tPvRmT2_T3_mT4_T5_T6_T7_T8_P12ihipStream_tbENKUlT_T0_E_clISt17integral_constantIbLb0EESZ_EEDaSU_SV_EUlSU_E_NS1_11comp_targetILNS1_3genE10ELNS1_11target_archE1201ELNS1_3gpuE5ELNS1_3repE0EEENS1_30default_config_static_selectorELNS0_4arch9wavefront6targetE0EEEvT1_.has_dyn_sized_stack, 0
	.set _ZN7rocprim17ROCPRIM_400000_NS6detail17trampoline_kernelINS0_14default_configENS1_33run_length_encode_config_selectorItjNS0_4plusIjEEEEZZNS1_33reduce_by_key_impl_wrapped_configILNS1_25lookback_scan_determinismE0ES3_S7_PKtNS0_17constant_iteratorIjlEEPtPlSF_S6_NS0_8equal_toItEEEE10hipError_tPvRmT2_T3_mT4_T5_T6_T7_T8_P12ihipStream_tbENKUlT_T0_E_clISt17integral_constantIbLb0EESZ_EEDaSU_SV_EUlSU_E_NS1_11comp_targetILNS1_3genE10ELNS1_11target_archE1201ELNS1_3gpuE5ELNS1_3repE0EEENS1_30default_config_static_selectorELNS0_4arch9wavefront6targetE0EEEvT1_.has_recursion, 0
	.set _ZN7rocprim17ROCPRIM_400000_NS6detail17trampoline_kernelINS0_14default_configENS1_33run_length_encode_config_selectorItjNS0_4plusIjEEEEZZNS1_33reduce_by_key_impl_wrapped_configILNS1_25lookback_scan_determinismE0ES3_S7_PKtNS0_17constant_iteratorIjlEEPtPlSF_S6_NS0_8equal_toItEEEE10hipError_tPvRmT2_T3_mT4_T5_T6_T7_T8_P12ihipStream_tbENKUlT_T0_E_clISt17integral_constantIbLb0EESZ_EEDaSU_SV_EUlSU_E_NS1_11comp_targetILNS1_3genE10ELNS1_11target_archE1201ELNS1_3gpuE5ELNS1_3repE0EEENS1_30default_config_static_selectorELNS0_4arch9wavefront6targetE0EEEvT1_.has_indirect_call, 0
	.section	.AMDGPU.csdata,"",@progbits
; Kernel info:
; codeLenInByte = 0
; TotalNumSgprs: 0
; NumVgprs: 0
; ScratchSize: 0
; MemoryBound: 0
; FloatMode: 240
; IeeeMode: 1
; LDSByteSize: 0 bytes/workgroup (compile time only)
; SGPRBlocks: 0
; VGPRBlocks: 0
; NumSGPRsForWavesPerEU: 1
; NumVGPRsForWavesPerEU: 1
; NamedBarCnt: 0
; Occupancy: 16
; WaveLimiterHint : 0
; COMPUTE_PGM_RSRC2:SCRATCH_EN: 0
; COMPUTE_PGM_RSRC2:USER_SGPR: 2
; COMPUTE_PGM_RSRC2:TRAP_HANDLER: 0
; COMPUTE_PGM_RSRC2:TGID_X_EN: 1
; COMPUTE_PGM_RSRC2:TGID_Y_EN: 0
; COMPUTE_PGM_RSRC2:TGID_Z_EN: 0
; COMPUTE_PGM_RSRC2:TIDIG_COMP_CNT: 0
	.section	.text._ZN7rocprim17ROCPRIM_400000_NS6detail17trampoline_kernelINS0_14default_configENS1_33run_length_encode_config_selectorItjNS0_4plusIjEEEEZZNS1_33reduce_by_key_impl_wrapped_configILNS1_25lookback_scan_determinismE0ES3_S7_PKtNS0_17constant_iteratorIjlEEPtPlSF_S6_NS0_8equal_toItEEEE10hipError_tPvRmT2_T3_mT4_T5_T6_T7_T8_P12ihipStream_tbENKUlT_T0_E_clISt17integral_constantIbLb0EESZ_EEDaSU_SV_EUlSU_E_NS1_11comp_targetILNS1_3genE10ELNS1_11target_archE1200ELNS1_3gpuE4ELNS1_3repE0EEENS1_30default_config_static_selectorELNS0_4arch9wavefront6targetE0EEEvT1_,"axG",@progbits,_ZN7rocprim17ROCPRIM_400000_NS6detail17trampoline_kernelINS0_14default_configENS1_33run_length_encode_config_selectorItjNS0_4plusIjEEEEZZNS1_33reduce_by_key_impl_wrapped_configILNS1_25lookback_scan_determinismE0ES3_S7_PKtNS0_17constant_iteratorIjlEEPtPlSF_S6_NS0_8equal_toItEEEE10hipError_tPvRmT2_T3_mT4_T5_T6_T7_T8_P12ihipStream_tbENKUlT_T0_E_clISt17integral_constantIbLb0EESZ_EEDaSU_SV_EUlSU_E_NS1_11comp_targetILNS1_3genE10ELNS1_11target_archE1200ELNS1_3gpuE4ELNS1_3repE0EEENS1_30default_config_static_selectorELNS0_4arch9wavefront6targetE0EEEvT1_,comdat
	.protected	_ZN7rocprim17ROCPRIM_400000_NS6detail17trampoline_kernelINS0_14default_configENS1_33run_length_encode_config_selectorItjNS0_4plusIjEEEEZZNS1_33reduce_by_key_impl_wrapped_configILNS1_25lookback_scan_determinismE0ES3_S7_PKtNS0_17constant_iteratorIjlEEPtPlSF_S6_NS0_8equal_toItEEEE10hipError_tPvRmT2_T3_mT4_T5_T6_T7_T8_P12ihipStream_tbENKUlT_T0_E_clISt17integral_constantIbLb0EESZ_EEDaSU_SV_EUlSU_E_NS1_11comp_targetILNS1_3genE10ELNS1_11target_archE1200ELNS1_3gpuE4ELNS1_3repE0EEENS1_30default_config_static_selectorELNS0_4arch9wavefront6targetE0EEEvT1_ ; -- Begin function _ZN7rocprim17ROCPRIM_400000_NS6detail17trampoline_kernelINS0_14default_configENS1_33run_length_encode_config_selectorItjNS0_4plusIjEEEEZZNS1_33reduce_by_key_impl_wrapped_configILNS1_25lookback_scan_determinismE0ES3_S7_PKtNS0_17constant_iteratorIjlEEPtPlSF_S6_NS0_8equal_toItEEEE10hipError_tPvRmT2_T3_mT4_T5_T6_T7_T8_P12ihipStream_tbENKUlT_T0_E_clISt17integral_constantIbLb0EESZ_EEDaSU_SV_EUlSU_E_NS1_11comp_targetILNS1_3genE10ELNS1_11target_archE1200ELNS1_3gpuE4ELNS1_3repE0EEENS1_30default_config_static_selectorELNS0_4arch9wavefront6targetE0EEEvT1_
	.globl	_ZN7rocprim17ROCPRIM_400000_NS6detail17trampoline_kernelINS0_14default_configENS1_33run_length_encode_config_selectorItjNS0_4plusIjEEEEZZNS1_33reduce_by_key_impl_wrapped_configILNS1_25lookback_scan_determinismE0ES3_S7_PKtNS0_17constant_iteratorIjlEEPtPlSF_S6_NS0_8equal_toItEEEE10hipError_tPvRmT2_T3_mT4_T5_T6_T7_T8_P12ihipStream_tbENKUlT_T0_E_clISt17integral_constantIbLb0EESZ_EEDaSU_SV_EUlSU_E_NS1_11comp_targetILNS1_3genE10ELNS1_11target_archE1200ELNS1_3gpuE4ELNS1_3repE0EEENS1_30default_config_static_selectorELNS0_4arch9wavefront6targetE0EEEvT1_
	.p2align	8
	.type	_ZN7rocprim17ROCPRIM_400000_NS6detail17trampoline_kernelINS0_14default_configENS1_33run_length_encode_config_selectorItjNS0_4plusIjEEEEZZNS1_33reduce_by_key_impl_wrapped_configILNS1_25lookback_scan_determinismE0ES3_S7_PKtNS0_17constant_iteratorIjlEEPtPlSF_S6_NS0_8equal_toItEEEE10hipError_tPvRmT2_T3_mT4_T5_T6_T7_T8_P12ihipStream_tbENKUlT_T0_E_clISt17integral_constantIbLb0EESZ_EEDaSU_SV_EUlSU_E_NS1_11comp_targetILNS1_3genE10ELNS1_11target_archE1200ELNS1_3gpuE4ELNS1_3repE0EEENS1_30default_config_static_selectorELNS0_4arch9wavefront6targetE0EEEvT1_,@function
_ZN7rocprim17ROCPRIM_400000_NS6detail17trampoline_kernelINS0_14default_configENS1_33run_length_encode_config_selectorItjNS0_4plusIjEEEEZZNS1_33reduce_by_key_impl_wrapped_configILNS1_25lookback_scan_determinismE0ES3_S7_PKtNS0_17constant_iteratorIjlEEPtPlSF_S6_NS0_8equal_toItEEEE10hipError_tPvRmT2_T3_mT4_T5_T6_T7_T8_P12ihipStream_tbENKUlT_T0_E_clISt17integral_constantIbLb0EESZ_EEDaSU_SV_EUlSU_E_NS1_11comp_targetILNS1_3genE10ELNS1_11target_archE1200ELNS1_3gpuE4ELNS1_3repE0EEENS1_30default_config_static_selectorELNS0_4arch9wavefront6targetE0EEEvT1_: ; @_ZN7rocprim17ROCPRIM_400000_NS6detail17trampoline_kernelINS0_14default_configENS1_33run_length_encode_config_selectorItjNS0_4plusIjEEEEZZNS1_33reduce_by_key_impl_wrapped_configILNS1_25lookback_scan_determinismE0ES3_S7_PKtNS0_17constant_iteratorIjlEEPtPlSF_S6_NS0_8equal_toItEEEE10hipError_tPvRmT2_T3_mT4_T5_T6_T7_T8_P12ihipStream_tbENKUlT_T0_E_clISt17integral_constantIbLb0EESZ_EEDaSU_SV_EUlSU_E_NS1_11comp_targetILNS1_3genE10ELNS1_11target_archE1200ELNS1_3gpuE4ELNS1_3repE0EEENS1_30default_config_static_selectorELNS0_4arch9wavefront6targetE0EEEvT1_
; %bb.0:
	.section	.rodata,"a",@progbits
	.p2align	6, 0x0
	.amdhsa_kernel _ZN7rocprim17ROCPRIM_400000_NS6detail17trampoline_kernelINS0_14default_configENS1_33run_length_encode_config_selectorItjNS0_4plusIjEEEEZZNS1_33reduce_by_key_impl_wrapped_configILNS1_25lookback_scan_determinismE0ES3_S7_PKtNS0_17constant_iteratorIjlEEPtPlSF_S6_NS0_8equal_toItEEEE10hipError_tPvRmT2_T3_mT4_T5_T6_T7_T8_P12ihipStream_tbENKUlT_T0_E_clISt17integral_constantIbLb0EESZ_EEDaSU_SV_EUlSU_E_NS1_11comp_targetILNS1_3genE10ELNS1_11target_archE1200ELNS1_3gpuE4ELNS1_3repE0EEENS1_30default_config_static_selectorELNS0_4arch9wavefront6targetE0EEEvT1_
		.amdhsa_group_segment_fixed_size 0
		.amdhsa_private_segment_fixed_size 0
		.amdhsa_kernarg_size 128
		.amdhsa_user_sgpr_count 2
		.amdhsa_user_sgpr_dispatch_ptr 0
		.amdhsa_user_sgpr_queue_ptr 0
		.amdhsa_user_sgpr_kernarg_segment_ptr 1
		.amdhsa_user_sgpr_dispatch_id 0
		.amdhsa_user_sgpr_kernarg_preload_length 0
		.amdhsa_user_sgpr_kernarg_preload_offset 0
		.amdhsa_user_sgpr_private_segment_size 0
		.amdhsa_wavefront_size32 1
		.amdhsa_uses_dynamic_stack 0
		.amdhsa_enable_private_segment 0
		.amdhsa_system_sgpr_workgroup_id_x 1
		.amdhsa_system_sgpr_workgroup_id_y 0
		.amdhsa_system_sgpr_workgroup_id_z 0
		.amdhsa_system_sgpr_workgroup_info 0
		.amdhsa_system_vgpr_workitem_id 0
		.amdhsa_next_free_vgpr 1
		.amdhsa_next_free_sgpr 1
		.amdhsa_named_barrier_count 0
		.amdhsa_reserve_vcc 0
		.amdhsa_float_round_mode_32 0
		.amdhsa_float_round_mode_16_64 0
		.amdhsa_float_denorm_mode_32 3
		.amdhsa_float_denorm_mode_16_64 3
		.amdhsa_fp16_overflow 0
		.amdhsa_memory_ordered 1
		.amdhsa_forward_progress 1
		.amdhsa_inst_pref_size 0
		.amdhsa_round_robin_scheduling 0
		.amdhsa_exception_fp_ieee_invalid_op 0
		.amdhsa_exception_fp_denorm_src 0
		.amdhsa_exception_fp_ieee_div_zero 0
		.amdhsa_exception_fp_ieee_overflow 0
		.amdhsa_exception_fp_ieee_underflow 0
		.amdhsa_exception_fp_ieee_inexact 0
		.amdhsa_exception_int_div_zero 0
	.end_amdhsa_kernel
	.section	.text._ZN7rocprim17ROCPRIM_400000_NS6detail17trampoline_kernelINS0_14default_configENS1_33run_length_encode_config_selectorItjNS0_4plusIjEEEEZZNS1_33reduce_by_key_impl_wrapped_configILNS1_25lookback_scan_determinismE0ES3_S7_PKtNS0_17constant_iteratorIjlEEPtPlSF_S6_NS0_8equal_toItEEEE10hipError_tPvRmT2_T3_mT4_T5_T6_T7_T8_P12ihipStream_tbENKUlT_T0_E_clISt17integral_constantIbLb0EESZ_EEDaSU_SV_EUlSU_E_NS1_11comp_targetILNS1_3genE10ELNS1_11target_archE1200ELNS1_3gpuE4ELNS1_3repE0EEENS1_30default_config_static_selectorELNS0_4arch9wavefront6targetE0EEEvT1_,"axG",@progbits,_ZN7rocprim17ROCPRIM_400000_NS6detail17trampoline_kernelINS0_14default_configENS1_33run_length_encode_config_selectorItjNS0_4plusIjEEEEZZNS1_33reduce_by_key_impl_wrapped_configILNS1_25lookback_scan_determinismE0ES3_S7_PKtNS0_17constant_iteratorIjlEEPtPlSF_S6_NS0_8equal_toItEEEE10hipError_tPvRmT2_T3_mT4_T5_T6_T7_T8_P12ihipStream_tbENKUlT_T0_E_clISt17integral_constantIbLb0EESZ_EEDaSU_SV_EUlSU_E_NS1_11comp_targetILNS1_3genE10ELNS1_11target_archE1200ELNS1_3gpuE4ELNS1_3repE0EEENS1_30default_config_static_selectorELNS0_4arch9wavefront6targetE0EEEvT1_,comdat
.Lfunc_end793:
	.size	_ZN7rocprim17ROCPRIM_400000_NS6detail17trampoline_kernelINS0_14default_configENS1_33run_length_encode_config_selectorItjNS0_4plusIjEEEEZZNS1_33reduce_by_key_impl_wrapped_configILNS1_25lookback_scan_determinismE0ES3_S7_PKtNS0_17constant_iteratorIjlEEPtPlSF_S6_NS0_8equal_toItEEEE10hipError_tPvRmT2_T3_mT4_T5_T6_T7_T8_P12ihipStream_tbENKUlT_T0_E_clISt17integral_constantIbLb0EESZ_EEDaSU_SV_EUlSU_E_NS1_11comp_targetILNS1_3genE10ELNS1_11target_archE1200ELNS1_3gpuE4ELNS1_3repE0EEENS1_30default_config_static_selectorELNS0_4arch9wavefront6targetE0EEEvT1_, .Lfunc_end793-_ZN7rocprim17ROCPRIM_400000_NS6detail17trampoline_kernelINS0_14default_configENS1_33run_length_encode_config_selectorItjNS0_4plusIjEEEEZZNS1_33reduce_by_key_impl_wrapped_configILNS1_25lookback_scan_determinismE0ES3_S7_PKtNS0_17constant_iteratorIjlEEPtPlSF_S6_NS0_8equal_toItEEEE10hipError_tPvRmT2_T3_mT4_T5_T6_T7_T8_P12ihipStream_tbENKUlT_T0_E_clISt17integral_constantIbLb0EESZ_EEDaSU_SV_EUlSU_E_NS1_11comp_targetILNS1_3genE10ELNS1_11target_archE1200ELNS1_3gpuE4ELNS1_3repE0EEENS1_30default_config_static_selectorELNS0_4arch9wavefront6targetE0EEEvT1_
                                        ; -- End function
	.set _ZN7rocprim17ROCPRIM_400000_NS6detail17trampoline_kernelINS0_14default_configENS1_33run_length_encode_config_selectorItjNS0_4plusIjEEEEZZNS1_33reduce_by_key_impl_wrapped_configILNS1_25lookback_scan_determinismE0ES3_S7_PKtNS0_17constant_iteratorIjlEEPtPlSF_S6_NS0_8equal_toItEEEE10hipError_tPvRmT2_T3_mT4_T5_T6_T7_T8_P12ihipStream_tbENKUlT_T0_E_clISt17integral_constantIbLb0EESZ_EEDaSU_SV_EUlSU_E_NS1_11comp_targetILNS1_3genE10ELNS1_11target_archE1200ELNS1_3gpuE4ELNS1_3repE0EEENS1_30default_config_static_selectorELNS0_4arch9wavefront6targetE0EEEvT1_.num_vgpr, 0
	.set _ZN7rocprim17ROCPRIM_400000_NS6detail17trampoline_kernelINS0_14default_configENS1_33run_length_encode_config_selectorItjNS0_4plusIjEEEEZZNS1_33reduce_by_key_impl_wrapped_configILNS1_25lookback_scan_determinismE0ES3_S7_PKtNS0_17constant_iteratorIjlEEPtPlSF_S6_NS0_8equal_toItEEEE10hipError_tPvRmT2_T3_mT4_T5_T6_T7_T8_P12ihipStream_tbENKUlT_T0_E_clISt17integral_constantIbLb0EESZ_EEDaSU_SV_EUlSU_E_NS1_11comp_targetILNS1_3genE10ELNS1_11target_archE1200ELNS1_3gpuE4ELNS1_3repE0EEENS1_30default_config_static_selectorELNS0_4arch9wavefront6targetE0EEEvT1_.num_agpr, 0
	.set _ZN7rocprim17ROCPRIM_400000_NS6detail17trampoline_kernelINS0_14default_configENS1_33run_length_encode_config_selectorItjNS0_4plusIjEEEEZZNS1_33reduce_by_key_impl_wrapped_configILNS1_25lookback_scan_determinismE0ES3_S7_PKtNS0_17constant_iteratorIjlEEPtPlSF_S6_NS0_8equal_toItEEEE10hipError_tPvRmT2_T3_mT4_T5_T6_T7_T8_P12ihipStream_tbENKUlT_T0_E_clISt17integral_constantIbLb0EESZ_EEDaSU_SV_EUlSU_E_NS1_11comp_targetILNS1_3genE10ELNS1_11target_archE1200ELNS1_3gpuE4ELNS1_3repE0EEENS1_30default_config_static_selectorELNS0_4arch9wavefront6targetE0EEEvT1_.numbered_sgpr, 0
	.set _ZN7rocprim17ROCPRIM_400000_NS6detail17trampoline_kernelINS0_14default_configENS1_33run_length_encode_config_selectorItjNS0_4plusIjEEEEZZNS1_33reduce_by_key_impl_wrapped_configILNS1_25lookback_scan_determinismE0ES3_S7_PKtNS0_17constant_iteratorIjlEEPtPlSF_S6_NS0_8equal_toItEEEE10hipError_tPvRmT2_T3_mT4_T5_T6_T7_T8_P12ihipStream_tbENKUlT_T0_E_clISt17integral_constantIbLb0EESZ_EEDaSU_SV_EUlSU_E_NS1_11comp_targetILNS1_3genE10ELNS1_11target_archE1200ELNS1_3gpuE4ELNS1_3repE0EEENS1_30default_config_static_selectorELNS0_4arch9wavefront6targetE0EEEvT1_.num_named_barrier, 0
	.set _ZN7rocprim17ROCPRIM_400000_NS6detail17trampoline_kernelINS0_14default_configENS1_33run_length_encode_config_selectorItjNS0_4plusIjEEEEZZNS1_33reduce_by_key_impl_wrapped_configILNS1_25lookback_scan_determinismE0ES3_S7_PKtNS0_17constant_iteratorIjlEEPtPlSF_S6_NS0_8equal_toItEEEE10hipError_tPvRmT2_T3_mT4_T5_T6_T7_T8_P12ihipStream_tbENKUlT_T0_E_clISt17integral_constantIbLb0EESZ_EEDaSU_SV_EUlSU_E_NS1_11comp_targetILNS1_3genE10ELNS1_11target_archE1200ELNS1_3gpuE4ELNS1_3repE0EEENS1_30default_config_static_selectorELNS0_4arch9wavefront6targetE0EEEvT1_.private_seg_size, 0
	.set _ZN7rocprim17ROCPRIM_400000_NS6detail17trampoline_kernelINS0_14default_configENS1_33run_length_encode_config_selectorItjNS0_4plusIjEEEEZZNS1_33reduce_by_key_impl_wrapped_configILNS1_25lookback_scan_determinismE0ES3_S7_PKtNS0_17constant_iteratorIjlEEPtPlSF_S6_NS0_8equal_toItEEEE10hipError_tPvRmT2_T3_mT4_T5_T6_T7_T8_P12ihipStream_tbENKUlT_T0_E_clISt17integral_constantIbLb0EESZ_EEDaSU_SV_EUlSU_E_NS1_11comp_targetILNS1_3genE10ELNS1_11target_archE1200ELNS1_3gpuE4ELNS1_3repE0EEENS1_30default_config_static_selectorELNS0_4arch9wavefront6targetE0EEEvT1_.uses_vcc, 0
	.set _ZN7rocprim17ROCPRIM_400000_NS6detail17trampoline_kernelINS0_14default_configENS1_33run_length_encode_config_selectorItjNS0_4plusIjEEEEZZNS1_33reduce_by_key_impl_wrapped_configILNS1_25lookback_scan_determinismE0ES3_S7_PKtNS0_17constant_iteratorIjlEEPtPlSF_S6_NS0_8equal_toItEEEE10hipError_tPvRmT2_T3_mT4_T5_T6_T7_T8_P12ihipStream_tbENKUlT_T0_E_clISt17integral_constantIbLb0EESZ_EEDaSU_SV_EUlSU_E_NS1_11comp_targetILNS1_3genE10ELNS1_11target_archE1200ELNS1_3gpuE4ELNS1_3repE0EEENS1_30default_config_static_selectorELNS0_4arch9wavefront6targetE0EEEvT1_.uses_flat_scratch, 0
	.set _ZN7rocprim17ROCPRIM_400000_NS6detail17trampoline_kernelINS0_14default_configENS1_33run_length_encode_config_selectorItjNS0_4plusIjEEEEZZNS1_33reduce_by_key_impl_wrapped_configILNS1_25lookback_scan_determinismE0ES3_S7_PKtNS0_17constant_iteratorIjlEEPtPlSF_S6_NS0_8equal_toItEEEE10hipError_tPvRmT2_T3_mT4_T5_T6_T7_T8_P12ihipStream_tbENKUlT_T0_E_clISt17integral_constantIbLb0EESZ_EEDaSU_SV_EUlSU_E_NS1_11comp_targetILNS1_3genE10ELNS1_11target_archE1200ELNS1_3gpuE4ELNS1_3repE0EEENS1_30default_config_static_selectorELNS0_4arch9wavefront6targetE0EEEvT1_.has_dyn_sized_stack, 0
	.set _ZN7rocprim17ROCPRIM_400000_NS6detail17trampoline_kernelINS0_14default_configENS1_33run_length_encode_config_selectorItjNS0_4plusIjEEEEZZNS1_33reduce_by_key_impl_wrapped_configILNS1_25lookback_scan_determinismE0ES3_S7_PKtNS0_17constant_iteratorIjlEEPtPlSF_S6_NS0_8equal_toItEEEE10hipError_tPvRmT2_T3_mT4_T5_T6_T7_T8_P12ihipStream_tbENKUlT_T0_E_clISt17integral_constantIbLb0EESZ_EEDaSU_SV_EUlSU_E_NS1_11comp_targetILNS1_3genE10ELNS1_11target_archE1200ELNS1_3gpuE4ELNS1_3repE0EEENS1_30default_config_static_selectorELNS0_4arch9wavefront6targetE0EEEvT1_.has_recursion, 0
	.set _ZN7rocprim17ROCPRIM_400000_NS6detail17trampoline_kernelINS0_14default_configENS1_33run_length_encode_config_selectorItjNS0_4plusIjEEEEZZNS1_33reduce_by_key_impl_wrapped_configILNS1_25lookback_scan_determinismE0ES3_S7_PKtNS0_17constant_iteratorIjlEEPtPlSF_S6_NS0_8equal_toItEEEE10hipError_tPvRmT2_T3_mT4_T5_T6_T7_T8_P12ihipStream_tbENKUlT_T0_E_clISt17integral_constantIbLb0EESZ_EEDaSU_SV_EUlSU_E_NS1_11comp_targetILNS1_3genE10ELNS1_11target_archE1200ELNS1_3gpuE4ELNS1_3repE0EEENS1_30default_config_static_selectorELNS0_4arch9wavefront6targetE0EEEvT1_.has_indirect_call, 0
	.section	.AMDGPU.csdata,"",@progbits
; Kernel info:
; codeLenInByte = 0
; TotalNumSgprs: 0
; NumVgprs: 0
; ScratchSize: 0
; MemoryBound: 0
; FloatMode: 240
; IeeeMode: 1
; LDSByteSize: 0 bytes/workgroup (compile time only)
; SGPRBlocks: 0
; VGPRBlocks: 0
; NumSGPRsForWavesPerEU: 1
; NumVGPRsForWavesPerEU: 1
; NamedBarCnt: 0
; Occupancy: 16
; WaveLimiterHint : 0
; COMPUTE_PGM_RSRC2:SCRATCH_EN: 0
; COMPUTE_PGM_RSRC2:USER_SGPR: 2
; COMPUTE_PGM_RSRC2:TRAP_HANDLER: 0
; COMPUTE_PGM_RSRC2:TGID_X_EN: 1
; COMPUTE_PGM_RSRC2:TGID_Y_EN: 0
; COMPUTE_PGM_RSRC2:TGID_Z_EN: 0
; COMPUTE_PGM_RSRC2:TIDIG_COMP_CNT: 0
	.section	.text._ZN7rocprim17ROCPRIM_400000_NS6detail17trampoline_kernelINS0_14default_configENS1_33run_length_encode_config_selectorItjNS0_4plusIjEEEEZZNS1_33reduce_by_key_impl_wrapped_configILNS1_25lookback_scan_determinismE0ES3_S7_PKtNS0_17constant_iteratorIjlEEPtPlSF_S6_NS0_8equal_toItEEEE10hipError_tPvRmT2_T3_mT4_T5_T6_T7_T8_P12ihipStream_tbENKUlT_T0_E_clISt17integral_constantIbLb0EESZ_EEDaSU_SV_EUlSU_E_NS1_11comp_targetILNS1_3genE9ELNS1_11target_archE1100ELNS1_3gpuE3ELNS1_3repE0EEENS1_30default_config_static_selectorELNS0_4arch9wavefront6targetE0EEEvT1_,"axG",@progbits,_ZN7rocprim17ROCPRIM_400000_NS6detail17trampoline_kernelINS0_14default_configENS1_33run_length_encode_config_selectorItjNS0_4plusIjEEEEZZNS1_33reduce_by_key_impl_wrapped_configILNS1_25lookback_scan_determinismE0ES3_S7_PKtNS0_17constant_iteratorIjlEEPtPlSF_S6_NS0_8equal_toItEEEE10hipError_tPvRmT2_T3_mT4_T5_T6_T7_T8_P12ihipStream_tbENKUlT_T0_E_clISt17integral_constantIbLb0EESZ_EEDaSU_SV_EUlSU_E_NS1_11comp_targetILNS1_3genE9ELNS1_11target_archE1100ELNS1_3gpuE3ELNS1_3repE0EEENS1_30default_config_static_selectorELNS0_4arch9wavefront6targetE0EEEvT1_,comdat
	.protected	_ZN7rocprim17ROCPRIM_400000_NS6detail17trampoline_kernelINS0_14default_configENS1_33run_length_encode_config_selectorItjNS0_4plusIjEEEEZZNS1_33reduce_by_key_impl_wrapped_configILNS1_25lookback_scan_determinismE0ES3_S7_PKtNS0_17constant_iteratorIjlEEPtPlSF_S6_NS0_8equal_toItEEEE10hipError_tPvRmT2_T3_mT4_T5_T6_T7_T8_P12ihipStream_tbENKUlT_T0_E_clISt17integral_constantIbLb0EESZ_EEDaSU_SV_EUlSU_E_NS1_11comp_targetILNS1_3genE9ELNS1_11target_archE1100ELNS1_3gpuE3ELNS1_3repE0EEENS1_30default_config_static_selectorELNS0_4arch9wavefront6targetE0EEEvT1_ ; -- Begin function _ZN7rocprim17ROCPRIM_400000_NS6detail17trampoline_kernelINS0_14default_configENS1_33run_length_encode_config_selectorItjNS0_4plusIjEEEEZZNS1_33reduce_by_key_impl_wrapped_configILNS1_25lookback_scan_determinismE0ES3_S7_PKtNS0_17constant_iteratorIjlEEPtPlSF_S6_NS0_8equal_toItEEEE10hipError_tPvRmT2_T3_mT4_T5_T6_T7_T8_P12ihipStream_tbENKUlT_T0_E_clISt17integral_constantIbLb0EESZ_EEDaSU_SV_EUlSU_E_NS1_11comp_targetILNS1_3genE9ELNS1_11target_archE1100ELNS1_3gpuE3ELNS1_3repE0EEENS1_30default_config_static_selectorELNS0_4arch9wavefront6targetE0EEEvT1_
	.globl	_ZN7rocprim17ROCPRIM_400000_NS6detail17trampoline_kernelINS0_14default_configENS1_33run_length_encode_config_selectorItjNS0_4plusIjEEEEZZNS1_33reduce_by_key_impl_wrapped_configILNS1_25lookback_scan_determinismE0ES3_S7_PKtNS0_17constant_iteratorIjlEEPtPlSF_S6_NS0_8equal_toItEEEE10hipError_tPvRmT2_T3_mT4_T5_T6_T7_T8_P12ihipStream_tbENKUlT_T0_E_clISt17integral_constantIbLb0EESZ_EEDaSU_SV_EUlSU_E_NS1_11comp_targetILNS1_3genE9ELNS1_11target_archE1100ELNS1_3gpuE3ELNS1_3repE0EEENS1_30default_config_static_selectorELNS0_4arch9wavefront6targetE0EEEvT1_
	.p2align	8
	.type	_ZN7rocprim17ROCPRIM_400000_NS6detail17trampoline_kernelINS0_14default_configENS1_33run_length_encode_config_selectorItjNS0_4plusIjEEEEZZNS1_33reduce_by_key_impl_wrapped_configILNS1_25lookback_scan_determinismE0ES3_S7_PKtNS0_17constant_iteratorIjlEEPtPlSF_S6_NS0_8equal_toItEEEE10hipError_tPvRmT2_T3_mT4_T5_T6_T7_T8_P12ihipStream_tbENKUlT_T0_E_clISt17integral_constantIbLb0EESZ_EEDaSU_SV_EUlSU_E_NS1_11comp_targetILNS1_3genE9ELNS1_11target_archE1100ELNS1_3gpuE3ELNS1_3repE0EEENS1_30default_config_static_selectorELNS0_4arch9wavefront6targetE0EEEvT1_,@function
_ZN7rocprim17ROCPRIM_400000_NS6detail17trampoline_kernelINS0_14default_configENS1_33run_length_encode_config_selectorItjNS0_4plusIjEEEEZZNS1_33reduce_by_key_impl_wrapped_configILNS1_25lookback_scan_determinismE0ES3_S7_PKtNS0_17constant_iteratorIjlEEPtPlSF_S6_NS0_8equal_toItEEEE10hipError_tPvRmT2_T3_mT4_T5_T6_T7_T8_P12ihipStream_tbENKUlT_T0_E_clISt17integral_constantIbLb0EESZ_EEDaSU_SV_EUlSU_E_NS1_11comp_targetILNS1_3genE9ELNS1_11target_archE1100ELNS1_3gpuE3ELNS1_3repE0EEENS1_30default_config_static_selectorELNS0_4arch9wavefront6targetE0EEEvT1_: ; @_ZN7rocprim17ROCPRIM_400000_NS6detail17trampoline_kernelINS0_14default_configENS1_33run_length_encode_config_selectorItjNS0_4plusIjEEEEZZNS1_33reduce_by_key_impl_wrapped_configILNS1_25lookback_scan_determinismE0ES3_S7_PKtNS0_17constant_iteratorIjlEEPtPlSF_S6_NS0_8equal_toItEEEE10hipError_tPvRmT2_T3_mT4_T5_T6_T7_T8_P12ihipStream_tbENKUlT_T0_E_clISt17integral_constantIbLb0EESZ_EEDaSU_SV_EUlSU_E_NS1_11comp_targetILNS1_3genE9ELNS1_11target_archE1100ELNS1_3gpuE3ELNS1_3repE0EEENS1_30default_config_static_selectorELNS0_4arch9wavefront6targetE0EEEvT1_
; %bb.0:
	.section	.rodata,"a",@progbits
	.p2align	6, 0x0
	.amdhsa_kernel _ZN7rocprim17ROCPRIM_400000_NS6detail17trampoline_kernelINS0_14default_configENS1_33run_length_encode_config_selectorItjNS0_4plusIjEEEEZZNS1_33reduce_by_key_impl_wrapped_configILNS1_25lookback_scan_determinismE0ES3_S7_PKtNS0_17constant_iteratorIjlEEPtPlSF_S6_NS0_8equal_toItEEEE10hipError_tPvRmT2_T3_mT4_T5_T6_T7_T8_P12ihipStream_tbENKUlT_T0_E_clISt17integral_constantIbLb0EESZ_EEDaSU_SV_EUlSU_E_NS1_11comp_targetILNS1_3genE9ELNS1_11target_archE1100ELNS1_3gpuE3ELNS1_3repE0EEENS1_30default_config_static_selectorELNS0_4arch9wavefront6targetE0EEEvT1_
		.amdhsa_group_segment_fixed_size 0
		.amdhsa_private_segment_fixed_size 0
		.amdhsa_kernarg_size 128
		.amdhsa_user_sgpr_count 2
		.amdhsa_user_sgpr_dispatch_ptr 0
		.amdhsa_user_sgpr_queue_ptr 0
		.amdhsa_user_sgpr_kernarg_segment_ptr 1
		.amdhsa_user_sgpr_dispatch_id 0
		.amdhsa_user_sgpr_kernarg_preload_length 0
		.amdhsa_user_sgpr_kernarg_preload_offset 0
		.amdhsa_user_sgpr_private_segment_size 0
		.amdhsa_wavefront_size32 1
		.amdhsa_uses_dynamic_stack 0
		.amdhsa_enable_private_segment 0
		.amdhsa_system_sgpr_workgroup_id_x 1
		.amdhsa_system_sgpr_workgroup_id_y 0
		.amdhsa_system_sgpr_workgroup_id_z 0
		.amdhsa_system_sgpr_workgroup_info 0
		.amdhsa_system_vgpr_workitem_id 0
		.amdhsa_next_free_vgpr 1
		.amdhsa_next_free_sgpr 1
		.amdhsa_named_barrier_count 0
		.amdhsa_reserve_vcc 0
		.amdhsa_float_round_mode_32 0
		.amdhsa_float_round_mode_16_64 0
		.amdhsa_float_denorm_mode_32 3
		.amdhsa_float_denorm_mode_16_64 3
		.amdhsa_fp16_overflow 0
		.amdhsa_memory_ordered 1
		.amdhsa_forward_progress 1
		.amdhsa_inst_pref_size 0
		.amdhsa_round_robin_scheduling 0
		.amdhsa_exception_fp_ieee_invalid_op 0
		.amdhsa_exception_fp_denorm_src 0
		.amdhsa_exception_fp_ieee_div_zero 0
		.amdhsa_exception_fp_ieee_overflow 0
		.amdhsa_exception_fp_ieee_underflow 0
		.amdhsa_exception_fp_ieee_inexact 0
		.amdhsa_exception_int_div_zero 0
	.end_amdhsa_kernel
	.section	.text._ZN7rocprim17ROCPRIM_400000_NS6detail17trampoline_kernelINS0_14default_configENS1_33run_length_encode_config_selectorItjNS0_4plusIjEEEEZZNS1_33reduce_by_key_impl_wrapped_configILNS1_25lookback_scan_determinismE0ES3_S7_PKtNS0_17constant_iteratorIjlEEPtPlSF_S6_NS0_8equal_toItEEEE10hipError_tPvRmT2_T3_mT4_T5_T6_T7_T8_P12ihipStream_tbENKUlT_T0_E_clISt17integral_constantIbLb0EESZ_EEDaSU_SV_EUlSU_E_NS1_11comp_targetILNS1_3genE9ELNS1_11target_archE1100ELNS1_3gpuE3ELNS1_3repE0EEENS1_30default_config_static_selectorELNS0_4arch9wavefront6targetE0EEEvT1_,"axG",@progbits,_ZN7rocprim17ROCPRIM_400000_NS6detail17trampoline_kernelINS0_14default_configENS1_33run_length_encode_config_selectorItjNS0_4plusIjEEEEZZNS1_33reduce_by_key_impl_wrapped_configILNS1_25lookback_scan_determinismE0ES3_S7_PKtNS0_17constant_iteratorIjlEEPtPlSF_S6_NS0_8equal_toItEEEE10hipError_tPvRmT2_T3_mT4_T5_T6_T7_T8_P12ihipStream_tbENKUlT_T0_E_clISt17integral_constantIbLb0EESZ_EEDaSU_SV_EUlSU_E_NS1_11comp_targetILNS1_3genE9ELNS1_11target_archE1100ELNS1_3gpuE3ELNS1_3repE0EEENS1_30default_config_static_selectorELNS0_4arch9wavefront6targetE0EEEvT1_,comdat
.Lfunc_end794:
	.size	_ZN7rocprim17ROCPRIM_400000_NS6detail17trampoline_kernelINS0_14default_configENS1_33run_length_encode_config_selectorItjNS0_4plusIjEEEEZZNS1_33reduce_by_key_impl_wrapped_configILNS1_25lookback_scan_determinismE0ES3_S7_PKtNS0_17constant_iteratorIjlEEPtPlSF_S6_NS0_8equal_toItEEEE10hipError_tPvRmT2_T3_mT4_T5_T6_T7_T8_P12ihipStream_tbENKUlT_T0_E_clISt17integral_constantIbLb0EESZ_EEDaSU_SV_EUlSU_E_NS1_11comp_targetILNS1_3genE9ELNS1_11target_archE1100ELNS1_3gpuE3ELNS1_3repE0EEENS1_30default_config_static_selectorELNS0_4arch9wavefront6targetE0EEEvT1_, .Lfunc_end794-_ZN7rocprim17ROCPRIM_400000_NS6detail17trampoline_kernelINS0_14default_configENS1_33run_length_encode_config_selectorItjNS0_4plusIjEEEEZZNS1_33reduce_by_key_impl_wrapped_configILNS1_25lookback_scan_determinismE0ES3_S7_PKtNS0_17constant_iteratorIjlEEPtPlSF_S6_NS0_8equal_toItEEEE10hipError_tPvRmT2_T3_mT4_T5_T6_T7_T8_P12ihipStream_tbENKUlT_T0_E_clISt17integral_constantIbLb0EESZ_EEDaSU_SV_EUlSU_E_NS1_11comp_targetILNS1_3genE9ELNS1_11target_archE1100ELNS1_3gpuE3ELNS1_3repE0EEENS1_30default_config_static_selectorELNS0_4arch9wavefront6targetE0EEEvT1_
                                        ; -- End function
	.set _ZN7rocprim17ROCPRIM_400000_NS6detail17trampoline_kernelINS0_14default_configENS1_33run_length_encode_config_selectorItjNS0_4plusIjEEEEZZNS1_33reduce_by_key_impl_wrapped_configILNS1_25lookback_scan_determinismE0ES3_S7_PKtNS0_17constant_iteratorIjlEEPtPlSF_S6_NS0_8equal_toItEEEE10hipError_tPvRmT2_T3_mT4_T5_T6_T7_T8_P12ihipStream_tbENKUlT_T0_E_clISt17integral_constantIbLb0EESZ_EEDaSU_SV_EUlSU_E_NS1_11comp_targetILNS1_3genE9ELNS1_11target_archE1100ELNS1_3gpuE3ELNS1_3repE0EEENS1_30default_config_static_selectorELNS0_4arch9wavefront6targetE0EEEvT1_.num_vgpr, 0
	.set _ZN7rocprim17ROCPRIM_400000_NS6detail17trampoline_kernelINS0_14default_configENS1_33run_length_encode_config_selectorItjNS0_4plusIjEEEEZZNS1_33reduce_by_key_impl_wrapped_configILNS1_25lookback_scan_determinismE0ES3_S7_PKtNS0_17constant_iteratorIjlEEPtPlSF_S6_NS0_8equal_toItEEEE10hipError_tPvRmT2_T3_mT4_T5_T6_T7_T8_P12ihipStream_tbENKUlT_T0_E_clISt17integral_constantIbLb0EESZ_EEDaSU_SV_EUlSU_E_NS1_11comp_targetILNS1_3genE9ELNS1_11target_archE1100ELNS1_3gpuE3ELNS1_3repE0EEENS1_30default_config_static_selectorELNS0_4arch9wavefront6targetE0EEEvT1_.num_agpr, 0
	.set _ZN7rocprim17ROCPRIM_400000_NS6detail17trampoline_kernelINS0_14default_configENS1_33run_length_encode_config_selectorItjNS0_4plusIjEEEEZZNS1_33reduce_by_key_impl_wrapped_configILNS1_25lookback_scan_determinismE0ES3_S7_PKtNS0_17constant_iteratorIjlEEPtPlSF_S6_NS0_8equal_toItEEEE10hipError_tPvRmT2_T3_mT4_T5_T6_T7_T8_P12ihipStream_tbENKUlT_T0_E_clISt17integral_constantIbLb0EESZ_EEDaSU_SV_EUlSU_E_NS1_11comp_targetILNS1_3genE9ELNS1_11target_archE1100ELNS1_3gpuE3ELNS1_3repE0EEENS1_30default_config_static_selectorELNS0_4arch9wavefront6targetE0EEEvT1_.numbered_sgpr, 0
	.set _ZN7rocprim17ROCPRIM_400000_NS6detail17trampoline_kernelINS0_14default_configENS1_33run_length_encode_config_selectorItjNS0_4plusIjEEEEZZNS1_33reduce_by_key_impl_wrapped_configILNS1_25lookback_scan_determinismE0ES3_S7_PKtNS0_17constant_iteratorIjlEEPtPlSF_S6_NS0_8equal_toItEEEE10hipError_tPvRmT2_T3_mT4_T5_T6_T7_T8_P12ihipStream_tbENKUlT_T0_E_clISt17integral_constantIbLb0EESZ_EEDaSU_SV_EUlSU_E_NS1_11comp_targetILNS1_3genE9ELNS1_11target_archE1100ELNS1_3gpuE3ELNS1_3repE0EEENS1_30default_config_static_selectorELNS0_4arch9wavefront6targetE0EEEvT1_.num_named_barrier, 0
	.set _ZN7rocprim17ROCPRIM_400000_NS6detail17trampoline_kernelINS0_14default_configENS1_33run_length_encode_config_selectorItjNS0_4plusIjEEEEZZNS1_33reduce_by_key_impl_wrapped_configILNS1_25lookback_scan_determinismE0ES3_S7_PKtNS0_17constant_iteratorIjlEEPtPlSF_S6_NS0_8equal_toItEEEE10hipError_tPvRmT2_T3_mT4_T5_T6_T7_T8_P12ihipStream_tbENKUlT_T0_E_clISt17integral_constantIbLb0EESZ_EEDaSU_SV_EUlSU_E_NS1_11comp_targetILNS1_3genE9ELNS1_11target_archE1100ELNS1_3gpuE3ELNS1_3repE0EEENS1_30default_config_static_selectorELNS0_4arch9wavefront6targetE0EEEvT1_.private_seg_size, 0
	.set _ZN7rocprim17ROCPRIM_400000_NS6detail17trampoline_kernelINS0_14default_configENS1_33run_length_encode_config_selectorItjNS0_4plusIjEEEEZZNS1_33reduce_by_key_impl_wrapped_configILNS1_25lookback_scan_determinismE0ES3_S7_PKtNS0_17constant_iteratorIjlEEPtPlSF_S6_NS0_8equal_toItEEEE10hipError_tPvRmT2_T3_mT4_T5_T6_T7_T8_P12ihipStream_tbENKUlT_T0_E_clISt17integral_constantIbLb0EESZ_EEDaSU_SV_EUlSU_E_NS1_11comp_targetILNS1_3genE9ELNS1_11target_archE1100ELNS1_3gpuE3ELNS1_3repE0EEENS1_30default_config_static_selectorELNS0_4arch9wavefront6targetE0EEEvT1_.uses_vcc, 0
	.set _ZN7rocprim17ROCPRIM_400000_NS6detail17trampoline_kernelINS0_14default_configENS1_33run_length_encode_config_selectorItjNS0_4plusIjEEEEZZNS1_33reduce_by_key_impl_wrapped_configILNS1_25lookback_scan_determinismE0ES3_S7_PKtNS0_17constant_iteratorIjlEEPtPlSF_S6_NS0_8equal_toItEEEE10hipError_tPvRmT2_T3_mT4_T5_T6_T7_T8_P12ihipStream_tbENKUlT_T0_E_clISt17integral_constantIbLb0EESZ_EEDaSU_SV_EUlSU_E_NS1_11comp_targetILNS1_3genE9ELNS1_11target_archE1100ELNS1_3gpuE3ELNS1_3repE0EEENS1_30default_config_static_selectorELNS0_4arch9wavefront6targetE0EEEvT1_.uses_flat_scratch, 0
	.set _ZN7rocprim17ROCPRIM_400000_NS6detail17trampoline_kernelINS0_14default_configENS1_33run_length_encode_config_selectorItjNS0_4plusIjEEEEZZNS1_33reduce_by_key_impl_wrapped_configILNS1_25lookback_scan_determinismE0ES3_S7_PKtNS0_17constant_iteratorIjlEEPtPlSF_S6_NS0_8equal_toItEEEE10hipError_tPvRmT2_T3_mT4_T5_T6_T7_T8_P12ihipStream_tbENKUlT_T0_E_clISt17integral_constantIbLb0EESZ_EEDaSU_SV_EUlSU_E_NS1_11comp_targetILNS1_3genE9ELNS1_11target_archE1100ELNS1_3gpuE3ELNS1_3repE0EEENS1_30default_config_static_selectorELNS0_4arch9wavefront6targetE0EEEvT1_.has_dyn_sized_stack, 0
	.set _ZN7rocprim17ROCPRIM_400000_NS6detail17trampoline_kernelINS0_14default_configENS1_33run_length_encode_config_selectorItjNS0_4plusIjEEEEZZNS1_33reduce_by_key_impl_wrapped_configILNS1_25lookback_scan_determinismE0ES3_S7_PKtNS0_17constant_iteratorIjlEEPtPlSF_S6_NS0_8equal_toItEEEE10hipError_tPvRmT2_T3_mT4_T5_T6_T7_T8_P12ihipStream_tbENKUlT_T0_E_clISt17integral_constantIbLb0EESZ_EEDaSU_SV_EUlSU_E_NS1_11comp_targetILNS1_3genE9ELNS1_11target_archE1100ELNS1_3gpuE3ELNS1_3repE0EEENS1_30default_config_static_selectorELNS0_4arch9wavefront6targetE0EEEvT1_.has_recursion, 0
	.set _ZN7rocprim17ROCPRIM_400000_NS6detail17trampoline_kernelINS0_14default_configENS1_33run_length_encode_config_selectorItjNS0_4plusIjEEEEZZNS1_33reduce_by_key_impl_wrapped_configILNS1_25lookback_scan_determinismE0ES3_S7_PKtNS0_17constant_iteratorIjlEEPtPlSF_S6_NS0_8equal_toItEEEE10hipError_tPvRmT2_T3_mT4_T5_T6_T7_T8_P12ihipStream_tbENKUlT_T0_E_clISt17integral_constantIbLb0EESZ_EEDaSU_SV_EUlSU_E_NS1_11comp_targetILNS1_3genE9ELNS1_11target_archE1100ELNS1_3gpuE3ELNS1_3repE0EEENS1_30default_config_static_selectorELNS0_4arch9wavefront6targetE0EEEvT1_.has_indirect_call, 0
	.section	.AMDGPU.csdata,"",@progbits
; Kernel info:
; codeLenInByte = 0
; TotalNumSgprs: 0
; NumVgprs: 0
; ScratchSize: 0
; MemoryBound: 0
; FloatMode: 240
; IeeeMode: 1
; LDSByteSize: 0 bytes/workgroup (compile time only)
; SGPRBlocks: 0
; VGPRBlocks: 0
; NumSGPRsForWavesPerEU: 1
; NumVGPRsForWavesPerEU: 1
; NamedBarCnt: 0
; Occupancy: 16
; WaveLimiterHint : 0
; COMPUTE_PGM_RSRC2:SCRATCH_EN: 0
; COMPUTE_PGM_RSRC2:USER_SGPR: 2
; COMPUTE_PGM_RSRC2:TRAP_HANDLER: 0
; COMPUTE_PGM_RSRC2:TGID_X_EN: 1
; COMPUTE_PGM_RSRC2:TGID_Y_EN: 0
; COMPUTE_PGM_RSRC2:TGID_Z_EN: 0
; COMPUTE_PGM_RSRC2:TIDIG_COMP_CNT: 0
	.section	.text._ZN7rocprim17ROCPRIM_400000_NS6detail17trampoline_kernelINS0_14default_configENS1_33run_length_encode_config_selectorItjNS0_4plusIjEEEEZZNS1_33reduce_by_key_impl_wrapped_configILNS1_25lookback_scan_determinismE0ES3_S7_PKtNS0_17constant_iteratorIjlEEPtPlSF_S6_NS0_8equal_toItEEEE10hipError_tPvRmT2_T3_mT4_T5_T6_T7_T8_P12ihipStream_tbENKUlT_T0_E_clISt17integral_constantIbLb0EESZ_EEDaSU_SV_EUlSU_E_NS1_11comp_targetILNS1_3genE8ELNS1_11target_archE1030ELNS1_3gpuE2ELNS1_3repE0EEENS1_30default_config_static_selectorELNS0_4arch9wavefront6targetE0EEEvT1_,"axG",@progbits,_ZN7rocprim17ROCPRIM_400000_NS6detail17trampoline_kernelINS0_14default_configENS1_33run_length_encode_config_selectorItjNS0_4plusIjEEEEZZNS1_33reduce_by_key_impl_wrapped_configILNS1_25lookback_scan_determinismE0ES3_S7_PKtNS0_17constant_iteratorIjlEEPtPlSF_S6_NS0_8equal_toItEEEE10hipError_tPvRmT2_T3_mT4_T5_T6_T7_T8_P12ihipStream_tbENKUlT_T0_E_clISt17integral_constantIbLb0EESZ_EEDaSU_SV_EUlSU_E_NS1_11comp_targetILNS1_3genE8ELNS1_11target_archE1030ELNS1_3gpuE2ELNS1_3repE0EEENS1_30default_config_static_selectorELNS0_4arch9wavefront6targetE0EEEvT1_,comdat
	.protected	_ZN7rocprim17ROCPRIM_400000_NS6detail17trampoline_kernelINS0_14default_configENS1_33run_length_encode_config_selectorItjNS0_4plusIjEEEEZZNS1_33reduce_by_key_impl_wrapped_configILNS1_25lookback_scan_determinismE0ES3_S7_PKtNS0_17constant_iteratorIjlEEPtPlSF_S6_NS0_8equal_toItEEEE10hipError_tPvRmT2_T3_mT4_T5_T6_T7_T8_P12ihipStream_tbENKUlT_T0_E_clISt17integral_constantIbLb0EESZ_EEDaSU_SV_EUlSU_E_NS1_11comp_targetILNS1_3genE8ELNS1_11target_archE1030ELNS1_3gpuE2ELNS1_3repE0EEENS1_30default_config_static_selectorELNS0_4arch9wavefront6targetE0EEEvT1_ ; -- Begin function _ZN7rocprim17ROCPRIM_400000_NS6detail17trampoline_kernelINS0_14default_configENS1_33run_length_encode_config_selectorItjNS0_4plusIjEEEEZZNS1_33reduce_by_key_impl_wrapped_configILNS1_25lookback_scan_determinismE0ES3_S7_PKtNS0_17constant_iteratorIjlEEPtPlSF_S6_NS0_8equal_toItEEEE10hipError_tPvRmT2_T3_mT4_T5_T6_T7_T8_P12ihipStream_tbENKUlT_T0_E_clISt17integral_constantIbLb0EESZ_EEDaSU_SV_EUlSU_E_NS1_11comp_targetILNS1_3genE8ELNS1_11target_archE1030ELNS1_3gpuE2ELNS1_3repE0EEENS1_30default_config_static_selectorELNS0_4arch9wavefront6targetE0EEEvT1_
	.globl	_ZN7rocprim17ROCPRIM_400000_NS6detail17trampoline_kernelINS0_14default_configENS1_33run_length_encode_config_selectorItjNS0_4plusIjEEEEZZNS1_33reduce_by_key_impl_wrapped_configILNS1_25lookback_scan_determinismE0ES3_S7_PKtNS0_17constant_iteratorIjlEEPtPlSF_S6_NS0_8equal_toItEEEE10hipError_tPvRmT2_T3_mT4_T5_T6_T7_T8_P12ihipStream_tbENKUlT_T0_E_clISt17integral_constantIbLb0EESZ_EEDaSU_SV_EUlSU_E_NS1_11comp_targetILNS1_3genE8ELNS1_11target_archE1030ELNS1_3gpuE2ELNS1_3repE0EEENS1_30default_config_static_selectorELNS0_4arch9wavefront6targetE0EEEvT1_
	.p2align	8
	.type	_ZN7rocprim17ROCPRIM_400000_NS6detail17trampoline_kernelINS0_14default_configENS1_33run_length_encode_config_selectorItjNS0_4plusIjEEEEZZNS1_33reduce_by_key_impl_wrapped_configILNS1_25lookback_scan_determinismE0ES3_S7_PKtNS0_17constant_iteratorIjlEEPtPlSF_S6_NS0_8equal_toItEEEE10hipError_tPvRmT2_T3_mT4_T5_T6_T7_T8_P12ihipStream_tbENKUlT_T0_E_clISt17integral_constantIbLb0EESZ_EEDaSU_SV_EUlSU_E_NS1_11comp_targetILNS1_3genE8ELNS1_11target_archE1030ELNS1_3gpuE2ELNS1_3repE0EEENS1_30default_config_static_selectorELNS0_4arch9wavefront6targetE0EEEvT1_,@function
_ZN7rocprim17ROCPRIM_400000_NS6detail17trampoline_kernelINS0_14default_configENS1_33run_length_encode_config_selectorItjNS0_4plusIjEEEEZZNS1_33reduce_by_key_impl_wrapped_configILNS1_25lookback_scan_determinismE0ES3_S7_PKtNS0_17constant_iteratorIjlEEPtPlSF_S6_NS0_8equal_toItEEEE10hipError_tPvRmT2_T3_mT4_T5_T6_T7_T8_P12ihipStream_tbENKUlT_T0_E_clISt17integral_constantIbLb0EESZ_EEDaSU_SV_EUlSU_E_NS1_11comp_targetILNS1_3genE8ELNS1_11target_archE1030ELNS1_3gpuE2ELNS1_3repE0EEENS1_30default_config_static_selectorELNS0_4arch9wavefront6targetE0EEEvT1_: ; @_ZN7rocprim17ROCPRIM_400000_NS6detail17trampoline_kernelINS0_14default_configENS1_33run_length_encode_config_selectorItjNS0_4plusIjEEEEZZNS1_33reduce_by_key_impl_wrapped_configILNS1_25lookback_scan_determinismE0ES3_S7_PKtNS0_17constant_iteratorIjlEEPtPlSF_S6_NS0_8equal_toItEEEE10hipError_tPvRmT2_T3_mT4_T5_T6_T7_T8_P12ihipStream_tbENKUlT_T0_E_clISt17integral_constantIbLb0EESZ_EEDaSU_SV_EUlSU_E_NS1_11comp_targetILNS1_3genE8ELNS1_11target_archE1030ELNS1_3gpuE2ELNS1_3repE0EEENS1_30default_config_static_selectorELNS0_4arch9wavefront6targetE0EEEvT1_
; %bb.0:
	.section	.rodata,"a",@progbits
	.p2align	6, 0x0
	.amdhsa_kernel _ZN7rocprim17ROCPRIM_400000_NS6detail17trampoline_kernelINS0_14default_configENS1_33run_length_encode_config_selectorItjNS0_4plusIjEEEEZZNS1_33reduce_by_key_impl_wrapped_configILNS1_25lookback_scan_determinismE0ES3_S7_PKtNS0_17constant_iteratorIjlEEPtPlSF_S6_NS0_8equal_toItEEEE10hipError_tPvRmT2_T3_mT4_T5_T6_T7_T8_P12ihipStream_tbENKUlT_T0_E_clISt17integral_constantIbLb0EESZ_EEDaSU_SV_EUlSU_E_NS1_11comp_targetILNS1_3genE8ELNS1_11target_archE1030ELNS1_3gpuE2ELNS1_3repE0EEENS1_30default_config_static_selectorELNS0_4arch9wavefront6targetE0EEEvT1_
		.amdhsa_group_segment_fixed_size 0
		.amdhsa_private_segment_fixed_size 0
		.amdhsa_kernarg_size 128
		.amdhsa_user_sgpr_count 2
		.amdhsa_user_sgpr_dispatch_ptr 0
		.amdhsa_user_sgpr_queue_ptr 0
		.amdhsa_user_sgpr_kernarg_segment_ptr 1
		.amdhsa_user_sgpr_dispatch_id 0
		.amdhsa_user_sgpr_kernarg_preload_length 0
		.amdhsa_user_sgpr_kernarg_preload_offset 0
		.amdhsa_user_sgpr_private_segment_size 0
		.amdhsa_wavefront_size32 1
		.amdhsa_uses_dynamic_stack 0
		.amdhsa_enable_private_segment 0
		.amdhsa_system_sgpr_workgroup_id_x 1
		.amdhsa_system_sgpr_workgroup_id_y 0
		.amdhsa_system_sgpr_workgroup_id_z 0
		.amdhsa_system_sgpr_workgroup_info 0
		.amdhsa_system_vgpr_workitem_id 0
		.amdhsa_next_free_vgpr 1
		.amdhsa_next_free_sgpr 1
		.amdhsa_named_barrier_count 0
		.amdhsa_reserve_vcc 0
		.amdhsa_float_round_mode_32 0
		.amdhsa_float_round_mode_16_64 0
		.amdhsa_float_denorm_mode_32 3
		.amdhsa_float_denorm_mode_16_64 3
		.amdhsa_fp16_overflow 0
		.amdhsa_memory_ordered 1
		.amdhsa_forward_progress 1
		.amdhsa_inst_pref_size 0
		.amdhsa_round_robin_scheduling 0
		.amdhsa_exception_fp_ieee_invalid_op 0
		.amdhsa_exception_fp_denorm_src 0
		.amdhsa_exception_fp_ieee_div_zero 0
		.amdhsa_exception_fp_ieee_overflow 0
		.amdhsa_exception_fp_ieee_underflow 0
		.amdhsa_exception_fp_ieee_inexact 0
		.amdhsa_exception_int_div_zero 0
	.end_amdhsa_kernel
	.section	.text._ZN7rocprim17ROCPRIM_400000_NS6detail17trampoline_kernelINS0_14default_configENS1_33run_length_encode_config_selectorItjNS0_4plusIjEEEEZZNS1_33reduce_by_key_impl_wrapped_configILNS1_25lookback_scan_determinismE0ES3_S7_PKtNS0_17constant_iteratorIjlEEPtPlSF_S6_NS0_8equal_toItEEEE10hipError_tPvRmT2_T3_mT4_T5_T6_T7_T8_P12ihipStream_tbENKUlT_T0_E_clISt17integral_constantIbLb0EESZ_EEDaSU_SV_EUlSU_E_NS1_11comp_targetILNS1_3genE8ELNS1_11target_archE1030ELNS1_3gpuE2ELNS1_3repE0EEENS1_30default_config_static_selectorELNS0_4arch9wavefront6targetE0EEEvT1_,"axG",@progbits,_ZN7rocprim17ROCPRIM_400000_NS6detail17trampoline_kernelINS0_14default_configENS1_33run_length_encode_config_selectorItjNS0_4plusIjEEEEZZNS1_33reduce_by_key_impl_wrapped_configILNS1_25lookback_scan_determinismE0ES3_S7_PKtNS0_17constant_iteratorIjlEEPtPlSF_S6_NS0_8equal_toItEEEE10hipError_tPvRmT2_T3_mT4_T5_T6_T7_T8_P12ihipStream_tbENKUlT_T0_E_clISt17integral_constantIbLb0EESZ_EEDaSU_SV_EUlSU_E_NS1_11comp_targetILNS1_3genE8ELNS1_11target_archE1030ELNS1_3gpuE2ELNS1_3repE0EEENS1_30default_config_static_selectorELNS0_4arch9wavefront6targetE0EEEvT1_,comdat
.Lfunc_end795:
	.size	_ZN7rocprim17ROCPRIM_400000_NS6detail17trampoline_kernelINS0_14default_configENS1_33run_length_encode_config_selectorItjNS0_4plusIjEEEEZZNS1_33reduce_by_key_impl_wrapped_configILNS1_25lookback_scan_determinismE0ES3_S7_PKtNS0_17constant_iteratorIjlEEPtPlSF_S6_NS0_8equal_toItEEEE10hipError_tPvRmT2_T3_mT4_T5_T6_T7_T8_P12ihipStream_tbENKUlT_T0_E_clISt17integral_constantIbLb0EESZ_EEDaSU_SV_EUlSU_E_NS1_11comp_targetILNS1_3genE8ELNS1_11target_archE1030ELNS1_3gpuE2ELNS1_3repE0EEENS1_30default_config_static_selectorELNS0_4arch9wavefront6targetE0EEEvT1_, .Lfunc_end795-_ZN7rocprim17ROCPRIM_400000_NS6detail17trampoline_kernelINS0_14default_configENS1_33run_length_encode_config_selectorItjNS0_4plusIjEEEEZZNS1_33reduce_by_key_impl_wrapped_configILNS1_25lookback_scan_determinismE0ES3_S7_PKtNS0_17constant_iteratorIjlEEPtPlSF_S6_NS0_8equal_toItEEEE10hipError_tPvRmT2_T3_mT4_T5_T6_T7_T8_P12ihipStream_tbENKUlT_T0_E_clISt17integral_constantIbLb0EESZ_EEDaSU_SV_EUlSU_E_NS1_11comp_targetILNS1_3genE8ELNS1_11target_archE1030ELNS1_3gpuE2ELNS1_3repE0EEENS1_30default_config_static_selectorELNS0_4arch9wavefront6targetE0EEEvT1_
                                        ; -- End function
	.set _ZN7rocprim17ROCPRIM_400000_NS6detail17trampoline_kernelINS0_14default_configENS1_33run_length_encode_config_selectorItjNS0_4plusIjEEEEZZNS1_33reduce_by_key_impl_wrapped_configILNS1_25lookback_scan_determinismE0ES3_S7_PKtNS0_17constant_iteratorIjlEEPtPlSF_S6_NS0_8equal_toItEEEE10hipError_tPvRmT2_T3_mT4_T5_T6_T7_T8_P12ihipStream_tbENKUlT_T0_E_clISt17integral_constantIbLb0EESZ_EEDaSU_SV_EUlSU_E_NS1_11comp_targetILNS1_3genE8ELNS1_11target_archE1030ELNS1_3gpuE2ELNS1_3repE0EEENS1_30default_config_static_selectorELNS0_4arch9wavefront6targetE0EEEvT1_.num_vgpr, 0
	.set _ZN7rocprim17ROCPRIM_400000_NS6detail17trampoline_kernelINS0_14default_configENS1_33run_length_encode_config_selectorItjNS0_4plusIjEEEEZZNS1_33reduce_by_key_impl_wrapped_configILNS1_25lookback_scan_determinismE0ES3_S7_PKtNS0_17constant_iteratorIjlEEPtPlSF_S6_NS0_8equal_toItEEEE10hipError_tPvRmT2_T3_mT4_T5_T6_T7_T8_P12ihipStream_tbENKUlT_T0_E_clISt17integral_constantIbLb0EESZ_EEDaSU_SV_EUlSU_E_NS1_11comp_targetILNS1_3genE8ELNS1_11target_archE1030ELNS1_3gpuE2ELNS1_3repE0EEENS1_30default_config_static_selectorELNS0_4arch9wavefront6targetE0EEEvT1_.num_agpr, 0
	.set _ZN7rocprim17ROCPRIM_400000_NS6detail17trampoline_kernelINS0_14default_configENS1_33run_length_encode_config_selectorItjNS0_4plusIjEEEEZZNS1_33reduce_by_key_impl_wrapped_configILNS1_25lookback_scan_determinismE0ES3_S7_PKtNS0_17constant_iteratorIjlEEPtPlSF_S6_NS0_8equal_toItEEEE10hipError_tPvRmT2_T3_mT4_T5_T6_T7_T8_P12ihipStream_tbENKUlT_T0_E_clISt17integral_constantIbLb0EESZ_EEDaSU_SV_EUlSU_E_NS1_11comp_targetILNS1_3genE8ELNS1_11target_archE1030ELNS1_3gpuE2ELNS1_3repE0EEENS1_30default_config_static_selectorELNS0_4arch9wavefront6targetE0EEEvT1_.numbered_sgpr, 0
	.set _ZN7rocprim17ROCPRIM_400000_NS6detail17trampoline_kernelINS0_14default_configENS1_33run_length_encode_config_selectorItjNS0_4plusIjEEEEZZNS1_33reduce_by_key_impl_wrapped_configILNS1_25lookback_scan_determinismE0ES3_S7_PKtNS0_17constant_iteratorIjlEEPtPlSF_S6_NS0_8equal_toItEEEE10hipError_tPvRmT2_T3_mT4_T5_T6_T7_T8_P12ihipStream_tbENKUlT_T0_E_clISt17integral_constantIbLb0EESZ_EEDaSU_SV_EUlSU_E_NS1_11comp_targetILNS1_3genE8ELNS1_11target_archE1030ELNS1_3gpuE2ELNS1_3repE0EEENS1_30default_config_static_selectorELNS0_4arch9wavefront6targetE0EEEvT1_.num_named_barrier, 0
	.set _ZN7rocprim17ROCPRIM_400000_NS6detail17trampoline_kernelINS0_14default_configENS1_33run_length_encode_config_selectorItjNS0_4plusIjEEEEZZNS1_33reduce_by_key_impl_wrapped_configILNS1_25lookback_scan_determinismE0ES3_S7_PKtNS0_17constant_iteratorIjlEEPtPlSF_S6_NS0_8equal_toItEEEE10hipError_tPvRmT2_T3_mT4_T5_T6_T7_T8_P12ihipStream_tbENKUlT_T0_E_clISt17integral_constantIbLb0EESZ_EEDaSU_SV_EUlSU_E_NS1_11comp_targetILNS1_3genE8ELNS1_11target_archE1030ELNS1_3gpuE2ELNS1_3repE0EEENS1_30default_config_static_selectorELNS0_4arch9wavefront6targetE0EEEvT1_.private_seg_size, 0
	.set _ZN7rocprim17ROCPRIM_400000_NS6detail17trampoline_kernelINS0_14default_configENS1_33run_length_encode_config_selectorItjNS0_4plusIjEEEEZZNS1_33reduce_by_key_impl_wrapped_configILNS1_25lookback_scan_determinismE0ES3_S7_PKtNS0_17constant_iteratorIjlEEPtPlSF_S6_NS0_8equal_toItEEEE10hipError_tPvRmT2_T3_mT4_T5_T6_T7_T8_P12ihipStream_tbENKUlT_T0_E_clISt17integral_constantIbLb0EESZ_EEDaSU_SV_EUlSU_E_NS1_11comp_targetILNS1_3genE8ELNS1_11target_archE1030ELNS1_3gpuE2ELNS1_3repE0EEENS1_30default_config_static_selectorELNS0_4arch9wavefront6targetE0EEEvT1_.uses_vcc, 0
	.set _ZN7rocprim17ROCPRIM_400000_NS6detail17trampoline_kernelINS0_14default_configENS1_33run_length_encode_config_selectorItjNS0_4plusIjEEEEZZNS1_33reduce_by_key_impl_wrapped_configILNS1_25lookback_scan_determinismE0ES3_S7_PKtNS0_17constant_iteratorIjlEEPtPlSF_S6_NS0_8equal_toItEEEE10hipError_tPvRmT2_T3_mT4_T5_T6_T7_T8_P12ihipStream_tbENKUlT_T0_E_clISt17integral_constantIbLb0EESZ_EEDaSU_SV_EUlSU_E_NS1_11comp_targetILNS1_3genE8ELNS1_11target_archE1030ELNS1_3gpuE2ELNS1_3repE0EEENS1_30default_config_static_selectorELNS0_4arch9wavefront6targetE0EEEvT1_.uses_flat_scratch, 0
	.set _ZN7rocprim17ROCPRIM_400000_NS6detail17trampoline_kernelINS0_14default_configENS1_33run_length_encode_config_selectorItjNS0_4plusIjEEEEZZNS1_33reduce_by_key_impl_wrapped_configILNS1_25lookback_scan_determinismE0ES3_S7_PKtNS0_17constant_iteratorIjlEEPtPlSF_S6_NS0_8equal_toItEEEE10hipError_tPvRmT2_T3_mT4_T5_T6_T7_T8_P12ihipStream_tbENKUlT_T0_E_clISt17integral_constantIbLb0EESZ_EEDaSU_SV_EUlSU_E_NS1_11comp_targetILNS1_3genE8ELNS1_11target_archE1030ELNS1_3gpuE2ELNS1_3repE0EEENS1_30default_config_static_selectorELNS0_4arch9wavefront6targetE0EEEvT1_.has_dyn_sized_stack, 0
	.set _ZN7rocprim17ROCPRIM_400000_NS6detail17trampoline_kernelINS0_14default_configENS1_33run_length_encode_config_selectorItjNS0_4plusIjEEEEZZNS1_33reduce_by_key_impl_wrapped_configILNS1_25lookback_scan_determinismE0ES3_S7_PKtNS0_17constant_iteratorIjlEEPtPlSF_S6_NS0_8equal_toItEEEE10hipError_tPvRmT2_T3_mT4_T5_T6_T7_T8_P12ihipStream_tbENKUlT_T0_E_clISt17integral_constantIbLb0EESZ_EEDaSU_SV_EUlSU_E_NS1_11comp_targetILNS1_3genE8ELNS1_11target_archE1030ELNS1_3gpuE2ELNS1_3repE0EEENS1_30default_config_static_selectorELNS0_4arch9wavefront6targetE0EEEvT1_.has_recursion, 0
	.set _ZN7rocprim17ROCPRIM_400000_NS6detail17trampoline_kernelINS0_14default_configENS1_33run_length_encode_config_selectorItjNS0_4plusIjEEEEZZNS1_33reduce_by_key_impl_wrapped_configILNS1_25lookback_scan_determinismE0ES3_S7_PKtNS0_17constant_iteratorIjlEEPtPlSF_S6_NS0_8equal_toItEEEE10hipError_tPvRmT2_T3_mT4_T5_T6_T7_T8_P12ihipStream_tbENKUlT_T0_E_clISt17integral_constantIbLb0EESZ_EEDaSU_SV_EUlSU_E_NS1_11comp_targetILNS1_3genE8ELNS1_11target_archE1030ELNS1_3gpuE2ELNS1_3repE0EEENS1_30default_config_static_selectorELNS0_4arch9wavefront6targetE0EEEvT1_.has_indirect_call, 0
	.section	.AMDGPU.csdata,"",@progbits
; Kernel info:
; codeLenInByte = 0
; TotalNumSgprs: 0
; NumVgprs: 0
; ScratchSize: 0
; MemoryBound: 0
; FloatMode: 240
; IeeeMode: 1
; LDSByteSize: 0 bytes/workgroup (compile time only)
; SGPRBlocks: 0
; VGPRBlocks: 0
; NumSGPRsForWavesPerEU: 1
; NumVGPRsForWavesPerEU: 1
; NamedBarCnt: 0
; Occupancy: 16
; WaveLimiterHint : 0
; COMPUTE_PGM_RSRC2:SCRATCH_EN: 0
; COMPUTE_PGM_RSRC2:USER_SGPR: 2
; COMPUTE_PGM_RSRC2:TRAP_HANDLER: 0
; COMPUTE_PGM_RSRC2:TGID_X_EN: 1
; COMPUTE_PGM_RSRC2:TGID_Y_EN: 0
; COMPUTE_PGM_RSRC2:TGID_Z_EN: 0
; COMPUTE_PGM_RSRC2:TIDIG_COMP_CNT: 0
	.section	.text._ZN7rocprim17ROCPRIM_400000_NS6detail17trampoline_kernelINS0_14default_configENS1_33run_length_encode_config_selectorItjNS0_4plusIjEEEEZZNS1_33reduce_by_key_impl_wrapped_configILNS1_25lookback_scan_determinismE0ES3_S7_PKtNS0_17constant_iteratorIjlEEPtPlSF_S6_NS0_8equal_toItEEEE10hipError_tPvRmT2_T3_mT4_T5_T6_T7_T8_P12ihipStream_tbENKUlT_T0_E_clISt17integral_constantIbLb1EESZ_EEDaSU_SV_EUlSU_E_NS1_11comp_targetILNS1_3genE0ELNS1_11target_archE4294967295ELNS1_3gpuE0ELNS1_3repE0EEENS1_30default_config_static_selectorELNS0_4arch9wavefront6targetE0EEEvT1_,"axG",@progbits,_ZN7rocprim17ROCPRIM_400000_NS6detail17trampoline_kernelINS0_14default_configENS1_33run_length_encode_config_selectorItjNS0_4plusIjEEEEZZNS1_33reduce_by_key_impl_wrapped_configILNS1_25lookback_scan_determinismE0ES3_S7_PKtNS0_17constant_iteratorIjlEEPtPlSF_S6_NS0_8equal_toItEEEE10hipError_tPvRmT2_T3_mT4_T5_T6_T7_T8_P12ihipStream_tbENKUlT_T0_E_clISt17integral_constantIbLb1EESZ_EEDaSU_SV_EUlSU_E_NS1_11comp_targetILNS1_3genE0ELNS1_11target_archE4294967295ELNS1_3gpuE0ELNS1_3repE0EEENS1_30default_config_static_selectorELNS0_4arch9wavefront6targetE0EEEvT1_,comdat
	.protected	_ZN7rocprim17ROCPRIM_400000_NS6detail17trampoline_kernelINS0_14default_configENS1_33run_length_encode_config_selectorItjNS0_4plusIjEEEEZZNS1_33reduce_by_key_impl_wrapped_configILNS1_25lookback_scan_determinismE0ES3_S7_PKtNS0_17constant_iteratorIjlEEPtPlSF_S6_NS0_8equal_toItEEEE10hipError_tPvRmT2_T3_mT4_T5_T6_T7_T8_P12ihipStream_tbENKUlT_T0_E_clISt17integral_constantIbLb1EESZ_EEDaSU_SV_EUlSU_E_NS1_11comp_targetILNS1_3genE0ELNS1_11target_archE4294967295ELNS1_3gpuE0ELNS1_3repE0EEENS1_30default_config_static_selectorELNS0_4arch9wavefront6targetE0EEEvT1_ ; -- Begin function _ZN7rocprim17ROCPRIM_400000_NS6detail17trampoline_kernelINS0_14default_configENS1_33run_length_encode_config_selectorItjNS0_4plusIjEEEEZZNS1_33reduce_by_key_impl_wrapped_configILNS1_25lookback_scan_determinismE0ES3_S7_PKtNS0_17constant_iteratorIjlEEPtPlSF_S6_NS0_8equal_toItEEEE10hipError_tPvRmT2_T3_mT4_T5_T6_T7_T8_P12ihipStream_tbENKUlT_T0_E_clISt17integral_constantIbLb1EESZ_EEDaSU_SV_EUlSU_E_NS1_11comp_targetILNS1_3genE0ELNS1_11target_archE4294967295ELNS1_3gpuE0ELNS1_3repE0EEENS1_30default_config_static_selectorELNS0_4arch9wavefront6targetE0EEEvT1_
	.globl	_ZN7rocprim17ROCPRIM_400000_NS6detail17trampoline_kernelINS0_14default_configENS1_33run_length_encode_config_selectorItjNS0_4plusIjEEEEZZNS1_33reduce_by_key_impl_wrapped_configILNS1_25lookback_scan_determinismE0ES3_S7_PKtNS0_17constant_iteratorIjlEEPtPlSF_S6_NS0_8equal_toItEEEE10hipError_tPvRmT2_T3_mT4_T5_T6_T7_T8_P12ihipStream_tbENKUlT_T0_E_clISt17integral_constantIbLb1EESZ_EEDaSU_SV_EUlSU_E_NS1_11comp_targetILNS1_3genE0ELNS1_11target_archE4294967295ELNS1_3gpuE0ELNS1_3repE0EEENS1_30default_config_static_selectorELNS0_4arch9wavefront6targetE0EEEvT1_
	.p2align	8
	.type	_ZN7rocprim17ROCPRIM_400000_NS6detail17trampoline_kernelINS0_14default_configENS1_33run_length_encode_config_selectorItjNS0_4plusIjEEEEZZNS1_33reduce_by_key_impl_wrapped_configILNS1_25lookback_scan_determinismE0ES3_S7_PKtNS0_17constant_iteratorIjlEEPtPlSF_S6_NS0_8equal_toItEEEE10hipError_tPvRmT2_T3_mT4_T5_T6_T7_T8_P12ihipStream_tbENKUlT_T0_E_clISt17integral_constantIbLb1EESZ_EEDaSU_SV_EUlSU_E_NS1_11comp_targetILNS1_3genE0ELNS1_11target_archE4294967295ELNS1_3gpuE0ELNS1_3repE0EEENS1_30default_config_static_selectorELNS0_4arch9wavefront6targetE0EEEvT1_,@function
_ZN7rocprim17ROCPRIM_400000_NS6detail17trampoline_kernelINS0_14default_configENS1_33run_length_encode_config_selectorItjNS0_4plusIjEEEEZZNS1_33reduce_by_key_impl_wrapped_configILNS1_25lookback_scan_determinismE0ES3_S7_PKtNS0_17constant_iteratorIjlEEPtPlSF_S6_NS0_8equal_toItEEEE10hipError_tPvRmT2_T3_mT4_T5_T6_T7_T8_P12ihipStream_tbENKUlT_T0_E_clISt17integral_constantIbLb1EESZ_EEDaSU_SV_EUlSU_E_NS1_11comp_targetILNS1_3genE0ELNS1_11target_archE4294967295ELNS1_3gpuE0ELNS1_3repE0EEENS1_30default_config_static_selectorELNS0_4arch9wavefront6targetE0EEEvT1_: ; @_ZN7rocprim17ROCPRIM_400000_NS6detail17trampoline_kernelINS0_14default_configENS1_33run_length_encode_config_selectorItjNS0_4plusIjEEEEZZNS1_33reduce_by_key_impl_wrapped_configILNS1_25lookback_scan_determinismE0ES3_S7_PKtNS0_17constant_iteratorIjlEEPtPlSF_S6_NS0_8equal_toItEEEE10hipError_tPvRmT2_T3_mT4_T5_T6_T7_T8_P12ihipStream_tbENKUlT_T0_E_clISt17integral_constantIbLb1EESZ_EEDaSU_SV_EUlSU_E_NS1_11comp_targetILNS1_3genE0ELNS1_11target_archE4294967295ELNS1_3gpuE0ELNS1_3repE0EEENS1_30default_config_static_selectorELNS0_4arch9wavefront6targetE0EEEvT1_
; %bb.0:
	s_endpgm
	.section	.rodata,"a",@progbits
	.p2align	6, 0x0
	.amdhsa_kernel _ZN7rocprim17ROCPRIM_400000_NS6detail17trampoline_kernelINS0_14default_configENS1_33run_length_encode_config_selectorItjNS0_4plusIjEEEEZZNS1_33reduce_by_key_impl_wrapped_configILNS1_25lookback_scan_determinismE0ES3_S7_PKtNS0_17constant_iteratorIjlEEPtPlSF_S6_NS0_8equal_toItEEEE10hipError_tPvRmT2_T3_mT4_T5_T6_T7_T8_P12ihipStream_tbENKUlT_T0_E_clISt17integral_constantIbLb1EESZ_EEDaSU_SV_EUlSU_E_NS1_11comp_targetILNS1_3genE0ELNS1_11target_archE4294967295ELNS1_3gpuE0ELNS1_3repE0EEENS1_30default_config_static_selectorELNS0_4arch9wavefront6targetE0EEEvT1_
		.amdhsa_group_segment_fixed_size 0
		.amdhsa_private_segment_fixed_size 0
		.amdhsa_kernarg_size 128
		.amdhsa_user_sgpr_count 2
		.amdhsa_user_sgpr_dispatch_ptr 0
		.amdhsa_user_sgpr_queue_ptr 0
		.amdhsa_user_sgpr_kernarg_segment_ptr 1
		.amdhsa_user_sgpr_dispatch_id 0
		.amdhsa_user_sgpr_kernarg_preload_length 0
		.amdhsa_user_sgpr_kernarg_preload_offset 0
		.amdhsa_user_sgpr_private_segment_size 0
		.amdhsa_wavefront_size32 1
		.amdhsa_uses_dynamic_stack 0
		.amdhsa_enable_private_segment 0
		.amdhsa_system_sgpr_workgroup_id_x 1
		.amdhsa_system_sgpr_workgroup_id_y 0
		.amdhsa_system_sgpr_workgroup_id_z 0
		.amdhsa_system_sgpr_workgroup_info 0
		.amdhsa_system_vgpr_workitem_id 0
		.amdhsa_next_free_vgpr 1
		.amdhsa_next_free_sgpr 1
		.amdhsa_named_barrier_count 0
		.amdhsa_reserve_vcc 0
		.amdhsa_float_round_mode_32 0
		.amdhsa_float_round_mode_16_64 0
		.amdhsa_float_denorm_mode_32 3
		.amdhsa_float_denorm_mode_16_64 3
		.amdhsa_fp16_overflow 0
		.amdhsa_memory_ordered 1
		.amdhsa_forward_progress 1
		.amdhsa_inst_pref_size 1
		.amdhsa_round_robin_scheduling 0
		.amdhsa_exception_fp_ieee_invalid_op 0
		.amdhsa_exception_fp_denorm_src 0
		.amdhsa_exception_fp_ieee_div_zero 0
		.amdhsa_exception_fp_ieee_overflow 0
		.amdhsa_exception_fp_ieee_underflow 0
		.amdhsa_exception_fp_ieee_inexact 0
		.amdhsa_exception_int_div_zero 0
	.end_amdhsa_kernel
	.section	.text._ZN7rocprim17ROCPRIM_400000_NS6detail17trampoline_kernelINS0_14default_configENS1_33run_length_encode_config_selectorItjNS0_4plusIjEEEEZZNS1_33reduce_by_key_impl_wrapped_configILNS1_25lookback_scan_determinismE0ES3_S7_PKtNS0_17constant_iteratorIjlEEPtPlSF_S6_NS0_8equal_toItEEEE10hipError_tPvRmT2_T3_mT4_T5_T6_T7_T8_P12ihipStream_tbENKUlT_T0_E_clISt17integral_constantIbLb1EESZ_EEDaSU_SV_EUlSU_E_NS1_11comp_targetILNS1_3genE0ELNS1_11target_archE4294967295ELNS1_3gpuE0ELNS1_3repE0EEENS1_30default_config_static_selectorELNS0_4arch9wavefront6targetE0EEEvT1_,"axG",@progbits,_ZN7rocprim17ROCPRIM_400000_NS6detail17trampoline_kernelINS0_14default_configENS1_33run_length_encode_config_selectorItjNS0_4plusIjEEEEZZNS1_33reduce_by_key_impl_wrapped_configILNS1_25lookback_scan_determinismE0ES3_S7_PKtNS0_17constant_iteratorIjlEEPtPlSF_S6_NS0_8equal_toItEEEE10hipError_tPvRmT2_T3_mT4_T5_T6_T7_T8_P12ihipStream_tbENKUlT_T0_E_clISt17integral_constantIbLb1EESZ_EEDaSU_SV_EUlSU_E_NS1_11comp_targetILNS1_3genE0ELNS1_11target_archE4294967295ELNS1_3gpuE0ELNS1_3repE0EEENS1_30default_config_static_selectorELNS0_4arch9wavefront6targetE0EEEvT1_,comdat
.Lfunc_end796:
	.size	_ZN7rocprim17ROCPRIM_400000_NS6detail17trampoline_kernelINS0_14default_configENS1_33run_length_encode_config_selectorItjNS0_4plusIjEEEEZZNS1_33reduce_by_key_impl_wrapped_configILNS1_25lookback_scan_determinismE0ES3_S7_PKtNS0_17constant_iteratorIjlEEPtPlSF_S6_NS0_8equal_toItEEEE10hipError_tPvRmT2_T3_mT4_T5_T6_T7_T8_P12ihipStream_tbENKUlT_T0_E_clISt17integral_constantIbLb1EESZ_EEDaSU_SV_EUlSU_E_NS1_11comp_targetILNS1_3genE0ELNS1_11target_archE4294967295ELNS1_3gpuE0ELNS1_3repE0EEENS1_30default_config_static_selectorELNS0_4arch9wavefront6targetE0EEEvT1_, .Lfunc_end796-_ZN7rocprim17ROCPRIM_400000_NS6detail17trampoline_kernelINS0_14default_configENS1_33run_length_encode_config_selectorItjNS0_4plusIjEEEEZZNS1_33reduce_by_key_impl_wrapped_configILNS1_25lookback_scan_determinismE0ES3_S7_PKtNS0_17constant_iteratorIjlEEPtPlSF_S6_NS0_8equal_toItEEEE10hipError_tPvRmT2_T3_mT4_T5_T6_T7_T8_P12ihipStream_tbENKUlT_T0_E_clISt17integral_constantIbLb1EESZ_EEDaSU_SV_EUlSU_E_NS1_11comp_targetILNS1_3genE0ELNS1_11target_archE4294967295ELNS1_3gpuE0ELNS1_3repE0EEENS1_30default_config_static_selectorELNS0_4arch9wavefront6targetE0EEEvT1_
                                        ; -- End function
	.set _ZN7rocprim17ROCPRIM_400000_NS6detail17trampoline_kernelINS0_14default_configENS1_33run_length_encode_config_selectorItjNS0_4plusIjEEEEZZNS1_33reduce_by_key_impl_wrapped_configILNS1_25lookback_scan_determinismE0ES3_S7_PKtNS0_17constant_iteratorIjlEEPtPlSF_S6_NS0_8equal_toItEEEE10hipError_tPvRmT2_T3_mT4_T5_T6_T7_T8_P12ihipStream_tbENKUlT_T0_E_clISt17integral_constantIbLb1EESZ_EEDaSU_SV_EUlSU_E_NS1_11comp_targetILNS1_3genE0ELNS1_11target_archE4294967295ELNS1_3gpuE0ELNS1_3repE0EEENS1_30default_config_static_selectorELNS0_4arch9wavefront6targetE0EEEvT1_.num_vgpr, 0
	.set _ZN7rocprim17ROCPRIM_400000_NS6detail17trampoline_kernelINS0_14default_configENS1_33run_length_encode_config_selectorItjNS0_4plusIjEEEEZZNS1_33reduce_by_key_impl_wrapped_configILNS1_25lookback_scan_determinismE0ES3_S7_PKtNS0_17constant_iteratorIjlEEPtPlSF_S6_NS0_8equal_toItEEEE10hipError_tPvRmT2_T3_mT4_T5_T6_T7_T8_P12ihipStream_tbENKUlT_T0_E_clISt17integral_constantIbLb1EESZ_EEDaSU_SV_EUlSU_E_NS1_11comp_targetILNS1_3genE0ELNS1_11target_archE4294967295ELNS1_3gpuE0ELNS1_3repE0EEENS1_30default_config_static_selectorELNS0_4arch9wavefront6targetE0EEEvT1_.num_agpr, 0
	.set _ZN7rocprim17ROCPRIM_400000_NS6detail17trampoline_kernelINS0_14default_configENS1_33run_length_encode_config_selectorItjNS0_4plusIjEEEEZZNS1_33reduce_by_key_impl_wrapped_configILNS1_25lookback_scan_determinismE0ES3_S7_PKtNS0_17constant_iteratorIjlEEPtPlSF_S6_NS0_8equal_toItEEEE10hipError_tPvRmT2_T3_mT4_T5_T6_T7_T8_P12ihipStream_tbENKUlT_T0_E_clISt17integral_constantIbLb1EESZ_EEDaSU_SV_EUlSU_E_NS1_11comp_targetILNS1_3genE0ELNS1_11target_archE4294967295ELNS1_3gpuE0ELNS1_3repE0EEENS1_30default_config_static_selectorELNS0_4arch9wavefront6targetE0EEEvT1_.numbered_sgpr, 0
	.set _ZN7rocprim17ROCPRIM_400000_NS6detail17trampoline_kernelINS0_14default_configENS1_33run_length_encode_config_selectorItjNS0_4plusIjEEEEZZNS1_33reduce_by_key_impl_wrapped_configILNS1_25lookback_scan_determinismE0ES3_S7_PKtNS0_17constant_iteratorIjlEEPtPlSF_S6_NS0_8equal_toItEEEE10hipError_tPvRmT2_T3_mT4_T5_T6_T7_T8_P12ihipStream_tbENKUlT_T0_E_clISt17integral_constantIbLb1EESZ_EEDaSU_SV_EUlSU_E_NS1_11comp_targetILNS1_3genE0ELNS1_11target_archE4294967295ELNS1_3gpuE0ELNS1_3repE0EEENS1_30default_config_static_selectorELNS0_4arch9wavefront6targetE0EEEvT1_.num_named_barrier, 0
	.set _ZN7rocprim17ROCPRIM_400000_NS6detail17trampoline_kernelINS0_14default_configENS1_33run_length_encode_config_selectorItjNS0_4plusIjEEEEZZNS1_33reduce_by_key_impl_wrapped_configILNS1_25lookback_scan_determinismE0ES3_S7_PKtNS0_17constant_iteratorIjlEEPtPlSF_S6_NS0_8equal_toItEEEE10hipError_tPvRmT2_T3_mT4_T5_T6_T7_T8_P12ihipStream_tbENKUlT_T0_E_clISt17integral_constantIbLb1EESZ_EEDaSU_SV_EUlSU_E_NS1_11comp_targetILNS1_3genE0ELNS1_11target_archE4294967295ELNS1_3gpuE0ELNS1_3repE0EEENS1_30default_config_static_selectorELNS0_4arch9wavefront6targetE0EEEvT1_.private_seg_size, 0
	.set _ZN7rocprim17ROCPRIM_400000_NS6detail17trampoline_kernelINS0_14default_configENS1_33run_length_encode_config_selectorItjNS0_4plusIjEEEEZZNS1_33reduce_by_key_impl_wrapped_configILNS1_25lookback_scan_determinismE0ES3_S7_PKtNS0_17constant_iteratorIjlEEPtPlSF_S6_NS0_8equal_toItEEEE10hipError_tPvRmT2_T3_mT4_T5_T6_T7_T8_P12ihipStream_tbENKUlT_T0_E_clISt17integral_constantIbLb1EESZ_EEDaSU_SV_EUlSU_E_NS1_11comp_targetILNS1_3genE0ELNS1_11target_archE4294967295ELNS1_3gpuE0ELNS1_3repE0EEENS1_30default_config_static_selectorELNS0_4arch9wavefront6targetE0EEEvT1_.uses_vcc, 0
	.set _ZN7rocprim17ROCPRIM_400000_NS6detail17trampoline_kernelINS0_14default_configENS1_33run_length_encode_config_selectorItjNS0_4plusIjEEEEZZNS1_33reduce_by_key_impl_wrapped_configILNS1_25lookback_scan_determinismE0ES3_S7_PKtNS0_17constant_iteratorIjlEEPtPlSF_S6_NS0_8equal_toItEEEE10hipError_tPvRmT2_T3_mT4_T5_T6_T7_T8_P12ihipStream_tbENKUlT_T0_E_clISt17integral_constantIbLb1EESZ_EEDaSU_SV_EUlSU_E_NS1_11comp_targetILNS1_3genE0ELNS1_11target_archE4294967295ELNS1_3gpuE0ELNS1_3repE0EEENS1_30default_config_static_selectorELNS0_4arch9wavefront6targetE0EEEvT1_.uses_flat_scratch, 0
	.set _ZN7rocprim17ROCPRIM_400000_NS6detail17trampoline_kernelINS0_14default_configENS1_33run_length_encode_config_selectorItjNS0_4plusIjEEEEZZNS1_33reduce_by_key_impl_wrapped_configILNS1_25lookback_scan_determinismE0ES3_S7_PKtNS0_17constant_iteratorIjlEEPtPlSF_S6_NS0_8equal_toItEEEE10hipError_tPvRmT2_T3_mT4_T5_T6_T7_T8_P12ihipStream_tbENKUlT_T0_E_clISt17integral_constantIbLb1EESZ_EEDaSU_SV_EUlSU_E_NS1_11comp_targetILNS1_3genE0ELNS1_11target_archE4294967295ELNS1_3gpuE0ELNS1_3repE0EEENS1_30default_config_static_selectorELNS0_4arch9wavefront6targetE0EEEvT1_.has_dyn_sized_stack, 0
	.set _ZN7rocprim17ROCPRIM_400000_NS6detail17trampoline_kernelINS0_14default_configENS1_33run_length_encode_config_selectorItjNS0_4plusIjEEEEZZNS1_33reduce_by_key_impl_wrapped_configILNS1_25lookback_scan_determinismE0ES3_S7_PKtNS0_17constant_iteratorIjlEEPtPlSF_S6_NS0_8equal_toItEEEE10hipError_tPvRmT2_T3_mT4_T5_T6_T7_T8_P12ihipStream_tbENKUlT_T0_E_clISt17integral_constantIbLb1EESZ_EEDaSU_SV_EUlSU_E_NS1_11comp_targetILNS1_3genE0ELNS1_11target_archE4294967295ELNS1_3gpuE0ELNS1_3repE0EEENS1_30default_config_static_selectorELNS0_4arch9wavefront6targetE0EEEvT1_.has_recursion, 0
	.set _ZN7rocprim17ROCPRIM_400000_NS6detail17trampoline_kernelINS0_14default_configENS1_33run_length_encode_config_selectorItjNS0_4plusIjEEEEZZNS1_33reduce_by_key_impl_wrapped_configILNS1_25lookback_scan_determinismE0ES3_S7_PKtNS0_17constant_iteratorIjlEEPtPlSF_S6_NS0_8equal_toItEEEE10hipError_tPvRmT2_T3_mT4_T5_T6_T7_T8_P12ihipStream_tbENKUlT_T0_E_clISt17integral_constantIbLb1EESZ_EEDaSU_SV_EUlSU_E_NS1_11comp_targetILNS1_3genE0ELNS1_11target_archE4294967295ELNS1_3gpuE0ELNS1_3repE0EEENS1_30default_config_static_selectorELNS0_4arch9wavefront6targetE0EEEvT1_.has_indirect_call, 0
	.section	.AMDGPU.csdata,"",@progbits
; Kernel info:
; codeLenInByte = 4
; TotalNumSgprs: 0
; NumVgprs: 0
; ScratchSize: 0
; MemoryBound: 0
; FloatMode: 240
; IeeeMode: 1
; LDSByteSize: 0 bytes/workgroup (compile time only)
; SGPRBlocks: 0
; VGPRBlocks: 0
; NumSGPRsForWavesPerEU: 1
; NumVGPRsForWavesPerEU: 1
; NamedBarCnt: 0
; Occupancy: 16
; WaveLimiterHint : 0
; COMPUTE_PGM_RSRC2:SCRATCH_EN: 0
; COMPUTE_PGM_RSRC2:USER_SGPR: 2
; COMPUTE_PGM_RSRC2:TRAP_HANDLER: 0
; COMPUTE_PGM_RSRC2:TGID_X_EN: 1
; COMPUTE_PGM_RSRC2:TGID_Y_EN: 0
; COMPUTE_PGM_RSRC2:TGID_Z_EN: 0
; COMPUTE_PGM_RSRC2:TIDIG_COMP_CNT: 0
	.section	.text._ZN7rocprim17ROCPRIM_400000_NS6detail17trampoline_kernelINS0_14default_configENS1_33run_length_encode_config_selectorItjNS0_4plusIjEEEEZZNS1_33reduce_by_key_impl_wrapped_configILNS1_25lookback_scan_determinismE0ES3_S7_PKtNS0_17constant_iteratorIjlEEPtPlSF_S6_NS0_8equal_toItEEEE10hipError_tPvRmT2_T3_mT4_T5_T6_T7_T8_P12ihipStream_tbENKUlT_T0_E_clISt17integral_constantIbLb1EESZ_EEDaSU_SV_EUlSU_E_NS1_11comp_targetILNS1_3genE5ELNS1_11target_archE942ELNS1_3gpuE9ELNS1_3repE0EEENS1_30default_config_static_selectorELNS0_4arch9wavefront6targetE0EEEvT1_,"axG",@progbits,_ZN7rocprim17ROCPRIM_400000_NS6detail17trampoline_kernelINS0_14default_configENS1_33run_length_encode_config_selectorItjNS0_4plusIjEEEEZZNS1_33reduce_by_key_impl_wrapped_configILNS1_25lookback_scan_determinismE0ES3_S7_PKtNS0_17constant_iteratorIjlEEPtPlSF_S6_NS0_8equal_toItEEEE10hipError_tPvRmT2_T3_mT4_T5_T6_T7_T8_P12ihipStream_tbENKUlT_T0_E_clISt17integral_constantIbLb1EESZ_EEDaSU_SV_EUlSU_E_NS1_11comp_targetILNS1_3genE5ELNS1_11target_archE942ELNS1_3gpuE9ELNS1_3repE0EEENS1_30default_config_static_selectorELNS0_4arch9wavefront6targetE0EEEvT1_,comdat
	.protected	_ZN7rocprim17ROCPRIM_400000_NS6detail17trampoline_kernelINS0_14default_configENS1_33run_length_encode_config_selectorItjNS0_4plusIjEEEEZZNS1_33reduce_by_key_impl_wrapped_configILNS1_25lookback_scan_determinismE0ES3_S7_PKtNS0_17constant_iteratorIjlEEPtPlSF_S6_NS0_8equal_toItEEEE10hipError_tPvRmT2_T3_mT4_T5_T6_T7_T8_P12ihipStream_tbENKUlT_T0_E_clISt17integral_constantIbLb1EESZ_EEDaSU_SV_EUlSU_E_NS1_11comp_targetILNS1_3genE5ELNS1_11target_archE942ELNS1_3gpuE9ELNS1_3repE0EEENS1_30default_config_static_selectorELNS0_4arch9wavefront6targetE0EEEvT1_ ; -- Begin function _ZN7rocprim17ROCPRIM_400000_NS6detail17trampoline_kernelINS0_14default_configENS1_33run_length_encode_config_selectorItjNS0_4plusIjEEEEZZNS1_33reduce_by_key_impl_wrapped_configILNS1_25lookback_scan_determinismE0ES3_S7_PKtNS0_17constant_iteratorIjlEEPtPlSF_S6_NS0_8equal_toItEEEE10hipError_tPvRmT2_T3_mT4_T5_T6_T7_T8_P12ihipStream_tbENKUlT_T0_E_clISt17integral_constantIbLb1EESZ_EEDaSU_SV_EUlSU_E_NS1_11comp_targetILNS1_3genE5ELNS1_11target_archE942ELNS1_3gpuE9ELNS1_3repE0EEENS1_30default_config_static_selectorELNS0_4arch9wavefront6targetE0EEEvT1_
	.globl	_ZN7rocprim17ROCPRIM_400000_NS6detail17trampoline_kernelINS0_14default_configENS1_33run_length_encode_config_selectorItjNS0_4plusIjEEEEZZNS1_33reduce_by_key_impl_wrapped_configILNS1_25lookback_scan_determinismE0ES3_S7_PKtNS0_17constant_iteratorIjlEEPtPlSF_S6_NS0_8equal_toItEEEE10hipError_tPvRmT2_T3_mT4_T5_T6_T7_T8_P12ihipStream_tbENKUlT_T0_E_clISt17integral_constantIbLb1EESZ_EEDaSU_SV_EUlSU_E_NS1_11comp_targetILNS1_3genE5ELNS1_11target_archE942ELNS1_3gpuE9ELNS1_3repE0EEENS1_30default_config_static_selectorELNS0_4arch9wavefront6targetE0EEEvT1_
	.p2align	8
	.type	_ZN7rocprim17ROCPRIM_400000_NS6detail17trampoline_kernelINS0_14default_configENS1_33run_length_encode_config_selectorItjNS0_4plusIjEEEEZZNS1_33reduce_by_key_impl_wrapped_configILNS1_25lookback_scan_determinismE0ES3_S7_PKtNS0_17constant_iteratorIjlEEPtPlSF_S6_NS0_8equal_toItEEEE10hipError_tPvRmT2_T3_mT4_T5_T6_T7_T8_P12ihipStream_tbENKUlT_T0_E_clISt17integral_constantIbLb1EESZ_EEDaSU_SV_EUlSU_E_NS1_11comp_targetILNS1_3genE5ELNS1_11target_archE942ELNS1_3gpuE9ELNS1_3repE0EEENS1_30default_config_static_selectorELNS0_4arch9wavefront6targetE0EEEvT1_,@function
_ZN7rocprim17ROCPRIM_400000_NS6detail17trampoline_kernelINS0_14default_configENS1_33run_length_encode_config_selectorItjNS0_4plusIjEEEEZZNS1_33reduce_by_key_impl_wrapped_configILNS1_25lookback_scan_determinismE0ES3_S7_PKtNS0_17constant_iteratorIjlEEPtPlSF_S6_NS0_8equal_toItEEEE10hipError_tPvRmT2_T3_mT4_T5_T6_T7_T8_P12ihipStream_tbENKUlT_T0_E_clISt17integral_constantIbLb1EESZ_EEDaSU_SV_EUlSU_E_NS1_11comp_targetILNS1_3genE5ELNS1_11target_archE942ELNS1_3gpuE9ELNS1_3repE0EEENS1_30default_config_static_selectorELNS0_4arch9wavefront6targetE0EEEvT1_: ; @_ZN7rocprim17ROCPRIM_400000_NS6detail17trampoline_kernelINS0_14default_configENS1_33run_length_encode_config_selectorItjNS0_4plusIjEEEEZZNS1_33reduce_by_key_impl_wrapped_configILNS1_25lookback_scan_determinismE0ES3_S7_PKtNS0_17constant_iteratorIjlEEPtPlSF_S6_NS0_8equal_toItEEEE10hipError_tPvRmT2_T3_mT4_T5_T6_T7_T8_P12ihipStream_tbENKUlT_T0_E_clISt17integral_constantIbLb1EESZ_EEDaSU_SV_EUlSU_E_NS1_11comp_targetILNS1_3genE5ELNS1_11target_archE942ELNS1_3gpuE9ELNS1_3repE0EEENS1_30default_config_static_selectorELNS0_4arch9wavefront6targetE0EEEvT1_
; %bb.0:
	.section	.rodata,"a",@progbits
	.p2align	6, 0x0
	.amdhsa_kernel _ZN7rocprim17ROCPRIM_400000_NS6detail17trampoline_kernelINS0_14default_configENS1_33run_length_encode_config_selectorItjNS0_4plusIjEEEEZZNS1_33reduce_by_key_impl_wrapped_configILNS1_25lookback_scan_determinismE0ES3_S7_PKtNS0_17constant_iteratorIjlEEPtPlSF_S6_NS0_8equal_toItEEEE10hipError_tPvRmT2_T3_mT4_T5_T6_T7_T8_P12ihipStream_tbENKUlT_T0_E_clISt17integral_constantIbLb1EESZ_EEDaSU_SV_EUlSU_E_NS1_11comp_targetILNS1_3genE5ELNS1_11target_archE942ELNS1_3gpuE9ELNS1_3repE0EEENS1_30default_config_static_selectorELNS0_4arch9wavefront6targetE0EEEvT1_
		.amdhsa_group_segment_fixed_size 0
		.amdhsa_private_segment_fixed_size 0
		.amdhsa_kernarg_size 128
		.amdhsa_user_sgpr_count 2
		.amdhsa_user_sgpr_dispatch_ptr 0
		.amdhsa_user_sgpr_queue_ptr 0
		.amdhsa_user_sgpr_kernarg_segment_ptr 1
		.amdhsa_user_sgpr_dispatch_id 0
		.amdhsa_user_sgpr_kernarg_preload_length 0
		.amdhsa_user_sgpr_kernarg_preload_offset 0
		.amdhsa_user_sgpr_private_segment_size 0
		.amdhsa_wavefront_size32 1
		.amdhsa_uses_dynamic_stack 0
		.amdhsa_enable_private_segment 0
		.amdhsa_system_sgpr_workgroup_id_x 1
		.amdhsa_system_sgpr_workgroup_id_y 0
		.amdhsa_system_sgpr_workgroup_id_z 0
		.amdhsa_system_sgpr_workgroup_info 0
		.amdhsa_system_vgpr_workitem_id 0
		.amdhsa_next_free_vgpr 1
		.amdhsa_next_free_sgpr 1
		.amdhsa_named_barrier_count 0
		.amdhsa_reserve_vcc 0
		.amdhsa_float_round_mode_32 0
		.amdhsa_float_round_mode_16_64 0
		.amdhsa_float_denorm_mode_32 3
		.amdhsa_float_denorm_mode_16_64 3
		.amdhsa_fp16_overflow 0
		.amdhsa_memory_ordered 1
		.amdhsa_forward_progress 1
		.amdhsa_inst_pref_size 0
		.amdhsa_round_robin_scheduling 0
		.amdhsa_exception_fp_ieee_invalid_op 0
		.amdhsa_exception_fp_denorm_src 0
		.amdhsa_exception_fp_ieee_div_zero 0
		.amdhsa_exception_fp_ieee_overflow 0
		.amdhsa_exception_fp_ieee_underflow 0
		.amdhsa_exception_fp_ieee_inexact 0
		.amdhsa_exception_int_div_zero 0
	.end_amdhsa_kernel
	.section	.text._ZN7rocprim17ROCPRIM_400000_NS6detail17trampoline_kernelINS0_14default_configENS1_33run_length_encode_config_selectorItjNS0_4plusIjEEEEZZNS1_33reduce_by_key_impl_wrapped_configILNS1_25lookback_scan_determinismE0ES3_S7_PKtNS0_17constant_iteratorIjlEEPtPlSF_S6_NS0_8equal_toItEEEE10hipError_tPvRmT2_T3_mT4_T5_T6_T7_T8_P12ihipStream_tbENKUlT_T0_E_clISt17integral_constantIbLb1EESZ_EEDaSU_SV_EUlSU_E_NS1_11comp_targetILNS1_3genE5ELNS1_11target_archE942ELNS1_3gpuE9ELNS1_3repE0EEENS1_30default_config_static_selectorELNS0_4arch9wavefront6targetE0EEEvT1_,"axG",@progbits,_ZN7rocprim17ROCPRIM_400000_NS6detail17trampoline_kernelINS0_14default_configENS1_33run_length_encode_config_selectorItjNS0_4plusIjEEEEZZNS1_33reduce_by_key_impl_wrapped_configILNS1_25lookback_scan_determinismE0ES3_S7_PKtNS0_17constant_iteratorIjlEEPtPlSF_S6_NS0_8equal_toItEEEE10hipError_tPvRmT2_T3_mT4_T5_T6_T7_T8_P12ihipStream_tbENKUlT_T0_E_clISt17integral_constantIbLb1EESZ_EEDaSU_SV_EUlSU_E_NS1_11comp_targetILNS1_3genE5ELNS1_11target_archE942ELNS1_3gpuE9ELNS1_3repE0EEENS1_30default_config_static_selectorELNS0_4arch9wavefront6targetE0EEEvT1_,comdat
.Lfunc_end797:
	.size	_ZN7rocprim17ROCPRIM_400000_NS6detail17trampoline_kernelINS0_14default_configENS1_33run_length_encode_config_selectorItjNS0_4plusIjEEEEZZNS1_33reduce_by_key_impl_wrapped_configILNS1_25lookback_scan_determinismE0ES3_S7_PKtNS0_17constant_iteratorIjlEEPtPlSF_S6_NS0_8equal_toItEEEE10hipError_tPvRmT2_T3_mT4_T5_T6_T7_T8_P12ihipStream_tbENKUlT_T0_E_clISt17integral_constantIbLb1EESZ_EEDaSU_SV_EUlSU_E_NS1_11comp_targetILNS1_3genE5ELNS1_11target_archE942ELNS1_3gpuE9ELNS1_3repE0EEENS1_30default_config_static_selectorELNS0_4arch9wavefront6targetE0EEEvT1_, .Lfunc_end797-_ZN7rocprim17ROCPRIM_400000_NS6detail17trampoline_kernelINS0_14default_configENS1_33run_length_encode_config_selectorItjNS0_4plusIjEEEEZZNS1_33reduce_by_key_impl_wrapped_configILNS1_25lookback_scan_determinismE0ES3_S7_PKtNS0_17constant_iteratorIjlEEPtPlSF_S6_NS0_8equal_toItEEEE10hipError_tPvRmT2_T3_mT4_T5_T6_T7_T8_P12ihipStream_tbENKUlT_T0_E_clISt17integral_constantIbLb1EESZ_EEDaSU_SV_EUlSU_E_NS1_11comp_targetILNS1_3genE5ELNS1_11target_archE942ELNS1_3gpuE9ELNS1_3repE0EEENS1_30default_config_static_selectorELNS0_4arch9wavefront6targetE0EEEvT1_
                                        ; -- End function
	.set _ZN7rocprim17ROCPRIM_400000_NS6detail17trampoline_kernelINS0_14default_configENS1_33run_length_encode_config_selectorItjNS0_4plusIjEEEEZZNS1_33reduce_by_key_impl_wrapped_configILNS1_25lookback_scan_determinismE0ES3_S7_PKtNS0_17constant_iteratorIjlEEPtPlSF_S6_NS0_8equal_toItEEEE10hipError_tPvRmT2_T3_mT4_T5_T6_T7_T8_P12ihipStream_tbENKUlT_T0_E_clISt17integral_constantIbLb1EESZ_EEDaSU_SV_EUlSU_E_NS1_11comp_targetILNS1_3genE5ELNS1_11target_archE942ELNS1_3gpuE9ELNS1_3repE0EEENS1_30default_config_static_selectorELNS0_4arch9wavefront6targetE0EEEvT1_.num_vgpr, 0
	.set _ZN7rocprim17ROCPRIM_400000_NS6detail17trampoline_kernelINS0_14default_configENS1_33run_length_encode_config_selectorItjNS0_4plusIjEEEEZZNS1_33reduce_by_key_impl_wrapped_configILNS1_25lookback_scan_determinismE0ES3_S7_PKtNS0_17constant_iteratorIjlEEPtPlSF_S6_NS0_8equal_toItEEEE10hipError_tPvRmT2_T3_mT4_T5_T6_T7_T8_P12ihipStream_tbENKUlT_T0_E_clISt17integral_constantIbLb1EESZ_EEDaSU_SV_EUlSU_E_NS1_11comp_targetILNS1_3genE5ELNS1_11target_archE942ELNS1_3gpuE9ELNS1_3repE0EEENS1_30default_config_static_selectorELNS0_4arch9wavefront6targetE0EEEvT1_.num_agpr, 0
	.set _ZN7rocprim17ROCPRIM_400000_NS6detail17trampoline_kernelINS0_14default_configENS1_33run_length_encode_config_selectorItjNS0_4plusIjEEEEZZNS1_33reduce_by_key_impl_wrapped_configILNS1_25lookback_scan_determinismE0ES3_S7_PKtNS0_17constant_iteratorIjlEEPtPlSF_S6_NS0_8equal_toItEEEE10hipError_tPvRmT2_T3_mT4_T5_T6_T7_T8_P12ihipStream_tbENKUlT_T0_E_clISt17integral_constantIbLb1EESZ_EEDaSU_SV_EUlSU_E_NS1_11comp_targetILNS1_3genE5ELNS1_11target_archE942ELNS1_3gpuE9ELNS1_3repE0EEENS1_30default_config_static_selectorELNS0_4arch9wavefront6targetE0EEEvT1_.numbered_sgpr, 0
	.set _ZN7rocprim17ROCPRIM_400000_NS6detail17trampoline_kernelINS0_14default_configENS1_33run_length_encode_config_selectorItjNS0_4plusIjEEEEZZNS1_33reduce_by_key_impl_wrapped_configILNS1_25lookback_scan_determinismE0ES3_S7_PKtNS0_17constant_iteratorIjlEEPtPlSF_S6_NS0_8equal_toItEEEE10hipError_tPvRmT2_T3_mT4_T5_T6_T7_T8_P12ihipStream_tbENKUlT_T0_E_clISt17integral_constantIbLb1EESZ_EEDaSU_SV_EUlSU_E_NS1_11comp_targetILNS1_3genE5ELNS1_11target_archE942ELNS1_3gpuE9ELNS1_3repE0EEENS1_30default_config_static_selectorELNS0_4arch9wavefront6targetE0EEEvT1_.num_named_barrier, 0
	.set _ZN7rocprim17ROCPRIM_400000_NS6detail17trampoline_kernelINS0_14default_configENS1_33run_length_encode_config_selectorItjNS0_4plusIjEEEEZZNS1_33reduce_by_key_impl_wrapped_configILNS1_25lookback_scan_determinismE0ES3_S7_PKtNS0_17constant_iteratorIjlEEPtPlSF_S6_NS0_8equal_toItEEEE10hipError_tPvRmT2_T3_mT4_T5_T6_T7_T8_P12ihipStream_tbENKUlT_T0_E_clISt17integral_constantIbLb1EESZ_EEDaSU_SV_EUlSU_E_NS1_11comp_targetILNS1_3genE5ELNS1_11target_archE942ELNS1_3gpuE9ELNS1_3repE0EEENS1_30default_config_static_selectorELNS0_4arch9wavefront6targetE0EEEvT1_.private_seg_size, 0
	.set _ZN7rocprim17ROCPRIM_400000_NS6detail17trampoline_kernelINS0_14default_configENS1_33run_length_encode_config_selectorItjNS0_4plusIjEEEEZZNS1_33reduce_by_key_impl_wrapped_configILNS1_25lookback_scan_determinismE0ES3_S7_PKtNS0_17constant_iteratorIjlEEPtPlSF_S6_NS0_8equal_toItEEEE10hipError_tPvRmT2_T3_mT4_T5_T6_T7_T8_P12ihipStream_tbENKUlT_T0_E_clISt17integral_constantIbLb1EESZ_EEDaSU_SV_EUlSU_E_NS1_11comp_targetILNS1_3genE5ELNS1_11target_archE942ELNS1_3gpuE9ELNS1_3repE0EEENS1_30default_config_static_selectorELNS0_4arch9wavefront6targetE0EEEvT1_.uses_vcc, 0
	.set _ZN7rocprim17ROCPRIM_400000_NS6detail17trampoline_kernelINS0_14default_configENS1_33run_length_encode_config_selectorItjNS0_4plusIjEEEEZZNS1_33reduce_by_key_impl_wrapped_configILNS1_25lookback_scan_determinismE0ES3_S7_PKtNS0_17constant_iteratorIjlEEPtPlSF_S6_NS0_8equal_toItEEEE10hipError_tPvRmT2_T3_mT4_T5_T6_T7_T8_P12ihipStream_tbENKUlT_T0_E_clISt17integral_constantIbLb1EESZ_EEDaSU_SV_EUlSU_E_NS1_11comp_targetILNS1_3genE5ELNS1_11target_archE942ELNS1_3gpuE9ELNS1_3repE0EEENS1_30default_config_static_selectorELNS0_4arch9wavefront6targetE0EEEvT1_.uses_flat_scratch, 0
	.set _ZN7rocprim17ROCPRIM_400000_NS6detail17trampoline_kernelINS0_14default_configENS1_33run_length_encode_config_selectorItjNS0_4plusIjEEEEZZNS1_33reduce_by_key_impl_wrapped_configILNS1_25lookback_scan_determinismE0ES3_S7_PKtNS0_17constant_iteratorIjlEEPtPlSF_S6_NS0_8equal_toItEEEE10hipError_tPvRmT2_T3_mT4_T5_T6_T7_T8_P12ihipStream_tbENKUlT_T0_E_clISt17integral_constantIbLb1EESZ_EEDaSU_SV_EUlSU_E_NS1_11comp_targetILNS1_3genE5ELNS1_11target_archE942ELNS1_3gpuE9ELNS1_3repE0EEENS1_30default_config_static_selectorELNS0_4arch9wavefront6targetE0EEEvT1_.has_dyn_sized_stack, 0
	.set _ZN7rocprim17ROCPRIM_400000_NS6detail17trampoline_kernelINS0_14default_configENS1_33run_length_encode_config_selectorItjNS0_4plusIjEEEEZZNS1_33reduce_by_key_impl_wrapped_configILNS1_25lookback_scan_determinismE0ES3_S7_PKtNS0_17constant_iteratorIjlEEPtPlSF_S6_NS0_8equal_toItEEEE10hipError_tPvRmT2_T3_mT4_T5_T6_T7_T8_P12ihipStream_tbENKUlT_T0_E_clISt17integral_constantIbLb1EESZ_EEDaSU_SV_EUlSU_E_NS1_11comp_targetILNS1_3genE5ELNS1_11target_archE942ELNS1_3gpuE9ELNS1_3repE0EEENS1_30default_config_static_selectorELNS0_4arch9wavefront6targetE0EEEvT1_.has_recursion, 0
	.set _ZN7rocprim17ROCPRIM_400000_NS6detail17trampoline_kernelINS0_14default_configENS1_33run_length_encode_config_selectorItjNS0_4plusIjEEEEZZNS1_33reduce_by_key_impl_wrapped_configILNS1_25lookback_scan_determinismE0ES3_S7_PKtNS0_17constant_iteratorIjlEEPtPlSF_S6_NS0_8equal_toItEEEE10hipError_tPvRmT2_T3_mT4_T5_T6_T7_T8_P12ihipStream_tbENKUlT_T0_E_clISt17integral_constantIbLb1EESZ_EEDaSU_SV_EUlSU_E_NS1_11comp_targetILNS1_3genE5ELNS1_11target_archE942ELNS1_3gpuE9ELNS1_3repE0EEENS1_30default_config_static_selectorELNS0_4arch9wavefront6targetE0EEEvT1_.has_indirect_call, 0
	.section	.AMDGPU.csdata,"",@progbits
; Kernel info:
; codeLenInByte = 0
; TotalNumSgprs: 0
; NumVgprs: 0
; ScratchSize: 0
; MemoryBound: 0
; FloatMode: 240
; IeeeMode: 1
; LDSByteSize: 0 bytes/workgroup (compile time only)
; SGPRBlocks: 0
; VGPRBlocks: 0
; NumSGPRsForWavesPerEU: 1
; NumVGPRsForWavesPerEU: 1
; NamedBarCnt: 0
; Occupancy: 16
; WaveLimiterHint : 0
; COMPUTE_PGM_RSRC2:SCRATCH_EN: 0
; COMPUTE_PGM_RSRC2:USER_SGPR: 2
; COMPUTE_PGM_RSRC2:TRAP_HANDLER: 0
; COMPUTE_PGM_RSRC2:TGID_X_EN: 1
; COMPUTE_PGM_RSRC2:TGID_Y_EN: 0
; COMPUTE_PGM_RSRC2:TGID_Z_EN: 0
; COMPUTE_PGM_RSRC2:TIDIG_COMP_CNT: 0
	.section	.text._ZN7rocprim17ROCPRIM_400000_NS6detail17trampoline_kernelINS0_14default_configENS1_33run_length_encode_config_selectorItjNS0_4plusIjEEEEZZNS1_33reduce_by_key_impl_wrapped_configILNS1_25lookback_scan_determinismE0ES3_S7_PKtNS0_17constant_iteratorIjlEEPtPlSF_S6_NS0_8equal_toItEEEE10hipError_tPvRmT2_T3_mT4_T5_T6_T7_T8_P12ihipStream_tbENKUlT_T0_E_clISt17integral_constantIbLb1EESZ_EEDaSU_SV_EUlSU_E_NS1_11comp_targetILNS1_3genE4ELNS1_11target_archE910ELNS1_3gpuE8ELNS1_3repE0EEENS1_30default_config_static_selectorELNS0_4arch9wavefront6targetE0EEEvT1_,"axG",@progbits,_ZN7rocprim17ROCPRIM_400000_NS6detail17trampoline_kernelINS0_14default_configENS1_33run_length_encode_config_selectorItjNS0_4plusIjEEEEZZNS1_33reduce_by_key_impl_wrapped_configILNS1_25lookback_scan_determinismE0ES3_S7_PKtNS0_17constant_iteratorIjlEEPtPlSF_S6_NS0_8equal_toItEEEE10hipError_tPvRmT2_T3_mT4_T5_T6_T7_T8_P12ihipStream_tbENKUlT_T0_E_clISt17integral_constantIbLb1EESZ_EEDaSU_SV_EUlSU_E_NS1_11comp_targetILNS1_3genE4ELNS1_11target_archE910ELNS1_3gpuE8ELNS1_3repE0EEENS1_30default_config_static_selectorELNS0_4arch9wavefront6targetE0EEEvT1_,comdat
	.protected	_ZN7rocprim17ROCPRIM_400000_NS6detail17trampoline_kernelINS0_14default_configENS1_33run_length_encode_config_selectorItjNS0_4plusIjEEEEZZNS1_33reduce_by_key_impl_wrapped_configILNS1_25lookback_scan_determinismE0ES3_S7_PKtNS0_17constant_iteratorIjlEEPtPlSF_S6_NS0_8equal_toItEEEE10hipError_tPvRmT2_T3_mT4_T5_T6_T7_T8_P12ihipStream_tbENKUlT_T0_E_clISt17integral_constantIbLb1EESZ_EEDaSU_SV_EUlSU_E_NS1_11comp_targetILNS1_3genE4ELNS1_11target_archE910ELNS1_3gpuE8ELNS1_3repE0EEENS1_30default_config_static_selectorELNS0_4arch9wavefront6targetE0EEEvT1_ ; -- Begin function _ZN7rocprim17ROCPRIM_400000_NS6detail17trampoline_kernelINS0_14default_configENS1_33run_length_encode_config_selectorItjNS0_4plusIjEEEEZZNS1_33reduce_by_key_impl_wrapped_configILNS1_25lookback_scan_determinismE0ES3_S7_PKtNS0_17constant_iteratorIjlEEPtPlSF_S6_NS0_8equal_toItEEEE10hipError_tPvRmT2_T3_mT4_T5_T6_T7_T8_P12ihipStream_tbENKUlT_T0_E_clISt17integral_constantIbLb1EESZ_EEDaSU_SV_EUlSU_E_NS1_11comp_targetILNS1_3genE4ELNS1_11target_archE910ELNS1_3gpuE8ELNS1_3repE0EEENS1_30default_config_static_selectorELNS0_4arch9wavefront6targetE0EEEvT1_
	.globl	_ZN7rocprim17ROCPRIM_400000_NS6detail17trampoline_kernelINS0_14default_configENS1_33run_length_encode_config_selectorItjNS0_4plusIjEEEEZZNS1_33reduce_by_key_impl_wrapped_configILNS1_25lookback_scan_determinismE0ES3_S7_PKtNS0_17constant_iteratorIjlEEPtPlSF_S6_NS0_8equal_toItEEEE10hipError_tPvRmT2_T3_mT4_T5_T6_T7_T8_P12ihipStream_tbENKUlT_T0_E_clISt17integral_constantIbLb1EESZ_EEDaSU_SV_EUlSU_E_NS1_11comp_targetILNS1_3genE4ELNS1_11target_archE910ELNS1_3gpuE8ELNS1_3repE0EEENS1_30default_config_static_selectorELNS0_4arch9wavefront6targetE0EEEvT1_
	.p2align	8
	.type	_ZN7rocprim17ROCPRIM_400000_NS6detail17trampoline_kernelINS0_14default_configENS1_33run_length_encode_config_selectorItjNS0_4plusIjEEEEZZNS1_33reduce_by_key_impl_wrapped_configILNS1_25lookback_scan_determinismE0ES3_S7_PKtNS0_17constant_iteratorIjlEEPtPlSF_S6_NS0_8equal_toItEEEE10hipError_tPvRmT2_T3_mT4_T5_T6_T7_T8_P12ihipStream_tbENKUlT_T0_E_clISt17integral_constantIbLb1EESZ_EEDaSU_SV_EUlSU_E_NS1_11comp_targetILNS1_3genE4ELNS1_11target_archE910ELNS1_3gpuE8ELNS1_3repE0EEENS1_30default_config_static_selectorELNS0_4arch9wavefront6targetE0EEEvT1_,@function
_ZN7rocprim17ROCPRIM_400000_NS6detail17trampoline_kernelINS0_14default_configENS1_33run_length_encode_config_selectorItjNS0_4plusIjEEEEZZNS1_33reduce_by_key_impl_wrapped_configILNS1_25lookback_scan_determinismE0ES3_S7_PKtNS0_17constant_iteratorIjlEEPtPlSF_S6_NS0_8equal_toItEEEE10hipError_tPvRmT2_T3_mT4_T5_T6_T7_T8_P12ihipStream_tbENKUlT_T0_E_clISt17integral_constantIbLb1EESZ_EEDaSU_SV_EUlSU_E_NS1_11comp_targetILNS1_3genE4ELNS1_11target_archE910ELNS1_3gpuE8ELNS1_3repE0EEENS1_30default_config_static_selectorELNS0_4arch9wavefront6targetE0EEEvT1_: ; @_ZN7rocprim17ROCPRIM_400000_NS6detail17trampoline_kernelINS0_14default_configENS1_33run_length_encode_config_selectorItjNS0_4plusIjEEEEZZNS1_33reduce_by_key_impl_wrapped_configILNS1_25lookback_scan_determinismE0ES3_S7_PKtNS0_17constant_iteratorIjlEEPtPlSF_S6_NS0_8equal_toItEEEE10hipError_tPvRmT2_T3_mT4_T5_T6_T7_T8_P12ihipStream_tbENKUlT_T0_E_clISt17integral_constantIbLb1EESZ_EEDaSU_SV_EUlSU_E_NS1_11comp_targetILNS1_3genE4ELNS1_11target_archE910ELNS1_3gpuE8ELNS1_3repE0EEENS1_30default_config_static_selectorELNS0_4arch9wavefront6targetE0EEEvT1_
; %bb.0:
	.section	.rodata,"a",@progbits
	.p2align	6, 0x0
	.amdhsa_kernel _ZN7rocprim17ROCPRIM_400000_NS6detail17trampoline_kernelINS0_14default_configENS1_33run_length_encode_config_selectorItjNS0_4plusIjEEEEZZNS1_33reduce_by_key_impl_wrapped_configILNS1_25lookback_scan_determinismE0ES3_S7_PKtNS0_17constant_iteratorIjlEEPtPlSF_S6_NS0_8equal_toItEEEE10hipError_tPvRmT2_T3_mT4_T5_T6_T7_T8_P12ihipStream_tbENKUlT_T0_E_clISt17integral_constantIbLb1EESZ_EEDaSU_SV_EUlSU_E_NS1_11comp_targetILNS1_3genE4ELNS1_11target_archE910ELNS1_3gpuE8ELNS1_3repE0EEENS1_30default_config_static_selectorELNS0_4arch9wavefront6targetE0EEEvT1_
		.amdhsa_group_segment_fixed_size 0
		.amdhsa_private_segment_fixed_size 0
		.amdhsa_kernarg_size 128
		.amdhsa_user_sgpr_count 2
		.amdhsa_user_sgpr_dispatch_ptr 0
		.amdhsa_user_sgpr_queue_ptr 0
		.amdhsa_user_sgpr_kernarg_segment_ptr 1
		.amdhsa_user_sgpr_dispatch_id 0
		.amdhsa_user_sgpr_kernarg_preload_length 0
		.amdhsa_user_sgpr_kernarg_preload_offset 0
		.amdhsa_user_sgpr_private_segment_size 0
		.amdhsa_wavefront_size32 1
		.amdhsa_uses_dynamic_stack 0
		.amdhsa_enable_private_segment 0
		.amdhsa_system_sgpr_workgroup_id_x 1
		.amdhsa_system_sgpr_workgroup_id_y 0
		.amdhsa_system_sgpr_workgroup_id_z 0
		.amdhsa_system_sgpr_workgroup_info 0
		.amdhsa_system_vgpr_workitem_id 0
		.amdhsa_next_free_vgpr 1
		.amdhsa_next_free_sgpr 1
		.amdhsa_named_barrier_count 0
		.amdhsa_reserve_vcc 0
		.amdhsa_float_round_mode_32 0
		.amdhsa_float_round_mode_16_64 0
		.amdhsa_float_denorm_mode_32 3
		.amdhsa_float_denorm_mode_16_64 3
		.amdhsa_fp16_overflow 0
		.amdhsa_memory_ordered 1
		.amdhsa_forward_progress 1
		.amdhsa_inst_pref_size 0
		.amdhsa_round_robin_scheduling 0
		.amdhsa_exception_fp_ieee_invalid_op 0
		.amdhsa_exception_fp_denorm_src 0
		.amdhsa_exception_fp_ieee_div_zero 0
		.amdhsa_exception_fp_ieee_overflow 0
		.amdhsa_exception_fp_ieee_underflow 0
		.amdhsa_exception_fp_ieee_inexact 0
		.amdhsa_exception_int_div_zero 0
	.end_amdhsa_kernel
	.section	.text._ZN7rocprim17ROCPRIM_400000_NS6detail17trampoline_kernelINS0_14default_configENS1_33run_length_encode_config_selectorItjNS0_4plusIjEEEEZZNS1_33reduce_by_key_impl_wrapped_configILNS1_25lookback_scan_determinismE0ES3_S7_PKtNS0_17constant_iteratorIjlEEPtPlSF_S6_NS0_8equal_toItEEEE10hipError_tPvRmT2_T3_mT4_T5_T6_T7_T8_P12ihipStream_tbENKUlT_T0_E_clISt17integral_constantIbLb1EESZ_EEDaSU_SV_EUlSU_E_NS1_11comp_targetILNS1_3genE4ELNS1_11target_archE910ELNS1_3gpuE8ELNS1_3repE0EEENS1_30default_config_static_selectorELNS0_4arch9wavefront6targetE0EEEvT1_,"axG",@progbits,_ZN7rocprim17ROCPRIM_400000_NS6detail17trampoline_kernelINS0_14default_configENS1_33run_length_encode_config_selectorItjNS0_4plusIjEEEEZZNS1_33reduce_by_key_impl_wrapped_configILNS1_25lookback_scan_determinismE0ES3_S7_PKtNS0_17constant_iteratorIjlEEPtPlSF_S6_NS0_8equal_toItEEEE10hipError_tPvRmT2_T3_mT4_T5_T6_T7_T8_P12ihipStream_tbENKUlT_T0_E_clISt17integral_constantIbLb1EESZ_EEDaSU_SV_EUlSU_E_NS1_11comp_targetILNS1_3genE4ELNS1_11target_archE910ELNS1_3gpuE8ELNS1_3repE0EEENS1_30default_config_static_selectorELNS0_4arch9wavefront6targetE0EEEvT1_,comdat
.Lfunc_end798:
	.size	_ZN7rocprim17ROCPRIM_400000_NS6detail17trampoline_kernelINS0_14default_configENS1_33run_length_encode_config_selectorItjNS0_4plusIjEEEEZZNS1_33reduce_by_key_impl_wrapped_configILNS1_25lookback_scan_determinismE0ES3_S7_PKtNS0_17constant_iteratorIjlEEPtPlSF_S6_NS0_8equal_toItEEEE10hipError_tPvRmT2_T3_mT4_T5_T6_T7_T8_P12ihipStream_tbENKUlT_T0_E_clISt17integral_constantIbLb1EESZ_EEDaSU_SV_EUlSU_E_NS1_11comp_targetILNS1_3genE4ELNS1_11target_archE910ELNS1_3gpuE8ELNS1_3repE0EEENS1_30default_config_static_selectorELNS0_4arch9wavefront6targetE0EEEvT1_, .Lfunc_end798-_ZN7rocprim17ROCPRIM_400000_NS6detail17trampoline_kernelINS0_14default_configENS1_33run_length_encode_config_selectorItjNS0_4plusIjEEEEZZNS1_33reduce_by_key_impl_wrapped_configILNS1_25lookback_scan_determinismE0ES3_S7_PKtNS0_17constant_iteratorIjlEEPtPlSF_S6_NS0_8equal_toItEEEE10hipError_tPvRmT2_T3_mT4_T5_T6_T7_T8_P12ihipStream_tbENKUlT_T0_E_clISt17integral_constantIbLb1EESZ_EEDaSU_SV_EUlSU_E_NS1_11comp_targetILNS1_3genE4ELNS1_11target_archE910ELNS1_3gpuE8ELNS1_3repE0EEENS1_30default_config_static_selectorELNS0_4arch9wavefront6targetE0EEEvT1_
                                        ; -- End function
	.set _ZN7rocprim17ROCPRIM_400000_NS6detail17trampoline_kernelINS0_14default_configENS1_33run_length_encode_config_selectorItjNS0_4plusIjEEEEZZNS1_33reduce_by_key_impl_wrapped_configILNS1_25lookback_scan_determinismE0ES3_S7_PKtNS0_17constant_iteratorIjlEEPtPlSF_S6_NS0_8equal_toItEEEE10hipError_tPvRmT2_T3_mT4_T5_T6_T7_T8_P12ihipStream_tbENKUlT_T0_E_clISt17integral_constantIbLb1EESZ_EEDaSU_SV_EUlSU_E_NS1_11comp_targetILNS1_3genE4ELNS1_11target_archE910ELNS1_3gpuE8ELNS1_3repE0EEENS1_30default_config_static_selectorELNS0_4arch9wavefront6targetE0EEEvT1_.num_vgpr, 0
	.set _ZN7rocprim17ROCPRIM_400000_NS6detail17trampoline_kernelINS0_14default_configENS1_33run_length_encode_config_selectorItjNS0_4plusIjEEEEZZNS1_33reduce_by_key_impl_wrapped_configILNS1_25lookback_scan_determinismE0ES3_S7_PKtNS0_17constant_iteratorIjlEEPtPlSF_S6_NS0_8equal_toItEEEE10hipError_tPvRmT2_T3_mT4_T5_T6_T7_T8_P12ihipStream_tbENKUlT_T0_E_clISt17integral_constantIbLb1EESZ_EEDaSU_SV_EUlSU_E_NS1_11comp_targetILNS1_3genE4ELNS1_11target_archE910ELNS1_3gpuE8ELNS1_3repE0EEENS1_30default_config_static_selectorELNS0_4arch9wavefront6targetE0EEEvT1_.num_agpr, 0
	.set _ZN7rocprim17ROCPRIM_400000_NS6detail17trampoline_kernelINS0_14default_configENS1_33run_length_encode_config_selectorItjNS0_4plusIjEEEEZZNS1_33reduce_by_key_impl_wrapped_configILNS1_25lookback_scan_determinismE0ES3_S7_PKtNS0_17constant_iteratorIjlEEPtPlSF_S6_NS0_8equal_toItEEEE10hipError_tPvRmT2_T3_mT4_T5_T6_T7_T8_P12ihipStream_tbENKUlT_T0_E_clISt17integral_constantIbLb1EESZ_EEDaSU_SV_EUlSU_E_NS1_11comp_targetILNS1_3genE4ELNS1_11target_archE910ELNS1_3gpuE8ELNS1_3repE0EEENS1_30default_config_static_selectorELNS0_4arch9wavefront6targetE0EEEvT1_.numbered_sgpr, 0
	.set _ZN7rocprim17ROCPRIM_400000_NS6detail17trampoline_kernelINS0_14default_configENS1_33run_length_encode_config_selectorItjNS0_4plusIjEEEEZZNS1_33reduce_by_key_impl_wrapped_configILNS1_25lookback_scan_determinismE0ES3_S7_PKtNS0_17constant_iteratorIjlEEPtPlSF_S6_NS0_8equal_toItEEEE10hipError_tPvRmT2_T3_mT4_T5_T6_T7_T8_P12ihipStream_tbENKUlT_T0_E_clISt17integral_constantIbLb1EESZ_EEDaSU_SV_EUlSU_E_NS1_11comp_targetILNS1_3genE4ELNS1_11target_archE910ELNS1_3gpuE8ELNS1_3repE0EEENS1_30default_config_static_selectorELNS0_4arch9wavefront6targetE0EEEvT1_.num_named_barrier, 0
	.set _ZN7rocprim17ROCPRIM_400000_NS6detail17trampoline_kernelINS0_14default_configENS1_33run_length_encode_config_selectorItjNS0_4plusIjEEEEZZNS1_33reduce_by_key_impl_wrapped_configILNS1_25lookback_scan_determinismE0ES3_S7_PKtNS0_17constant_iteratorIjlEEPtPlSF_S6_NS0_8equal_toItEEEE10hipError_tPvRmT2_T3_mT4_T5_T6_T7_T8_P12ihipStream_tbENKUlT_T0_E_clISt17integral_constantIbLb1EESZ_EEDaSU_SV_EUlSU_E_NS1_11comp_targetILNS1_3genE4ELNS1_11target_archE910ELNS1_3gpuE8ELNS1_3repE0EEENS1_30default_config_static_selectorELNS0_4arch9wavefront6targetE0EEEvT1_.private_seg_size, 0
	.set _ZN7rocprim17ROCPRIM_400000_NS6detail17trampoline_kernelINS0_14default_configENS1_33run_length_encode_config_selectorItjNS0_4plusIjEEEEZZNS1_33reduce_by_key_impl_wrapped_configILNS1_25lookback_scan_determinismE0ES3_S7_PKtNS0_17constant_iteratorIjlEEPtPlSF_S6_NS0_8equal_toItEEEE10hipError_tPvRmT2_T3_mT4_T5_T6_T7_T8_P12ihipStream_tbENKUlT_T0_E_clISt17integral_constantIbLb1EESZ_EEDaSU_SV_EUlSU_E_NS1_11comp_targetILNS1_3genE4ELNS1_11target_archE910ELNS1_3gpuE8ELNS1_3repE0EEENS1_30default_config_static_selectorELNS0_4arch9wavefront6targetE0EEEvT1_.uses_vcc, 0
	.set _ZN7rocprim17ROCPRIM_400000_NS6detail17trampoline_kernelINS0_14default_configENS1_33run_length_encode_config_selectorItjNS0_4plusIjEEEEZZNS1_33reduce_by_key_impl_wrapped_configILNS1_25lookback_scan_determinismE0ES3_S7_PKtNS0_17constant_iteratorIjlEEPtPlSF_S6_NS0_8equal_toItEEEE10hipError_tPvRmT2_T3_mT4_T5_T6_T7_T8_P12ihipStream_tbENKUlT_T0_E_clISt17integral_constantIbLb1EESZ_EEDaSU_SV_EUlSU_E_NS1_11comp_targetILNS1_3genE4ELNS1_11target_archE910ELNS1_3gpuE8ELNS1_3repE0EEENS1_30default_config_static_selectorELNS0_4arch9wavefront6targetE0EEEvT1_.uses_flat_scratch, 0
	.set _ZN7rocprim17ROCPRIM_400000_NS6detail17trampoline_kernelINS0_14default_configENS1_33run_length_encode_config_selectorItjNS0_4plusIjEEEEZZNS1_33reduce_by_key_impl_wrapped_configILNS1_25lookback_scan_determinismE0ES3_S7_PKtNS0_17constant_iteratorIjlEEPtPlSF_S6_NS0_8equal_toItEEEE10hipError_tPvRmT2_T3_mT4_T5_T6_T7_T8_P12ihipStream_tbENKUlT_T0_E_clISt17integral_constantIbLb1EESZ_EEDaSU_SV_EUlSU_E_NS1_11comp_targetILNS1_3genE4ELNS1_11target_archE910ELNS1_3gpuE8ELNS1_3repE0EEENS1_30default_config_static_selectorELNS0_4arch9wavefront6targetE0EEEvT1_.has_dyn_sized_stack, 0
	.set _ZN7rocprim17ROCPRIM_400000_NS6detail17trampoline_kernelINS0_14default_configENS1_33run_length_encode_config_selectorItjNS0_4plusIjEEEEZZNS1_33reduce_by_key_impl_wrapped_configILNS1_25lookback_scan_determinismE0ES3_S7_PKtNS0_17constant_iteratorIjlEEPtPlSF_S6_NS0_8equal_toItEEEE10hipError_tPvRmT2_T3_mT4_T5_T6_T7_T8_P12ihipStream_tbENKUlT_T0_E_clISt17integral_constantIbLb1EESZ_EEDaSU_SV_EUlSU_E_NS1_11comp_targetILNS1_3genE4ELNS1_11target_archE910ELNS1_3gpuE8ELNS1_3repE0EEENS1_30default_config_static_selectorELNS0_4arch9wavefront6targetE0EEEvT1_.has_recursion, 0
	.set _ZN7rocprim17ROCPRIM_400000_NS6detail17trampoline_kernelINS0_14default_configENS1_33run_length_encode_config_selectorItjNS0_4plusIjEEEEZZNS1_33reduce_by_key_impl_wrapped_configILNS1_25lookback_scan_determinismE0ES3_S7_PKtNS0_17constant_iteratorIjlEEPtPlSF_S6_NS0_8equal_toItEEEE10hipError_tPvRmT2_T3_mT4_T5_T6_T7_T8_P12ihipStream_tbENKUlT_T0_E_clISt17integral_constantIbLb1EESZ_EEDaSU_SV_EUlSU_E_NS1_11comp_targetILNS1_3genE4ELNS1_11target_archE910ELNS1_3gpuE8ELNS1_3repE0EEENS1_30default_config_static_selectorELNS0_4arch9wavefront6targetE0EEEvT1_.has_indirect_call, 0
	.section	.AMDGPU.csdata,"",@progbits
; Kernel info:
; codeLenInByte = 0
; TotalNumSgprs: 0
; NumVgprs: 0
; ScratchSize: 0
; MemoryBound: 0
; FloatMode: 240
; IeeeMode: 1
; LDSByteSize: 0 bytes/workgroup (compile time only)
; SGPRBlocks: 0
; VGPRBlocks: 0
; NumSGPRsForWavesPerEU: 1
; NumVGPRsForWavesPerEU: 1
; NamedBarCnt: 0
; Occupancy: 16
; WaveLimiterHint : 0
; COMPUTE_PGM_RSRC2:SCRATCH_EN: 0
; COMPUTE_PGM_RSRC2:USER_SGPR: 2
; COMPUTE_PGM_RSRC2:TRAP_HANDLER: 0
; COMPUTE_PGM_RSRC2:TGID_X_EN: 1
; COMPUTE_PGM_RSRC2:TGID_Y_EN: 0
; COMPUTE_PGM_RSRC2:TGID_Z_EN: 0
; COMPUTE_PGM_RSRC2:TIDIG_COMP_CNT: 0
	.section	.text._ZN7rocprim17ROCPRIM_400000_NS6detail17trampoline_kernelINS0_14default_configENS1_33run_length_encode_config_selectorItjNS0_4plusIjEEEEZZNS1_33reduce_by_key_impl_wrapped_configILNS1_25lookback_scan_determinismE0ES3_S7_PKtNS0_17constant_iteratorIjlEEPtPlSF_S6_NS0_8equal_toItEEEE10hipError_tPvRmT2_T3_mT4_T5_T6_T7_T8_P12ihipStream_tbENKUlT_T0_E_clISt17integral_constantIbLb1EESZ_EEDaSU_SV_EUlSU_E_NS1_11comp_targetILNS1_3genE3ELNS1_11target_archE908ELNS1_3gpuE7ELNS1_3repE0EEENS1_30default_config_static_selectorELNS0_4arch9wavefront6targetE0EEEvT1_,"axG",@progbits,_ZN7rocprim17ROCPRIM_400000_NS6detail17trampoline_kernelINS0_14default_configENS1_33run_length_encode_config_selectorItjNS0_4plusIjEEEEZZNS1_33reduce_by_key_impl_wrapped_configILNS1_25lookback_scan_determinismE0ES3_S7_PKtNS0_17constant_iteratorIjlEEPtPlSF_S6_NS0_8equal_toItEEEE10hipError_tPvRmT2_T3_mT4_T5_T6_T7_T8_P12ihipStream_tbENKUlT_T0_E_clISt17integral_constantIbLb1EESZ_EEDaSU_SV_EUlSU_E_NS1_11comp_targetILNS1_3genE3ELNS1_11target_archE908ELNS1_3gpuE7ELNS1_3repE0EEENS1_30default_config_static_selectorELNS0_4arch9wavefront6targetE0EEEvT1_,comdat
	.protected	_ZN7rocprim17ROCPRIM_400000_NS6detail17trampoline_kernelINS0_14default_configENS1_33run_length_encode_config_selectorItjNS0_4plusIjEEEEZZNS1_33reduce_by_key_impl_wrapped_configILNS1_25lookback_scan_determinismE0ES3_S7_PKtNS0_17constant_iteratorIjlEEPtPlSF_S6_NS0_8equal_toItEEEE10hipError_tPvRmT2_T3_mT4_T5_T6_T7_T8_P12ihipStream_tbENKUlT_T0_E_clISt17integral_constantIbLb1EESZ_EEDaSU_SV_EUlSU_E_NS1_11comp_targetILNS1_3genE3ELNS1_11target_archE908ELNS1_3gpuE7ELNS1_3repE0EEENS1_30default_config_static_selectorELNS0_4arch9wavefront6targetE0EEEvT1_ ; -- Begin function _ZN7rocprim17ROCPRIM_400000_NS6detail17trampoline_kernelINS0_14default_configENS1_33run_length_encode_config_selectorItjNS0_4plusIjEEEEZZNS1_33reduce_by_key_impl_wrapped_configILNS1_25lookback_scan_determinismE0ES3_S7_PKtNS0_17constant_iteratorIjlEEPtPlSF_S6_NS0_8equal_toItEEEE10hipError_tPvRmT2_T3_mT4_T5_T6_T7_T8_P12ihipStream_tbENKUlT_T0_E_clISt17integral_constantIbLb1EESZ_EEDaSU_SV_EUlSU_E_NS1_11comp_targetILNS1_3genE3ELNS1_11target_archE908ELNS1_3gpuE7ELNS1_3repE0EEENS1_30default_config_static_selectorELNS0_4arch9wavefront6targetE0EEEvT1_
	.globl	_ZN7rocprim17ROCPRIM_400000_NS6detail17trampoline_kernelINS0_14default_configENS1_33run_length_encode_config_selectorItjNS0_4plusIjEEEEZZNS1_33reduce_by_key_impl_wrapped_configILNS1_25lookback_scan_determinismE0ES3_S7_PKtNS0_17constant_iteratorIjlEEPtPlSF_S6_NS0_8equal_toItEEEE10hipError_tPvRmT2_T3_mT4_T5_T6_T7_T8_P12ihipStream_tbENKUlT_T0_E_clISt17integral_constantIbLb1EESZ_EEDaSU_SV_EUlSU_E_NS1_11comp_targetILNS1_3genE3ELNS1_11target_archE908ELNS1_3gpuE7ELNS1_3repE0EEENS1_30default_config_static_selectorELNS0_4arch9wavefront6targetE0EEEvT1_
	.p2align	8
	.type	_ZN7rocprim17ROCPRIM_400000_NS6detail17trampoline_kernelINS0_14default_configENS1_33run_length_encode_config_selectorItjNS0_4plusIjEEEEZZNS1_33reduce_by_key_impl_wrapped_configILNS1_25lookback_scan_determinismE0ES3_S7_PKtNS0_17constant_iteratorIjlEEPtPlSF_S6_NS0_8equal_toItEEEE10hipError_tPvRmT2_T3_mT4_T5_T6_T7_T8_P12ihipStream_tbENKUlT_T0_E_clISt17integral_constantIbLb1EESZ_EEDaSU_SV_EUlSU_E_NS1_11comp_targetILNS1_3genE3ELNS1_11target_archE908ELNS1_3gpuE7ELNS1_3repE0EEENS1_30default_config_static_selectorELNS0_4arch9wavefront6targetE0EEEvT1_,@function
_ZN7rocprim17ROCPRIM_400000_NS6detail17trampoline_kernelINS0_14default_configENS1_33run_length_encode_config_selectorItjNS0_4plusIjEEEEZZNS1_33reduce_by_key_impl_wrapped_configILNS1_25lookback_scan_determinismE0ES3_S7_PKtNS0_17constant_iteratorIjlEEPtPlSF_S6_NS0_8equal_toItEEEE10hipError_tPvRmT2_T3_mT4_T5_T6_T7_T8_P12ihipStream_tbENKUlT_T0_E_clISt17integral_constantIbLb1EESZ_EEDaSU_SV_EUlSU_E_NS1_11comp_targetILNS1_3genE3ELNS1_11target_archE908ELNS1_3gpuE7ELNS1_3repE0EEENS1_30default_config_static_selectorELNS0_4arch9wavefront6targetE0EEEvT1_: ; @_ZN7rocprim17ROCPRIM_400000_NS6detail17trampoline_kernelINS0_14default_configENS1_33run_length_encode_config_selectorItjNS0_4plusIjEEEEZZNS1_33reduce_by_key_impl_wrapped_configILNS1_25lookback_scan_determinismE0ES3_S7_PKtNS0_17constant_iteratorIjlEEPtPlSF_S6_NS0_8equal_toItEEEE10hipError_tPvRmT2_T3_mT4_T5_T6_T7_T8_P12ihipStream_tbENKUlT_T0_E_clISt17integral_constantIbLb1EESZ_EEDaSU_SV_EUlSU_E_NS1_11comp_targetILNS1_3genE3ELNS1_11target_archE908ELNS1_3gpuE7ELNS1_3repE0EEENS1_30default_config_static_selectorELNS0_4arch9wavefront6targetE0EEEvT1_
; %bb.0:
	.section	.rodata,"a",@progbits
	.p2align	6, 0x0
	.amdhsa_kernel _ZN7rocprim17ROCPRIM_400000_NS6detail17trampoline_kernelINS0_14default_configENS1_33run_length_encode_config_selectorItjNS0_4plusIjEEEEZZNS1_33reduce_by_key_impl_wrapped_configILNS1_25lookback_scan_determinismE0ES3_S7_PKtNS0_17constant_iteratorIjlEEPtPlSF_S6_NS0_8equal_toItEEEE10hipError_tPvRmT2_T3_mT4_T5_T6_T7_T8_P12ihipStream_tbENKUlT_T0_E_clISt17integral_constantIbLb1EESZ_EEDaSU_SV_EUlSU_E_NS1_11comp_targetILNS1_3genE3ELNS1_11target_archE908ELNS1_3gpuE7ELNS1_3repE0EEENS1_30default_config_static_selectorELNS0_4arch9wavefront6targetE0EEEvT1_
		.amdhsa_group_segment_fixed_size 0
		.amdhsa_private_segment_fixed_size 0
		.amdhsa_kernarg_size 128
		.amdhsa_user_sgpr_count 2
		.amdhsa_user_sgpr_dispatch_ptr 0
		.amdhsa_user_sgpr_queue_ptr 0
		.amdhsa_user_sgpr_kernarg_segment_ptr 1
		.amdhsa_user_sgpr_dispatch_id 0
		.amdhsa_user_sgpr_kernarg_preload_length 0
		.amdhsa_user_sgpr_kernarg_preload_offset 0
		.amdhsa_user_sgpr_private_segment_size 0
		.amdhsa_wavefront_size32 1
		.amdhsa_uses_dynamic_stack 0
		.amdhsa_enable_private_segment 0
		.amdhsa_system_sgpr_workgroup_id_x 1
		.amdhsa_system_sgpr_workgroup_id_y 0
		.amdhsa_system_sgpr_workgroup_id_z 0
		.amdhsa_system_sgpr_workgroup_info 0
		.amdhsa_system_vgpr_workitem_id 0
		.amdhsa_next_free_vgpr 1
		.amdhsa_next_free_sgpr 1
		.amdhsa_named_barrier_count 0
		.amdhsa_reserve_vcc 0
		.amdhsa_float_round_mode_32 0
		.amdhsa_float_round_mode_16_64 0
		.amdhsa_float_denorm_mode_32 3
		.amdhsa_float_denorm_mode_16_64 3
		.amdhsa_fp16_overflow 0
		.amdhsa_memory_ordered 1
		.amdhsa_forward_progress 1
		.amdhsa_inst_pref_size 0
		.amdhsa_round_robin_scheduling 0
		.amdhsa_exception_fp_ieee_invalid_op 0
		.amdhsa_exception_fp_denorm_src 0
		.amdhsa_exception_fp_ieee_div_zero 0
		.amdhsa_exception_fp_ieee_overflow 0
		.amdhsa_exception_fp_ieee_underflow 0
		.amdhsa_exception_fp_ieee_inexact 0
		.amdhsa_exception_int_div_zero 0
	.end_amdhsa_kernel
	.section	.text._ZN7rocprim17ROCPRIM_400000_NS6detail17trampoline_kernelINS0_14default_configENS1_33run_length_encode_config_selectorItjNS0_4plusIjEEEEZZNS1_33reduce_by_key_impl_wrapped_configILNS1_25lookback_scan_determinismE0ES3_S7_PKtNS0_17constant_iteratorIjlEEPtPlSF_S6_NS0_8equal_toItEEEE10hipError_tPvRmT2_T3_mT4_T5_T6_T7_T8_P12ihipStream_tbENKUlT_T0_E_clISt17integral_constantIbLb1EESZ_EEDaSU_SV_EUlSU_E_NS1_11comp_targetILNS1_3genE3ELNS1_11target_archE908ELNS1_3gpuE7ELNS1_3repE0EEENS1_30default_config_static_selectorELNS0_4arch9wavefront6targetE0EEEvT1_,"axG",@progbits,_ZN7rocprim17ROCPRIM_400000_NS6detail17trampoline_kernelINS0_14default_configENS1_33run_length_encode_config_selectorItjNS0_4plusIjEEEEZZNS1_33reduce_by_key_impl_wrapped_configILNS1_25lookback_scan_determinismE0ES3_S7_PKtNS0_17constant_iteratorIjlEEPtPlSF_S6_NS0_8equal_toItEEEE10hipError_tPvRmT2_T3_mT4_T5_T6_T7_T8_P12ihipStream_tbENKUlT_T0_E_clISt17integral_constantIbLb1EESZ_EEDaSU_SV_EUlSU_E_NS1_11comp_targetILNS1_3genE3ELNS1_11target_archE908ELNS1_3gpuE7ELNS1_3repE0EEENS1_30default_config_static_selectorELNS0_4arch9wavefront6targetE0EEEvT1_,comdat
.Lfunc_end799:
	.size	_ZN7rocprim17ROCPRIM_400000_NS6detail17trampoline_kernelINS0_14default_configENS1_33run_length_encode_config_selectorItjNS0_4plusIjEEEEZZNS1_33reduce_by_key_impl_wrapped_configILNS1_25lookback_scan_determinismE0ES3_S7_PKtNS0_17constant_iteratorIjlEEPtPlSF_S6_NS0_8equal_toItEEEE10hipError_tPvRmT2_T3_mT4_T5_T6_T7_T8_P12ihipStream_tbENKUlT_T0_E_clISt17integral_constantIbLb1EESZ_EEDaSU_SV_EUlSU_E_NS1_11comp_targetILNS1_3genE3ELNS1_11target_archE908ELNS1_3gpuE7ELNS1_3repE0EEENS1_30default_config_static_selectorELNS0_4arch9wavefront6targetE0EEEvT1_, .Lfunc_end799-_ZN7rocprim17ROCPRIM_400000_NS6detail17trampoline_kernelINS0_14default_configENS1_33run_length_encode_config_selectorItjNS0_4plusIjEEEEZZNS1_33reduce_by_key_impl_wrapped_configILNS1_25lookback_scan_determinismE0ES3_S7_PKtNS0_17constant_iteratorIjlEEPtPlSF_S6_NS0_8equal_toItEEEE10hipError_tPvRmT2_T3_mT4_T5_T6_T7_T8_P12ihipStream_tbENKUlT_T0_E_clISt17integral_constantIbLb1EESZ_EEDaSU_SV_EUlSU_E_NS1_11comp_targetILNS1_3genE3ELNS1_11target_archE908ELNS1_3gpuE7ELNS1_3repE0EEENS1_30default_config_static_selectorELNS0_4arch9wavefront6targetE0EEEvT1_
                                        ; -- End function
	.set _ZN7rocprim17ROCPRIM_400000_NS6detail17trampoline_kernelINS0_14default_configENS1_33run_length_encode_config_selectorItjNS0_4plusIjEEEEZZNS1_33reduce_by_key_impl_wrapped_configILNS1_25lookback_scan_determinismE0ES3_S7_PKtNS0_17constant_iteratorIjlEEPtPlSF_S6_NS0_8equal_toItEEEE10hipError_tPvRmT2_T3_mT4_T5_T6_T7_T8_P12ihipStream_tbENKUlT_T0_E_clISt17integral_constantIbLb1EESZ_EEDaSU_SV_EUlSU_E_NS1_11comp_targetILNS1_3genE3ELNS1_11target_archE908ELNS1_3gpuE7ELNS1_3repE0EEENS1_30default_config_static_selectorELNS0_4arch9wavefront6targetE0EEEvT1_.num_vgpr, 0
	.set _ZN7rocprim17ROCPRIM_400000_NS6detail17trampoline_kernelINS0_14default_configENS1_33run_length_encode_config_selectorItjNS0_4plusIjEEEEZZNS1_33reduce_by_key_impl_wrapped_configILNS1_25lookback_scan_determinismE0ES3_S7_PKtNS0_17constant_iteratorIjlEEPtPlSF_S6_NS0_8equal_toItEEEE10hipError_tPvRmT2_T3_mT4_T5_T6_T7_T8_P12ihipStream_tbENKUlT_T0_E_clISt17integral_constantIbLb1EESZ_EEDaSU_SV_EUlSU_E_NS1_11comp_targetILNS1_3genE3ELNS1_11target_archE908ELNS1_3gpuE7ELNS1_3repE0EEENS1_30default_config_static_selectorELNS0_4arch9wavefront6targetE0EEEvT1_.num_agpr, 0
	.set _ZN7rocprim17ROCPRIM_400000_NS6detail17trampoline_kernelINS0_14default_configENS1_33run_length_encode_config_selectorItjNS0_4plusIjEEEEZZNS1_33reduce_by_key_impl_wrapped_configILNS1_25lookback_scan_determinismE0ES3_S7_PKtNS0_17constant_iteratorIjlEEPtPlSF_S6_NS0_8equal_toItEEEE10hipError_tPvRmT2_T3_mT4_T5_T6_T7_T8_P12ihipStream_tbENKUlT_T0_E_clISt17integral_constantIbLb1EESZ_EEDaSU_SV_EUlSU_E_NS1_11comp_targetILNS1_3genE3ELNS1_11target_archE908ELNS1_3gpuE7ELNS1_3repE0EEENS1_30default_config_static_selectorELNS0_4arch9wavefront6targetE0EEEvT1_.numbered_sgpr, 0
	.set _ZN7rocprim17ROCPRIM_400000_NS6detail17trampoline_kernelINS0_14default_configENS1_33run_length_encode_config_selectorItjNS0_4plusIjEEEEZZNS1_33reduce_by_key_impl_wrapped_configILNS1_25lookback_scan_determinismE0ES3_S7_PKtNS0_17constant_iteratorIjlEEPtPlSF_S6_NS0_8equal_toItEEEE10hipError_tPvRmT2_T3_mT4_T5_T6_T7_T8_P12ihipStream_tbENKUlT_T0_E_clISt17integral_constantIbLb1EESZ_EEDaSU_SV_EUlSU_E_NS1_11comp_targetILNS1_3genE3ELNS1_11target_archE908ELNS1_3gpuE7ELNS1_3repE0EEENS1_30default_config_static_selectorELNS0_4arch9wavefront6targetE0EEEvT1_.num_named_barrier, 0
	.set _ZN7rocprim17ROCPRIM_400000_NS6detail17trampoline_kernelINS0_14default_configENS1_33run_length_encode_config_selectorItjNS0_4plusIjEEEEZZNS1_33reduce_by_key_impl_wrapped_configILNS1_25lookback_scan_determinismE0ES3_S7_PKtNS0_17constant_iteratorIjlEEPtPlSF_S6_NS0_8equal_toItEEEE10hipError_tPvRmT2_T3_mT4_T5_T6_T7_T8_P12ihipStream_tbENKUlT_T0_E_clISt17integral_constantIbLb1EESZ_EEDaSU_SV_EUlSU_E_NS1_11comp_targetILNS1_3genE3ELNS1_11target_archE908ELNS1_3gpuE7ELNS1_3repE0EEENS1_30default_config_static_selectorELNS0_4arch9wavefront6targetE0EEEvT1_.private_seg_size, 0
	.set _ZN7rocprim17ROCPRIM_400000_NS6detail17trampoline_kernelINS0_14default_configENS1_33run_length_encode_config_selectorItjNS0_4plusIjEEEEZZNS1_33reduce_by_key_impl_wrapped_configILNS1_25lookback_scan_determinismE0ES3_S7_PKtNS0_17constant_iteratorIjlEEPtPlSF_S6_NS0_8equal_toItEEEE10hipError_tPvRmT2_T3_mT4_T5_T6_T7_T8_P12ihipStream_tbENKUlT_T0_E_clISt17integral_constantIbLb1EESZ_EEDaSU_SV_EUlSU_E_NS1_11comp_targetILNS1_3genE3ELNS1_11target_archE908ELNS1_3gpuE7ELNS1_3repE0EEENS1_30default_config_static_selectorELNS0_4arch9wavefront6targetE0EEEvT1_.uses_vcc, 0
	.set _ZN7rocprim17ROCPRIM_400000_NS6detail17trampoline_kernelINS0_14default_configENS1_33run_length_encode_config_selectorItjNS0_4plusIjEEEEZZNS1_33reduce_by_key_impl_wrapped_configILNS1_25lookback_scan_determinismE0ES3_S7_PKtNS0_17constant_iteratorIjlEEPtPlSF_S6_NS0_8equal_toItEEEE10hipError_tPvRmT2_T3_mT4_T5_T6_T7_T8_P12ihipStream_tbENKUlT_T0_E_clISt17integral_constantIbLb1EESZ_EEDaSU_SV_EUlSU_E_NS1_11comp_targetILNS1_3genE3ELNS1_11target_archE908ELNS1_3gpuE7ELNS1_3repE0EEENS1_30default_config_static_selectorELNS0_4arch9wavefront6targetE0EEEvT1_.uses_flat_scratch, 0
	.set _ZN7rocprim17ROCPRIM_400000_NS6detail17trampoline_kernelINS0_14default_configENS1_33run_length_encode_config_selectorItjNS0_4plusIjEEEEZZNS1_33reduce_by_key_impl_wrapped_configILNS1_25lookback_scan_determinismE0ES3_S7_PKtNS0_17constant_iteratorIjlEEPtPlSF_S6_NS0_8equal_toItEEEE10hipError_tPvRmT2_T3_mT4_T5_T6_T7_T8_P12ihipStream_tbENKUlT_T0_E_clISt17integral_constantIbLb1EESZ_EEDaSU_SV_EUlSU_E_NS1_11comp_targetILNS1_3genE3ELNS1_11target_archE908ELNS1_3gpuE7ELNS1_3repE0EEENS1_30default_config_static_selectorELNS0_4arch9wavefront6targetE0EEEvT1_.has_dyn_sized_stack, 0
	.set _ZN7rocprim17ROCPRIM_400000_NS6detail17trampoline_kernelINS0_14default_configENS1_33run_length_encode_config_selectorItjNS0_4plusIjEEEEZZNS1_33reduce_by_key_impl_wrapped_configILNS1_25lookback_scan_determinismE0ES3_S7_PKtNS0_17constant_iteratorIjlEEPtPlSF_S6_NS0_8equal_toItEEEE10hipError_tPvRmT2_T3_mT4_T5_T6_T7_T8_P12ihipStream_tbENKUlT_T0_E_clISt17integral_constantIbLb1EESZ_EEDaSU_SV_EUlSU_E_NS1_11comp_targetILNS1_3genE3ELNS1_11target_archE908ELNS1_3gpuE7ELNS1_3repE0EEENS1_30default_config_static_selectorELNS0_4arch9wavefront6targetE0EEEvT1_.has_recursion, 0
	.set _ZN7rocprim17ROCPRIM_400000_NS6detail17trampoline_kernelINS0_14default_configENS1_33run_length_encode_config_selectorItjNS0_4plusIjEEEEZZNS1_33reduce_by_key_impl_wrapped_configILNS1_25lookback_scan_determinismE0ES3_S7_PKtNS0_17constant_iteratorIjlEEPtPlSF_S6_NS0_8equal_toItEEEE10hipError_tPvRmT2_T3_mT4_T5_T6_T7_T8_P12ihipStream_tbENKUlT_T0_E_clISt17integral_constantIbLb1EESZ_EEDaSU_SV_EUlSU_E_NS1_11comp_targetILNS1_3genE3ELNS1_11target_archE908ELNS1_3gpuE7ELNS1_3repE0EEENS1_30default_config_static_selectorELNS0_4arch9wavefront6targetE0EEEvT1_.has_indirect_call, 0
	.section	.AMDGPU.csdata,"",@progbits
; Kernel info:
; codeLenInByte = 0
; TotalNumSgprs: 0
; NumVgprs: 0
; ScratchSize: 0
; MemoryBound: 0
; FloatMode: 240
; IeeeMode: 1
; LDSByteSize: 0 bytes/workgroup (compile time only)
; SGPRBlocks: 0
; VGPRBlocks: 0
; NumSGPRsForWavesPerEU: 1
; NumVGPRsForWavesPerEU: 1
; NamedBarCnt: 0
; Occupancy: 16
; WaveLimiterHint : 0
; COMPUTE_PGM_RSRC2:SCRATCH_EN: 0
; COMPUTE_PGM_RSRC2:USER_SGPR: 2
; COMPUTE_PGM_RSRC2:TRAP_HANDLER: 0
; COMPUTE_PGM_RSRC2:TGID_X_EN: 1
; COMPUTE_PGM_RSRC2:TGID_Y_EN: 0
; COMPUTE_PGM_RSRC2:TGID_Z_EN: 0
; COMPUTE_PGM_RSRC2:TIDIG_COMP_CNT: 0
	.section	.text._ZN7rocprim17ROCPRIM_400000_NS6detail17trampoline_kernelINS0_14default_configENS1_33run_length_encode_config_selectorItjNS0_4plusIjEEEEZZNS1_33reduce_by_key_impl_wrapped_configILNS1_25lookback_scan_determinismE0ES3_S7_PKtNS0_17constant_iteratorIjlEEPtPlSF_S6_NS0_8equal_toItEEEE10hipError_tPvRmT2_T3_mT4_T5_T6_T7_T8_P12ihipStream_tbENKUlT_T0_E_clISt17integral_constantIbLb1EESZ_EEDaSU_SV_EUlSU_E_NS1_11comp_targetILNS1_3genE2ELNS1_11target_archE906ELNS1_3gpuE6ELNS1_3repE0EEENS1_30default_config_static_selectorELNS0_4arch9wavefront6targetE0EEEvT1_,"axG",@progbits,_ZN7rocprim17ROCPRIM_400000_NS6detail17trampoline_kernelINS0_14default_configENS1_33run_length_encode_config_selectorItjNS0_4plusIjEEEEZZNS1_33reduce_by_key_impl_wrapped_configILNS1_25lookback_scan_determinismE0ES3_S7_PKtNS0_17constant_iteratorIjlEEPtPlSF_S6_NS0_8equal_toItEEEE10hipError_tPvRmT2_T3_mT4_T5_T6_T7_T8_P12ihipStream_tbENKUlT_T0_E_clISt17integral_constantIbLb1EESZ_EEDaSU_SV_EUlSU_E_NS1_11comp_targetILNS1_3genE2ELNS1_11target_archE906ELNS1_3gpuE6ELNS1_3repE0EEENS1_30default_config_static_selectorELNS0_4arch9wavefront6targetE0EEEvT1_,comdat
	.protected	_ZN7rocprim17ROCPRIM_400000_NS6detail17trampoline_kernelINS0_14default_configENS1_33run_length_encode_config_selectorItjNS0_4plusIjEEEEZZNS1_33reduce_by_key_impl_wrapped_configILNS1_25lookback_scan_determinismE0ES3_S7_PKtNS0_17constant_iteratorIjlEEPtPlSF_S6_NS0_8equal_toItEEEE10hipError_tPvRmT2_T3_mT4_T5_T6_T7_T8_P12ihipStream_tbENKUlT_T0_E_clISt17integral_constantIbLb1EESZ_EEDaSU_SV_EUlSU_E_NS1_11comp_targetILNS1_3genE2ELNS1_11target_archE906ELNS1_3gpuE6ELNS1_3repE0EEENS1_30default_config_static_selectorELNS0_4arch9wavefront6targetE0EEEvT1_ ; -- Begin function _ZN7rocprim17ROCPRIM_400000_NS6detail17trampoline_kernelINS0_14default_configENS1_33run_length_encode_config_selectorItjNS0_4plusIjEEEEZZNS1_33reduce_by_key_impl_wrapped_configILNS1_25lookback_scan_determinismE0ES3_S7_PKtNS0_17constant_iteratorIjlEEPtPlSF_S6_NS0_8equal_toItEEEE10hipError_tPvRmT2_T3_mT4_T5_T6_T7_T8_P12ihipStream_tbENKUlT_T0_E_clISt17integral_constantIbLb1EESZ_EEDaSU_SV_EUlSU_E_NS1_11comp_targetILNS1_3genE2ELNS1_11target_archE906ELNS1_3gpuE6ELNS1_3repE0EEENS1_30default_config_static_selectorELNS0_4arch9wavefront6targetE0EEEvT1_
	.globl	_ZN7rocprim17ROCPRIM_400000_NS6detail17trampoline_kernelINS0_14default_configENS1_33run_length_encode_config_selectorItjNS0_4plusIjEEEEZZNS1_33reduce_by_key_impl_wrapped_configILNS1_25lookback_scan_determinismE0ES3_S7_PKtNS0_17constant_iteratorIjlEEPtPlSF_S6_NS0_8equal_toItEEEE10hipError_tPvRmT2_T3_mT4_T5_T6_T7_T8_P12ihipStream_tbENKUlT_T0_E_clISt17integral_constantIbLb1EESZ_EEDaSU_SV_EUlSU_E_NS1_11comp_targetILNS1_3genE2ELNS1_11target_archE906ELNS1_3gpuE6ELNS1_3repE0EEENS1_30default_config_static_selectorELNS0_4arch9wavefront6targetE0EEEvT1_
	.p2align	8
	.type	_ZN7rocprim17ROCPRIM_400000_NS6detail17trampoline_kernelINS0_14default_configENS1_33run_length_encode_config_selectorItjNS0_4plusIjEEEEZZNS1_33reduce_by_key_impl_wrapped_configILNS1_25lookback_scan_determinismE0ES3_S7_PKtNS0_17constant_iteratorIjlEEPtPlSF_S6_NS0_8equal_toItEEEE10hipError_tPvRmT2_T3_mT4_T5_T6_T7_T8_P12ihipStream_tbENKUlT_T0_E_clISt17integral_constantIbLb1EESZ_EEDaSU_SV_EUlSU_E_NS1_11comp_targetILNS1_3genE2ELNS1_11target_archE906ELNS1_3gpuE6ELNS1_3repE0EEENS1_30default_config_static_selectorELNS0_4arch9wavefront6targetE0EEEvT1_,@function
_ZN7rocprim17ROCPRIM_400000_NS6detail17trampoline_kernelINS0_14default_configENS1_33run_length_encode_config_selectorItjNS0_4plusIjEEEEZZNS1_33reduce_by_key_impl_wrapped_configILNS1_25lookback_scan_determinismE0ES3_S7_PKtNS0_17constant_iteratorIjlEEPtPlSF_S6_NS0_8equal_toItEEEE10hipError_tPvRmT2_T3_mT4_T5_T6_T7_T8_P12ihipStream_tbENKUlT_T0_E_clISt17integral_constantIbLb1EESZ_EEDaSU_SV_EUlSU_E_NS1_11comp_targetILNS1_3genE2ELNS1_11target_archE906ELNS1_3gpuE6ELNS1_3repE0EEENS1_30default_config_static_selectorELNS0_4arch9wavefront6targetE0EEEvT1_: ; @_ZN7rocprim17ROCPRIM_400000_NS6detail17trampoline_kernelINS0_14default_configENS1_33run_length_encode_config_selectorItjNS0_4plusIjEEEEZZNS1_33reduce_by_key_impl_wrapped_configILNS1_25lookback_scan_determinismE0ES3_S7_PKtNS0_17constant_iteratorIjlEEPtPlSF_S6_NS0_8equal_toItEEEE10hipError_tPvRmT2_T3_mT4_T5_T6_T7_T8_P12ihipStream_tbENKUlT_T0_E_clISt17integral_constantIbLb1EESZ_EEDaSU_SV_EUlSU_E_NS1_11comp_targetILNS1_3genE2ELNS1_11target_archE906ELNS1_3gpuE6ELNS1_3repE0EEENS1_30default_config_static_selectorELNS0_4arch9wavefront6targetE0EEEvT1_
; %bb.0:
	.section	.rodata,"a",@progbits
	.p2align	6, 0x0
	.amdhsa_kernel _ZN7rocprim17ROCPRIM_400000_NS6detail17trampoline_kernelINS0_14default_configENS1_33run_length_encode_config_selectorItjNS0_4plusIjEEEEZZNS1_33reduce_by_key_impl_wrapped_configILNS1_25lookback_scan_determinismE0ES3_S7_PKtNS0_17constant_iteratorIjlEEPtPlSF_S6_NS0_8equal_toItEEEE10hipError_tPvRmT2_T3_mT4_T5_T6_T7_T8_P12ihipStream_tbENKUlT_T0_E_clISt17integral_constantIbLb1EESZ_EEDaSU_SV_EUlSU_E_NS1_11comp_targetILNS1_3genE2ELNS1_11target_archE906ELNS1_3gpuE6ELNS1_3repE0EEENS1_30default_config_static_selectorELNS0_4arch9wavefront6targetE0EEEvT1_
		.amdhsa_group_segment_fixed_size 0
		.amdhsa_private_segment_fixed_size 0
		.amdhsa_kernarg_size 128
		.amdhsa_user_sgpr_count 2
		.amdhsa_user_sgpr_dispatch_ptr 0
		.amdhsa_user_sgpr_queue_ptr 0
		.amdhsa_user_sgpr_kernarg_segment_ptr 1
		.amdhsa_user_sgpr_dispatch_id 0
		.amdhsa_user_sgpr_kernarg_preload_length 0
		.amdhsa_user_sgpr_kernarg_preload_offset 0
		.amdhsa_user_sgpr_private_segment_size 0
		.amdhsa_wavefront_size32 1
		.amdhsa_uses_dynamic_stack 0
		.amdhsa_enable_private_segment 0
		.amdhsa_system_sgpr_workgroup_id_x 1
		.amdhsa_system_sgpr_workgroup_id_y 0
		.amdhsa_system_sgpr_workgroup_id_z 0
		.amdhsa_system_sgpr_workgroup_info 0
		.amdhsa_system_vgpr_workitem_id 0
		.amdhsa_next_free_vgpr 1
		.amdhsa_next_free_sgpr 1
		.amdhsa_named_barrier_count 0
		.amdhsa_reserve_vcc 0
		.amdhsa_float_round_mode_32 0
		.amdhsa_float_round_mode_16_64 0
		.amdhsa_float_denorm_mode_32 3
		.amdhsa_float_denorm_mode_16_64 3
		.amdhsa_fp16_overflow 0
		.amdhsa_memory_ordered 1
		.amdhsa_forward_progress 1
		.amdhsa_inst_pref_size 0
		.amdhsa_round_robin_scheduling 0
		.amdhsa_exception_fp_ieee_invalid_op 0
		.amdhsa_exception_fp_denorm_src 0
		.amdhsa_exception_fp_ieee_div_zero 0
		.amdhsa_exception_fp_ieee_overflow 0
		.amdhsa_exception_fp_ieee_underflow 0
		.amdhsa_exception_fp_ieee_inexact 0
		.amdhsa_exception_int_div_zero 0
	.end_amdhsa_kernel
	.section	.text._ZN7rocprim17ROCPRIM_400000_NS6detail17trampoline_kernelINS0_14default_configENS1_33run_length_encode_config_selectorItjNS0_4plusIjEEEEZZNS1_33reduce_by_key_impl_wrapped_configILNS1_25lookback_scan_determinismE0ES3_S7_PKtNS0_17constant_iteratorIjlEEPtPlSF_S6_NS0_8equal_toItEEEE10hipError_tPvRmT2_T3_mT4_T5_T6_T7_T8_P12ihipStream_tbENKUlT_T0_E_clISt17integral_constantIbLb1EESZ_EEDaSU_SV_EUlSU_E_NS1_11comp_targetILNS1_3genE2ELNS1_11target_archE906ELNS1_3gpuE6ELNS1_3repE0EEENS1_30default_config_static_selectorELNS0_4arch9wavefront6targetE0EEEvT1_,"axG",@progbits,_ZN7rocprim17ROCPRIM_400000_NS6detail17trampoline_kernelINS0_14default_configENS1_33run_length_encode_config_selectorItjNS0_4plusIjEEEEZZNS1_33reduce_by_key_impl_wrapped_configILNS1_25lookback_scan_determinismE0ES3_S7_PKtNS0_17constant_iteratorIjlEEPtPlSF_S6_NS0_8equal_toItEEEE10hipError_tPvRmT2_T3_mT4_T5_T6_T7_T8_P12ihipStream_tbENKUlT_T0_E_clISt17integral_constantIbLb1EESZ_EEDaSU_SV_EUlSU_E_NS1_11comp_targetILNS1_3genE2ELNS1_11target_archE906ELNS1_3gpuE6ELNS1_3repE0EEENS1_30default_config_static_selectorELNS0_4arch9wavefront6targetE0EEEvT1_,comdat
.Lfunc_end800:
	.size	_ZN7rocprim17ROCPRIM_400000_NS6detail17trampoline_kernelINS0_14default_configENS1_33run_length_encode_config_selectorItjNS0_4plusIjEEEEZZNS1_33reduce_by_key_impl_wrapped_configILNS1_25lookback_scan_determinismE0ES3_S7_PKtNS0_17constant_iteratorIjlEEPtPlSF_S6_NS0_8equal_toItEEEE10hipError_tPvRmT2_T3_mT4_T5_T6_T7_T8_P12ihipStream_tbENKUlT_T0_E_clISt17integral_constantIbLb1EESZ_EEDaSU_SV_EUlSU_E_NS1_11comp_targetILNS1_3genE2ELNS1_11target_archE906ELNS1_3gpuE6ELNS1_3repE0EEENS1_30default_config_static_selectorELNS0_4arch9wavefront6targetE0EEEvT1_, .Lfunc_end800-_ZN7rocprim17ROCPRIM_400000_NS6detail17trampoline_kernelINS0_14default_configENS1_33run_length_encode_config_selectorItjNS0_4plusIjEEEEZZNS1_33reduce_by_key_impl_wrapped_configILNS1_25lookback_scan_determinismE0ES3_S7_PKtNS0_17constant_iteratorIjlEEPtPlSF_S6_NS0_8equal_toItEEEE10hipError_tPvRmT2_T3_mT4_T5_T6_T7_T8_P12ihipStream_tbENKUlT_T0_E_clISt17integral_constantIbLb1EESZ_EEDaSU_SV_EUlSU_E_NS1_11comp_targetILNS1_3genE2ELNS1_11target_archE906ELNS1_3gpuE6ELNS1_3repE0EEENS1_30default_config_static_selectorELNS0_4arch9wavefront6targetE0EEEvT1_
                                        ; -- End function
	.set _ZN7rocprim17ROCPRIM_400000_NS6detail17trampoline_kernelINS0_14default_configENS1_33run_length_encode_config_selectorItjNS0_4plusIjEEEEZZNS1_33reduce_by_key_impl_wrapped_configILNS1_25lookback_scan_determinismE0ES3_S7_PKtNS0_17constant_iteratorIjlEEPtPlSF_S6_NS0_8equal_toItEEEE10hipError_tPvRmT2_T3_mT4_T5_T6_T7_T8_P12ihipStream_tbENKUlT_T0_E_clISt17integral_constantIbLb1EESZ_EEDaSU_SV_EUlSU_E_NS1_11comp_targetILNS1_3genE2ELNS1_11target_archE906ELNS1_3gpuE6ELNS1_3repE0EEENS1_30default_config_static_selectorELNS0_4arch9wavefront6targetE0EEEvT1_.num_vgpr, 0
	.set _ZN7rocprim17ROCPRIM_400000_NS6detail17trampoline_kernelINS0_14default_configENS1_33run_length_encode_config_selectorItjNS0_4plusIjEEEEZZNS1_33reduce_by_key_impl_wrapped_configILNS1_25lookback_scan_determinismE0ES3_S7_PKtNS0_17constant_iteratorIjlEEPtPlSF_S6_NS0_8equal_toItEEEE10hipError_tPvRmT2_T3_mT4_T5_T6_T7_T8_P12ihipStream_tbENKUlT_T0_E_clISt17integral_constantIbLb1EESZ_EEDaSU_SV_EUlSU_E_NS1_11comp_targetILNS1_3genE2ELNS1_11target_archE906ELNS1_3gpuE6ELNS1_3repE0EEENS1_30default_config_static_selectorELNS0_4arch9wavefront6targetE0EEEvT1_.num_agpr, 0
	.set _ZN7rocprim17ROCPRIM_400000_NS6detail17trampoline_kernelINS0_14default_configENS1_33run_length_encode_config_selectorItjNS0_4plusIjEEEEZZNS1_33reduce_by_key_impl_wrapped_configILNS1_25lookback_scan_determinismE0ES3_S7_PKtNS0_17constant_iteratorIjlEEPtPlSF_S6_NS0_8equal_toItEEEE10hipError_tPvRmT2_T3_mT4_T5_T6_T7_T8_P12ihipStream_tbENKUlT_T0_E_clISt17integral_constantIbLb1EESZ_EEDaSU_SV_EUlSU_E_NS1_11comp_targetILNS1_3genE2ELNS1_11target_archE906ELNS1_3gpuE6ELNS1_3repE0EEENS1_30default_config_static_selectorELNS0_4arch9wavefront6targetE0EEEvT1_.numbered_sgpr, 0
	.set _ZN7rocprim17ROCPRIM_400000_NS6detail17trampoline_kernelINS0_14default_configENS1_33run_length_encode_config_selectorItjNS0_4plusIjEEEEZZNS1_33reduce_by_key_impl_wrapped_configILNS1_25lookback_scan_determinismE0ES3_S7_PKtNS0_17constant_iteratorIjlEEPtPlSF_S6_NS0_8equal_toItEEEE10hipError_tPvRmT2_T3_mT4_T5_T6_T7_T8_P12ihipStream_tbENKUlT_T0_E_clISt17integral_constantIbLb1EESZ_EEDaSU_SV_EUlSU_E_NS1_11comp_targetILNS1_3genE2ELNS1_11target_archE906ELNS1_3gpuE6ELNS1_3repE0EEENS1_30default_config_static_selectorELNS0_4arch9wavefront6targetE0EEEvT1_.num_named_barrier, 0
	.set _ZN7rocprim17ROCPRIM_400000_NS6detail17trampoline_kernelINS0_14default_configENS1_33run_length_encode_config_selectorItjNS0_4plusIjEEEEZZNS1_33reduce_by_key_impl_wrapped_configILNS1_25lookback_scan_determinismE0ES3_S7_PKtNS0_17constant_iteratorIjlEEPtPlSF_S6_NS0_8equal_toItEEEE10hipError_tPvRmT2_T3_mT4_T5_T6_T7_T8_P12ihipStream_tbENKUlT_T0_E_clISt17integral_constantIbLb1EESZ_EEDaSU_SV_EUlSU_E_NS1_11comp_targetILNS1_3genE2ELNS1_11target_archE906ELNS1_3gpuE6ELNS1_3repE0EEENS1_30default_config_static_selectorELNS0_4arch9wavefront6targetE0EEEvT1_.private_seg_size, 0
	.set _ZN7rocprim17ROCPRIM_400000_NS6detail17trampoline_kernelINS0_14default_configENS1_33run_length_encode_config_selectorItjNS0_4plusIjEEEEZZNS1_33reduce_by_key_impl_wrapped_configILNS1_25lookback_scan_determinismE0ES3_S7_PKtNS0_17constant_iteratorIjlEEPtPlSF_S6_NS0_8equal_toItEEEE10hipError_tPvRmT2_T3_mT4_T5_T6_T7_T8_P12ihipStream_tbENKUlT_T0_E_clISt17integral_constantIbLb1EESZ_EEDaSU_SV_EUlSU_E_NS1_11comp_targetILNS1_3genE2ELNS1_11target_archE906ELNS1_3gpuE6ELNS1_3repE0EEENS1_30default_config_static_selectorELNS0_4arch9wavefront6targetE0EEEvT1_.uses_vcc, 0
	.set _ZN7rocprim17ROCPRIM_400000_NS6detail17trampoline_kernelINS0_14default_configENS1_33run_length_encode_config_selectorItjNS0_4plusIjEEEEZZNS1_33reduce_by_key_impl_wrapped_configILNS1_25lookback_scan_determinismE0ES3_S7_PKtNS0_17constant_iteratorIjlEEPtPlSF_S6_NS0_8equal_toItEEEE10hipError_tPvRmT2_T3_mT4_T5_T6_T7_T8_P12ihipStream_tbENKUlT_T0_E_clISt17integral_constantIbLb1EESZ_EEDaSU_SV_EUlSU_E_NS1_11comp_targetILNS1_3genE2ELNS1_11target_archE906ELNS1_3gpuE6ELNS1_3repE0EEENS1_30default_config_static_selectorELNS0_4arch9wavefront6targetE0EEEvT1_.uses_flat_scratch, 0
	.set _ZN7rocprim17ROCPRIM_400000_NS6detail17trampoline_kernelINS0_14default_configENS1_33run_length_encode_config_selectorItjNS0_4plusIjEEEEZZNS1_33reduce_by_key_impl_wrapped_configILNS1_25lookback_scan_determinismE0ES3_S7_PKtNS0_17constant_iteratorIjlEEPtPlSF_S6_NS0_8equal_toItEEEE10hipError_tPvRmT2_T3_mT4_T5_T6_T7_T8_P12ihipStream_tbENKUlT_T0_E_clISt17integral_constantIbLb1EESZ_EEDaSU_SV_EUlSU_E_NS1_11comp_targetILNS1_3genE2ELNS1_11target_archE906ELNS1_3gpuE6ELNS1_3repE0EEENS1_30default_config_static_selectorELNS0_4arch9wavefront6targetE0EEEvT1_.has_dyn_sized_stack, 0
	.set _ZN7rocprim17ROCPRIM_400000_NS6detail17trampoline_kernelINS0_14default_configENS1_33run_length_encode_config_selectorItjNS0_4plusIjEEEEZZNS1_33reduce_by_key_impl_wrapped_configILNS1_25lookback_scan_determinismE0ES3_S7_PKtNS0_17constant_iteratorIjlEEPtPlSF_S6_NS0_8equal_toItEEEE10hipError_tPvRmT2_T3_mT4_T5_T6_T7_T8_P12ihipStream_tbENKUlT_T0_E_clISt17integral_constantIbLb1EESZ_EEDaSU_SV_EUlSU_E_NS1_11comp_targetILNS1_3genE2ELNS1_11target_archE906ELNS1_3gpuE6ELNS1_3repE0EEENS1_30default_config_static_selectorELNS0_4arch9wavefront6targetE0EEEvT1_.has_recursion, 0
	.set _ZN7rocprim17ROCPRIM_400000_NS6detail17trampoline_kernelINS0_14default_configENS1_33run_length_encode_config_selectorItjNS0_4plusIjEEEEZZNS1_33reduce_by_key_impl_wrapped_configILNS1_25lookback_scan_determinismE0ES3_S7_PKtNS0_17constant_iteratorIjlEEPtPlSF_S6_NS0_8equal_toItEEEE10hipError_tPvRmT2_T3_mT4_T5_T6_T7_T8_P12ihipStream_tbENKUlT_T0_E_clISt17integral_constantIbLb1EESZ_EEDaSU_SV_EUlSU_E_NS1_11comp_targetILNS1_3genE2ELNS1_11target_archE906ELNS1_3gpuE6ELNS1_3repE0EEENS1_30default_config_static_selectorELNS0_4arch9wavefront6targetE0EEEvT1_.has_indirect_call, 0
	.section	.AMDGPU.csdata,"",@progbits
; Kernel info:
; codeLenInByte = 0
; TotalNumSgprs: 0
; NumVgprs: 0
; ScratchSize: 0
; MemoryBound: 0
; FloatMode: 240
; IeeeMode: 1
; LDSByteSize: 0 bytes/workgroup (compile time only)
; SGPRBlocks: 0
; VGPRBlocks: 0
; NumSGPRsForWavesPerEU: 1
; NumVGPRsForWavesPerEU: 1
; NamedBarCnt: 0
; Occupancy: 16
; WaveLimiterHint : 0
; COMPUTE_PGM_RSRC2:SCRATCH_EN: 0
; COMPUTE_PGM_RSRC2:USER_SGPR: 2
; COMPUTE_PGM_RSRC2:TRAP_HANDLER: 0
; COMPUTE_PGM_RSRC2:TGID_X_EN: 1
; COMPUTE_PGM_RSRC2:TGID_Y_EN: 0
; COMPUTE_PGM_RSRC2:TGID_Z_EN: 0
; COMPUTE_PGM_RSRC2:TIDIG_COMP_CNT: 0
	.section	.text._ZN7rocprim17ROCPRIM_400000_NS6detail17trampoline_kernelINS0_14default_configENS1_33run_length_encode_config_selectorItjNS0_4plusIjEEEEZZNS1_33reduce_by_key_impl_wrapped_configILNS1_25lookback_scan_determinismE0ES3_S7_PKtNS0_17constant_iteratorIjlEEPtPlSF_S6_NS0_8equal_toItEEEE10hipError_tPvRmT2_T3_mT4_T5_T6_T7_T8_P12ihipStream_tbENKUlT_T0_E_clISt17integral_constantIbLb1EESZ_EEDaSU_SV_EUlSU_E_NS1_11comp_targetILNS1_3genE10ELNS1_11target_archE1201ELNS1_3gpuE5ELNS1_3repE0EEENS1_30default_config_static_selectorELNS0_4arch9wavefront6targetE0EEEvT1_,"axG",@progbits,_ZN7rocprim17ROCPRIM_400000_NS6detail17trampoline_kernelINS0_14default_configENS1_33run_length_encode_config_selectorItjNS0_4plusIjEEEEZZNS1_33reduce_by_key_impl_wrapped_configILNS1_25lookback_scan_determinismE0ES3_S7_PKtNS0_17constant_iteratorIjlEEPtPlSF_S6_NS0_8equal_toItEEEE10hipError_tPvRmT2_T3_mT4_T5_T6_T7_T8_P12ihipStream_tbENKUlT_T0_E_clISt17integral_constantIbLb1EESZ_EEDaSU_SV_EUlSU_E_NS1_11comp_targetILNS1_3genE10ELNS1_11target_archE1201ELNS1_3gpuE5ELNS1_3repE0EEENS1_30default_config_static_selectorELNS0_4arch9wavefront6targetE0EEEvT1_,comdat
	.protected	_ZN7rocprim17ROCPRIM_400000_NS6detail17trampoline_kernelINS0_14default_configENS1_33run_length_encode_config_selectorItjNS0_4plusIjEEEEZZNS1_33reduce_by_key_impl_wrapped_configILNS1_25lookback_scan_determinismE0ES3_S7_PKtNS0_17constant_iteratorIjlEEPtPlSF_S6_NS0_8equal_toItEEEE10hipError_tPvRmT2_T3_mT4_T5_T6_T7_T8_P12ihipStream_tbENKUlT_T0_E_clISt17integral_constantIbLb1EESZ_EEDaSU_SV_EUlSU_E_NS1_11comp_targetILNS1_3genE10ELNS1_11target_archE1201ELNS1_3gpuE5ELNS1_3repE0EEENS1_30default_config_static_selectorELNS0_4arch9wavefront6targetE0EEEvT1_ ; -- Begin function _ZN7rocprim17ROCPRIM_400000_NS6detail17trampoline_kernelINS0_14default_configENS1_33run_length_encode_config_selectorItjNS0_4plusIjEEEEZZNS1_33reduce_by_key_impl_wrapped_configILNS1_25lookback_scan_determinismE0ES3_S7_PKtNS0_17constant_iteratorIjlEEPtPlSF_S6_NS0_8equal_toItEEEE10hipError_tPvRmT2_T3_mT4_T5_T6_T7_T8_P12ihipStream_tbENKUlT_T0_E_clISt17integral_constantIbLb1EESZ_EEDaSU_SV_EUlSU_E_NS1_11comp_targetILNS1_3genE10ELNS1_11target_archE1201ELNS1_3gpuE5ELNS1_3repE0EEENS1_30default_config_static_selectorELNS0_4arch9wavefront6targetE0EEEvT1_
	.globl	_ZN7rocprim17ROCPRIM_400000_NS6detail17trampoline_kernelINS0_14default_configENS1_33run_length_encode_config_selectorItjNS0_4plusIjEEEEZZNS1_33reduce_by_key_impl_wrapped_configILNS1_25lookback_scan_determinismE0ES3_S7_PKtNS0_17constant_iteratorIjlEEPtPlSF_S6_NS0_8equal_toItEEEE10hipError_tPvRmT2_T3_mT4_T5_T6_T7_T8_P12ihipStream_tbENKUlT_T0_E_clISt17integral_constantIbLb1EESZ_EEDaSU_SV_EUlSU_E_NS1_11comp_targetILNS1_3genE10ELNS1_11target_archE1201ELNS1_3gpuE5ELNS1_3repE0EEENS1_30default_config_static_selectorELNS0_4arch9wavefront6targetE0EEEvT1_
	.p2align	8
	.type	_ZN7rocprim17ROCPRIM_400000_NS6detail17trampoline_kernelINS0_14default_configENS1_33run_length_encode_config_selectorItjNS0_4plusIjEEEEZZNS1_33reduce_by_key_impl_wrapped_configILNS1_25lookback_scan_determinismE0ES3_S7_PKtNS0_17constant_iteratorIjlEEPtPlSF_S6_NS0_8equal_toItEEEE10hipError_tPvRmT2_T3_mT4_T5_T6_T7_T8_P12ihipStream_tbENKUlT_T0_E_clISt17integral_constantIbLb1EESZ_EEDaSU_SV_EUlSU_E_NS1_11comp_targetILNS1_3genE10ELNS1_11target_archE1201ELNS1_3gpuE5ELNS1_3repE0EEENS1_30default_config_static_selectorELNS0_4arch9wavefront6targetE0EEEvT1_,@function
_ZN7rocprim17ROCPRIM_400000_NS6detail17trampoline_kernelINS0_14default_configENS1_33run_length_encode_config_selectorItjNS0_4plusIjEEEEZZNS1_33reduce_by_key_impl_wrapped_configILNS1_25lookback_scan_determinismE0ES3_S7_PKtNS0_17constant_iteratorIjlEEPtPlSF_S6_NS0_8equal_toItEEEE10hipError_tPvRmT2_T3_mT4_T5_T6_T7_T8_P12ihipStream_tbENKUlT_T0_E_clISt17integral_constantIbLb1EESZ_EEDaSU_SV_EUlSU_E_NS1_11comp_targetILNS1_3genE10ELNS1_11target_archE1201ELNS1_3gpuE5ELNS1_3repE0EEENS1_30default_config_static_selectorELNS0_4arch9wavefront6targetE0EEEvT1_: ; @_ZN7rocprim17ROCPRIM_400000_NS6detail17trampoline_kernelINS0_14default_configENS1_33run_length_encode_config_selectorItjNS0_4plusIjEEEEZZNS1_33reduce_by_key_impl_wrapped_configILNS1_25lookback_scan_determinismE0ES3_S7_PKtNS0_17constant_iteratorIjlEEPtPlSF_S6_NS0_8equal_toItEEEE10hipError_tPvRmT2_T3_mT4_T5_T6_T7_T8_P12ihipStream_tbENKUlT_T0_E_clISt17integral_constantIbLb1EESZ_EEDaSU_SV_EUlSU_E_NS1_11comp_targetILNS1_3genE10ELNS1_11target_archE1201ELNS1_3gpuE5ELNS1_3repE0EEENS1_30default_config_static_selectorELNS0_4arch9wavefront6targetE0EEEvT1_
; %bb.0:
	.section	.rodata,"a",@progbits
	.p2align	6, 0x0
	.amdhsa_kernel _ZN7rocprim17ROCPRIM_400000_NS6detail17trampoline_kernelINS0_14default_configENS1_33run_length_encode_config_selectorItjNS0_4plusIjEEEEZZNS1_33reduce_by_key_impl_wrapped_configILNS1_25lookback_scan_determinismE0ES3_S7_PKtNS0_17constant_iteratorIjlEEPtPlSF_S6_NS0_8equal_toItEEEE10hipError_tPvRmT2_T3_mT4_T5_T6_T7_T8_P12ihipStream_tbENKUlT_T0_E_clISt17integral_constantIbLb1EESZ_EEDaSU_SV_EUlSU_E_NS1_11comp_targetILNS1_3genE10ELNS1_11target_archE1201ELNS1_3gpuE5ELNS1_3repE0EEENS1_30default_config_static_selectorELNS0_4arch9wavefront6targetE0EEEvT1_
		.amdhsa_group_segment_fixed_size 0
		.amdhsa_private_segment_fixed_size 0
		.amdhsa_kernarg_size 128
		.amdhsa_user_sgpr_count 2
		.amdhsa_user_sgpr_dispatch_ptr 0
		.amdhsa_user_sgpr_queue_ptr 0
		.amdhsa_user_sgpr_kernarg_segment_ptr 1
		.amdhsa_user_sgpr_dispatch_id 0
		.amdhsa_user_sgpr_kernarg_preload_length 0
		.amdhsa_user_sgpr_kernarg_preload_offset 0
		.amdhsa_user_sgpr_private_segment_size 0
		.amdhsa_wavefront_size32 1
		.amdhsa_uses_dynamic_stack 0
		.amdhsa_enable_private_segment 0
		.amdhsa_system_sgpr_workgroup_id_x 1
		.amdhsa_system_sgpr_workgroup_id_y 0
		.amdhsa_system_sgpr_workgroup_id_z 0
		.amdhsa_system_sgpr_workgroup_info 0
		.amdhsa_system_vgpr_workitem_id 0
		.amdhsa_next_free_vgpr 1
		.amdhsa_next_free_sgpr 1
		.amdhsa_named_barrier_count 0
		.amdhsa_reserve_vcc 0
		.amdhsa_float_round_mode_32 0
		.amdhsa_float_round_mode_16_64 0
		.amdhsa_float_denorm_mode_32 3
		.amdhsa_float_denorm_mode_16_64 3
		.amdhsa_fp16_overflow 0
		.amdhsa_memory_ordered 1
		.amdhsa_forward_progress 1
		.amdhsa_inst_pref_size 0
		.amdhsa_round_robin_scheduling 0
		.amdhsa_exception_fp_ieee_invalid_op 0
		.amdhsa_exception_fp_denorm_src 0
		.amdhsa_exception_fp_ieee_div_zero 0
		.amdhsa_exception_fp_ieee_overflow 0
		.amdhsa_exception_fp_ieee_underflow 0
		.amdhsa_exception_fp_ieee_inexact 0
		.amdhsa_exception_int_div_zero 0
	.end_amdhsa_kernel
	.section	.text._ZN7rocprim17ROCPRIM_400000_NS6detail17trampoline_kernelINS0_14default_configENS1_33run_length_encode_config_selectorItjNS0_4plusIjEEEEZZNS1_33reduce_by_key_impl_wrapped_configILNS1_25lookback_scan_determinismE0ES3_S7_PKtNS0_17constant_iteratorIjlEEPtPlSF_S6_NS0_8equal_toItEEEE10hipError_tPvRmT2_T3_mT4_T5_T6_T7_T8_P12ihipStream_tbENKUlT_T0_E_clISt17integral_constantIbLb1EESZ_EEDaSU_SV_EUlSU_E_NS1_11comp_targetILNS1_3genE10ELNS1_11target_archE1201ELNS1_3gpuE5ELNS1_3repE0EEENS1_30default_config_static_selectorELNS0_4arch9wavefront6targetE0EEEvT1_,"axG",@progbits,_ZN7rocprim17ROCPRIM_400000_NS6detail17trampoline_kernelINS0_14default_configENS1_33run_length_encode_config_selectorItjNS0_4plusIjEEEEZZNS1_33reduce_by_key_impl_wrapped_configILNS1_25lookback_scan_determinismE0ES3_S7_PKtNS0_17constant_iteratorIjlEEPtPlSF_S6_NS0_8equal_toItEEEE10hipError_tPvRmT2_T3_mT4_T5_T6_T7_T8_P12ihipStream_tbENKUlT_T0_E_clISt17integral_constantIbLb1EESZ_EEDaSU_SV_EUlSU_E_NS1_11comp_targetILNS1_3genE10ELNS1_11target_archE1201ELNS1_3gpuE5ELNS1_3repE0EEENS1_30default_config_static_selectorELNS0_4arch9wavefront6targetE0EEEvT1_,comdat
.Lfunc_end801:
	.size	_ZN7rocprim17ROCPRIM_400000_NS6detail17trampoline_kernelINS0_14default_configENS1_33run_length_encode_config_selectorItjNS0_4plusIjEEEEZZNS1_33reduce_by_key_impl_wrapped_configILNS1_25lookback_scan_determinismE0ES3_S7_PKtNS0_17constant_iteratorIjlEEPtPlSF_S6_NS0_8equal_toItEEEE10hipError_tPvRmT2_T3_mT4_T5_T6_T7_T8_P12ihipStream_tbENKUlT_T0_E_clISt17integral_constantIbLb1EESZ_EEDaSU_SV_EUlSU_E_NS1_11comp_targetILNS1_3genE10ELNS1_11target_archE1201ELNS1_3gpuE5ELNS1_3repE0EEENS1_30default_config_static_selectorELNS0_4arch9wavefront6targetE0EEEvT1_, .Lfunc_end801-_ZN7rocprim17ROCPRIM_400000_NS6detail17trampoline_kernelINS0_14default_configENS1_33run_length_encode_config_selectorItjNS0_4plusIjEEEEZZNS1_33reduce_by_key_impl_wrapped_configILNS1_25lookback_scan_determinismE0ES3_S7_PKtNS0_17constant_iteratorIjlEEPtPlSF_S6_NS0_8equal_toItEEEE10hipError_tPvRmT2_T3_mT4_T5_T6_T7_T8_P12ihipStream_tbENKUlT_T0_E_clISt17integral_constantIbLb1EESZ_EEDaSU_SV_EUlSU_E_NS1_11comp_targetILNS1_3genE10ELNS1_11target_archE1201ELNS1_3gpuE5ELNS1_3repE0EEENS1_30default_config_static_selectorELNS0_4arch9wavefront6targetE0EEEvT1_
                                        ; -- End function
	.set _ZN7rocprim17ROCPRIM_400000_NS6detail17trampoline_kernelINS0_14default_configENS1_33run_length_encode_config_selectorItjNS0_4plusIjEEEEZZNS1_33reduce_by_key_impl_wrapped_configILNS1_25lookback_scan_determinismE0ES3_S7_PKtNS0_17constant_iteratorIjlEEPtPlSF_S6_NS0_8equal_toItEEEE10hipError_tPvRmT2_T3_mT4_T5_T6_T7_T8_P12ihipStream_tbENKUlT_T0_E_clISt17integral_constantIbLb1EESZ_EEDaSU_SV_EUlSU_E_NS1_11comp_targetILNS1_3genE10ELNS1_11target_archE1201ELNS1_3gpuE5ELNS1_3repE0EEENS1_30default_config_static_selectorELNS0_4arch9wavefront6targetE0EEEvT1_.num_vgpr, 0
	.set _ZN7rocprim17ROCPRIM_400000_NS6detail17trampoline_kernelINS0_14default_configENS1_33run_length_encode_config_selectorItjNS0_4plusIjEEEEZZNS1_33reduce_by_key_impl_wrapped_configILNS1_25lookback_scan_determinismE0ES3_S7_PKtNS0_17constant_iteratorIjlEEPtPlSF_S6_NS0_8equal_toItEEEE10hipError_tPvRmT2_T3_mT4_T5_T6_T7_T8_P12ihipStream_tbENKUlT_T0_E_clISt17integral_constantIbLb1EESZ_EEDaSU_SV_EUlSU_E_NS1_11comp_targetILNS1_3genE10ELNS1_11target_archE1201ELNS1_3gpuE5ELNS1_3repE0EEENS1_30default_config_static_selectorELNS0_4arch9wavefront6targetE0EEEvT1_.num_agpr, 0
	.set _ZN7rocprim17ROCPRIM_400000_NS6detail17trampoline_kernelINS0_14default_configENS1_33run_length_encode_config_selectorItjNS0_4plusIjEEEEZZNS1_33reduce_by_key_impl_wrapped_configILNS1_25lookback_scan_determinismE0ES3_S7_PKtNS0_17constant_iteratorIjlEEPtPlSF_S6_NS0_8equal_toItEEEE10hipError_tPvRmT2_T3_mT4_T5_T6_T7_T8_P12ihipStream_tbENKUlT_T0_E_clISt17integral_constantIbLb1EESZ_EEDaSU_SV_EUlSU_E_NS1_11comp_targetILNS1_3genE10ELNS1_11target_archE1201ELNS1_3gpuE5ELNS1_3repE0EEENS1_30default_config_static_selectorELNS0_4arch9wavefront6targetE0EEEvT1_.numbered_sgpr, 0
	.set _ZN7rocprim17ROCPRIM_400000_NS6detail17trampoline_kernelINS0_14default_configENS1_33run_length_encode_config_selectorItjNS0_4plusIjEEEEZZNS1_33reduce_by_key_impl_wrapped_configILNS1_25lookback_scan_determinismE0ES3_S7_PKtNS0_17constant_iteratorIjlEEPtPlSF_S6_NS0_8equal_toItEEEE10hipError_tPvRmT2_T3_mT4_T5_T6_T7_T8_P12ihipStream_tbENKUlT_T0_E_clISt17integral_constantIbLb1EESZ_EEDaSU_SV_EUlSU_E_NS1_11comp_targetILNS1_3genE10ELNS1_11target_archE1201ELNS1_3gpuE5ELNS1_3repE0EEENS1_30default_config_static_selectorELNS0_4arch9wavefront6targetE0EEEvT1_.num_named_barrier, 0
	.set _ZN7rocprim17ROCPRIM_400000_NS6detail17trampoline_kernelINS0_14default_configENS1_33run_length_encode_config_selectorItjNS0_4plusIjEEEEZZNS1_33reduce_by_key_impl_wrapped_configILNS1_25lookback_scan_determinismE0ES3_S7_PKtNS0_17constant_iteratorIjlEEPtPlSF_S6_NS0_8equal_toItEEEE10hipError_tPvRmT2_T3_mT4_T5_T6_T7_T8_P12ihipStream_tbENKUlT_T0_E_clISt17integral_constantIbLb1EESZ_EEDaSU_SV_EUlSU_E_NS1_11comp_targetILNS1_3genE10ELNS1_11target_archE1201ELNS1_3gpuE5ELNS1_3repE0EEENS1_30default_config_static_selectorELNS0_4arch9wavefront6targetE0EEEvT1_.private_seg_size, 0
	.set _ZN7rocprim17ROCPRIM_400000_NS6detail17trampoline_kernelINS0_14default_configENS1_33run_length_encode_config_selectorItjNS0_4plusIjEEEEZZNS1_33reduce_by_key_impl_wrapped_configILNS1_25lookback_scan_determinismE0ES3_S7_PKtNS0_17constant_iteratorIjlEEPtPlSF_S6_NS0_8equal_toItEEEE10hipError_tPvRmT2_T3_mT4_T5_T6_T7_T8_P12ihipStream_tbENKUlT_T0_E_clISt17integral_constantIbLb1EESZ_EEDaSU_SV_EUlSU_E_NS1_11comp_targetILNS1_3genE10ELNS1_11target_archE1201ELNS1_3gpuE5ELNS1_3repE0EEENS1_30default_config_static_selectorELNS0_4arch9wavefront6targetE0EEEvT1_.uses_vcc, 0
	.set _ZN7rocprim17ROCPRIM_400000_NS6detail17trampoline_kernelINS0_14default_configENS1_33run_length_encode_config_selectorItjNS0_4plusIjEEEEZZNS1_33reduce_by_key_impl_wrapped_configILNS1_25lookback_scan_determinismE0ES3_S7_PKtNS0_17constant_iteratorIjlEEPtPlSF_S6_NS0_8equal_toItEEEE10hipError_tPvRmT2_T3_mT4_T5_T6_T7_T8_P12ihipStream_tbENKUlT_T0_E_clISt17integral_constantIbLb1EESZ_EEDaSU_SV_EUlSU_E_NS1_11comp_targetILNS1_3genE10ELNS1_11target_archE1201ELNS1_3gpuE5ELNS1_3repE0EEENS1_30default_config_static_selectorELNS0_4arch9wavefront6targetE0EEEvT1_.uses_flat_scratch, 0
	.set _ZN7rocprim17ROCPRIM_400000_NS6detail17trampoline_kernelINS0_14default_configENS1_33run_length_encode_config_selectorItjNS0_4plusIjEEEEZZNS1_33reduce_by_key_impl_wrapped_configILNS1_25lookback_scan_determinismE0ES3_S7_PKtNS0_17constant_iteratorIjlEEPtPlSF_S6_NS0_8equal_toItEEEE10hipError_tPvRmT2_T3_mT4_T5_T6_T7_T8_P12ihipStream_tbENKUlT_T0_E_clISt17integral_constantIbLb1EESZ_EEDaSU_SV_EUlSU_E_NS1_11comp_targetILNS1_3genE10ELNS1_11target_archE1201ELNS1_3gpuE5ELNS1_3repE0EEENS1_30default_config_static_selectorELNS0_4arch9wavefront6targetE0EEEvT1_.has_dyn_sized_stack, 0
	.set _ZN7rocprim17ROCPRIM_400000_NS6detail17trampoline_kernelINS0_14default_configENS1_33run_length_encode_config_selectorItjNS0_4plusIjEEEEZZNS1_33reduce_by_key_impl_wrapped_configILNS1_25lookback_scan_determinismE0ES3_S7_PKtNS0_17constant_iteratorIjlEEPtPlSF_S6_NS0_8equal_toItEEEE10hipError_tPvRmT2_T3_mT4_T5_T6_T7_T8_P12ihipStream_tbENKUlT_T0_E_clISt17integral_constantIbLb1EESZ_EEDaSU_SV_EUlSU_E_NS1_11comp_targetILNS1_3genE10ELNS1_11target_archE1201ELNS1_3gpuE5ELNS1_3repE0EEENS1_30default_config_static_selectorELNS0_4arch9wavefront6targetE0EEEvT1_.has_recursion, 0
	.set _ZN7rocprim17ROCPRIM_400000_NS6detail17trampoline_kernelINS0_14default_configENS1_33run_length_encode_config_selectorItjNS0_4plusIjEEEEZZNS1_33reduce_by_key_impl_wrapped_configILNS1_25lookback_scan_determinismE0ES3_S7_PKtNS0_17constant_iteratorIjlEEPtPlSF_S6_NS0_8equal_toItEEEE10hipError_tPvRmT2_T3_mT4_T5_T6_T7_T8_P12ihipStream_tbENKUlT_T0_E_clISt17integral_constantIbLb1EESZ_EEDaSU_SV_EUlSU_E_NS1_11comp_targetILNS1_3genE10ELNS1_11target_archE1201ELNS1_3gpuE5ELNS1_3repE0EEENS1_30default_config_static_selectorELNS0_4arch9wavefront6targetE0EEEvT1_.has_indirect_call, 0
	.section	.AMDGPU.csdata,"",@progbits
; Kernel info:
; codeLenInByte = 0
; TotalNumSgprs: 0
; NumVgprs: 0
; ScratchSize: 0
; MemoryBound: 0
; FloatMode: 240
; IeeeMode: 1
; LDSByteSize: 0 bytes/workgroup (compile time only)
; SGPRBlocks: 0
; VGPRBlocks: 0
; NumSGPRsForWavesPerEU: 1
; NumVGPRsForWavesPerEU: 1
; NamedBarCnt: 0
; Occupancy: 16
; WaveLimiterHint : 0
; COMPUTE_PGM_RSRC2:SCRATCH_EN: 0
; COMPUTE_PGM_RSRC2:USER_SGPR: 2
; COMPUTE_PGM_RSRC2:TRAP_HANDLER: 0
; COMPUTE_PGM_RSRC2:TGID_X_EN: 1
; COMPUTE_PGM_RSRC2:TGID_Y_EN: 0
; COMPUTE_PGM_RSRC2:TGID_Z_EN: 0
; COMPUTE_PGM_RSRC2:TIDIG_COMP_CNT: 0
	.section	.text._ZN7rocprim17ROCPRIM_400000_NS6detail17trampoline_kernelINS0_14default_configENS1_33run_length_encode_config_selectorItjNS0_4plusIjEEEEZZNS1_33reduce_by_key_impl_wrapped_configILNS1_25lookback_scan_determinismE0ES3_S7_PKtNS0_17constant_iteratorIjlEEPtPlSF_S6_NS0_8equal_toItEEEE10hipError_tPvRmT2_T3_mT4_T5_T6_T7_T8_P12ihipStream_tbENKUlT_T0_E_clISt17integral_constantIbLb1EESZ_EEDaSU_SV_EUlSU_E_NS1_11comp_targetILNS1_3genE10ELNS1_11target_archE1200ELNS1_3gpuE4ELNS1_3repE0EEENS1_30default_config_static_selectorELNS0_4arch9wavefront6targetE0EEEvT1_,"axG",@progbits,_ZN7rocprim17ROCPRIM_400000_NS6detail17trampoline_kernelINS0_14default_configENS1_33run_length_encode_config_selectorItjNS0_4plusIjEEEEZZNS1_33reduce_by_key_impl_wrapped_configILNS1_25lookback_scan_determinismE0ES3_S7_PKtNS0_17constant_iteratorIjlEEPtPlSF_S6_NS0_8equal_toItEEEE10hipError_tPvRmT2_T3_mT4_T5_T6_T7_T8_P12ihipStream_tbENKUlT_T0_E_clISt17integral_constantIbLb1EESZ_EEDaSU_SV_EUlSU_E_NS1_11comp_targetILNS1_3genE10ELNS1_11target_archE1200ELNS1_3gpuE4ELNS1_3repE0EEENS1_30default_config_static_selectorELNS0_4arch9wavefront6targetE0EEEvT1_,comdat
	.protected	_ZN7rocprim17ROCPRIM_400000_NS6detail17trampoline_kernelINS0_14default_configENS1_33run_length_encode_config_selectorItjNS0_4plusIjEEEEZZNS1_33reduce_by_key_impl_wrapped_configILNS1_25lookback_scan_determinismE0ES3_S7_PKtNS0_17constant_iteratorIjlEEPtPlSF_S6_NS0_8equal_toItEEEE10hipError_tPvRmT2_T3_mT4_T5_T6_T7_T8_P12ihipStream_tbENKUlT_T0_E_clISt17integral_constantIbLb1EESZ_EEDaSU_SV_EUlSU_E_NS1_11comp_targetILNS1_3genE10ELNS1_11target_archE1200ELNS1_3gpuE4ELNS1_3repE0EEENS1_30default_config_static_selectorELNS0_4arch9wavefront6targetE0EEEvT1_ ; -- Begin function _ZN7rocprim17ROCPRIM_400000_NS6detail17trampoline_kernelINS0_14default_configENS1_33run_length_encode_config_selectorItjNS0_4plusIjEEEEZZNS1_33reduce_by_key_impl_wrapped_configILNS1_25lookback_scan_determinismE0ES3_S7_PKtNS0_17constant_iteratorIjlEEPtPlSF_S6_NS0_8equal_toItEEEE10hipError_tPvRmT2_T3_mT4_T5_T6_T7_T8_P12ihipStream_tbENKUlT_T0_E_clISt17integral_constantIbLb1EESZ_EEDaSU_SV_EUlSU_E_NS1_11comp_targetILNS1_3genE10ELNS1_11target_archE1200ELNS1_3gpuE4ELNS1_3repE0EEENS1_30default_config_static_selectorELNS0_4arch9wavefront6targetE0EEEvT1_
	.globl	_ZN7rocprim17ROCPRIM_400000_NS6detail17trampoline_kernelINS0_14default_configENS1_33run_length_encode_config_selectorItjNS0_4plusIjEEEEZZNS1_33reduce_by_key_impl_wrapped_configILNS1_25lookback_scan_determinismE0ES3_S7_PKtNS0_17constant_iteratorIjlEEPtPlSF_S6_NS0_8equal_toItEEEE10hipError_tPvRmT2_T3_mT4_T5_T6_T7_T8_P12ihipStream_tbENKUlT_T0_E_clISt17integral_constantIbLb1EESZ_EEDaSU_SV_EUlSU_E_NS1_11comp_targetILNS1_3genE10ELNS1_11target_archE1200ELNS1_3gpuE4ELNS1_3repE0EEENS1_30default_config_static_selectorELNS0_4arch9wavefront6targetE0EEEvT1_
	.p2align	8
	.type	_ZN7rocprim17ROCPRIM_400000_NS6detail17trampoline_kernelINS0_14default_configENS1_33run_length_encode_config_selectorItjNS0_4plusIjEEEEZZNS1_33reduce_by_key_impl_wrapped_configILNS1_25lookback_scan_determinismE0ES3_S7_PKtNS0_17constant_iteratorIjlEEPtPlSF_S6_NS0_8equal_toItEEEE10hipError_tPvRmT2_T3_mT4_T5_T6_T7_T8_P12ihipStream_tbENKUlT_T0_E_clISt17integral_constantIbLb1EESZ_EEDaSU_SV_EUlSU_E_NS1_11comp_targetILNS1_3genE10ELNS1_11target_archE1200ELNS1_3gpuE4ELNS1_3repE0EEENS1_30default_config_static_selectorELNS0_4arch9wavefront6targetE0EEEvT1_,@function
_ZN7rocprim17ROCPRIM_400000_NS6detail17trampoline_kernelINS0_14default_configENS1_33run_length_encode_config_selectorItjNS0_4plusIjEEEEZZNS1_33reduce_by_key_impl_wrapped_configILNS1_25lookback_scan_determinismE0ES3_S7_PKtNS0_17constant_iteratorIjlEEPtPlSF_S6_NS0_8equal_toItEEEE10hipError_tPvRmT2_T3_mT4_T5_T6_T7_T8_P12ihipStream_tbENKUlT_T0_E_clISt17integral_constantIbLb1EESZ_EEDaSU_SV_EUlSU_E_NS1_11comp_targetILNS1_3genE10ELNS1_11target_archE1200ELNS1_3gpuE4ELNS1_3repE0EEENS1_30default_config_static_selectorELNS0_4arch9wavefront6targetE0EEEvT1_: ; @_ZN7rocprim17ROCPRIM_400000_NS6detail17trampoline_kernelINS0_14default_configENS1_33run_length_encode_config_selectorItjNS0_4plusIjEEEEZZNS1_33reduce_by_key_impl_wrapped_configILNS1_25lookback_scan_determinismE0ES3_S7_PKtNS0_17constant_iteratorIjlEEPtPlSF_S6_NS0_8equal_toItEEEE10hipError_tPvRmT2_T3_mT4_T5_T6_T7_T8_P12ihipStream_tbENKUlT_T0_E_clISt17integral_constantIbLb1EESZ_EEDaSU_SV_EUlSU_E_NS1_11comp_targetILNS1_3genE10ELNS1_11target_archE1200ELNS1_3gpuE4ELNS1_3repE0EEENS1_30default_config_static_selectorELNS0_4arch9wavefront6targetE0EEEvT1_
; %bb.0:
	.section	.rodata,"a",@progbits
	.p2align	6, 0x0
	.amdhsa_kernel _ZN7rocprim17ROCPRIM_400000_NS6detail17trampoline_kernelINS0_14default_configENS1_33run_length_encode_config_selectorItjNS0_4plusIjEEEEZZNS1_33reduce_by_key_impl_wrapped_configILNS1_25lookback_scan_determinismE0ES3_S7_PKtNS0_17constant_iteratorIjlEEPtPlSF_S6_NS0_8equal_toItEEEE10hipError_tPvRmT2_T3_mT4_T5_T6_T7_T8_P12ihipStream_tbENKUlT_T0_E_clISt17integral_constantIbLb1EESZ_EEDaSU_SV_EUlSU_E_NS1_11comp_targetILNS1_3genE10ELNS1_11target_archE1200ELNS1_3gpuE4ELNS1_3repE0EEENS1_30default_config_static_selectorELNS0_4arch9wavefront6targetE0EEEvT1_
		.amdhsa_group_segment_fixed_size 0
		.amdhsa_private_segment_fixed_size 0
		.amdhsa_kernarg_size 128
		.amdhsa_user_sgpr_count 2
		.amdhsa_user_sgpr_dispatch_ptr 0
		.amdhsa_user_sgpr_queue_ptr 0
		.amdhsa_user_sgpr_kernarg_segment_ptr 1
		.amdhsa_user_sgpr_dispatch_id 0
		.amdhsa_user_sgpr_kernarg_preload_length 0
		.amdhsa_user_sgpr_kernarg_preload_offset 0
		.amdhsa_user_sgpr_private_segment_size 0
		.amdhsa_wavefront_size32 1
		.amdhsa_uses_dynamic_stack 0
		.amdhsa_enable_private_segment 0
		.amdhsa_system_sgpr_workgroup_id_x 1
		.amdhsa_system_sgpr_workgroup_id_y 0
		.amdhsa_system_sgpr_workgroup_id_z 0
		.amdhsa_system_sgpr_workgroup_info 0
		.amdhsa_system_vgpr_workitem_id 0
		.amdhsa_next_free_vgpr 1
		.amdhsa_next_free_sgpr 1
		.amdhsa_named_barrier_count 0
		.amdhsa_reserve_vcc 0
		.amdhsa_float_round_mode_32 0
		.amdhsa_float_round_mode_16_64 0
		.amdhsa_float_denorm_mode_32 3
		.amdhsa_float_denorm_mode_16_64 3
		.amdhsa_fp16_overflow 0
		.amdhsa_memory_ordered 1
		.amdhsa_forward_progress 1
		.amdhsa_inst_pref_size 0
		.amdhsa_round_robin_scheduling 0
		.amdhsa_exception_fp_ieee_invalid_op 0
		.amdhsa_exception_fp_denorm_src 0
		.amdhsa_exception_fp_ieee_div_zero 0
		.amdhsa_exception_fp_ieee_overflow 0
		.amdhsa_exception_fp_ieee_underflow 0
		.amdhsa_exception_fp_ieee_inexact 0
		.amdhsa_exception_int_div_zero 0
	.end_amdhsa_kernel
	.section	.text._ZN7rocprim17ROCPRIM_400000_NS6detail17trampoline_kernelINS0_14default_configENS1_33run_length_encode_config_selectorItjNS0_4plusIjEEEEZZNS1_33reduce_by_key_impl_wrapped_configILNS1_25lookback_scan_determinismE0ES3_S7_PKtNS0_17constant_iteratorIjlEEPtPlSF_S6_NS0_8equal_toItEEEE10hipError_tPvRmT2_T3_mT4_T5_T6_T7_T8_P12ihipStream_tbENKUlT_T0_E_clISt17integral_constantIbLb1EESZ_EEDaSU_SV_EUlSU_E_NS1_11comp_targetILNS1_3genE10ELNS1_11target_archE1200ELNS1_3gpuE4ELNS1_3repE0EEENS1_30default_config_static_selectorELNS0_4arch9wavefront6targetE0EEEvT1_,"axG",@progbits,_ZN7rocprim17ROCPRIM_400000_NS6detail17trampoline_kernelINS0_14default_configENS1_33run_length_encode_config_selectorItjNS0_4plusIjEEEEZZNS1_33reduce_by_key_impl_wrapped_configILNS1_25lookback_scan_determinismE0ES3_S7_PKtNS0_17constant_iteratorIjlEEPtPlSF_S6_NS0_8equal_toItEEEE10hipError_tPvRmT2_T3_mT4_T5_T6_T7_T8_P12ihipStream_tbENKUlT_T0_E_clISt17integral_constantIbLb1EESZ_EEDaSU_SV_EUlSU_E_NS1_11comp_targetILNS1_3genE10ELNS1_11target_archE1200ELNS1_3gpuE4ELNS1_3repE0EEENS1_30default_config_static_selectorELNS0_4arch9wavefront6targetE0EEEvT1_,comdat
.Lfunc_end802:
	.size	_ZN7rocprim17ROCPRIM_400000_NS6detail17trampoline_kernelINS0_14default_configENS1_33run_length_encode_config_selectorItjNS0_4plusIjEEEEZZNS1_33reduce_by_key_impl_wrapped_configILNS1_25lookback_scan_determinismE0ES3_S7_PKtNS0_17constant_iteratorIjlEEPtPlSF_S6_NS0_8equal_toItEEEE10hipError_tPvRmT2_T3_mT4_T5_T6_T7_T8_P12ihipStream_tbENKUlT_T0_E_clISt17integral_constantIbLb1EESZ_EEDaSU_SV_EUlSU_E_NS1_11comp_targetILNS1_3genE10ELNS1_11target_archE1200ELNS1_3gpuE4ELNS1_3repE0EEENS1_30default_config_static_selectorELNS0_4arch9wavefront6targetE0EEEvT1_, .Lfunc_end802-_ZN7rocprim17ROCPRIM_400000_NS6detail17trampoline_kernelINS0_14default_configENS1_33run_length_encode_config_selectorItjNS0_4plusIjEEEEZZNS1_33reduce_by_key_impl_wrapped_configILNS1_25lookback_scan_determinismE0ES3_S7_PKtNS0_17constant_iteratorIjlEEPtPlSF_S6_NS0_8equal_toItEEEE10hipError_tPvRmT2_T3_mT4_T5_T6_T7_T8_P12ihipStream_tbENKUlT_T0_E_clISt17integral_constantIbLb1EESZ_EEDaSU_SV_EUlSU_E_NS1_11comp_targetILNS1_3genE10ELNS1_11target_archE1200ELNS1_3gpuE4ELNS1_3repE0EEENS1_30default_config_static_selectorELNS0_4arch9wavefront6targetE0EEEvT1_
                                        ; -- End function
	.set _ZN7rocprim17ROCPRIM_400000_NS6detail17trampoline_kernelINS0_14default_configENS1_33run_length_encode_config_selectorItjNS0_4plusIjEEEEZZNS1_33reduce_by_key_impl_wrapped_configILNS1_25lookback_scan_determinismE0ES3_S7_PKtNS0_17constant_iteratorIjlEEPtPlSF_S6_NS0_8equal_toItEEEE10hipError_tPvRmT2_T3_mT4_T5_T6_T7_T8_P12ihipStream_tbENKUlT_T0_E_clISt17integral_constantIbLb1EESZ_EEDaSU_SV_EUlSU_E_NS1_11comp_targetILNS1_3genE10ELNS1_11target_archE1200ELNS1_3gpuE4ELNS1_3repE0EEENS1_30default_config_static_selectorELNS0_4arch9wavefront6targetE0EEEvT1_.num_vgpr, 0
	.set _ZN7rocprim17ROCPRIM_400000_NS6detail17trampoline_kernelINS0_14default_configENS1_33run_length_encode_config_selectorItjNS0_4plusIjEEEEZZNS1_33reduce_by_key_impl_wrapped_configILNS1_25lookback_scan_determinismE0ES3_S7_PKtNS0_17constant_iteratorIjlEEPtPlSF_S6_NS0_8equal_toItEEEE10hipError_tPvRmT2_T3_mT4_T5_T6_T7_T8_P12ihipStream_tbENKUlT_T0_E_clISt17integral_constantIbLb1EESZ_EEDaSU_SV_EUlSU_E_NS1_11comp_targetILNS1_3genE10ELNS1_11target_archE1200ELNS1_3gpuE4ELNS1_3repE0EEENS1_30default_config_static_selectorELNS0_4arch9wavefront6targetE0EEEvT1_.num_agpr, 0
	.set _ZN7rocprim17ROCPRIM_400000_NS6detail17trampoline_kernelINS0_14default_configENS1_33run_length_encode_config_selectorItjNS0_4plusIjEEEEZZNS1_33reduce_by_key_impl_wrapped_configILNS1_25lookback_scan_determinismE0ES3_S7_PKtNS0_17constant_iteratorIjlEEPtPlSF_S6_NS0_8equal_toItEEEE10hipError_tPvRmT2_T3_mT4_T5_T6_T7_T8_P12ihipStream_tbENKUlT_T0_E_clISt17integral_constantIbLb1EESZ_EEDaSU_SV_EUlSU_E_NS1_11comp_targetILNS1_3genE10ELNS1_11target_archE1200ELNS1_3gpuE4ELNS1_3repE0EEENS1_30default_config_static_selectorELNS0_4arch9wavefront6targetE0EEEvT1_.numbered_sgpr, 0
	.set _ZN7rocprim17ROCPRIM_400000_NS6detail17trampoline_kernelINS0_14default_configENS1_33run_length_encode_config_selectorItjNS0_4plusIjEEEEZZNS1_33reduce_by_key_impl_wrapped_configILNS1_25lookback_scan_determinismE0ES3_S7_PKtNS0_17constant_iteratorIjlEEPtPlSF_S6_NS0_8equal_toItEEEE10hipError_tPvRmT2_T3_mT4_T5_T6_T7_T8_P12ihipStream_tbENKUlT_T0_E_clISt17integral_constantIbLb1EESZ_EEDaSU_SV_EUlSU_E_NS1_11comp_targetILNS1_3genE10ELNS1_11target_archE1200ELNS1_3gpuE4ELNS1_3repE0EEENS1_30default_config_static_selectorELNS0_4arch9wavefront6targetE0EEEvT1_.num_named_barrier, 0
	.set _ZN7rocprim17ROCPRIM_400000_NS6detail17trampoline_kernelINS0_14default_configENS1_33run_length_encode_config_selectorItjNS0_4plusIjEEEEZZNS1_33reduce_by_key_impl_wrapped_configILNS1_25lookback_scan_determinismE0ES3_S7_PKtNS0_17constant_iteratorIjlEEPtPlSF_S6_NS0_8equal_toItEEEE10hipError_tPvRmT2_T3_mT4_T5_T6_T7_T8_P12ihipStream_tbENKUlT_T0_E_clISt17integral_constantIbLb1EESZ_EEDaSU_SV_EUlSU_E_NS1_11comp_targetILNS1_3genE10ELNS1_11target_archE1200ELNS1_3gpuE4ELNS1_3repE0EEENS1_30default_config_static_selectorELNS0_4arch9wavefront6targetE0EEEvT1_.private_seg_size, 0
	.set _ZN7rocprim17ROCPRIM_400000_NS6detail17trampoline_kernelINS0_14default_configENS1_33run_length_encode_config_selectorItjNS0_4plusIjEEEEZZNS1_33reduce_by_key_impl_wrapped_configILNS1_25lookback_scan_determinismE0ES3_S7_PKtNS0_17constant_iteratorIjlEEPtPlSF_S6_NS0_8equal_toItEEEE10hipError_tPvRmT2_T3_mT4_T5_T6_T7_T8_P12ihipStream_tbENKUlT_T0_E_clISt17integral_constantIbLb1EESZ_EEDaSU_SV_EUlSU_E_NS1_11comp_targetILNS1_3genE10ELNS1_11target_archE1200ELNS1_3gpuE4ELNS1_3repE0EEENS1_30default_config_static_selectorELNS0_4arch9wavefront6targetE0EEEvT1_.uses_vcc, 0
	.set _ZN7rocprim17ROCPRIM_400000_NS6detail17trampoline_kernelINS0_14default_configENS1_33run_length_encode_config_selectorItjNS0_4plusIjEEEEZZNS1_33reduce_by_key_impl_wrapped_configILNS1_25lookback_scan_determinismE0ES3_S7_PKtNS0_17constant_iteratorIjlEEPtPlSF_S6_NS0_8equal_toItEEEE10hipError_tPvRmT2_T3_mT4_T5_T6_T7_T8_P12ihipStream_tbENKUlT_T0_E_clISt17integral_constantIbLb1EESZ_EEDaSU_SV_EUlSU_E_NS1_11comp_targetILNS1_3genE10ELNS1_11target_archE1200ELNS1_3gpuE4ELNS1_3repE0EEENS1_30default_config_static_selectorELNS0_4arch9wavefront6targetE0EEEvT1_.uses_flat_scratch, 0
	.set _ZN7rocprim17ROCPRIM_400000_NS6detail17trampoline_kernelINS0_14default_configENS1_33run_length_encode_config_selectorItjNS0_4plusIjEEEEZZNS1_33reduce_by_key_impl_wrapped_configILNS1_25lookback_scan_determinismE0ES3_S7_PKtNS0_17constant_iteratorIjlEEPtPlSF_S6_NS0_8equal_toItEEEE10hipError_tPvRmT2_T3_mT4_T5_T6_T7_T8_P12ihipStream_tbENKUlT_T0_E_clISt17integral_constantIbLb1EESZ_EEDaSU_SV_EUlSU_E_NS1_11comp_targetILNS1_3genE10ELNS1_11target_archE1200ELNS1_3gpuE4ELNS1_3repE0EEENS1_30default_config_static_selectorELNS0_4arch9wavefront6targetE0EEEvT1_.has_dyn_sized_stack, 0
	.set _ZN7rocprim17ROCPRIM_400000_NS6detail17trampoline_kernelINS0_14default_configENS1_33run_length_encode_config_selectorItjNS0_4plusIjEEEEZZNS1_33reduce_by_key_impl_wrapped_configILNS1_25lookback_scan_determinismE0ES3_S7_PKtNS0_17constant_iteratorIjlEEPtPlSF_S6_NS0_8equal_toItEEEE10hipError_tPvRmT2_T3_mT4_T5_T6_T7_T8_P12ihipStream_tbENKUlT_T0_E_clISt17integral_constantIbLb1EESZ_EEDaSU_SV_EUlSU_E_NS1_11comp_targetILNS1_3genE10ELNS1_11target_archE1200ELNS1_3gpuE4ELNS1_3repE0EEENS1_30default_config_static_selectorELNS0_4arch9wavefront6targetE0EEEvT1_.has_recursion, 0
	.set _ZN7rocprim17ROCPRIM_400000_NS6detail17trampoline_kernelINS0_14default_configENS1_33run_length_encode_config_selectorItjNS0_4plusIjEEEEZZNS1_33reduce_by_key_impl_wrapped_configILNS1_25lookback_scan_determinismE0ES3_S7_PKtNS0_17constant_iteratorIjlEEPtPlSF_S6_NS0_8equal_toItEEEE10hipError_tPvRmT2_T3_mT4_T5_T6_T7_T8_P12ihipStream_tbENKUlT_T0_E_clISt17integral_constantIbLb1EESZ_EEDaSU_SV_EUlSU_E_NS1_11comp_targetILNS1_3genE10ELNS1_11target_archE1200ELNS1_3gpuE4ELNS1_3repE0EEENS1_30default_config_static_selectorELNS0_4arch9wavefront6targetE0EEEvT1_.has_indirect_call, 0
	.section	.AMDGPU.csdata,"",@progbits
; Kernel info:
; codeLenInByte = 0
; TotalNumSgprs: 0
; NumVgprs: 0
; ScratchSize: 0
; MemoryBound: 0
; FloatMode: 240
; IeeeMode: 1
; LDSByteSize: 0 bytes/workgroup (compile time only)
; SGPRBlocks: 0
; VGPRBlocks: 0
; NumSGPRsForWavesPerEU: 1
; NumVGPRsForWavesPerEU: 1
; NamedBarCnt: 0
; Occupancy: 16
; WaveLimiterHint : 0
; COMPUTE_PGM_RSRC2:SCRATCH_EN: 0
; COMPUTE_PGM_RSRC2:USER_SGPR: 2
; COMPUTE_PGM_RSRC2:TRAP_HANDLER: 0
; COMPUTE_PGM_RSRC2:TGID_X_EN: 1
; COMPUTE_PGM_RSRC2:TGID_Y_EN: 0
; COMPUTE_PGM_RSRC2:TGID_Z_EN: 0
; COMPUTE_PGM_RSRC2:TIDIG_COMP_CNT: 0
	.section	.text._ZN7rocprim17ROCPRIM_400000_NS6detail17trampoline_kernelINS0_14default_configENS1_33run_length_encode_config_selectorItjNS0_4plusIjEEEEZZNS1_33reduce_by_key_impl_wrapped_configILNS1_25lookback_scan_determinismE0ES3_S7_PKtNS0_17constant_iteratorIjlEEPtPlSF_S6_NS0_8equal_toItEEEE10hipError_tPvRmT2_T3_mT4_T5_T6_T7_T8_P12ihipStream_tbENKUlT_T0_E_clISt17integral_constantIbLb1EESZ_EEDaSU_SV_EUlSU_E_NS1_11comp_targetILNS1_3genE9ELNS1_11target_archE1100ELNS1_3gpuE3ELNS1_3repE0EEENS1_30default_config_static_selectorELNS0_4arch9wavefront6targetE0EEEvT1_,"axG",@progbits,_ZN7rocprim17ROCPRIM_400000_NS6detail17trampoline_kernelINS0_14default_configENS1_33run_length_encode_config_selectorItjNS0_4plusIjEEEEZZNS1_33reduce_by_key_impl_wrapped_configILNS1_25lookback_scan_determinismE0ES3_S7_PKtNS0_17constant_iteratorIjlEEPtPlSF_S6_NS0_8equal_toItEEEE10hipError_tPvRmT2_T3_mT4_T5_T6_T7_T8_P12ihipStream_tbENKUlT_T0_E_clISt17integral_constantIbLb1EESZ_EEDaSU_SV_EUlSU_E_NS1_11comp_targetILNS1_3genE9ELNS1_11target_archE1100ELNS1_3gpuE3ELNS1_3repE0EEENS1_30default_config_static_selectorELNS0_4arch9wavefront6targetE0EEEvT1_,comdat
	.protected	_ZN7rocprim17ROCPRIM_400000_NS6detail17trampoline_kernelINS0_14default_configENS1_33run_length_encode_config_selectorItjNS0_4plusIjEEEEZZNS1_33reduce_by_key_impl_wrapped_configILNS1_25lookback_scan_determinismE0ES3_S7_PKtNS0_17constant_iteratorIjlEEPtPlSF_S6_NS0_8equal_toItEEEE10hipError_tPvRmT2_T3_mT4_T5_T6_T7_T8_P12ihipStream_tbENKUlT_T0_E_clISt17integral_constantIbLb1EESZ_EEDaSU_SV_EUlSU_E_NS1_11comp_targetILNS1_3genE9ELNS1_11target_archE1100ELNS1_3gpuE3ELNS1_3repE0EEENS1_30default_config_static_selectorELNS0_4arch9wavefront6targetE0EEEvT1_ ; -- Begin function _ZN7rocprim17ROCPRIM_400000_NS6detail17trampoline_kernelINS0_14default_configENS1_33run_length_encode_config_selectorItjNS0_4plusIjEEEEZZNS1_33reduce_by_key_impl_wrapped_configILNS1_25lookback_scan_determinismE0ES3_S7_PKtNS0_17constant_iteratorIjlEEPtPlSF_S6_NS0_8equal_toItEEEE10hipError_tPvRmT2_T3_mT4_T5_T6_T7_T8_P12ihipStream_tbENKUlT_T0_E_clISt17integral_constantIbLb1EESZ_EEDaSU_SV_EUlSU_E_NS1_11comp_targetILNS1_3genE9ELNS1_11target_archE1100ELNS1_3gpuE3ELNS1_3repE0EEENS1_30default_config_static_selectorELNS0_4arch9wavefront6targetE0EEEvT1_
	.globl	_ZN7rocprim17ROCPRIM_400000_NS6detail17trampoline_kernelINS0_14default_configENS1_33run_length_encode_config_selectorItjNS0_4plusIjEEEEZZNS1_33reduce_by_key_impl_wrapped_configILNS1_25lookback_scan_determinismE0ES3_S7_PKtNS0_17constant_iteratorIjlEEPtPlSF_S6_NS0_8equal_toItEEEE10hipError_tPvRmT2_T3_mT4_T5_T6_T7_T8_P12ihipStream_tbENKUlT_T0_E_clISt17integral_constantIbLb1EESZ_EEDaSU_SV_EUlSU_E_NS1_11comp_targetILNS1_3genE9ELNS1_11target_archE1100ELNS1_3gpuE3ELNS1_3repE0EEENS1_30default_config_static_selectorELNS0_4arch9wavefront6targetE0EEEvT1_
	.p2align	8
	.type	_ZN7rocprim17ROCPRIM_400000_NS6detail17trampoline_kernelINS0_14default_configENS1_33run_length_encode_config_selectorItjNS0_4plusIjEEEEZZNS1_33reduce_by_key_impl_wrapped_configILNS1_25lookback_scan_determinismE0ES3_S7_PKtNS0_17constant_iteratorIjlEEPtPlSF_S6_NS0_8equal_toItEEEE10hipError_tPvRmT2_T3_mT4_T5_T6_T7_T8_P12ihipStream_tbENKUlT_T0_E_clISt17integral_constantIbLb1EESZ_EEDaSU_SV_EUlSU_E_NS1_11comp_targetILNS1_3genE9ELNS1_11target_archE1100ELNS1_3gpuE3ELNS1_3repE0EEENS1_30default_config_static_selectorELNS0_4arch9wavefront6targetE0EEEvT1_,@function
_ZN7rocprim17ROCPRIM_400000_NS6detail17trampoline_kernelINS0_14default_configENS1_33run_length_encode_config_selectorItjNS0_4plusIjEEEEZZNS1_33reduce_by_key_impl_wrapped_configILNS1_25lookback_scan_determinismE0ES3_S7_PKtNS0_17constant_iteratorIjlEEPtPlSF_S6_NS0_8equal_toItEEEE10hipError_tPvRmT2_T3_mT4_T5_T6_T7_T8_P12ihipStream_tbENKUlT_T0_E_clISt17integral_constantIbLb1EESZ_EEDaSU_SV_EUlSU_E_NS1_11comp_targetILNS1_3genE9ELNS1_11target_archE1100ELNS1_3gpuE3ELNS1_3repE0EEENS1_30default_config_static_selectorELNS0_4arch9wavefront6targetE0EEEvT1_: ; @_ZN7rocprim17ROCPRIM_400000_NS6detail17trampoline_kernelINS0_14default_configENS1_33run_length_encode_config_selectorItjNS0_4plusIjEEEEZZNS1_33reduce_by_key_impl_wrapped_configILNS1_25lookback_scan_determinismE0ES3_S7_PKtNS0_17constant_iteratorIjlEEPtPlSF_S6_NS0_8equal_toItEEEE10hipError_tPvRmT2_T3_mT4_T5_T6_T7_T8_P12ihipStream_tbENKUlT_T0_E_clISt17integral_constantIbLb1EESZ_EEDaSU_SV_EUlSU_E_NS1_11comp_targetILNS1_3genE9ELNS1_11target_archE1100ELNS1_3gpuE3ELNS1_3repE0EEENS1_30default_config_static_selectorELNS0_4arch9wavefront6targetE0EEEvT1_
; %bb.0:
	.section	.rodata,"a",@progbits
	.p2align	6, 0x0
	.amdhsa_kernel _ZN7rocprim17ROCPRIM_400000_NS6detail17trampoline_kernelINS0_14default_configENS1_33run_length_encode_config_selectorItjNS0_4plusIjEEEEZZNS1_33reduce_by_key_impl_wrapped_configILNS1_25lookback_scan_determinismE0ES3_S7_PKtNS0_17constant_iteratorIjlEEPtPlSF_S6_NS0_8equal_toItEEEE10hipError_tPvRmT2_T3_mT4_T5_T6_T7_T8_P12ihipStream_tbENKUlT_T0_E_clISt17integral_constantIbLb1EESZ_EEDaSU_SV_EUlSU_E_NS1_11comp_targetILNS1_3genE9ELNS1_11target_archE1100ELNS1_3gpuE3ELNS1_3repE0EEENS1_30default_config_static_selectorELNS0_4arch9wavefront6targetE0EEEvT1_
		.amdhsa_group_segment_fixed_size 0
		.amdhsa_private_segment_fixed_size 0
		.amdhsa_kernarg_size 128
		.amdhsa_user_sgpr_count 2
		.amdhsa_user_sgpr_dispatch_ptr 0
		.amdhsa_user_sgpr_queue_ptr 0
		.amdhsa_user_sgpr_kernarg_segment_ptr 1
		.amdhsa_user_sgpr_dispatch_id 0
		.amdhsa_user_sgpr_kernarg_preload_length 0
		.amdhsa_user_sgpr_kernarg_preload_offset 0
		.amdhsa_user_sgpr_private_segment_size 0
		.amdhsa_wavefront_size32 1
		.amdhsa_uses_dynamic_stack 0
		.amdhsa_enable_private_segment 0
		.amdhsa_system_sgpr_workgroup_id_x 1
		.amdhsa_system_sgpr_workgroup_id_y 0
		.amdhsa_system_sgpr_workgroup_id_z 0
		.amdhsa_system_sgpr_workgroup_info 0
		.amdhsa_system_vgpr_workitem_id 0
		.amdhsa_next_free_vgpr 1
		.amdhsa_next_free_sgpr 1
		.amdhsa_named_barrier_count 0
		.amdhsa_reserve_vcc 0
		.amdhsa_float_round_mode_32 0
		.amdhsa_float_round_mode_16_64 0
		.amdhsa_float_denorm_mode_32 3
		.amdhsa_float_denorm_mode_16_64 3
		.amdhsa_fp16_overflow 0
		.amdhsa_memory_ordered 1
		.amdhsa_forward_progress 1
		.amdhsa_inst_pref_size 0
		.amdhsa_round_robin_scheduling 0
		.amdhsa_exception_fp_ieee_invalid_op 0
		.amdhsa_exception_fp_denorm_src 0
		.amdhsa_exception_fp_ieee_div_zero 0
		.amdhsa_exception_fp_ieee_overflow 0
		.amdhsa_exception_fp_ieee_underflow 0
		.amdhsa_exception_fp_ieee_inexact 0
		.amdhsa_exception_int_div_zero 0
	.end_amdhsa_kernel
	.section	.text._ZN7rocprim17ROCPRIM_400000_NS6detail17trampoline_kernelINS0_14default_configENS1_33run_length_encode_config_selectorItjNS0_4plusIjEEEEZZNS1_33reduce_by_key_impl_wrapped_configILNS1_25lookback_scan_determinismE0ES3_S7_PKtNS0_17constant_iteratorIjlEEPtPlSF_S6_NS0_8equal_toItEEEE10hipError_tPvRmT2_T3_mT4_T5_T6_T7_T8_P12ihipStream_tbENKUlT_T0_E_clISt17integral_constantIbLb1EESZ_EEDaSU_SV_EUlSU_E_NS1_11comp_targetILNS1_3genE9ELNS1_11target_archE1100ELNS1_3gpuE3ELNS1_3repE0EEENS1_30default_config_static_selectorELNS0_4arch9wavefront6targetE0EEEvT1_,"axG",@progbits,_ZN7rocprim17ROCPRIM_400000_NS6detail17trampoline_kernelINS0_14default_configENS1_33run_length_encode_config_selectorItjNS0_4plusIjEEEEZZNS1_33reduce_by_key_impl_wrapped_configILNS1_25lookback_scan_determinismE0ES3_S7_PKtNS0_17constant_iteratorIjlEEPtPlSF_S6_NS0_8equal_toItEEEE10hipError_tPvRmT2_T3_mT4_T5_T6_T7_T8_P12ihipStream_tbENKUlT_T0_E_clISt17integral_constantIbLb1EESZ_EEDaSU_SV_EUlSU_E_NS1_11comp_targetILNS1_3genE9ELNS1_11target_archE1100ELNS1_3gpuE3ELNS1_3repE0EEENS1_30default_config_static_selectorELNS0_4arch9wavefront6targetE0EEEvT1_,comdat
.Lfunc_end803:
	.size	_ZN7rocprim17ROCPRIM_400000_NS6detail17trampoline_kernelINS0_14default_configENS1_33run_length_encode_config_selectorItjNS0_4plusIjEEEEZZNS1_33reduce_by_key_impl_wrapped_configILNS1_25lookback_scan_determinismE0ES3_S7_PKtNS0_17constant_iteratorIjlEEPtPlSF_S6_NS0_8equal_toItEEEE10hipError_tPvRmT2_T3_mT4_T5_T6_T7_T8_P12ihipStream_tbENKUlT_T0_E_clISt17integral_constantIbLb1EESZ_EEDaSU_SV_EUlSU_E_NS1_11comp_targetILNS1_3genE9ELNS1_11target_archE1100ELNS1_3gpuE3ELNS1_3repE0EEENS1_30default_config_static_selectorELNS0_4arch9wavefront6targetE0EEEvT1_, .Lfunc_end803-_ZN7rocprim17ROCPRIM_400000_NS6detail17trampoline_kernelINS0_14default_configENS1_33run_length_encode_config_selectorItjNS0_4plusIjEEEEZZNS1_33reduce_by_key_impl_wrapped_configILNS1_25lookback_scan_determinismE0ES3_S7_PKtNS0_17constant_iteratorIjlEEPtPlSF_S6_NS0_8equal_toItEEEE10hipError_tPvRmT2_T3_mT4_T5_T6_T7_T8_P12ihipStream_tbENKUlT_T0_E_clISt17integral_constantIbLb1EESZ_EEDaSU_SV_EUlSU_E_NS1_11comp_targetILNS1_3genE9ELNS1_11target_archE1100ELNS1_3gpuE3ELNS1_3repE0EEENS1_30default_config_static_selectorELNS0_4arch9wavefront6targetE0EEEvT1_
                                        ; -- End function
	.set _ZN7rocprim17ROCPRIM_400000_NS6detail17trampoline_kernelINS0_14default_configENS1_33run_length_encode_config_selectorItjNS0_4plusIjEEEEZZNS1_33reduce_by_key_impl_wrapped_configILNS1_25lookback_scan_determinismE0ES3_S7_PKtNS0_17constant_iteratorIjlEEPtPlSF_S6_NS0_8equal_toItEEEE10hipError_tPvRmT2_T3_mT4_T5_T6_T7_T8_P12ihipStream_tbENKUlT_T0_E_clISt17integral_constantIbLb1EESZ_EEDaSU_SV_EUlSU_E_NS1_11comp_targetILNS1_3genE9ELNS1_11target_archE1100ELNS1_3gpuE3ELNS1_3repE0EEENS1_30default_config_static_selectorELNS0_4arch9wavefront6targetE0EEEvT1_.num_vgpr, 0
	.set _ZN7rocprim17ROCPRIM_400000_NS6detail17trampoline_kernelINS0_14default_configENS1_33run_length_encode_config_selectorItjNS0_4plusIjEEEEZZNS1_33reduce_by_key_impl_wrapped_configILNS1_25lookback_scan_determinismE0ES3_S7_PKtNS0_17constant_iteratorIjlEEPtPlSF_S6_NS0_8equal_toItEEEE10hipError_tPvRmT2_T3_mT4_T5_T6_T7_T8_P12ihipStream_tbENKUlT_T0_E_clISt17integral_constantIbLb1EESZ_EEDaSU_SV_EUlSU_E_NS1_11comp_targetILNS1_3genE9ELNS1_11target_archE1100ELNS1_3gpuE3ELNS1_3repE0EEENS1_30default_config_static_selectorELNS0_4arch9wavefront6targetE0EEEvT1_.num_agpr, 0
	.set _ZN7rocprim17ROCPRIM_400000_NS6detail17trampoline_kernelINS0_14default_configENS1_33run_length_encode_config_selectorItjNS0_4plusIjEEEEZZNS1_33reduce_by_key_impl_wrapped_configILNS1_25lookback_scan_determinismE0ES3_S7_PKtNS0_17constant_iteratorIjlEEPtPlSF_S6_NS0_8equal_toItEEEE10hipError_tPvRmT2_T3_mT4_T5_T6_T7_T8_P12ihipStream_tbENKUlT_T0_E_clISt17integral_constantIbLb1EESZ_EEDaSU_SV_EUlSU_E_NS1_11comp_targetILNS1_3genE9ELNS1_11target_archE1100ELNS1_3gpuE3ELNS1_3repE0EEENS1_30default_config_static_selectorELNS0_4arch9wavefront6targetE0EEEvT1_.numbered_sgpr, 0
	.set _ZN7rocprim17ROCPRIM_400000_NS6detail17trampoline_kernelINS0_14default_configENS1_33run_length_encode_config_selectorItjNS0_4plusIjEEEEZZNS1_33reduce_by_key_impl_wrapped_configILNS1_25lookback_scan_determinismE0ES3_S7_PKtNS0_17constant_iteratorIjlEEPtPlSF_S6_NS0_8equal_toItEEEE10hipError_tPvRmT2_T3_mT4_T5_T6_T7_T8_P12ihipStream_tbENKUlT_T0_E_clISt17integral_constantIbLb1EESZ_EEDaSU_SV_EUlSU_E_NS1_11comp_targetILNS1_3genE9ELNS1_11target_archE1100ELNS1_3gpuE3ELNS1_3repE0EEENS1_30default_config_static_selectorELNS0_4arch9wavefront6targetE0EEEvT1_.num_named_barrier, 0
	.set _ZN7rocprim17ROCPRIM_400000_NS6detail17trampoline_kernelINS0_14default_configENS1_33run_length_encode_config_selectorItjNS0_4plusIjEEEEZZNS1_33reduce_by_key_impl_wrapped_configILNS1_25lookback_scan_determinismE0ES3_S7_PKtNS0_17constant_iteratorIjlEEPtPlSF_S6_NS0_8equal_toItEEEE10hipError_tPvRmT2_T3_mT4_T5_T6_T7_T8_P12ihipStream_tbENKUlT_T0_E_clISt17integral_constantIbLb1EESZ_EEDaSU_SV_EUlSU_E_NS1_11comp_targetILNS1_3genE9ELNS1_11target_archE1100ELNS1_3gpuE3ELNS1_3repE0EEENS1_30default_config_static_selectorELNS0_4arch9wavefront6targetE0EEEvT1_.private_seg_size, 0
	.set _ZN7rocprim17ROCPRIM_400000_NS6detail17trampoline_kernelINS0_14default_configENS1_33run_length_encode_config_selectorItjNS0_4plusIjEEEEZZNS1_33reduce_by_key_impl_wrapped_configILNS1_25lookback_scan_determinismE0ES3_S7_PKtNS0_17constant_iteratorIjlEEPtPlSF_S6_NS0_8equal_toItEEEE10hipError_tPvRmT2_T3_mT4_T5_T6_T7_T8_P12ihipStream_tbENKUlT_T0_E_clISt17integral_constantIbLb1EESZ_EEDaSU_SV_EUlSU_E_NS1_11comp_targetILNS1_3genE9ELNS1_11target_archE1100ELNS1_3gpuE3ELNS1_3repE0EEENS1_30default_config_static_selectorELNS0_4arch9wavefront6targetE0EEEvT1_.uses_vcc, 0
	.set _ZN7rocprim17ROCPRIM_400000_NS6detail17trampoline_kernelINS0_14default_configENS1_33run_length_encode_config_selectorItjNS0_4plusIjEEEEZZNS1_33reduce_by_key_impl_wrapped_configILNS1_25lookback_scan_determinismE0ES3_S7_PKtNS0_17constant_iteratorIjlEEPtPlSF_S6_NS0_8equal_toItEEEE10hipError_tPvRmT2_T3_mT4_T5_T6_T7_T8_P12ihipStream_tbENKUlT_T0_E_clISt17integral_constantIbLb1EESZ_EEDaSU_SV_EUlSU_E_NS1_11comp_targetILNS1_3genE9ELNS1_11target_archE1100ELNS1_3gpuE3ELNS1_3repE0EEENS1_30default_config_static_selectorELNS0_4arch9wavefront6targetE0EEEvT1_.uses_flat_scratch, 0
	.set _ZN7rocprim17ROCPRIM_400000_NS6detail17trampoline_kernelINS0_14default_configENS1_33run_length_encode_config_selectorItjNS0_4plusIjEEEEZZNS1_33reduce_by_key_impl_wrapped_configILNS1_25lookback_scan_determinismE0ES3_S7_PKtNS0_17constant_iteratorIjlEEPtPlSF_S6_NS0_8equal_toItEEEE10hipError_tPvRmT2_T3_mT4_T5_T6_T7_T8_P12ihipStream_tbENKUlT_T0_E_clISt17integral_constantIbLb1EESZ_EEDaSU_SV_EUlSU_E_NS1_11comp_targetILNS1_3genE9ELNS1_11target_archE1100ELNS1_3gpuE3ELNS1_3repE0EEENS1_30default_config_static_selectorELNS0_4arch9wavefront6targetE0EEEvT1_.has_dyn_sized_stack, 0
	.set _ZN7rocprim17ROCPRIM_400000_NS6detail17trampoline_kernelINS0_14default_configENS1_33run_length_encode_config_selectorItjNS0_4plusIjEEEEZZNS1_33reduce_by_key_impl_wrapped_configILNS1_25lookback_scan_determinismE0ES3_S7_PKtNS0_17constant_iteratorIjlEEPtPlSF_S6_NS0_8equal_toItEEEE10hipError_tPvRmT2_T3_mT4_T5_T6_T7_T8_P12ihipStream_tbENKUlT_T0_E_clISt17integral_constantIbLb1EESZ_EEDaSU_SV_EUlSU_E_NS1_11comp_targetILNS1_3genE9ELNS1_11target_archE1100ELNS1_3gpuE3ELNS1_3repE0EEENS1_30default_config_static_selectorELNS0_4arch9wavefront6targetE0EEEvT1_.has_recursion, 0
	.set _ZN7rocprim17ROCPRIM_400000_NS6detail17trampoline_kernelINS0_14default_configENS1_33run_length_encode_config_selectorItjNS0_4plusIjEEEEZZNS1_33reduce_by_key_impl_wrapped_configILNS1_25lookback_scan_determinismE0ES3_S7_PKtNS0_17constant_iteratorIjlEEPtPlSF_S6_NS0_8equal_toItEEEE10hipError_tPvRmT2_T3_mT4_T5_T6_T7_T8_P12ihipStream_tbENKUlT_T0_E_clISt17integral_constantIbLb1EESZ_EEDaSU_SV_EUlSU_E_NS1_11comp_targetILNS1_3genE9ELNS1_11target_archE1100ELNS1_3gpuE3ELNS1_3repE0EEENS1_30default_config_static_selectorELNS0_4arch9wavefront6targetE0EEEvT1_.has_indirect_call, 0
	.section	.AMDGPU.csdata,"",@progbits
; Kernel info:
; codeLenInByte = 0
; TotalNumSgprs: 0
; NumVgprs: 0
; ScratchSize: 0
; MemoryBound: 0
; FloatMode: 240
; IeeeMode: 1
; LDSByteSize: 0 bytes/workgroup (compile time only)
; SGPRBlocks: 0
; VGPRBlocks: 0
; NumSGPRsForWavesPerEU: 1
; NumVGPRsForWavesPerEU: 1
; NamedBarCnt: 0
; Occupancy: 16
; WaveLimiterHint : 0
; COMPUTE_PGM_RSRC2:SCRATCH_EN: 0
; COMPUTE_PGM_RSRC2:USER_SGPR: 2
; COMPUTE_PGM_RSRC2:TRAP_HANDLER: 0
; COMPUTE_PGM_RSRC2:TGID_X_EN: 1
; COMPUTE_PGM_RSRC2:TGID_Y_EN: 0
; COMPUTE_PGM_RSRC2:TGID_Z_EN: 0
; COMPUTE_PGM_RSRC2:TIDIG_COMP_CNT: 0
	.section	.text._ZN7rocprim17ROCPRIM_400000_NS6detail17trampoline_kernelINS0_14default_configENS1_33run_length_encode_config_selectorItjNS0_4plusIjEEEEZZNS1_33reduce_by_key_impl_wrapped_configILNS1_25lookback_scan_determinismE0ES3_S7_PKtNS0_17constant_iteratorIjlEEPtPlSF_S6_NS0_8equal_toItEEEE10hipError_tPvRmT2_T3_mT4_T5_T6_T7_T8_P12ihipStream_tbENKUlT_T0_E_clISt17integral_constantIbLb1EESZ_EEDaSU_SV_EUlSU_E_NS1_11comp_targetILNS1_3genE8ELNS1_11target_archE1030ELNS1_3gpuE2ELNS1_3repE0EEENS1_30default_config_static_selectorELNS0_4arch9wavefront6targetE0EEEvT1_,"axG",@progbits,_ZN7rocprim17ROCPRIM_400000_NS6detail17trampoline_kernelINS0_14default_configENS1_33run_length_encode_config_selectorItjNS0_4plusIjEEEEZZNS1_33reduce_by_key_impl_wrapped_configILNS1_25lookback_scan_determinismE0ES3_S7_PKtNS0_17constant_iteratorIjlEEPtPlSF_S6_NS0_8equal_toItEEEE10hipError_tPvRmT2_T3_mT4_T5_T6_T7_T8_P12ihipStream_tbENKUlT_T0_E_clISt17integral_constantIbLb1EESZ_EEDaSU_SV_EUlSU_E_NS1_11comp_targetILNS1_3genE8ELNS1_11target_archE1030ELNS1_3gpuE2ELNS1_3repE0EEENS1_30default_config_static_selectorELNS0_4arch9wavefront6targetE0EEEvT1_,comdat
	.protected	_ZN7rocprim17ROCPRIM_400000_NS6detail17trampoline_kernelINS0_14default_configENS1_33run_length_encode_config_selectorItjNS0_4plusIjEEEEZZNS1_33reduce_by_key_impl_wrapped_configILNS1_25lookback_scan_determinismE0ES3_S7_PKtNS0_17constant_iteratorIjlEEPtPlSF_S6_NS0_8equal_toItEEEE10hipError_tPvRmT2_T3_mT4_T5_T6_T7_T8_P12ihipStream_tbENKUlT_T0_E_clISt17integral_constantIbLb1EESZ_EEDaSU_SV_EUlSU_E_NS1_11comp_targetILNS1_3genE8ELNS1_11target_archE1030ELNS1_3gpuE2ELNS1_3repE0EEENS1_30default_config_static_selectorELNS0_4arch9wavefront6targetE0EEEvT1_ ; -- Begin function _ZN7rocprim17ROCPRIM_400000_NS6detail17trampoline_kernelINS0_14default_configENS1_33run_length_encode_config_selectorItjNS0_4plusIjEEEEZZNS1_33reduce_by_key_impl_wrapped_configILNS1_25lookback_scan_determinismE0ES3_S7_PKtNS0_17constant_iteratorIjlEEPtPlSF_S6_NS0_8equal_toItEEEE10hipError_tPvRmT2_T3_mT4_T5_T6_T7_T8_P12ihipStream_tbENKUlT_T0_E_clISt17integral_constantIbLb1EESZ_EEDaSU_SV_EUlSU_E_NS1_11comp_targetILNS1_3genE8ELNS1_11target_archE1030ELNS1_3gpuE2ELNS1_3repE0EEENS1_30default_config_static_selectorELNS0_4arch9wavefront6targetE0EEEvT1_
	.globl	_ZN7rocprim17ROCPRIM_400000_NS6detail17trampoline_kernelINS0_14default_configENS1_33run_length_encode_config_selectorItjNS0_4plusIjEEEEZZNS1_33reduce_by_key_impl_wrapped_configILNS1_25lookback_scan_determinismE0ES3_S7_PKtNS0_17constant_iteratorIjlEEPtPlSF_S6_NS0_8equal_toItEEEE10hipError_tPvRmT2_T3_mT4_T5_T6_T7_T8_P12ihipStream_tbENKUlT_T0_E_clISt17integral_constantIbLb1EESZ_EEDaSU_SV_EUlSU_E_NS1_11comp_targetILNS1_3genE8ELNS1_11target_archE1030ELNS1_3gpuE2ELNS1_3repE0EEENS1_30default_config_static_selectorELNS0_4arch9wavefront6targetE0EEEvT1_
	.p2align	8
	.type	_ZN7rocprim17ROCPRIM_400000_NS6detail17trampoline_kernelINS0_14default_configENS1_33run_length_encode_config_selectorItjNS0_4plusIjEEEEZZNS1_33reduce_by_key_impl_wrapped_configILNS1_25lookback_scan_determinismE0ES3_S7_PKtNS0_17constant_iteratorIjlEEPtPlSF_S6_NS0_8equal_toItEEEE10hipError_tPvRmT2_T3_mT4_T5_T6_T7_T8_P12ihipStream_tbENKUlT_T0_E_clISt17integral_constantIbLb1EESZ_EEDaSU_SV_EUlSU_E_NS1_11comp_targetILNS1_3genE8ELNS1_11target_archE1030ELNS1_3gpuE2ELNS1_3repE0EEENS1_30default_config_static_selectorELNS0_4arch9wavefront6targetE0EEEvT1_,@function
_ZN7rocprim17ROCPRIM_400000_NS6detail17trampoline_kernelINS0_14default_configENS1_33run_length_encode_config_selectorItjNS0_4plusIjEEEEZZNS1_33reduce_by_key_impl_wrapped_configILNS1_25lookback_scan_determinismE0ES3_S7_PKtNS0_17constant_iteratorIjlEEPtPlSF_S6_NS0_8equal_toItEEEE10hipError_tPvRmT2_T3_mT4_T5_T6_T7_T8_P12ihipStream_tbENKUlT_T0_E_clISt17integral_constantIbLb1EESZ_EEDaSU_SV_EUlSU_E_NS1_11comp_targetILNS1_3genE8ELNS1_11target_archE1030ELNS1_3gpuE2ELNS1_3repE0EEENS1_30default_config_static_selectorELNS0_4arch9wavefront6targetE0EEEvT1_: ; @_ZN7rocprim17ROCPRIM_400000_NS6detail17trampoline_kernelINS0_14default_configENS1_33run_length_encode_config_selectorItjNS0_4plusIjEEEEZZNS1_33reduce_by_key_impl_wrapped_configILNS1_25lookback_scan_determinismE0ES3_S7_PKtNS0_17constant_iteratorIjlEEPtPlSF_S6_NS0_8equal_toItEEEE10hipError_tPvRmT2_T3_mT4_T5_T6_T7_T8_P12ihipStream_tbENKUlT_T0_E_clISt17integral_constantIbLb1EESZ_EEDaSU_SV_EUlSU_E_NS1_11comp_targetILNS1_3genE8ELNS1_11target_archE1030ELNS1_3gpuE2ELNS1_3repE0EEENS1_30default_config_static_selectorELNS0_4arch9wavefront6targetE0EEEvT1_
; %bb.0:
	.section	.rodata,"a",@progbits
	.p2align	6, 0x0
	.amdhsa_kernel _ZN7rocprim17ROCPRIM_400000_NS6detail17trampoline_kernelINS0_14default_configENS1_33run_length_encode_config_selectorItjNS0_4plusIjEEEEZZNS1_33reduce_by_key_impl_wrapped_configILNS1_25lookback_scan_determinismE0ES3_S7_PKtNS0_17constant_iteratorIjlEEPtPlSF_S6_NS0_8equal_toItEEEE10hipError_tPvRmT2_T3_mT4_T5_T6_T7_T8_P12ihipStream_tbENKUlT_T0_E_clISt17integral_constantIbLb1EESZ_EEDaSU_SV_EUlSU_E_NS1_11comp_targetILNS1_3genE8ELNS1_11target_archE1030ELNS1_3gpuE2ELNS1_3repE0EEENS1_30default_config_static_selectorELNS0_4arch9wavefront6targetE0EEEvT1_
		.amdhsa_group_segment_fixed_size 0
		.amdhsa_private_segment_fixed_size 0
		.amdhsa_kernarg_size 128
		.amdhsa_user_sgpr_count 2
		.amdhsa_user_sgpr_dispatch_ptr 0
		.amdhsa_user_sgpr_queue_ptr 0
		.amdhsa_user_sgpr_kernarg_segment_ptr 1
		.amdhsa_user_sgpr_dispatch_id 0
		.amdhsa_user_sgpr_kernarg_preload_length 0
		.amdhsa_user_sgpr_kernarg_preload_offset 0
		.amdhsa_user_sgpr_private_segment_size 0
		.amdhsa_wavefront_size32 1
		.amdhsa_uses_dynamic_stack 0
		.amdhsa_enable_private_segment 0
		.amdhsa_system_sgpr_workgroup_id_x 1
		.amdhsa_system_sgpr_workgroup_id_y 0
		.amdhsa_system_sgpr_workgroup_id_z 0
		.amdhsa_system_sgpr_workgroup_info 0
		.amdhsa_system_vgpr_workitem_id 0
		.amdhsa_next_free_vgpr 1
		.amdhsa_next_free_sgpr 1
		.amdhsa_named_barrier_count 0
		.amdhsa_reserve_vcc 0
		.amdhsa_float_round_mode_32 0
		.amdhsa_float_round_mode_16_64 0
		.amdhsa_float_denorm_mode_32 3
		.amdhsa_float_denorm_mode_16_64 3
		.amdhsa_fp16_overflow 0
		.amdhsa_memory_ordered 1
		.amdhsa_forward_progress 1
		.amdhsa_inst_pref_size 0
		.amdhsa_round_robin_scheduling 0
		.amdhsa_exception_fp_ieee_invalid_op 0
		.amdhsa_exception_fp_denorm_src 0
		.amdhsa_exception_fp_ieee_div_zero 0
		.amdhsa_exception_fp_ieee_overflow 0
		.amdhsa_exception_fp_ieee_underflow 0
		.amdhsa_exception_fp_ieee_inexact 0
		.amdhsa_exception_int_div_zero 0
	.end_amdhsa_kernel
	.section	.text._ZN7rocprim17ROCPRIM_400000_NS6detail17trampoline_kernelINS0_14default_configENS1_33run_length_encode_config_selectorItjNS0_4plusIjEEEEZZNS1_33reduce_by_key_impl_wrapped_configILNS1_25lookback_scan_determinismE0ES3_S7_PKtNS0_17constant_iteratorIjlEEPtPlSF_S6_NS0_8equal_toItEEEE10hipError_tPvRmT2_T3_mT4_T5_T6_T7_T8_P12ihipStream_tbENKUlT_T0_E_clISt17integral_constantIbLb1EESZ_EEDaSU_SV_EUlSU_E_NS1_11comp_targetILNS1_3genE8ELNS1_11target_archE1030ELNS1_3gpuE2ELNS1_3repE0EEENS1_30default_config_static_selectorELNS0_4arch9wavefront6targetE0EEEvT1_,"axG",@progbits,_ZN7rocprim17ROCPRIM_400000_NS6detail17trampoline_kernelINS0_14default_configENS1_33run_length_encode_config_selectorItjNS0_4plusIjEEEEZZNS1_33reduce_by_key_impl_wrapped_configILNS1_25lookback_scan_determinismE0ES3_S7_PKtNS0_17constant_iteratorIjlEEPtPlSF_S6_NS0_8equal_toItEEEE10hipError_tPvRmT2_T3_mT4_T5_T6_T7_T8_P12ihipStream_tbENKUlT_T0_E_clISt17integral_constantIbLb1EESZ_EEDaSU_SV_EUlSU_E_NS1_11comp_targetILNS1_3genE8ELNS1_11target_archE1030ELNS1_3gpuE2ELNS1_3repE0EEENS1_30default_config_static_selectorELNS0_4arch9wavefront6targetE0EEEvT1_,comdat
.Lfunc_end804:
	.size	_ZN7rocprim17ROCPRIM_400000_NS6detail17trampoline_kernelINS0_14default_configENS1_33run_length_encode_config_selectorItjNS0_4plusIjEEEEZZNS1_33reduce_by_key_impl_wrapped_configILNS1_25lookback_scan_determinismE0ES3_S7_PKtNS0_17constant_iteratorIjlEEPtPlSF_S6_NS0_8equal_toItEEEE10hipError_tPvRmT2_T3_mT4_T5_T6_T7_T8_P12ihipStream_tbENKUlT_T0_E_clISt17integral_constantIbLb1EESZ_EEDaSU_SV_EUlSU_E_NS1_11comp_targetILNS1_3genE8ELNS1_11target_archE1030ELNS1_3gpuE2ELNS1_3repE0EEENS1_30default_config_static_selectorELNS0_4arch9wavefront6targetE0EEEvT1_, .Lfunc_end804-_ZN7rocprim17ROCPRIM_400000_NS6detail17trampoline_kernelINS0_14default_configENS1_33run_length_encode_config_selectorItjNS0_4plusIjEEEEZZNS1_33reduce_by_key_impl_wrapped_configILNS1_25lookback_scan_determinismE0ES3_S7_PKtNS0_17constant_iteratorIjlEEPtPlSF_S6_NS0_8equal_toItEEEE10hipError_tPvRmT2_T3_mT4_T5_T6_T7_T8_P12ihipStream_tbENKUlT_T0_E_clISt17integral_constantIbLb1EESZ_EEDaSU_SV_EUlSU_E_NS1_11comp_targetILNS1_3genE8ELNS1_11target_archE1030ELNS1_3gpuE2ELNS1_3repE0EEENS1_30default_config_static_selectorELNS0_4arch9wavefront6targetE0EEEvT1_
                                        ; -- End function
	.set _ZN7rocprim17ROCPRIM_400000_NS6detail17trampoline_kernelINS0_14default_configENS1_33run_length_encode_config_selectorItjNS0_4plusIjEEEEZZNS1_33reduce_by_key_impl_wrapped_configILNS1_25lookback_scan_determinismE0ES3_S7_PKtNS0_17constant_iteratorIjlEEPtPlSF_S6_NS0_8equal_toItEEEE10hipError_tPvRmT2_T3_mT4_T5_T6_T7_T8_P12ihipStream_tbENKUlT_T0_E_clISt17integral_constantIbLb1EESZ_EEDaSU_SV_EUlSU_E_NS1_11comp_targetILNS1_3genE8ELNS1_11target_archE1030ELNS1_3gpuE2ELNS1_3repE0EEENS1_30default_config_static_selectorELNS0_4arch9wavefront6targetE0EEEvT1_.num_vgpr, 0
	.set _ZN7rocprim17ROCPRIM_400000_NS6detail17trampoline_kernelINS0_14default_configENS1_33run_length_encode_config_selectorItjNS0_4plusIjEEEEZZNS1_33reduce_by_key_impl_wrapped_configILNS1_25lookback_scan_determinismE0ES3_S7_PKtNS0_17constant_iteratorIjlEEPtPlSF_S6_NS0_8equal_toItEEEE10hipError_tPvRmT2_T3_mT4_T5_T6_T7_T8_P12ihipStream_tbENKUlT_T0_E_clISt17integral_constantIbLb1EESZ_EEDaSU_SV_EUlSU_E_NS1_11comp_targetILNS1_3genE8ELNS1_11target_archE1030ELNS1_3gpuE2ELNS1_3repE0EEENS1_30default_config_static_selectorELNS0_4arch9wavefront6targetE0EEEvT1_.num_agpr, 0
	.set _ZN7rocprim17ROCPRIM_400000_NS6detail17trampoline_kernelINS0_14default_configENS1_33run_length_encode_config_selectorItjNS0_4plusIjEEEEZZNS1_33reduce_by_key_impl_wrapped_configILNS1_25lookback_scan_determinismE0ES3_S7_PKtNS0_17constant_iteratorIjlEEPtPlSF_S6_NS0_8equal_toItEEEE10hipError_tPvRmT2_T3_mT4_T5_T6_T7_T8_P12ihipStream_tbENKUlT_T0_E_clISt17integral_constantIbLb1EESZ_EEDaSU_SV_EUlSU_E_NS1_11comp_targetILNS1_3genE8ELNS1_11target_archE1030ELNS1_3gpuE2ELNS1_3repE0EEENS1_30default_config_static_selectorELNS0_4arch9wavefront6targetE0EEEvT1_.numbered_sgpr, 0
	.set _ZN7rocprim17ROCPRIM_400000_NS6detail17trampoline_kernelINS0_14default_configENS1_33run_length_encode_config_selectorItjNS0_4plusIjEEEEZZNS1_33reduce_by_key_impl_wrapped_configILNS1_25lookback_scan_determinismE0ES3_S7_PKtNS0_17constant_iteratorIjlEEPtPlSF_S6_NS0_8equal_toItEEEE10hipError_tPvRmT2_T3_mT4_T5_T6_T7_T8_P12ihipStream_tbENKUlT_T0_E_clISt17integral_constantIbLb1EESZ_EEDaSU_SV_EUlSU_E_NS1_11comp_targetILNS1_3genE8ELNS1_11target_archE1030ELNS1_3gpuE2ELNS1_3repE0EEENS1_30default_config_static_selectorELNS0_4arch9wavefront6targetE0EEEvT1_.num_named_barrier, 0
	.set _ZN7rocprim17ROCPRIM_400000_NS6detail17trampoline_kernelINS0_14default_configENS1_33run_length_encode_config_selectorItjNS0_4plusIjEEEEZZNS1_33reduce_by_key_impl_wrapped_configILNS1_25lookback_scan_determinismE0ES3_S7_PKtNS0_17constant_iteratorIjlEEPtPlSF_S6_NS0_8equal_toItEEEE10hipError_tPvRmT2_T3_mT4_T5_T6_T7_T8_P12ihipStream_tbENKUlT_T0_E_clISt17integral_constantIbLb1EESZ_EEDaSU_SV_EUlSU_E_NS1_11comp_targetILNS1_3genE8ELNS1_11target_archE1030ELNS1_3gpuE2ELNS1_3repE0EEENS1_30default_config_static_selectorELNS0_4arch9wavefront6targetE0EEEvT1_.private_seg_size, 0
	.set _ZN7rocprim17ROCPRIM_400000_NS6detail17trampoline_kernelINS0_14default_configENS1_33run_length_encode_config_selectorItjNS0_4plusIjEEEEZZNS1_33reduce_by_key_impl_wrapped_configILNS1_25lookback_scan_determinismE0ES3_S7_PKtNS0_17constant_iteratorIjlEEPtPlSF_S6_NS0_8equal_toItEEEE10hipError_tPvRmT2_T3_mT4_T5_T6_T7_T8_P12ihipStream_tbENKUlT_T0_E_clISt17integral_constantIbLb1EESZ_EEDaSU_SV_EUlSU_E_NS1_11comp_targetILNS1_3genE8ELNS1_11target_archE1030ELNS1_3gpuE2ELNS1_3repE0EEENS1_30default_config_static_selectorELNS0_4arch9wavefront6targetE0EEEvT1_.uses_vcc, 0
	.set _ZN7rocprim17ROCPRIM_400000_NS6detail17trampoline_kernelINS0_14default_configENS1_33run_length_encode_config_selectorItjNS0_4plusIjEEEEZZNS1_33reduce_by_key_impl_wrapped_configILNS1_25lookback_scan_determinismE0ES3_S7_PKtNS0_17constant_iteratorIjlEEPtPlSF_S6_NS0_8equal_toItEEEE10hipError_tPvRmT2_T3_mT4_T5_T6_T7_T8_P12ihipStream_tbENKUlT_T0_E_clISt17integral_constantIbLb1EESZ_EEDaSU_SV_EUlSU_E_NS1_11comp_targetILNS1_3genE8ELNS1_11target_archE1030ELNS1_3gpuE2ELNS1_3repE0EEENS1_30default_config_static_selectorELNS0_4arch9wavefront6targetE0EEEvT1_.uses_flat_scratch, 0
	.set _ZN7rocprim17ROCPRIM_400000_NS6detail17trampoline_kernelINS0_14default_configENS1_33run_length_encode_config_selectorItjNS0_4plusIjEEEEZZNS1_33reduce_by_key_impl_wrapped_configILNS1_25lookback_scan_determinismE0ES3_S7_PKtNS0_17constant_iteratorIjlEEPtPlSF_S6_NS0_8equal_toItEEEE10hipError_tPvRmT2_T3_mT4_T5_T6_T7_T8_P12ihipStream_tbENKUlT_T0_E_clISt17integral_constantIbLb1EESZ_EEDaSU_SV_EUlSU_E_NS1_11comp_targetILNS1_3genE8ELNS1_11target_archE1030ELNS1_3gpuE2ELNS1_3repE0EEENS1_30default_config_static_selectorELNS0_4arch9wavefront6targetE0EEEvT1_.has_dyn_sized_stack, 0
	.set _ZN7rocprim17ROCPRIM_400000_NS6detail17trampoline_kernelINS0_14default_configENS1_33run_length_encode_config_selectorItjNS0_4plusIjEEEEZZNS1_33reduce_by_key_impl_wrapped_configILNS1_25lookback_scan_determinismE0ES3_S7_PKtNS0_17constant_iteratorIjlEEPtPlSF_S6_NS0_8equal_toItEEEE10hipError_tPvRmT2_T3_mT4_T5_T6_T7_T8_P12ihipStream_tbENKUlT_T0_E_clISt17integral_constantIbLb1EESZ_EEDaSU_SV_EUlSU_E_NS1_11comp_targetILNS1_3genE8ELNS1_11target_archE1030ELNS1_3gpuE2ELNS1_3repE0EEENS1_30default_config_static_selectorELNS0_4arch9wavefront6targetE0EEEvT1_.has_recursion, 0
	.set _ZN7rocprim17ROCPRIM_400000_NS6detail17trampoline_kernelINS0_14default_configENS1_33run_length_encode_config_selectorItjNS0_4plusIjEEEEZZNS1_33reduce_by_key_impl_wrapped_configILNS1_25lookback_scan_determinismE0ES3_S7_PKtNS0_17constant_iteratorIjlEEPtPlSF_S6_NS0_8equal_toItEEEE10hipError_tPvRmT2_T3_mT4_T5_T6_T7_T8_P12ihipStream_tbENKUlT_T0_E_clISt17integral_constantIbLb1EESZ_EEDaSU_SV_EUlSU_E_NS1_11comp_targetILNS1_3genE8ELNS1_11target_archE1030ELNS1_3gpuE2ELNS1_3repE0EEENS1_30default_config_static_selectorELNS0_4arch9wavefront6targetE0EEEvT1_.has_indirect_call, 0
	.section	.AMDGPU.csdata,"",@progbits
; Kernel info:
; codeLenInByte = 0
; TotalNumSgprs: 0
; NumVgprs: 0
; ScratchSize: 0
; MemoryBound: 0
; FloatMode: 240
; IeeeMode: 1
; LDSByteSize: 0 bytes/workgroup (compile time only)
; SGPRBlocks: 0
; VGPRBlocks: 0
; NumSGPRsForWavesPerEU: 1
; NumVGPRsForWavesPerEU: 1
; NamedBarCnt: 0
; Occupancy: 16
; WaveLimiterHint : 0
; COMPUTE_PGM_RSRC2:SCRATCH_EN: 0
; COMPUTE_PGM_RSRC2:USER_SGPR: 2
; COMPUTE_PGM_RSRC2:TRAP_HANDLER: 0
; COMPUTE_PGM_RSRC2:TGID_X_EN: 1
; COMPUTE_PGM_RSRC2:TGID_Y_EN: 0
; COMPUTE_PGM_RSRC2:TGID_Z_EN: 0
; COMPUTE_PGM_RSRC2:TIDIG_COMP_CNT: 0
	.section	.text._ZN7rocprim17ROCPRIM_400000_NS6detail17trampoline_kernelINS0_14default_configENS1_33run_length_encode_config_selectorItjNS0_4plusIjEEEEZZNS1_33reduce_by_key_impl_wrapped_configILNS1_25lookback_scan_determinismE0ES3_S7_PKtNS0_17constant_iteratorIjlEEPtPlSF_S6_NS0_8equal_toItEEEE10hipError_tPvRmT2_T3_mT4_T5_T6_T7_T8_P12ihipStream_tbENKUlT_T0_E_clISt17integral_constantIbLb1EESY_IbLb0EEEEDaSU_SV_EUlSU_E_NS1_11comp_targetILNS1_3genE0ELNS1_11target_archE4294967295ELNS1_3gpuE0ELNS1_3repE0EEENS1_30default_config_static_selectorELNS0_4arch9wavefront6targetE0EEEvT1_,"axG",@progbits,_ZN7rocprim17ROCPRIM_400000_NS6detail17trampoline_kernelINS0_14default_configENS1_33run_length_encode_config_selectorItjNS0_4plusIjEEEEZZNS1_33reduce_by_key_impl_wrapped_configILNS1_25lookback_scan_determinismE0ES3_S7_PKtNS0_17constant_iteratorIjlEEPtPlSF_S6_NS0_8equal_toItEEEE10hipError_tPvRmT2_T3_mT4_T5_T6_T7_T8_P12ihipStream_tbENKUlT_T0_E_clISt17integral_constantIbLb1EESY_IbLb0EEEEDaSU_SV_EUlSU_E_NS1_11comp_targetILNS1_3genE0ELNS1_11target_archE4294967295ELNS1_3gpuE0ELNS1_3repE0EEENS1_30default_config_static_selectorELNS0_4arch9wavefront6targetE0EEEvT1_,comdat
	.protected	_ZN7rocprim17ROCPRIM_400000_NS6detail17trampoline_kernelINS0_14default_configENS1_33run_length_encode_config_selectorItjNS0_4plusIjEEEEZZNS1_33reduce_by_key_impl_wrapped_configILNS1_25lookback_scan_determinismE0ES3_S7_PKtNS0_17constant_iteratorIjlEEPtPlSF_S6_NS0_8equal_toItEEEE10hipError_tPvRmT2_T3_mT4_T5_T6_T7_T8_P12ihipStream_tbENKUlT_T0_E_clISt17integral_constantIbLb1EESY_IbLb0EEEEDaSU_SV_EUlSU_E_NS1_11comp_targetILNS1_3genE0ELNS1_11target_archE4294967295ELNS1_3gpuE0ELNS1_3repE0EEENS1_30default_config_static_selectorELNS0_4arch9wavefront6targetE0EEEvT1_ ; -- Begin function _ZN7rocprim17ROCPRIM_400000_NS6detail17trampoline_kernelINS0_14default_configENS1_33run_length_encode_config_selectorItjNS0_4plusIjEEEEZZNS1_33reduce_by_key_impl_wrapped_configILNS1_25lookback_scan_determinismE0ES3_S7_PKtNS0_17constant_iteratorIjlEEPtPlSF_S6_NS0_8equal_toItEEEE10hipError_tPvRmT2_T3_mT4_T5_T6_T7_T8_P12ihipStream_tbENKUlT_T0_E_clISt17integral_constantIbLb1EESY_IbLb0EEEEDaSU_SV_EUlSU_E_NS1_11comp_targetILNS1_3genE0ELNS1_11target_archE4294967295ELNS1_3gpuE0ELNS1_3repE0EEENS1_30default_config_static_selectorELNS0_4arch9wavefront6targetE0EEEvT1_
	.globl	_ZN7rocprim17ROCPRIM_400000_NS6detail17trampoline_kernelINS0_14default_configENS1_33run_length_encode_config_selectorItjNS0_4plusIjEEEEZZNS1_33reduce_by_key_impl_wrapped_configILNS1_25lookback_scan_determinismE0ES3_S7_PKtNS0_17constant_iteratorIjlEEPtPlSF_S6_NS0_8equal_toItEEEE10hipError_tPvRmT2_T3_mT4_T5_T6_T7_T8_P12ihipStream_tbENKUlT_T0_E_clISt17integral_constantIbLb1EESY_IbLb0EEEEDaSU_SV_EUlSU_E_NS1_11comp_targetILNS1_3genE0ELNS1_11target_archE4294967295ELNS1_3gpuE0ELNS1_3repE0EEENS1_30default_config_static_selectorELNS0_4arch9wavefront6targetE0EEEvT1_
	.p2align	8
	.type	_ZN7rocprim17ROCPRIM_400000_NS6detail17trampoline_kernelINS0_14default_configENS1_33run_length_encode_config_selectorItjNS0_4plusIjEEEEZZNS1_33reduce_by_key_impl_wrapped_configILNS1_25lookback_scan_determinismE0ES3_S7_PKtNS0_17constant_iteratorIjlEEPtPlSF_S6_NS0_8equal_toItEEEE10hipError_tPvRmT2_T3_mT4_T5_T6_T7_T8_P12ihipStream_tbENKUlT_T0_E_clISt17integral_constantIbLb1EESY_IbLb0EEEEDaSU_SV_EUlSU_E_NS1_11comp_targetILNS1_3genE0ELNS1_11target_archE4294967295ELNS1_3gpuE0ELNS1_3repE0EEENS1_30default_config_static_selectorELNS0_4arch9wavefront6targetE0EEEvT1_,@function
_ZN7rocprim17ROCPRIM_400000_NS6detail17trampoline_kernelINS0_14default_configENS1_33run_length_encode_config_selectorItjNS0_4plusIjEEEEZZNS1_33reduce_by_key_impl_wrapped_configILNS1_25lookback_scan_determinismE0ES3_S7_PKtNS0_17constant_iteratorIjlEEPtPlSF_S6_NS0_8equal_toItEEEE10hipError_tPvRmT2_T3_mT4_T5_T6_T7_T8_P12ihipStream_tbENKUlT_T0_E_clISt17integral_constantIbLb1EESY_IbLb0EEEEDaSU_SV_EUlSU_E_NS1_11comp_targetILNS1_3genE0ELNS1_11target_archE4294967295ELNS1_3gpuE0ELNS1_3repE0EEENS1_30default_config_static_selectorELNS0_4arch9wavefront6targetE0EEEvT1_: ; @_ZN7rocprim17ROCPRIM_400000_NS6detail17trampoline_kernelINS0_14default_configENS1_33run_length_encode_config_selectorItjNS0_4plusIjEEEEZZNS1_33reduce_by_key_impl_wrapped_configILNS1_25lookback_scan_determinismE0ES3_S7_PKtNS0_17constant_iteratorIjlEEPtPlSF_S6_NS0_8equal_toItEEEE10hipError_tPvRmT2_T3_mT4_T5_T6_T7_T8_P12ihipStream_tbENKUlT_T0_E_clISt17integral_constantIbLb1EESY_IbLb0EEEEDaSU_SV_EUlSU_E_NS1_11comp_targetILNS1_3genE0ELNS1_11target_archE4294967295ELNS1_3gpuE0ELNS1_3repE0EEENS1_30default_config_static_selectorELNS0_4arch9wavefront6targetE0EEEvT1_
; %bb.0:
	s_endpgm
	.section	.rodata,"a",@progbits
	.p2align	6, 0x0
	.amdhsa_kernel _ZN7rocprim17ROCPRIM_400000_NS6detail17trampoline_kernelINS0_14default_configENS1_33run_length_encode_config_selectorItjNS0_4plusIjEEEEZZNS1_33reduce_by_key_impl_wrapped_configILNS1_25lookback_scan_determinismE0ES3_S7_PKtNS0_17constant_iteratorIjlEEPtPlSF_S6_NS0_8equal_toItEEEE10hipError_tPvRmT2_T3_mT4_T5_T6_T7_T8_P12ihipStream_tbENKUlT_T0_E_clISt17integral_constantIbLb1EESY_IbLb0EEEEDaSU_SV_EUlSU_E_NS1_11comp_targetILNS1_3genE0ELNS1_11target_archE4294967295ELNS1_3gpuE0ELNS1_3repE0EEENS1_30default_config_static_selectorELNS0_4arch9wavefront6targetE0EEEvT1_
		.amdhsa_group_segment_fixed_size 0
		.amdhsa_private_segment_fixed_size 0
		.amdhsa_kernarg_size 128
		.amdhsa_user_sgpr_count 2
		.amdhsa_user_sgpr_dispatch_ptr 0
		.amdhsa_user_sgpr_queue_ptr 0
		.amdhsa_user_sgpr_kernarg_segment_ptr 1
		.amdhsa_user_sgpr_dispatch_id 0
		.amdhsa_user_sgpr_kernarg_preload_length 0
		.amdhsa_user_sgpr_kernarg_preload_offset 0
		.amdhsa_user_sgpr_private_segment_size 0
		.amdhsa_wavefront_size32 1
		.amdhsa_uses_dynamic_stack 0
		.amdhsa_enable_private_segment 0
		.amdhsa_system_sgpr_workgroup_id_x 1
		.amdhsa_system_sgpr_workgroup_id_y 0
		.amdhsa_system_sgpr_workgroup_id_z 0
		.amdhsa_system_sgpr_workgroup_info 0
		.amdhsa_system_vgpr_workitem_id 0
		.amdhsa_next_free_vgpr 1
		.amdhsa_next_free_sgpr 1
		.amdhsa_named_barrier_count 0
		.amdhsa_reserve_vcc 0
		.amdhsa_float_round_mode_32 0
		.amdhsa_float_round_mode_16_64 0
		.amdhsa_float_denorm_mode_32 3
		.amdhsa_float_denorm_mode_16_64 3
		.amdhsa_fp16_overflow 0
		.amdhsa_memory_ordered 1
		.amdhsa_forward_progress 1
		.amdhsa_inst_pref_size 1
		.amdhsa_round_robin_scheduling 0
		.amdhsa_exception_fp_ieee_invalid_op 0
		.amdhsa_exception_fp_denorm_src 0
		.amdhsa_exception_fp_ieee_div_zero 0
		.amdhsa_exception_fp_ieee_overflow 0
		.amdhsa_exception_fp_ieee_underflow 0
		.amdhsa_exception_fp_ieee_inexact 0
		.amdhsa_exception_int_div_zero 0
	.end_amdhsa_kernel
	.section	.text._ZN7rocprim17ROCPRIM_400000_NS6detail17trampoline_kernelINS0_14default_configENS1_33run_length_encode_config_selectorItjNS0_4plusIjEEEEZZNS1_33reduce_by_key_impl_wrapped_configILNS1_25lookback_scan_determinismE0ES3_S7_PKtNS0_17constant_iteratorIjlEEPtPlSF_S6_NS0_8equal_toItEEEE10hipError_tPvRmT2_T3_mT4_T5_T6_T7_T8_P12ihipStream_tbENKUlT_T0_E_clISt17integral_constantIbLb1EESY_IbLb0EEEEDaSU_SV_EUlSU_E_NS1_11comp_targetILNS1_3genE0ELNS1_11target_archE4294967295ELNS1_3gpuE0ELNS1_3repE0EEENS1_30default_config_static_selectorELNS0_4arch9wavefront6targetE0EEEvT1_,"axG",@progbits,_ZN7rocprim17ROCPRIM_400000_NS6detail17trampoline_kernelINS0_14default_configENS1_33run_length_encode_config_selectorItjNS0_4plusIjEEEEZZNS1_33reduce_by_key_impl_wrapped_configILNS1_25lookback_scan_determinismE0ES3_S7_PKtNS0_17constant_iteratorIjlEEPtPlSF_S6_NS0_8equal_toItEEEE10hipError_tPvRmT2_T3_mT4_T5_T6_T7_T8_P12ihipStream_tbENKUlT_T0_E_clISt17integral_constantIbLb1EESY_IbLb0EEEEDaSU_SV_EUlSU_E_NS1_11comp_targetILNS1_3genE0ELNS1_11target_archE4294967295ELNS1_3gpuE0ELNS1_3repE0EEENS1_30default_config_static_selectorELNS0_4arch9wavefront6targetE0EEEvT1_,comdat
.Lfunc_end805:
	.size	_ZN7rocprim17ROCPRIM_400000_NS6detail17trampoline_kernelINS0_14default_configENS1_33run_length_encode_config_selectorItjNS0_4plusIjEEEEZZNS1_33reduce_by_key_impl_wrapped_configILNS1_25lookback_scan_determinismE0ES3_S7_PKtNS0_17constant_iteratorIjlEEPtPlSF_S6_NS0_8equal_toItEEEE10hipError_tPvRmT2_T3_mT4_T5_T6_T7_T8_P12ihipStream_tbENKUlT_T0_E_clISt17integral_constantIbLb1EESY_IbLb0EEEEDaSU_SV_EUlSU_E_NS1_11comp_targetILNS1_3genE0ELNS1_11target_archE4294967295ELNS1_3gpuE0ELNS1_3repE0EEENS1_30default_config_static_selectorELNS0_4arch9wavefront6targetE0EEEvT1_, .Lfunc_end805-_ZN7rocprim17ROCPRIM_400000_NS6detail17trampoline_kernelINS0_14default_configENS1_33run_length_encode_config_selectorItjNS0_4plusIjEEEEZZNS1_33reduce_by_key_impl_wrapped_configILNS1_25lookback_scan_determinismE0ES3_S7_PKtNS0_17constant_iteratorIjlEEPtPlSF_S6_NS0_8equal_toItEEEE10hipError_tPvRmT2_T3_mT4_T5_T6_T7_T8_P12ihipStream_tbENKUlT_T0_E_clISt17integral_constantIbLb1EESY_IbLb0EEEEDaSU_SV_EUlSU_E_NS1_11comp_targetILNS1_3genE0ELNS1_11target_archE4294967295ELNS1_3gpuE0ELNS1_3repE0EEENS1_30default_config_static_selectorELNS0_4arch9wavefront6targetE0EEEvT1_
                                        ; -- End function
	.set _ZN7rocprim17ROCPRIM_400000_NS6detail17trampoline_kernelINS0_14default_configENS1_33run_length_encode_config_selectorItjNS0_4plusIjEEEEZZNS1_33reduce_by_key_impl_wrapped_configILNS1_25lookback_scan_determinismE0ES3_S7_PKtNS0_17constant_iteratorIjlEEPtPlSF_S6_NS0_8equal_toItEEEE10hipError_tPvRmT2_T3_mT4_T5_T6_T7_T8_P12ihipStream_tbENKUlT_T0_E_clISt17integral_constantIbLb1EESY_IbLb0EEEEDaSU_SV_EUlSU_E_NS1_11comp_targetILNS1_3genE0ELNS1_11target_archE4294967295ELNS1_3gpuE0ELNS1_3repE0EEENS1_30default_config_static_selectorELNS0_4arch9wavefront6targetE0EEEvT1_.num_vgpr, 0
	.set _ZN7rocprim17ROCPRIM_400000_NS6detail17trampoline_kernelINS0_14default_configENS1_33run_length_encode_config_selectorItjNS0_4plusIjEEEEZZNS1_33reduce_by_key_impl_wrapped_configILNS1_25lookback_scan_determinismE0ES3_S7_PKtNS0_17constant_iteratorIjlEEPtPlSF_S6_NS0_8equal_toItEEEE10hipError_tPvRmT2_T3_mT4_T5_T6_T7_T8_P12ihipStream_tbENKUlT_T0_E_clISt17integral_constantIbLb1EESY_IbLb0EEEEDaSU_SV_EUlSU_E_NS1_11comp_targetILNS1_3genE0ELNS1_11target_archE4294967295ELNS1_3gpuE0ELNS1_3repE0EEENS1_30default_config_static_selectorELNS0_4arch9wavefront6targetE0EEEvT1_.num_agpr, 0
	.set _ZN7rocprim17ROCPRIM_400000_NS6detail17trampoline_kernelINS0_14default_configENS1_33run_length_encode_config_selectorItjNS0_4plusIjEEEEZZNS1_33reduce_by_key_impl_wrapped_configILNS1_25lookback_scan_determinismE0ES3_S7_PKtNS0_17constant_iteratorIjlEEPtPlSF_S6_NS0_8equal_toItEEEE10hipError_tPvRmT2_T3_mT4_T5_T6_T7_T8_P12ihipStream_tbENKUlT_T0_E_clISt17integral_constantIbLb1EESY_IbLb0EEEEDaSU_SV_EUlSU_E_NS1_11comp_targetILNS1_3genE0ELNS1_11target_archE4294967295ELNS1_3gpuE0ELNS1_3repE0EEENS1_30default_config_static_selectorELNS0_4arch9wavefront6targetE0EEEvT1_.numbered_sgpr, 0
	.set _ZN7rocprim17ROCPRIM_400000_NS6detail17trampoline_kernelINS0_14default_configENS1_33run_length_encode_config_selectorItjNS0_4plusIjEEEEZZNS1_33reduce_by_key_impl_wrapped_configILNS1_25lookback_scan_determinismE0ES3_S7_PKtNS0_17constant_iteratorIjlEEPtPlSF_S6_NS0_8equal_toItEEEE10hipError_tPvRmT2_T3_mT4_T5_T6_T7_T8_P12ihipStream_tbENKUlT_T0_E_clISt17integral_constantIbLb1EESY_IbLb0EEEEDaSU_SV_EUlSU_E_NS1_11comp_targetILNS1_3genE0ELNS1_11target_archE4294967295ELNS1_3gpuE0ELNS1_3repE0EEENS1_30default_config_static_selectorELNS0_4arch9wavefront6targetE0EEEvT1_.num_named_barrier, 0
	.set _ZN7rocprim17ROCPRIM_400000_NS6detail17trampoline_kernelINS0_14default_configENS1_33run_length_encode_config_selectorItjNS0_4plusIjEEEEZZNS1_33reduce_by_key_impl_wrapped_configILNS1_25lookback_scan_determinismE0ES3_S7_PKtNS0_17constant_iteratorIjlEEPtPlSF_S6_NS0_8equal_toItEEEE10hipError_tPvRmT2_T3_mT4_T5_T6_T7_T8_P12ihipStream_tbENKUlT_T0_E_clISt17integral_constantIbLb1EESY_IbLb0EEEEDaSU_SV_EUlSU_E_NS1_11comp_targetILNS1_3genE0ELNS1_11target_archE4294967295ELNS1_3gpuE0ELNS1_3repE0EEENS1_30default_config_static_selectorELNS0_4arch9wavefront6targetE0EEEvT1_.private_seg_size, 0
	.set _ZN7rocprim17ROCPRIM_400000_NS6detail17trampoline_kernelINS0_14default_configENS1_33run_length_encode_config_selectorItjNS0_4plusIjEEEEZZNS1_33reduce_by_key_impl_wrapped_configILNS1_25lookback_scan_determinismE0ES3_S7_PKtNS0_17constant_iteratorIjlEEPtPlSF_S6_NS0_8equal_toItEEEE10hipError_tPvRmT2_T3_mT4_T5_T6_T7_T8_P12ihipStream_tbENKUlT_T0_E_clISt17integral_constantIbLb1EESY_IbLb0EEEEDaSU_SV_EUlSU_E_NS1_11comp_targetILNS1_3genE0ELNS1_11target_archE4294967295ELNS1_3gpuE0ELNS1_3repE0EEENS1_30default_config_static_selectorELNS0_4arch9wavefront6targetE0EEEvT1_.uses_vcc, 0
	.set _ZN7rocprim17ROCPRIM_400000_NS6detail17trampoline_kernelINS0_14default_configENS1_33run_length_encode_config_selectorItjNS0_4plusIjEEEEZZNS1_33reduce_by_key_impl_wrapped_configILNS1_25lookback_scan_determinismE0ES3_S7_PKtNS0_17constant_iteratorIjlEEPtPlSF_S6_NS0_8equal_toItEEEE10hipError_tPvRmT2_T3_mT4_T5_T6_T7_T8_P12ihipStream_tbENKUlT_T0_E_clISt17integral_constantIbLb1EESY_IbLb0EEEEDaSU_SV_EUlSU_E_NS1_11comp_targetILNS1_3genE0ELNS1_11target_archE4294967295ELNS1_3gpuE0ELNS1_3repE0EEENS1_30default_config_static_selectorELNS0_4arch9wavefront6targetE0EEEvT1_.uses_flat_scratch, 0
	.set _ZN7rocprim17ROCPRIM_400000_NS6detail17trampoline_kernelINS0_14default_configENS1_33run_length_encode_config_selectorItjNS0_4plusIjEEEEZZNS1_33reduce_by_key_impl_wrapped_configILNS1_25lookback_scan_determinismE0ES3_S7_PKtNS0_17constant_iteratorIjlEEPtPlSF_S6_NS0_8equal_toItEEEE10hipError_tPvRmT2_T3_mT4_T5_T6_T7_T8_P12ihipStream_tbENKUlT_T0_E_clISt17integral_constantIbLb1EESY_IbLb0EEEEDaSU_SV_EUlSU_E_NS1_11comp_targetILNS1_3genE0ELNS1_11target_archE4294967295ELNS1_3gpuE0ELNS1_3repE0EEENS1_30default_config_static_selectorELNS0_4arch9wavefront6targetE0EEEvT1_.has_dyn_sized_stack, 0
	.set _ZN7rocprim17ROCPRIM_400000_NS6detail17trampoline_kernelINS0_14default_configENS1_33run_length_encode_config_selectorItjNS0_4plusIjEEEEZZNS1_33reduce_by_key_impl_wrapped_configILNS1_25lookback_scan_determinismE0ES3_S7_PKtNS0_17constant_iteratorIjlEEPtPlSF_S6_NS0_8equal_toItEEEE10hipError_tPvRmT2_T3_mT4_T5_T6_T7_T8_P12ihipStream_tbENKUlT_T0_E_clISt17integral_constantIbLb1EESY_IbLb0EEEEDaSU_SV_EUlSU_E_NS1_11comp_targetILNS1_3genE0ELNS1_11target_archE4294967295ELNS1_3gpuE0ELNS1_3repE0EEENS1_30default_config_static_selectorELNS0_4arch9wavefront6targetE0EEEvT1_.has_recursion, 0
	.set _ZN7rocprim17ROCPRIM_400000_NS6detail17trampoline_kernelINS0_14default_configENS1_33run_length_encode_config_selectorItjNS0_4plusIjEEEEZZNS1_33reduce_by_key_impl_wrapped_configILNS1_25lookback_scan_determinismE0ES3_S7_PKtNS0_17constant_iteratorIjlEEPtPlSF_S6_NS0_8equal_toItEEEE10hipError_tPvRmT2_T3_mT4_T5_T6_T7_T8_P12ihipStream_tbENKUlT_T0_E_clISt17integral_constantIbLb1EESY_IbLb0EEEEDaSU_SV_EUlSU_E_NS1_11comp_targetILNS1_3genE0ELNS1_11target_archE4294967295ELNS1_3gpuE0ELNS1_3repE0EEENS1_30default_config_static_selectorELNS0_4arch9wavefront6targetE0EEEvT1_.has_indirect_call, 0
	.section	.AMDGPU.csdata,"",@progbits
; Kernel info:
; codeLenInByte = 4
; TotalNumSgprs: 0
; NumVgprs: 0
; ScratchSize: 0
; MemoryBound: 0
; FloatMode: 240
; IeeeMode: 1
; LDSByteSize: 0 bytes/workgroup (compile time only)
; SGPRBlocks: 0
; VGPRBlocks: 0
; NumSGPRsForWavesPerEU: 1
; NumVGPRsForWavesPerEU: 1
; NamedBarCnt: 0
; Occupancy: 16
; WaveLimiterHint : 0
; COMPUTE_PGM_RSRC2:SCRATCH_EN: 0
; COMPUTE_PGM_RSRC2:USER_SGPR: 2
; COMPUTE_PGM_RSRC2:TRAP_HANDLER: 0
; COMPUTE_PGM_RSRC2:TGID_X_EN: 1
; COMPUTE_PGM_RSRC2:TGID_Y_EN: 0
; COMPUTE_PGM_RSRC2:TGID_Z_EN: 0
; COMPUTE_PGM_RSRC2:TIDIG_COMP_CNT: 0
	.section	.text._ZN7rocprim17ROCPRIM_400000_NS6detail17trampoline_kernelINS0_14default_configENS1_33run_length_encode_config_selectorItjNS0_4plusIjEEEEZZNS1_33reduce_by_key_impl_wrapped_configILNS1_25lookback_scan_determinismE0ES3_S7_PKtNS0_17constant_iteratorIjlEEPtPlSF_S6_NS0_8equal_toItEEEE10hipError_tPvRmT2_T3_mT4_T5_T6_T7_T8_P12ihipStream_tbENKUlT_T0_E_clISt17integral_constantIbLb1EESY_IbLb0EEEEDaSU_SV_EUlSU_E_NS1_11comp_targetILNS1_3genE5ELNS1_11target_archE942ELNS1_3gpuE9ELNS1_3repE0EEENS1_30default_config_static_selectorELNS0_4arch9wavefront6targetE0EEEvT1_,"axG",@progbits,_ZN7rocprim17ROCPRIM_400000_NS6detail17trampoline_kernelINS0_14default_configENS1_33run_length_encode_config_selectorItjNS0_4plusIjEEEEZZNS1_33reduce_by_key_impl_wrapped_configILNS1_25lookback_scan_determinismE0ES3_S7_PKtNS0_17constant_iteratorIjlEEPtPlSF_S6_NS0_8equal_toItEEEE10hipError_tPvRmT2_T3_mT4_T5_T6_T7_T8_P12ihipStream_tbENKUlT_T0_E_clISt17integral_constantIbLb1EESY_IbLb0EEEEDaSU_SV_EUlSU_E_NS1_11comp_targetILNS1_3genE5ELNS1_11target_archE942ELNS1_3gpuE9ELNS1_3repE0EEENS1_30default_config_static_selectorELNS0_4arch9wavefront6targetE0EEEvT1_,comdat
	.protected	_ZN7rocprim17ROCPRIM_400000_NS6detail17trampoline_kernelINS0_14default_configENS1_33run_length_encode_config_selectorItjNS0_4plusIjEEEEZZNS1_33reduce_by_key_impl_wrapped_configILNS1_25lookback_scan_determinismE0ES3_S7_PKtNS0_17constant_iteratorIjlEEPtPlSF_S6_NS0_8equal_toItEEEE10hipError_tPvRmT2_T3_mT4_T5_T6_T7_T8_P12ihipStream_tbENKUlT_T0_E_clISt17integral_constantIbLb1EESY_IbLb0EEEEDaSU_SV_EUlSU_E_NS1_11comp_targetILNS1_3genE5ELNS1_11target_archE942ELNS1_3gpuE9ELNS1_3repE0EEENS1_30default_config_static_selectorELNS0_4arch9wavefront6targetE0EEEvT1_ ; -- Begin function _ZN7rocprim17ROCPRIM_400000_NS6detail17trampoline_kernelINS0_14default_configENS1_33run_length_encode_config_selectorItjNS0_4plusIjEEEEZZNS1_33reduce_by_key_impl_wrapped_configILNS1_25lookback_scan_determinismE0ES3_S7_PKtNS0_17constant_iteratorIjlEEPtPlSF_S6_NS0_8equal_toItEEEE10hipError_tPvRmT2_T3_mT4_T5_T6_T7_T8_P12ihipStream_tbENKUlT_T0_E_clISt17integral_constantIbLb1EESY_IbLb0EEEEDaSU_SV_EUlSU_E_NS1_11comp_targetILNS1_3genE5ELNS1_11target_archE942ELNS1_3gpuE9ELNS1_3repE0EEENS1_30default_config_static_selectorELNS0_4arch9wavefront6targetE0EEEvT1_
	.globl	_ZN7rocprim17ROCPRIM_400000_NS6detail17trampoline_kernelINS0_14default_configENS1_33run_length_encode_config_selectorItjNS0_4plusIjEEEEZZNS1_33reduce_by_key_impl_wrapped_configILNS1_25lookback_scan_determinismE0ES3_S7_PKtNS0_17constant_iteratorIjlEEPtPlSF_S6_NS0_8equal_toItEEEE10hipError_tPvRmT2_T3_mT4_T5_T6_T7_T8_P12ihipStream_tbENKUlT_T0_E_clISt17integral_constantIbLb1EESY_IbLb0EEEEDaSU_SV_EUlSU_E_NS1_11comp_targetILNS1_3genE5ELNS1_11target_archE942ELNS1_3gpuE9ELNS1_3repE0EEENS1_30default_config_static_selectorELNS0_4arch9wavefront6targetE0EEEvT1_
	.p2align	8
	.type	_ZN7rocprim17ROCPRIM_400000_NS6detail17trampoline_kernelINS0_14default_configENS1_33run_length_encode_config_selectorItjNS0_4plusIjEEEEZZNS1_33reduce_by_key_impl_wrapped_configILNS1_25lookback_scan_determinismE0ES3_S7_PKtNS0_17constant_iteratorIjlEEPtPlSF_S6_NS0_8equal_toItEEEE10hipError_tPvRmT2_T3_mT4_T5_T6_T7_T8_P12ihipStream_tbENKUlT_T0_E_clISt17integral_constantIbLb1EESY_IbLb0EEEEDaSU_SV_EUlSU_E_NS1_11comp_targetILNS1_3genE5ELNS1_11target_archE942ELNS1_3gpuE9ELNS1_3repE0EEENS1_30default_config_static_selectorELNS0_4arch9wavefront6targetE0EEEvT1_,@function
_ZN7rocprim17ROCPRIM_400000_NS6detail17trampoline_kernelINS0_14default_configENS1_33run_length_encode_config_selectorItjNS0_4plusIjEEEEZZNS1_33reduce_by_key_impl_wrapped_configILNS1_25lookback_scan_determinismE0ES3_S7_PKtNS0_17constant_iteratorIjlEEPtPlSF_S6_NS0_8equal_toItEEEE10hipError_tPvRmT2_T3_mT4_T5_T6_T7_T8_P12ihipStream_tbENKUlT_T0_E_clISt17integral_constantIbLb1EESY_IbLb0EEEEDaSU_SV_EUlSU_E_NS1_11comp_targetILNS1_3genE5ELNS1_11target_archE942ELNS1_3gpuE9ELNS1_3repE0EEENS1_30default_config_static_selectorELNS0_4arch9wavefront6targetE0EEEvT1_: ; @_ZN7rocprim17ROCPRIM_400000_NS6detail17trampoline_kernelINS0_14default_configENS1_33run_length_encode_config_selectorItjNS0_4plusIjEEEEZZNS1_33reduce_by_key_impl_wrapped_configILNS1_25lookback_scan_determinismE0ES3_S7_PKtNS0_17constant_iteratorIjlEEPtPlSF_S6_NS0_8equal_toItEEEE10hipError_tPvRmT2_T3_mT4_T5_T6_T7_T8_P12ihipStream_tbENKUlT_T0_E_clISt17integral_constantIbLb1EESY_IbLb0EEEEDaSU_SV_EUlSU_E_NS1_11comp_targetILNS1_3genE5ELNS1_11target_archE942ELNS1_3gpuE9ELNS1_3repE0EEENS1_30default_config_static_selectorELNS0_4arch9wavefront6targetE0EEEvT1_
; %bb.0:
	.section	.rodata,"a",@progbits
	.p2align	6, 0x0
	.amdhsa_kernel _ZN7rocprim17ROCPRIM_400000_NS6detail17trampoline_kernelINS0_14default_configENS1_33run_length_encode_config_selectorItjNS0_4plusIjEEEEZZNS1_33reduce_by_key_impl_wrapped_configILNS1_25lookback_scan_determinismE0ES3_S7_PKtNS0_17constant_iteratorIjlEEPtPlSF_S6_NS0_8equal_toItEEEE10hipError_tPvRmT2_T3_mT4_T5_T6_T7_T8_P12ihipStream_tbENKUlT_T0_E_clISt17integral_constantIbLb1EESY_IbLb0EEEEDaSU_SV_EUlSU_E_NS1_11comp_targetILNS1_3genE5ELNS1_11target_archE942ELNS1_3gpuE9ELNS1_3repE0EEENS1_30default_config_static_selectorELNS0_4arch9wavefront6targetE0EEEvT1_
		.amdhsa_group_segment_fixed_size 0
		.amdhsa_private_segment_fixed_size 0
		.amdhsa_kernarg_size 128
		.amdhsa_user_sgpr_count 2
		.amdhsa_user_sgpr_dispatch_ptr 0
		.amdhsa_user_sgpr_queue_ptr 0
		.amdhsa_user_sgpr_kernarg_segment_ptr 1
		.amdhsa_user_sgpr_dispatch_id 0
		.amdhsa_user_sgpr_kernarg_preload_length 0
		.amdhsa_user_sgpr_kernarg_preload_offset 0
		.amdhsa_user_sgpr_private_segment_size 0
		.amdhsa_wavefront_size32 1
		.amdhsa_uses_dynamic_stack 0
		.amdhsa_enable_private_segment 0
		.amdhsa_system_sgpr_workgroup_id_x 1
		.amdhsa_system_sgpr_workgroup_id_y 0
		.amdhsa_system_sgpr_workgroup_id_z 0
		.amdhsa_system_sgpr_workgroup_info 0
		.amdhsa_system_vgpr_workitem_id 0
		.amdhsa_next_free_vgpr 1
		.amdhsa_next_free_sgpr 1
		.amdhsa_named_barrier_count 0
		.amdhsa_reserve_vcc 0
		.amdhsa_float_round_mode_32 0
		.amdhsa_float_round_mode_16_64 0
		.amdhsa_float_denorm_mode_32 3
		.amdhsa_float_denorm_mode_16_64 3
		.amdhsa_fp16_overflow 0
		.amdhsa_memory_ordered 1
		.amdhsa_forward_progress 1
		.amdhsa_inst_pref_size 0
		.amdhsa_round_robin_scheduling 0
		.amdhsa_exception_fp_ieee_invalid_op 0
		.amdhsa_exception_fp_denorm_src 0
		.amdhsa_exception_fp_ieee_div_zero 0
		.amdhsa_exception_fp_ieee_overflow 0
		.amdhsa_exception_fp_ieee_underflow 0
		.amdhsa_exception_fp_ieee_inexact 0
		.amdhsa_exception_int_div_zero 0
	.end_amdhsa_kernel
	.section	.text._ZN7rocprim17ROCPRIM_400000_NS6detail17trampoline_kernelINS0_14default_configENS1_33run_length_encode_config_selectorItjNS0_4plusIjEEEEZZNS1_33reduce_by_key_impl_wrapped_configILNS1_25lookback_scan_determinismE0ES3_S7_PKtNS0_17constant_iteratorIjlEEPtPlSF_S6_NS0_8equal_toItEEEE10hipError_tPvRmT2_T3_mT4_T5_T6_T7_T8_P12ihipStream_tbENKUlT_T0_E_clISt17integral_constantIbLb1EESY_IbLb0EEEEDaSU_SV_EUlSU_E_NS1_11comp_targetILNS1_3genE5ELNS1_11target_archE942ELNS1_3gpuE9ELNS1_3repE0EEENS1_30default_config_static_selectorELNS0_4arch9wavefront6targetE0EEEvT1_,"axG",@progbits,_ZN7rocprim17ROCPRIM_400000_NS6detail17trampoline_kernelINS0_14default_configENS1_33run_length_encode_config_selectorItjNS0_4plusIjEEEEZZNS1_33reduce_by_key_impl_wrapped_configILNS1_25lookback_scan_determinismE0ES3_S7_PKtNS0_17constant_iteratorIjlEEPtPlSF_S6_NS0_8equal_toItEEEE10hipError_tPvRmT2_T3_mT4_T5_T6_T7_T8_P12ihipStream_tbENKUlT_T0_E_clISt17integral_constantIbLb1EESY_IbLb0EEEEDaSU_SV_EUlSU_E_NS1_11comp_targetILNS1_3genE5ELNS1_11target_archE942ELNS1_3gpuE9ELNS1_3repE0EEENS1_30default_config_static_selectorELNS0_4arch9wavefront6targetE0EEEvT1_,comdat
.Lfunc_end806:
	.size	_ZN7rocprim17ROCPRIM_400000_NS6detail17trampoline_kernelINS0_14default_configENS1_33run_length_encode_config_selectorItjNS0_4plusIjEEEEZZNS1_33reduce_by_key_impl_wrapped_configILNS1_25lookback_scan_determinismE0ES3_S7_PKtNS0_17constant_iteratorIjlEEPtPlSF_S6_NS0_8equal_toItEEEE10hipError_tPvRmT2_T3_mT4_T5_T6_T7_T8_P12ihipStream_tbENKUlT_T0_E_clISt17integral_constantIbLb1EESY_IbLb0EEEEDaSU_SV_EUlSU_E_NS1_11comp_targetILNS1_3genE5ELNS1_11target_archE942ELNS1_3gpuE9ELNS1_3repE0EEENS1_30default_config_static_selectorELNS0_4arch9wavefront6targetE0EEEvT1_, .Lfunc_end806-_ZN7rocprim17ROCPRIM_400000_NS6detail17trampoline_kernelINS0_14default_configENS1_33run_length_encode_config_selectorItjNS0_4plusIjEEEEZZNS1_33reduce_by_key_impl_wrapped_configILNS1_25lookback_scan_determinismE0ES3_S7_PKtNS0_17constant_iteratorIjlEEPtPlSF_S6_NS0_8equal_toItEEEE10hipError_tPvRmT2_T3_mT4_T5_T6_T7_T8_P12ihipStream_tbENKUlT_T0_E_clISt17integral_constantIbLb1EESY_IbLb0EEEEDaSU_SV_EUlSU_E_NS1_11comp_targetILNS1_3genE5ELNS1_11target_archE942ELNS1_3gpuE9ELNS1_3repE0EEENS1_30default_config_static_selectorELNS0_4arch9wavefront6targetE0EEEvT1_
                                        ; -- End function
	.set _ZN7rocprim17ROCPRIM_400000_NS6detail17trampoline_kernelINS0_14default_configENS1_33run_length_encode_config_selectorItjNS0_4plusIjEEEEZZNS1_33reduce_by_key_impl_wrapped_configILNS1_25lookback_scan_determinismE0ES3_S7_PKtNS0_17constant_iteratorIjlEEPtPlSF_S6_NS0_8equal_toItEEEE10hipError_tPvRmT2_T3_mT4_T5_T6_T7_T8_P12ihipStream_tbENKUlT_T0_E_clISt17integral_constantIbLb1EESY_IbLb0EEEEDaSU_SV_EUlSU_E_NS1_11comp_targetILNS1_3genE5ELNS1_11target_archE942ELNS1_3gpuE9ELNS1_3repE0EEENS1_30default_config_static_selectorELNS0_4arch9wavefront6targetE0EEEvT1_.num_vgpr, 0
	.set _ZN7rocprim17ROCPRIM_400000_NS6detail17trampoline_kernelINS0_14default_configENS1_33run_length_encode_config_selectorItjNS0_4plusIjEEEEZZNS1_33reduce_by_key_impl_wrapped_configILNS1_25lookback_scan_determinismE0ES3_S7_PKtNS0_17constant_iteratorIjlEEPtPlSF_S6_NS0_8equal_toItEEEE10hipError_tPvRmT2_T3_mT4_T5_T6_T7_T8_P12ihipStream_tbENKUlT_T0_E_clISt17integral_constantIbLb1EESY_IbLb0EEEEDaSU_SV_EUlSU_E_NS1_11comp_targetILNS1_3genE5ELNS1_11target_archE942ELNS1_3gpuE9ELNS1_3repE0EEENS1_30default_config_static_selectorELNS0_4arch9wavefront6targetE0EEEvT1_.num_agpr, 0
	.set _ZN7rocprim17ROCPRIM_400000_NS6detail17trampoline_kernelINS0_14default_configENS1_33run_length_encode_config_selectorItjNS0_4plusIjEEEEZZNS1_33reduce_by_key_impl_wrapped_configILNS1_25lookback_scan_determinismE0ES3_S7_PKtNS0_17constant_iteratorIjlEEPtPlSF_S6_NS0_8equal_toItEEEE10hipError_tPvRmT2_T3_mT4_T5_T6_T7_T8_P12ihipStream_tbENKUlT_T0_E_clISt17integral_constantIbLb1EESY_IbLb0EEEEDaSU_SV_EUlSU_E_NS1_11comp_targetILNS1_3genE5ELNS1_11target_archE942ELNS1_3gpuE9ELNS1_3repE0EEENS1_30default_config_static_selectorELNS0_4arch9wavefront6targetE0EEEvT1_.numbered_sgpr, 0
	.set _ZN7rocprim17ROCPRIM_400000_NS6detail17trampoline_kernelINS0_14default_configENS1_33run_length_encode_config_selectorItjNS0_4plusIjEEEEZZNS1_33reduce_by_key_impl_wrapped_configILNS1_25lookback_scan_determinismE0ES3_S7_PKtNS0_17constant_iteratorIjlEEPtPlSF_S6_NS0_8equal_toItEEEE10hipError_tPvRmT2_T3_mT4_T5_T6_T7_T8_P12ihipStream_tbENKUlT_T0_E_clISt17integral_constantIbLb1EESY_IbLb0EEEEDaSU_SV_EUlSU_E_NS1_11comp_targetILNS1_3genE5ELNS1_11target_archE942ELNS1_3gpuE9ELNS1_3repE0EEENS1_30default_config_static_selectorELNS0_4arch9wavefront6targetE0EEEvT1_.num_named_barrier, 0
	.set _ZN7rocprim17ROCPRIM_400000_NS6detail17trampoline_kernelINS0_14default_configENS1_33run_length_encode_config_selectorItjNS0_4plusIjEEEEZZNS1_33reduce_by_key_impl_wrapped_configILNS1_25lookback_scan_determinismE0ES3_S7_PKtNS0_17constant_iteratorIjlEEPtPlSF_S6_NS0_8equal_toItEEEE10hipError_tPvRmT2_T3_mT4_T5_T6_T7_T8_P12ihipStream_tbENKUlT_T0_E_clISt17integral_constantIbLb1EESY_IbLb0EEEEDaSU_SV_EUlSU_E_NS1_11comp_targetILNS1_3genE5ELNS1_11target_archE942ELNS1_3gpuE9ELNS1_3repE0EEENS1_30default_config_static_selectorELNS0_4arch9wavefront6targetE0EEEvT1_.private_seg_size, 0
	.set _ZN7rocprim17ROCPRIM_400000_NS6detail17trampoline_kernelINS0_14default_configENS1_33run_length_encode_config_selectorItjNS0_4plusIjEEEEZZNS1_33reduce_by_key_impl_wrapped_configILNS1_25lookback_scan_determinismE0ES3_S7_PKtNS0_17constant_iteratorIjlEEPtPlSF_S6_NS0_8equal_toItEEEE10hipError_tPvRmT2_T3_mT4_T5_T6_T7_T8_P12ihipStream_tbENKUlT_T0_E_clISt17integral_constantIbLb1EESY_IbLb0EEEEDaSU_SV_EUlSU_E_NS1_11comp_targetILNS1_3genE5ELNS1_11target_archE942ELNS1_3gpuE9ELNS1_3repE0EEENS1_30default_config_static_selectorELNS0_4arch9wavefront6targetE0EEEvT1_.uses_vcc, 0
	.set _ZN7rocprim17ROCPRIM_400000_NS6detail17trampoline_kernelINS0_14default_configENS1_33run_length_encode_config_selectorItjNS0_4plusIjEEEEZZNS1_33reduce_by_key_impl_wrapped_configILNS1_25lookback_scan_determinismE0ES3_S7_PKtNS0_17constant_iteratorIjlEEPtPlSF_S6_NS0_8equal_toItEEEE10hipError_tPvRmT2_T3_mT4_T5_T6_T7_T8_P12ihipStream_tbENKUlT_T0_E_clISt17integral_constantIbLb1EESY_IbLb0EEEEDaSU_SV_EUlSU_E_NS1_11comp_targetILNS1_3genE5ELNS1_11target_archE942ELNS1_3gpuE9ELNS1_3repE0EEENS1_30default_config_static_selectorELNS0_4arch9wavefront6targetE0EEEvT1_.uses_flat_scratch, 0
	.set _ZN7rocprim17ROCPRIM_400000_NS6detail17trampoline_kernelINS0_14default_configENS1_33run_length_encode_config_selectorItjNS0_4plusIjEEEEZZNS1_33reduce_by_key_impl_wrapped_configILNS1_25lookback_scan_determinismE0ES3_S7_PKtNS0_17constant_iteratorIjlEEPtPlSF_S6_NS0_8equal_toItEEEE10hipError_tPvRmT2_T3_mT4_T5_T6_T7_T8_P12ihipStream_tbENKUlT_T0_E_clISt17integral_constantIbLb1EESY_IbLb0EEEEDaSU_SV_EUlSU_E_NS1_11comp_targetILNS1_3genE5ELNS1_11target_archE942ELNS1_3gpuE9ELNS1_3repE0EEENS1_30default_config_static_selectorELNS0_4arch9wavefront6targetE0EEEvT1_.has_dyn_sized_stack, 0
	.set _ZN7rocprim17ROCPRIM_400000_NS6detail17trampoline_kernelINS0_14default_configENS1_33run_length_encode_config_selectorItjNS0_4plusIjEEEEZZNS1_33reduce_by_key_impl_wrapped_configILNS1_25lookback_scan_determinismE0ES3_S7_PKtNS0_17constant_iteratorIjlEEPtPlSF_S6_NS0_8equal_toItEEEE10hipError_tPvRmT2_T3_mT4_T5_T6_T7_T8_P12ihipStream_tbENKUlT_T0_E_clISt17integral_constantIbLb1EESY_IbLb0EEEEDaSU_SV_EUlSU_E_NS1_11comp_targetILNS1_3genE5ELNS1_11target_archE942ELNS1_3gpuE9ELNS1_3repE0EEENS1_30default_config_static_selectorELNS0_4arch9wavefront6targetE0EEEvT1_.has_recursion, 0
	.set _ZN7rocprim17ROCPRIM_400000_NS6detail17trampoline_kernelINS0_14default_configENS1_33run_length_encode_config_selectorItjNS0_4plusIjEEEEZZNS1_33reduce_by_key_impl_wrapped_configILNS1_25lookback_scan_determinismE0ES3_S7_PKtNS0_17constant_iteratorIjlEEPtPlSF_S6_NS0_8equal_toItEEEE10hipError_tPvRmT2_T3_mT4_T5_T6_T7_T8_P12ihipStream_tbENKUlT_T0_E_clISt17integral_constantIbLb1EESY_IbLb0EEEEDaSU_SV_EUlSU_E_NS1_11comp_targetILNS1_3genE5ELNS1_11target_archE942ELNS1_3gpuE9ELNS1_3repE0EEENS1_30default_config_static_selectorELNS0_4arch9wavefront6targetE0EEEvT1_.has_indirect_call, 0
	.section	.AMDGPU.csdata,"",@progbits
; Kernel info:
; codeLenInByte = 0
; TotalNumSgprs: 0
; NumVgprs: 0
; ScratchSize: 0
; MemoryBound: 0
; FloatMode: 240
; IeeeMode: 1
; LDSByteSize: 0 bytes/workgroup (compile time only)
; SGPRBlocks: 0
; VGPRBlocks: 0
; NumSGPRsForWavesPerEU: 1
; NumVGPRsForWavesPerEU: 1
; NamedBarCnt: 0
; Occupancy: 16
; WaveLimiterHint : 0
; COMPUTE_PGM_RSRC2:SCRATCH_EN: 0
; COMPUTE_PGM_RSRC2:USER_SGPR: 2
; COMPUTE_PGM_RSRC2:TRAP_HANDLER: 0
; COMPUTE_PGM_RSRC2:TGID_X_EN: 1
; COMPUTE_PGM_RSRC2:TGID_Y_EN: 0
; COMPUTE_PGM_RSRC2:TGID_Z_EN: 0
; COMPUTE_PGM_RSRC2:TIDIG_COMP_CNT: 0
	.section	.text._ZN7rocprim17ROCPRIM_400000_NS6detail17trampoline_kernelINS0_14default_configENS1_33run_length_encode_config_selectorItjNS0_4plusIjEEEEZZNS1_33reduce_by_key_impl_wrapped_configILNS1_25lookback_scan_determinismE0ES3_S7_PKtNS0_17constant_iteratorIjlEEPtPlSF_S6_NS0_8equal_toItEEEE10hipError_tPvRmT2_T3_mT4_T5_T6_T7_T8_P12ihipStream_tbENKUlT_T0_E_clISt17integral_constantIbLb1EESY_IbLb0EEEEDaSU_SV_EUlSU_E_NS1_11comp_targetILNS1_3genE4ELNS1_11target_archE910ELNS1_3gpuE8ELNS1_3repE0EEENS1_30default_config_static_selectorELNS0_4arch9wavefront6targetE0EEEvT1_,"axG",@progbits,_ZN7rocprim17ROCPRIM_400000_NS6detail17trampoline_kernelINS0_14default_configENS1_33run_length_encode_config_selectorItjNS0_4plusIjEEEEZZNS1_33reduce_by_key_impl_wrapped_configILNS1_25lookback_scan_determinismE0ES3_S7_PKtNS0_17constant_iteratorIjlEEPtPlSF_S6_NS0_8equal_toItEEEE10hipError_tPvRmT2_T3_mT4_T5_T6_T7_T8_P12ihipStream_tbENKUlT_T0_E_clISt17integral_constantIbLb1EESY_IbLb0EEEEDaSU_SV_EUlSU_E_NS1_11comp_targetILNS1_3genE4ELNS1_11target_archE910ELNS1_3gpuE8ELNS1_3repE0EEENS1_30default_config_static_selectorELNS0_4arch9wavefront6targetE0EEEvT1_,comdat
	.protected	_ZN7rocprim17ROCPRIM_400000_NS6detail17trampoline_kernelINS0_14default_configENS1_33run_length_encode_config_selectorItjNS0_4plusIjEEEEZZNS1_33reduce_by_key_impl_wrapped_configILNS1_25lookback_scan_determinismE0ES3_S7_PKtNS0_17constant_iteratorIjlEEPtPlSF_S6_NS0_8equal_toItEEEE10hipError_tPvRmT2_T3_mT4_T5_T6_T7_T8_P12ihipStream_tbENKUlT_T0_E_clISt17integral_constantIbLb1EESY_IbLb0EEEEDaSU_SV_EUlSU_E_NS1_11comp_targetILNS1_3genE4ELNS1_11target_archE910ELNS1_3gpuE8ELNS1_3repE0EEENS1_30default_config_static_selectorELNS0_4arch9wavefront6targetE0EEEvT1_ ; -- Begin function _ZN7rocprim17ROCPRIM_400000_NS6detail17trampoline_kernelINS0_14default_configENS1_33run_length_encode_config_selectorItjNS0_4plusIjEEEEZZNS1_33reduce_by_key_impl_wrapped_configILNS1_25lookback_scan_determinismE0ES3_S7_PKtNS0_17constant_iteratorIjlEEPtPlSF_S6_NS0_8equal_toItEEEE10hipError_tPvRmT2_T3_mT4_T5_T6_T7_T8_P12ihipStream_tbENKUlT_T0_E_clISt17integral_constantIbLb1EESY_IbLb0EEEEDaSU_SV_EUlSU_E_NS1_11comp_targetILNS1_3genE4ELNS1_11target_archE910ELNS1_3gpuE8ELNS1_3repE0EEENS1_30default_config_static_selectorELNS0_4arch9wavefront6targetE0EEEvT1_
	.globl	_ZN7rocprim17ROCPRIM_400000_NS6detail17trampoline_kernelINS0_14default_configENS1_33run_length_encode_config_selectorItjNS0_4plusIjEEEEZZNS1_33reduce_by_key_impl_wrapped_configILNS1_25lookback_scan_determinismE0ES3_S7_PKtNS0_17constant_iteratorIjlEEPtPlSF_S6_NS0_8equal_toItEEEE10hipError_tPvRmT2_T3_mT4_T5_T6_T7_T8_P12ihipStream_tbENKUlT_T0_E_clISt17integral_constantIbLb1EESY_IbLb0EEEEDaSU_SV_EUlSU_E_NS1_11comp_targetILNS1_3genE4ELNS1_11target_archE910ELNS1_3gpuE8ELNS1_3repE0EEENS1_30default_config_static_selectorELNS0_4arch9wavefront6targetE0EEEvT1_
	.p2align	8
	.type	_ZN7rocprim17ROCPRIM_400000_NS6detail17trampoline_kernelINS0_14default_configENS1_33run_length_encode_config_selectorItjNS0_4plusIjEEEEZZNS1_33reduce_by_key_impl_wrapped_configILNS1_25lookback_scan_determinismE0ES3_S7_PKtNS0_17constant_iteratorIjlEEPtPlSF_S6_NS0_8equal_toItEEEE10hipError_tPvRmT2_T3_mT4_T5_T6_T7_T8_P12ihipStream_tbENKUlT_T0_E_clISt17integral_constantIbLb1EESY_IbLb0EEEEDaSU_SV_EUlSU_E_NS1_11comp_targetILNS1_3genE4ELNS1_11target_archE910ELNS1_3gpuE8ELNS1_3repE0EEENS1_30default_config_static_selectorELNS0_4arch9wavefront6targetE0EEEvT1_,@function
_ZN7rocprim17ROCPRIM_400000_NS6detail17trampoline_kernelINS0_14default_configENS1_33run_length_encode_config_selectorItjNS0_4plusIjEEEEZZNS1_33reduce_by_key_impl_wrapped_configILNS1_25lookback_scan_determinismE0ES3_S7_PKtNS0_17constant_iteratorIjlEEPtPlSF_S6_NS0_8equal_toItEEEE10hipError_tPvRmT2_T3_mT4_T5_T6_T7_T8_P12ihipStream_tbENKUlT_T0_E_clISt17integral_constantIbLb1EESY_IbLb0EEEEDaSU_SV_EUlSU_E_NS1_11comp_targetILNS1_3genE4ELNS1_11target_archE910ELNS1_3gpuE8ELNS1_3repE0EEENS1_30default_config_static_selectorELNS0_4arch9wavefront6targetE0EEEvT1_: ; @_ZN7rocprim17ROCPRIM_400000_NS6detail17trampoline_kernelINS0_14default_configENS1_33run_length_encode_config_selectorItjNS0_4plusIjEEEEZZNS1_33reduce_by_key_impl_wrapped_configILNS1_25lookback_scan_determinismE0ES3_S7_PKtNS0_17constant_iteratorIjlEEPtPlSF_S6_NS0_8equal_toItEEEE10hipError_tPvRmT2_T3_mT4_T5_T6_T7_T8_P12ihipStream_tbENKUlT_T0_E_clISt17integral_constantIbLb1EESY_IbLb0EEEEDaSU_SV_EUlSU_E_NS1_11comp_targetILNS1_3genE4ELNS1_11target_archE910ELNS1_3gpuE8ELNS1_3repE0EEENS1_30default_config_static_selectorELNS0_4arch9wavefront6targetE0EEEvT1_
; %bb.0:
	.section	.rodata,"a",@progbits
	.p2align	6, 0x0
	.amdhsa_kernel _ZN7rocprim17ROCPRIM_400000_NS6detail17trampoline_kernelINS0_14default_configENS1_33run_length_encode_config_selectorItjNS0_4plusIjEEEEZZNS1_33reduce_by_key_impl_wrapped_configILNS1_25lookback_scan_determinismE0ES3_S7_PKtNS0_17constant_iteratorIjlEEPtPlSF_S6_NS0_8equal_toItEEEE10hipError_tPvRmT2_T3_mT4_T5_T6_T7_T8_P12ihipStream_tbENKUlT_T0_E_clISt17integral_constantIbLb1EESY_IbLb0EEEEDaSU_SV_EUlSU_E_NS1_11comp_targetILNS1_3genE4ELNS1_11target_archE910ELNS1_3gpuE8ELNS1_3repE0EEENS1_30default_config_static_selectorELNS0_4arch9wavefront6targetE0EEEvT1_
		.amdhsa_group_segment_fixed_size 0
		.amdhsa_private_segment_fixed_size 0
		.amdhsa_kernarg_size 128
		.amdhsa_user_sgpr_count 2
		.amdhsa_user_sgpr_dispatch_ptr 0
		.amdhsa_user_sgpr_queue_ptr 0
		.amdhsa_user_sgpr_kernarg_segment_ptr 1
		.amdhsa_user_sgpr_dispatch_id 0
		.amdhsa_user_sgpr_kernarg_preload_length 0
		.amdhsa_user_sgpr_kernarg_preload_offset 0
		.amdhsa_user_sgpr_private_segment_size 0
		.amdhsa_wavefront_size32 1
		.amdhsa_uses_dynamic_stack 0
		.amdhsa_enable_private_segment 0
		.amdhsa_system_sgpr_workgroup_id_x 1
		.amdhsa_system_sgpr_workgroup_id_y 0
		.amdhsa_system_sgpr_workgroup_id_z 0
		.amdhsa_system_sgpr_workgroup_info 0
		.amdhsa_system_vgpr_workitem_id 0
		.amdhsa_next_free_vgpr 1
		.amdhsa_next_free_sgpr 1
		.amdhsa_named_barrier_count 0
		.amdhsa_reserve_vcc 0
		.amdhsa_float_round_mode_32 0
		.amdhsa_float_round_mode_16_64 0
		.amdhsa_float_denorm_mode_32 3
		.amdhsa_float_denorm_mode_16_64 3
		.amdhsa_fp16_overflow 0
		.amdhsa_memory_ordered 1
		.amdhsa_forward_progress 1
		.amdhsa_inst_pref_size 0
		.amdhsa_round_robin_scheduling 0
		.amdhsa_exception_fp_ieee_invalid_op 0
		.amdhsa_exception_fp_denorm_src 0
		.amdhsa_exception_fp_ieee_div_zero 0
		.amdhsa_exception_fp_ieee_overflow 0
		.amdhsa_exception_fp_ieee_underflow 0
		.amdhsa_exception_fp_ieee_inexact 0
		.amdhsa_exception_int_div_zero 0
	.end_amdhsa_kernel
	.section	.text._ZN7rocprim17ROCPRIM_400000_NS6detail17trampoline_kernelINS0_14default_configENS1_33run_length_encode_config_selectorItjNS0_4plusIjEEEEZZNS1_33reduce_by_key_impl_wrapped_configILNS1_25lookback_scan_determinismE0ES3_S7_PKtNS0_17constant_iteratorIjlEEPtPlSF_S6_NS0_8equal_toItEEEE10hipError_tPvRmT2_T3_mT4_T5_T6_T7_T8_P12ihipStream_tbENKUlT_T0_E_clISt17integral_constantIbLb1EESY_IbLb0EEEEDaSU_SV_EUlSU_E_NS1_11comp_targetILNS1_3genE4ELNS1_11target_archE910ELNS1_3gpuE8ELNS1_3repE0EEENS1_30default_config_static_selectorELNS0_4arch9wavefront6targetE0EEEvT1_,"axG",@progbits,_ZN7rocprim17ROCPRIM_400000_NS6detail17trampoline_kernelINS0_14default_configENS1_33run_length_encode_config_selectorItjNS0_4plusIjEEEEZZNS1_33reduce_by_key_impl_wrapped_configILNS1_25lookback_scan_determinismE0ES3_S7_PKtNS0_17constant_iteratorIjlEEPtPlSF_S6_NS0_8equal_toItEEEE10hipError_tPvRmT2_T3_mT4_T5_T6_T7_T8_P12ihipStream_tbENKUlT_T0_E_clISt17integral_constantIbLb1EESY_IbLb0EEEEDaSU_SV_EUlSU_E_NS1_11comp_targetILNS1_3genE4ELNS1_11target_archE910ELNS1_3gpuE8ELNS1_3repE0EEENS1_30default_config_static_selectorELNS0_4arch9wavefront6targetE0EEEvT1_,comdat
.Lfunc_end807:
	.size	_ZN7rocprim17ROCPRIM_400000_NS6detail17trampoline_kernelINS0_14default_configENS1_33run_length_encode_config_selectorItjNS0_4plusIjEEEEZZNS1_33reduce_by_key_impl_wrapped_configILNS1_25lookback_scan_determinismE0ES3_S7_PKtNS0_17constant_iteratorIjlEEPtPlSF_S6_NS0_8equal_toItEEEE10hipError_tPvRmT2_T3_mT4_T5_T6_T7_T8_P12ihipStream_tbENKUlT_T0_E_clISt17integral_constantIbLb1EESY_IbLb0EEEEDaSU_SV_EUlSU_E_NS1_11comp_targetILNS1_3genE4ELNS1_11target_archE910ELNS1_3gpuE8ELNS1_3repE0EEENS1_30default_config_static_selectorELNS0_4arch9wavefront6targetE0EEEvT1_, .Lfunc_end807-_ZN7rocprim17ROCPRIM_400000_NS6detail17trampoline_kernelINS0_14default_configENS1_33run_length_encode_config_selectorItjNS0_4plusIjEEEEZZNS1_33reduce_by_key_impl_wrapped_configILNS1_25lookback_scan_determinismE0ES3_S7_PKtNS0_17constant_iteratorIjlEEPtPlSF_S6_NS0_8equal_toItEEEE10hipError_tPvRmT2_T3_mT4_T5_T6_T7_T8_P12ihipStream_tbENKUlT_T0_E_clISt17integral_constantIbLb1EESY_IbLb0EEEEDaSU_SV_EUlSU_E_NS1_11comp_targetILNS1_3genE4ELNS1_11target_archE910ELNS1_3gpuE8ELNS1_3repE0EEENS1_30default_config_static_selectorELNS0_4arch9wavefront6targetE0EEEvT1_
                                        ; -- End function
	.set _ZN7rocprim17ROCPRIM_400000_NS6detail17trampoline_kernelINS0_14default_configENS1_33run_length_encode_config_selectorItjNS0_4plusIjEEEEZZNS1_33reduce_by_key_impl_wrapped_configILNS1_25lookback_scan_determinismE0ES3_S7_PKtNS0_17constant_iteratorIjlEEPtPlSF_S6_NS0_8equal_toItEEEE10hipError_tPvRmT2_T3_mT4_T5_T6_T7_T8_P12ihipStream_tbENKUlT_T0_E_clISt17integral_constantIbLb1EESY_IbLb0EEEEDaSU_SV_EUlSU_E_NS1_11comp_targetILNS1_3genE4ELNS1_11target_archE910ELNS1_3gpuE8ELNS1_3repE0EEENS1_30default_config_static_selectorELNS0_4arch9wavefront6targetE0EEEvT1_.num_vgpr, 0
	.set _ZN7rocprim17ROCPRIM_400000_NS6detail17trampoline_kernelINS0_14default_configENS1_33run_length_encode_config_selectorItjNS0_4plusIjEEEEZZNS1_33reduce_by_key_impl_wrapped_configILNS1_25lookback_scan_determinismE0ES3_S7_PKtNS0_17constant_iteratorIjlEEPtPlSF_S6_NS0_8equal_toItEEEE10hipError_tPvRmT2_T3_mT4_T5_T6_T7_T8_P12ihipStream_tbENKUlT_T0_E_clISt17integral_constantIbLb1EESY_IbLb0EEEEDaSU_SV_EUlSU_E_NS1_11comp_targetILNS1_3genE4ELNS1_11target_archE910ELNS1_3gpuE8ELNS1_3repE0EEENS1_30default_config_static_selectorELNS0_4arch9wavefront6targetE0EEEvT1_.num_agpr, 0
	.set _ZN7rocprim17ROCPRIM_400000_NS6detail17trampoline_kernelINS0_14default_configENS1_33run_length_encode_config_selectorItjNS0_4plusIjEEEEZZNS1_33reduce_by_key_impl_wrapped_configILNS1_25lookback_scan_determinismE0ES3_S7_PKtNS0_17constant_iteratorIjlEEPtPlSF_S6_NS0_8equal_toItEEEE10hipError_tPvRmT2_T3_mT4_T5_T6_T7_T8_P12ihipStream_tbENKUlT_T0_E_clISt17integral_constantIbLb1EESY_IbLb0EEEEDaSU_SV_EUlSU_E_NS1_11comp_targetILNS1_3genE4ELNS1_11target_archE910ELNS1_3gpuE8ELNS1_3repE0EEENS1_30default_config_static_selectorELNS0_4arch9wavefront6targetE0EEEvT1_.numbered_sgpr, 0
	.set _ZN7rocprim17ROCPRIM_400000_NS6detail17trampoline_kernelINS0_14default_configENS1_33run_length_encode_config_selectorItjNS0_4plusIjEEEEZZNS1_33reduce_by_key_impl_wrapped_configILNS1_25lookback_scan_determinismE0ES3_S7_PKtNS0_17constant_iteratorIjlEEPtPlSF_S6_NS0_8equal_toItEEEE10hipError_tPvRmT2_T3_mT4_T5_T6_T7_T8_P12ihipStream_tbENKUlT_T0_E_clISt17integral_constantIbLb1EESY_IbLb0EEEEDaSU_SV_EUlSU_E_NS1_11comp_targetILNS1_3genE4ELNS1_11target_archE910ELNS1_3gpuE8ELNS1_3repE0EEENS1_30default_config_static_selectorELNS0_4arch9wavefront6targetE0EEEvT1_.num_named_barrier, 0
	.set _ZN7rocprim17ROCPRIM_400000_NS6detail17trampoline_kernelINS0_14default_configENS1_33run_length_encode_config_selectorItjNS0_4plusIjEEEEZZNS1_33reduce_by_key_impl_wrapped_configILNS1_25lookback_scan_determinismE0ES3_S7_PKtNS0_17constant_iteratorIjlEEPtPlSF_S6_NS0_8equal_toItEEEE10hipError_tPvRmT2_T3_mT4_T5_T6_T7_T8_P12ihipStream_tbENKUlT_T0_E_clISt17integral_constantIbLb1EESY_IbLb0EEEEDaSU_SV_EUlSU_E_NS1_11comp_targetILNS1_3genE4ELNS1_11target_archE910ELNS1_3gpuE8ELNS1_3repE0EEENS1_30default_config_static_selectorELNS0_4arch9wavefront6targetE0EEEvT1_.private_seg_size, 0
	.set _ZN7rocprim17ROCPRIM_400000_NS6detail17trampoline_kernelINS0_14default_configENS1_33run_length_encode_config_selectorItjNS0_4plusIjEEEEZZNS1_33reduce_by_key_impl_wrapped_configILNS1_25lookback_scan_determinismE0ES3_S7_PKtNS0_17constant_iteratorIjlEEPtPlSF_S6_NS0_8equal_toItEEEE10hipError_tPvRmT2_T3_mT4_T5_T6_T7_T8_P12ihipStream_tbENKUlT_T0_E_clISt17integral_constantIbLb1EESY_IbLb0EEEEDaSU_SV_EUlSU_E_NS1_11comp_targetILNS1_3genE4ELNS1_11target_archE910ELNS1_3gpuE8ELNS1_3repE0EEENS1_30default_config_static_selectorELNS0_4arch9wavefront6targetE0EEEvT1_.uses_vcc, 0
	.set _ZN7rocprim17ROCPRIM_400000_NS6detail17trampoline_kernelINS0_14default_configENS1_33run_length_encode_config_selectorItjNS0_4plusIjEEEEZZNS1_33reduce_by_key_impl_wrapped_configILNS1_25lookback_scan_determinismE0ES3_S7_PKtNS0_17constant_iteratorIjlEEPtPlSF_S6_NS0_8equal_toItEEEE10hipError_tPvRmT2_T3_mT4_T5_T6_T7_T8_P12ihipStream_tbENKUlT_T0_E_clISt17integral_constantIbLb1EESY_IbLb0EEEEDaSU_SV_EUlSU_E_NS1_11comp_targetILNS1_3genE4ELNS1_11target_archE910ELNS1_3gpuE8ELNS1_3repE0EEENS1_30default_config_static_selectorELNS0_4arch9wavefront6targetE0EEEvT1_.uses_flat_scratch, 0
	.set _ZN7rocprim17ROCPRIM_400000_NS6detail17trampoline_kernelINS0_14default_configENS1_33run_length_encode_config_selectorItjNS0_4plusIjEEEEZZNS1_33reduce_by_key_impl_wrapped_configILNS1_25lookback_scan_determinismE0ES3_S7_PKtNS0_17constant_iteratorIjlEEPtPlSF_S6_NS0_8equal_toItEEEE10hipError_tPvRmT2_T3_mT4_T5_T6_T7_T8_P12ihipStream_tbENKUlT_T0_E_clISt17integral_constantIbLb1EESY_IbLb0EEEEDaSU_SV_EUlSU_E_NS1_11comp_targetILNS1_3genE4ELNS1_11target_archE910ELNS1_3gpuE8ELNS1_3repE0EEENS1_30default_config_static_selectorELNS0_4arch9wavefront6targetE0EEEvT1_.has_dyn_sized_stack, 0
	.set _ZN7rocprim17ROCPRIM_400000_NS6detail17trampoline_kernelINS0_14default_configENS1_33run_length_encode_config_selectorItjNS0_4plusIjEEEEZZNS1_33reduce_by_key_impl_wrapped_configILNS1_25lookback_scan_determinismE0ES3_S7_PKtNS0_17constant_iteratorIjlEEPtPlSF_S6_NS0_8equal_toItEEEE10hipError_tPvRmT2_T3_mT4_T5_T6_T7_T8_P12ihipStream_tbENKUlT_T0_E_clISt17integral_constantIbLb1EESY_IbLb0EEEEDaSU_SV_EUlSU_E_NS1_11comp_targetILNS1_3genE4ELNS1_11target_archE910ELNS1_3gpuE8ELNS1_3repE0EEENS1_30default_config_static_selectorELNS0_4arch9wavefront6targetE0EEEvT1_.has_recursion, 0
	.set _ZN7rocprim17ROCPRIM_400000_NS6detail17trampoline_kernelINS0_14default_configENS1_33run_length_encode_config_selectorItjNS0_4plusIjEEEEZZNS1_33reduce_by_key_impl_wrapped_configILNS1_25lookback_scan_determinismE0ES3_S7_PKtNS0_17constant_iteratorIjlEEPtPlSF_S6_NS0_8equal_toItEEEE10hipError_tPvRmT2_T3_mT4_T5_T6_T7_T8_P12ihipStream_tbENKUlT_T0_E_clISt17integral_constantIbLb1EESY_IbLb0EEEEDaSU_SV_EUlSU_E_NS1_11comp_targetILNS1_3genE4ELNS1_11target_archE910ELNS1_3gpuE8ELNS1_3repE0EEENS1_30default_config_static_selectorELNS0_4arch9wavefront6targetE0EEEvT1_.has_indirect_call, 0
	.section	.AMDGPU.csdata,"",@progbits
; Kernel info:
; codeLenInByte = 0
; TotalNumSgprs: 0
; NumVgprs: 0
; ScratchSize: 0
; MemoryBound: 0
; FloatMode: 240
; IeeeMode: 1
; LDSByteSize: 0 bytes/workgroup (compile time only)
; SGPRBlocks: 0
; VGPRBlocks: 0
; NumSGPRsForWavesPerEU: 1
; NumVGPRsForWavesPerEU: 1
; NamedBarCnt: 0
; Occupancy: 16
; WaveLimiterHint : 0
; COMPUTE_PGM_RSRC2:SCRATCH_EN: 0
; COMPUTE_PGM_RSRC2:USER_SGPR: 2
; COMPUTE_PGM_RSRC2:TRAP_HANDLER: 0
; COMPUTE_PGM_RSRC2:TGID_X_EN: 1
; COMPUTE_PGM_RSRC2:TGID_Y_EN: 0
; COMPUTE_PGM_RSRC2:TGID_Z_EN: 0
; COMPUTE_PGM_RSRC2:TIDIG_COMP_CNT: 0
	.section	.text._ZN7rocprim17ROCPRIM_400000_NS6detail17trampoline_kernelINS0_14default_configENS1_33run_length_encode_config_selectorItjNS0_4plusIjEEEEZZNS1_33reduce_by_key_impl_wrapped_configILNS1_25lookback_scan_determinismE0ES3_S7_PKtNS0_17constant_iteratorIjlEEPtPlSF_S6_NS0_8equal_toItEEEE10hipError_tPvRmT2_T3_mT4_T5_T6_T7_T8_P12ihipStream_tbENKUlT_T0_E_clISt17integral_constantIbLb1EESY_IbLb0EEEEDaSU_SV_EUlSU_E_NS1_11comp_targetILNS1_3genE3ELNS1_11target_archE908ELNS1_3gpuE7ELNS1_3repE0EEENS1_30default_config_static_selectorELNS0_4arch9wavefront6targetE0EEEvT1_,"axG",@progbits,_ZN7rocprim17ROCPRIM_400000_NS6detail17trampoline_kernelINS0_14default_configENS1_33run_length_encode_config_selectorItjNS0_4plusIjEEEEZZNS1_33reduce_by_key_impl_wrapped_configILNS1_25lookback_scan_determinismE0ES3_S7_PKtNS0_17constant_iteratorIjlEEPtPlSF_S6_NS0_8equal_toItEEEE10hipError_tPvRmT2_T3_mT4_T5_T6_T7_T8_P12ihipStream_tbENKUlT_T0_E_clISt17integral_constantIbLb1EESY_IbLb0EEEEDaSU_SV_EUlSU_E_NS1_11comp_targetILNS1_3genE3ELNS1_11target_archE908ELNS1_3gpuE7ELNS1_3repE0EEENS1_30default_config_static_selectorELNS0_4arch9wavefront6targetE0EEEvT1_,comdat
	.protected	_ZN7rocprim17ROCPRIM_400000_NS6detail17trampoline_kernelINS0_14default_configENS1_33run_length_encode_config_selectorItjNS0_4plusIjEEEEZZNS1_33reduce_by_key_impl_wrapped_configILNS1_25lookback_scan_determinismE0ES3_S7_PKtNS0_17constant_iteratorIjlEEPtPlSF_S6_NS0_8equal_toItEEEE10hipError_tPvRmT2_T3_mT4_T5_T6_T7_T8_P12ihipStream_tbENKUlT_T0_E_clISt17integral_constantIbLb1EESY_IbLb0EEEEDaSU_SV_EUlSU_E_NS1_11comp_targetILNS1_3genE3ELNS1_11target_archE908ELNS1_3gpuE7ELNS1_3repE0EEENS1_30default_config_static_selectorELNS0_4arch9wavefront6targetE0EEEvT1_ ; -- Begin function _ZN7rocprim17ROCPRIM_400000_NS6detail17trampoline_kernelINS0_14default_configENS1_33run_length_encode_config_selectorItjNS0_4plusIjEEEEZZNS1_33reduce_by_key_impl_wrapped_configILNS1_25lookback_scan_determinismE0ES3_S7_PKtNS0_17constant_iteratorIjlEEPtPlSF_S6_NS0_8equal_toItEEEE10hipError_tPvRmT2_T3_mT4_T5_T6_T7_T8_P12ihipStream_tbENKUlT_T0_E_clISt17integral_constantIbLb1EESY_IbLb0EEEEDaSU_SV_EUlSU_E_NS1_11comp_targetILNS1_3genE3ELNS1_11target_archE908ELNS1_3gpuE7ELNS1_3repE0EEENS1_30default_config_static_selectorELNS0_4arch9wavefront6targetE0EEEvT1_
	.globl	_ZN7rocprim17ROCPRIM_400000_NS6detail17trampoline_kernelINS0_14default_configENS1_33run_length_encode_config_selectorItjNS0_4plusIjEEEEZZNS1_33reduce_by_key_impl_wrapped_configILNS1_25lookback_scan_determinismE0ES3_S7_PKtNS0_17constant_iteratorIjlEEPtPlSF_S6_NS0_8equal_toItEEEE10hipError_tPvRmT2_T3_mT4_T5_T6_T7_T8_P12ihipStream_tbENKUlT_T0_E_clISt17integral_constantIbLb1EESY_IbLb0EEEEDaSU_SV_EUlSU_E_NS1_11comp_targetILNS1_3genE3ELNS1_11target_archE908ELNS1_3gpuE7ELNS1_3repE0EEENS1_30default_config_static_selectorELNS0_4arch9wavefront6targetE0EEEvT1_
	.p2align	8
	.type	_ZN7rocprim17ROCPRIM_400000_NS6detail17trampoline_kernelINS0_14default_configENS1_33run_length_encode_config_selectorItjNS0_4plusIjEEEEZZNS1_33reduce_by_key_impl_wrapped_configILNS1_25lookback_scan_determinismE0ES3_S7_PKtNS0_17constant_iteratorIjlEEPtPlSF_S6_NS0_8equal_toItEEEE10hipError_tPvRmT2_T3_mT4_T5_T6_T7_T8_P12ihipStream_tbENKUlT_T0_E_clISt17integral_constantIbLb1EESY_IbLb0EEEEDaSU_SV_EUlSU_E_NS1_11comp_targetILNS1_3genE3ELNS1_11target_archE908ELNS1_3gpuE7ELNS1_3repE0EEENS1_30default_config_static_selectorELNS0_4arch9wavefront6targetE0EEEvT1_,@function
_ZN7rocprim17ROCPRIM_400000_NS6detail17trampoline_kernelINS0_14default_configENS1_33run_length_encode_config_selectorItjNS0_4plusIjEEEEZZNS1_33reduce_by_key_impl_wrapped_configILNS1_25lookback_scan_determinismE0ES3_S7_PKtNS0_17constant_iteratorIjlEEPtPlSF_S6_NS0_8equal_toItEEEE10hipError_tPvRmT2_T3_mT4_T5_T6_T7_T8_P12ihipStream_tbENKUlT_T0_E_clISt17integral_constantIbLb1EESY_IbLb0EEEEDaSU_SV_EUlSU_E_NS1_11comp_targetILNS1_3genE3ELNS1_11target_archE908ELNS1_3gpuE7ELNS1_3repE0EEENS1_30default_config_static_selectorELNS0_4arch9wavefront6targetE0EEEvT1_: ; @_ZN7rocprim17ROCPRIM_400000_NS6detail17trampoline_kernelINS0_14default_configENS1_33run_length_encode_config_selectorItjNS0_4plusIjEEEEZZNS1_33reduce_by_key_impl_wrapped_configILNS1_25lookback_scan_determinismE0ES3_S7_PKtNS0_17constant_iteratorIjlEEPtPlSF_S6_NS0_8equal_toItEEEE10hipError_tPvRmT2_T3_mT4_T5_T6_T7_T8_P12ihipStream_tbENKUlT_T0_E_clISt17integral_constantIbLb1EESY_IbLb0EEEEDaSU_SV_EUlSU_E_NS1_11comp_targetILNS1_3genE3ELNS1_11target_archE908ELNS1_3gpuE7ELNS1_3repE0EEENS1_30default_config_static_selectorELNS0_4arch9wavefront6targetE0EEEvT1_
; %bb.0:
	.section	.rodata,"a",@progbits
	.p2align	6, 0x0
	.amdhsa_kernel _ZN7rocprim17ROCPRIM_400000_NS6detail17trampoline_kernelINS0_14default_configENS1_33run_length_encode_config_selectorItjNS0_4plusIjEEEEZZNS1_33reduce_by_key_impl_wrapped_configILNS1_25lookback_scan_determinismE0ES3_S7_PKtNS0_17constant_iteratorIjlEEPtPlSF_S6_NS0_8equal_toItEEEE10hipError_tPvRmT2_T3_mT4_T5_T6_T7_T8_P12ihipStream_tbENKUlT_T0_E_clISt17integral_constantIbLb1EESY_IbLb0EEEEDaSU_SV_EUlSU_E_NS1_11comp_targetILNS1_3genE3ELNS1_11target_archE908ELNS1_3gpuE7ELNS1_3repE0EEENS1_30default_config_static_selectorELNS0_4arch9wavefront6targetE0EEEvT1_
		.amdhsa_group_segment_fixed_size 0
		.amdhsa_private_segment_fixed_size 0
		.amdhsa_kernarg_size 128
		.amdhsa_user_sgpr_count 2
		.amdhsa_user_sgpr_dispatch_ptr 0
		.amdhsa_user_sgpr_queue_ptr 0
		.amdhsa_user_sgpr_kernarg_segment_ptr 1
		.amdhsa_user_sgpr_dispatch_id 0
		.amdhsa_user_sgpr_kernarg_preload_length 0
		.amdhsa_user_sgpr_kernarg_preload_offset 0
		.amdhsa_user_sgpr_private_segment_size 0
		.amdhsa_wavefront_size32 1
		.amdhsa_uses_dynamic_stack 0
		.amdhsa_enable_private_segment 0
		.amdhsa_system_sgpr_workgroup_id_x 1
		.amdhsa_system_sgpr_workgroup_id_y 0
		.amdhsa_system_sgpr_workgroup_id_z 0
		.amdhsa_system_sgpr_workgroup_info 0
		.amdhsa_system_vgpr_workitem_id 0
		.amdhsa_next_free_vgpr 1
		.amdhsa_next_free_sgpr 1
		.amdhsa_named_barrier_count 0
		.amdhsa_reserve_vcc 0
		.amdhsa_float_round_mode_32 0
		.amdhsa_float_round_mode_16_64 0
		.amdhsa_float_denorm_mode_32 3
		.amdhsa_float_denorm_mode_16_64 3
		.amdhsa_fp16_overflow 0
		.amdhsa_memory_ordered 1
		.amdhsa_forward_progress 1
		.amdhsa_inst_pref_size 0
		.amdhsa_round_robin_scheduling 0
		.amdhsa_exception_fp_ieee_invalid_op 0
		.amdhsa_exception_fp_denorm_src 0
		.amdhsa_exception_fp_ieee_div_zero 0
		.amdhsa_exception_fp_ieee_overflow 0
		.amdhsa_exception_fp_ieee_underflow 0
		.amdhsa_exception_fp_ieee_inexact 0
		.amdhsa_exception_int_div_zero 0
	.end_amdhsa_kernel
	.section	.text._ZN7rocprim17ROCPRIM_400000_NS6detail17trampoline_kernelINS0_14default_configENS1_33run_length_encode_config_selectorItjNS0_4plusIjEEEEZZNS1_33reduce_by_key_impl_wrapped_configILNS1_25lookback_scan_determinismE0ES3_S7_PKtNS0_17constant_iteratorIjlEEPtPlSF_S6_NS0_8equal_toItEEEE10hipError_tPvRmT2_T3_mT4_T5_T6_T7_T8_P12ihipStream_tbENKUlT_T0_E_clISt17integral_constantIbLb1EESY_IbLb0EEEEDaSU_SV_EUlSU_E_NS1_11comp_targetILNS1_3genE3ELNS1_11target_archE908ELNS1_3gpuE7ELNS1_3repE0EEENS1_30default_config_static_selectorELNS0_4arch9wavefront6targetE0EEEvT1_,"axG",@progbits,_ZN7rocprim17ROCPRIM_400000_NS6detail17trampoline_kernelINS0_14default_configENS1_33run_length_encode_config_selectorItjNS0_4plusIjEEEEZZNS1_33reduce_by_key_impl_wrapped_configILNS1_25lookback_scan_determinismE0ES3_S7_PKtNS0_17constant_iteratorIjlEEPtPlSF_S6_NS0_8equal_toItEEEE10hipError_tPvRmT2_T3_mT4_T5_T6_T7_T8_P12ihipStream_tbENKUlT_T0_E_clISt17integral_constantIbLb1EESY_IbLb0EEEEDaSU_SV_EUlSU_E_NS1_11comp_targetILNS1_3genE3ELNS1_11target_archE908ELNS1_3gpuE7ELNS1_3repE0EEENS1_30default_config_static_selectorELNS0_4arch9wavefront6targetE0EEEvT1_,comdat
.Lfunc_end808:
	.size	_ZN7rocprim17ROCPRIM_400000_NS6detail17trampoline_kernelINS0_14default_configENS1_33run_length_encode_config_selectorItjNS0_4plusIjEEEEZZNS1_33reduce_by_key_impl_wrapped_configILNS1_25lookback_scan_determinismE0ES3_S7_PKtNS0_17constant_iteratorIjlEEPtPlSF_S6_NS0_8equal_toItEEEE10hipError_tPvRmT2_T3_mT4_T5_T6_T7_T8_P12ihipStream_tbENKUlT_T0_E_clISt17integral_constantIbLb1EESY_IbLb0EEEEDaSU_SV_EUlSU_E_NS1_11comp_targetILNS1_3genE3ELNS1_11target_archE908ELNS1_3gpuE7ELNS1_3repE0EEENS1_30default_config_static_selectorELNS0_4arch9wavefront6targetE0EEEvT1_, .Lfunc_end808-_ZN7rocprim17ROCPRIM_400000_NS6detail17trampoline_kernelINS0_14default_configENS1_33run_length_encode_config_selectorItjNS0_4plusIjEEEEZZNS1_33reduce_by_key_impl_wrapped_configILNS1_25lookback_scan_determinismE0ES3_S7_PKtNS0_17constant_iteratorIjlEEPtPlSF_S6_NS0_8equal_toItEEEE10hipError_tPvRmT2_T3_mT4_T5_T6_T7_T8_P12ihipStream_tbENKUlT_T0_E_clISt17integral_constantIbLb1EESY_IbLb0EEEEDaSU_SV_EUlSU_E_NS1_11comp_targetILNS1_3genE3ELNS1_11target_archE908ELNS1_3gpuE7ELNS1_3repE0EEENS1_30default_config_static_selectorELNS0_4arch9wavefront6targetE0EEEvT1_
                                        ; -- End function
	.set _ZN7rocprim17ROCPRIM_400000_NS6detail17trampoline_kernelINS0_14default_configENS1_33run_length_encode_config_selectorItjNS0_4plusIjEEEEZZNS1_33reduce_by_key_impl_wrapped_configILNS1_25lookback_scan_determinismE0ES3_S7_PKtNS0_17constant_iteratorIjlEEPtPlSF_S6_NS0_8equal_toItEEEE10hipError_tPvRmT2_T3_mT4_T5_T6_T7_T8_P12ihipStream_tbENKUlT_T0_E_clISt17integral_constantIbLb1EESY_IbLb0EEEEDaSU_SV_EUlSU_E_NS1_11comp_targetILNS1_3genE3ELNS1_11target_archE908ELNS1_3gpuE7ELNS1_3repE0EEENS1_30default_config_static_selectorELNS0_4arch9wavefront6targetE0EEEvT1_.num_vgpr, 0
	.set _ZN7rocprim17ROCPRIM_400000_NS6detail17trampoline_kernelINS0_14default_configENS1_33run_length_encode_config_selectorItjNS0_4plusIjEEEEZZNS1_33reduce_by_key_impl_wrapped_configILNS1_25lookback_scan_determinismE0ES3_S7_PKtNS0_17constant_iteratorIjlEEPtPlSF_S6_NS0_8equal_toItEEEE10hipError_tPvRmT2_T3_mT4_T5_T6_T7_T8_P12ihipStream_tbENKUlT_T0_E_clISt17integral_constantIbLb1EESY_IbLb0EEEEDaSU_SV_EUlSU_E_NS1_11comp_targetILNS1_3genE3ELNS1_11target_archE908ELNS1_3gpuE7ELNS1_3repE0EEENS1_30default_config_static_selectorELNS0_4arch9wavefront6targetE0EEEvT1_.num_agpr, 0
	.set _ZN7rocprim17ROCPRIM_400000_NS6detail17trampoline_kernelINS0_14default_configENS1_33run_length_encode_config_selectorItjNS0_4plusIjEEEEZZNS1_33reduce_by_key_impl_wrapped_configILNS1_25lookback_scan_determinismE0ES3_S7_PKtNS0_17constant_iteratorIjlEEPtPlSF_S6_NS0_8equal_toItEEEE10hipError_tPvRmT2_T3_mT4_T5_T6_T7_T8_P12ihipStream_tbENKUlT_T0_E_clISt17integral_constantIbLb1EESY_IbLb0EEEEDaSU_SV_EUlSU_E_NS1_11comp_targetILNS1_3genE3ELNS1_11target_archE908ELNS1_3gpuE7ELNS1_3repE0EEENS1_30default_config_static_selectorELNS0_4arch9wavefront6targetE0EEEvT1_.numbered_sgpr, 0
	.set _ZN7rocprim17ROCPRIM_400000_NS6detail17trampoline_kernelINS0_14default_configENS1_33run_length_encode_config_selectorItjNS0_4plusIjEEEEZZNS1_33reduce_by_key_impl_wrapped_configILNS1_25lookback_scan_determinismE0ES3_S7_PKtNS0_17constant_iteratorIjlEEPtPlSF_S6_NS0_8equal_toItEEEE10hipError_tPvRmT2_T3_mT4_T5_T6_T7_T8_P12ihipStream_tbENKUlT_T0_E_clISt17integral_constantIbLb1EESY_IbLb0EEEEDaSU_SV_EUlSU_E_NS1_11comp_targetILNS1_3genE3ELNS1_11target_archE908ELNS1_3gpuE7ELNS1_3repE0EEENS1_30default_config_static_selectorELNS0_4arch9wavefront6targetE0EEEvT1_.num_named_barrier, 0
	.set _ZN7rocprim17ROCPRIM_400000_NS6detail17trampoline_kernelINS0_14default_configENS1_33run_length_encode_config_selectorItjNS0_4plusIjEEEEZZNS1_33reduce_by_key_impl_wrapped_configILNS1_25lookback_scan_determinismE0ES3_S7_PKtNS0_17constant_iteratorIjlEEPtPlSF_S6_NS0_8equal_toItEEEE10hipError_tPvRmT2_T3_mT4_T5_T6_T7_T8_P12ihipStream_tbENKUlT_T0_E_clISt17integral_constantIbLb1EESY_IbLb0EEEEDaSU_SV_EUlSU_E_NS1_11comp_targetILNS1_3genE3ELNS1_11target_archE908ELNS1_3gpuE7ELNS1_3repE0EEENS1_30default_config_static_selectorELNS0_4arch9wavefront6targetE0EEEvT1_.private_seg_size, 0
	.set _ZN7rocprim17ROCPRIM_400000_NS6detail17trampoline_kernelINS0_14default_configENS1_33run_length_encode_config_selectorItjNS0_4plusIjEEEEZZNS1_33reduce_by_key_impl_wrapped_configILNS1_25lookback_scan_determinismE0ES3_S7_PKtNS0_17constant_iteratorIjlEEPtPlSF_S6_NS0_8equal_toItEEEE10hipError_tPvRmT2_T3_mT4_T5_T6_T7_T8_P12ihipStream_tbENKUlT_T0_E_clISt17integral_constantIbLb1EESY_IbLb0EEEEDaSU_SV_EUlSU_E_NS1_11comp_targetILNS1_3genE3ELNS1_11target_archE908ELNS1_3gpuE7ELNS1_3repE0EEENS1_30default_config_static_selectorELNS0_4arch9wavefront6targetE0EEEvT1_.uses_vcc, 0
	.set _ZN7rocprim17ROCPRIM_400000_NS6detail17trampoline_kernelINS0_14default_configENS1_33run_length_encode_config_selectorItjNS0_4plusIjEEEEZZNS1_33reduce_by_key_impl_wrapped_configILNS1_25lookback_scan_determinismE0ES3_S7_PKtNS0_17constant_iteratorIjlEEPtPlSF_S6_NS0_8equal_toItEEEE10hipError_tPvRmT2_T3_mT4_T5_T6_T7_T8_P12ihipStream_tbENKUlT_T0_E_clISt17integral_constantIbLb1EESY_IbLb0EEEEDaSU_SV_EUlSU_E_NS1_11comp_targetILNS1_3genE3ELNS1_11target_archE908ELNS1_3gpuE7ELNS1_3repE0EEENS1_30default_config_static_selectorELNS0_4arch9wavefront6targetE0EEEvT1_.uses_flat_scratch, 0
	.set _ZN7rocprim17ROCPRIM_400000_NS6detail17trampoline_kernelINS0_14default_configENS1_33run_length_encode_config_selectorItjNS0_4plusIjEEEEZZNS1_33reduce_by_key_impl_wrapped_configILNS1_25lookback_scan_determinismE0ES3_S7_PKtNS0_17constant_iteratorIjlEEPtPlSF_S6_NS0_8equal_toItEEEE10hipError_tPvRmT2_T3_mT4_T5_T6_T7_T8_P12ihipStream_tbENKUlT_T0_E_clISt17integral_constantIbLb1EESY_IbLb0EEEEDaSU_SV_EUlSU_E_NS1_11comp_targetILNS1_3genE3ELNS1_11target_archE908ELNS1_3gpuE7ELNS1_3repE0EEENS1_30default_config_static_selectorELNS0_4arch9wavefront6targetE0EEEvT1_.has_dyn_sized_stack, 0
	.set _ZN7rocprim17ROCPRIM_400000_NS6detail17trampoline_kernelINS0_14default_configENS1_33run_length_encode_config_selectorItjNS0_4plusIjEEEEZZNS1_33reduce_by_key_impl_wrapped_configILNS1_25lookback_scan_determinismE0ES3_S7_PKtNS0_17constant_iteratorIjlEEPtPlSF_S6_NS0_8equal_toItEEEE10hipError_tPvRmT2_T3_mT4_T5_T6_T7_T8_P12ihipStream_tbENKUlT_T0_E_clISt17integral_constantIbLb1EESY_IbLb0EEEEDaSU_SV_EUlSU_E_NS1_11comp_targetILNS1_3genE3ELNS1_11target_archE908ELNS1_3gpuE7ELNS1_3repE0EEENS1_30default_config_static_selectorELNS0_4arch9wavefront6targetE0EEEvT1_.has_recursion, 0
	.set _ZN7rocprim17ROCPRIM_400000_NS6detail17trampoline_kernelINS0_14default_configENS1_33run_length_encode_config_selectorItjNS0_4plusIjEEEEZZNS1_33reduce_by_key_impl_wrapped_configILNS1_25lookback_scan_determinismE0ES3_S7_PKtNS0_17constant_iteratorIjlEEPtPlSF_S6_NS0_8equal_toItEEEE10hipError_tPvRmT2_T3_mT4_T5_T6_T7_T8_P12ihipStream_tbENKUlT_T0_E_clISt17integral_constantIbLb1EESY_IbLb0EEEEDaSU_SV_EUlSU_E_NS1_11comp_targetILNS1_3genE3ELNS1_11target_archE908ELNS1_3gpuE7ELNS1_3repE0EEENS1_30default_config_static_selectorELNS0_4arch9wavefront6targetE0EEEvT1_.has_indirect_call, 0
	.section	.AMDGPU.csdata,"",@progbits
; Kernel info:
; codeLenInByte = 0
; TotalNumSgprs: 0
; NumVgprs: 0
; ScratchSize: 0
; MemoryBound: 0
; FloatMode: 240
; IeeeMode: 1
; LDSByteSize: 0 bytes/workgroup (compile time only)
; SGPRBlocks: 0
; VGPRBlocks: 0
; NumSGPRsForWavesPerEU: 1
; NumVGPRsForWavesPerEU: 1
; NamedBarCnt: 0
; Occupancy: 16
; WaveLimiterHint : 0
; COMPUTE_PGM_RSRC2:SCRATCH_EN: 0
; COMPUTE_PGM_RSRC2:USER_SGPR: 2
; COMPUTE_PGM_RSRC2:TRAP_HANDLER: 0
; COMPUTE_PGM_RSRC2:TGID_X_EN: 1
; COMPUTE_PGM_RSRC2:TGID_Y_EN: 0
; COMPUTE_PGM_RSRC2:TGID_Z_EN: 0
; COMPUTE_PGM_RSRC2:TIDIG_COMP_CNT: 0
	.section	.text._ZN7rocprim17ROCPRIM_400000_NS6detail17trampoline_kernelINS0_14default_configENS1_33run_length_encode_config_selectorItjNS0_4plusIjEEEEZZNS1_33reduce_by_key_impl_wrapped_configILNS1_25lookback_scan_determinismE0ES3_S7_PKtNS0_17constant_iteratorIjlEEPtPlSF_S6_NS0_8equal_toItEEEE10hipError_tPvRmT2_T3_mT4_T5_T6_T7_T8_P12ihipStream_tbENKUlT_T0_E_clISt17integral_constantIbLb1EESY_IbLb0EEEEDaSU_SV_EUlSU_E_NS1_11comp_targetILNS1_3genE2ELNS1_11target_archE906ELNS1_3gpuE6ELNS1_3repE0EEENS1_30default_config_static_selectorELNS0_4arch9wavefront6targetE0EEEvT1_,"axG",@progbits,_ZN7rocprim17ROCPRIM_400000_NS6detail17trampoline_kernelINS0_14default_configENS1_33run_length_encode_config_selectorItjNS0_4plusIjEEEEZZNS1_33reduce_by_key_impl_wrapped_configILNS1_25lookback_scan_determinismE0ES3_S7_PKtNS0_17constant_iteratorIjlEEPtPlSF_S6_NS0_8equal_toItEEEE10hipError_tPvRmT2_T3_mT4_T5_T6_T7_T8_P12ihipStream_tbENKUlT_T0_E_clISt17integral_constantIbLb1EESY_IbLb0EEEEDaSU_SV_EUlSU_E_NS1_11comp_targetILNS1_3genE2ELNS1_11target_archE906ELNS1_3gpuE6ELNS1_3repE0EEENS1_30default_config_static_selectorELNS0_4arch9wavefront6targetE0EEEvT1_,comdat
	.protected	_ZN7rocprim17ROCPRIM_400000_NS6detail17trampoline_kernelINS0_14default_configENS1_33run_length_encode_config_selectorItjNS0_4plusIjEEEEZZNS1_33reduce_by_key_impl_wrapped_configILNS1_25lookback_scan_determinismE0ES3_S7_PKtNS0_17constant_iteratorIjlEEPtPlSF_S6_NS0_8equal_toItEEEE10hipError_tPvRmT2_T3_mT4_T5_T6_T7_T8_P12ihipStream_tbENKUlT_T0_E_clISt17integral_constantIbLb1EESY_IbLb0EEEEDaSU_SV_EUlSU_E_NS1_11comp_targetILNS1_3genE2ELNS1_11target_archE906ELNS1_3gpuE6ELNS1_3repE0EEENS1_30default_config_static_selectorELNS0_4arch9wavefront6targetE0EEEvT1_ ; -- Begin function _ZN7rocprim17ROCPRIM_400000_NS6detail17trampoline_kernelINS0_14default_configENS1_33run_length_encode_config_selectorItjNS0_4plusIjEEEEZZNS1_33reduce_by_key_impl_wrapped_configILNS1_25lookback_scan_determinismE0ES3_S7_PKtNS0_17constant_iteratorIjlEEPtPlSF_S6_NS0_8equal_toItEEEE10hipError_tPvRmT2_T3_mT4_T5_T6_T7_T8_P12ihipStream_tbENKUlT_T0_E_clISt17integral_constantIbLb1EESY_IbLb0EEEEDaSU_SV_EUlSU_E_NS1_11comp_targetILNS1_3genE2ELNS1_11target_archE906ELNS1_3gpuE6ELNS1_3repE0EEENS1_30default_config_static_selectorELNS0_4arch9wavefront6targetE0EEEvT1_
	.globl	_ZN7rocprim17ROCPRIM_400000_NS6detail17trampoline_kernelINS0_14default_configENS1_33run_length_encode_config_selectorItjNS0_4plusIjEEEEZZNS1_33reduce_by_key_impl_wrapped_configILNS1_25lookback_scan_determinismE0ES3_S7_PKtNS0_17constant_iteratorIjlEEPtPlSF_S6_NS0_8equal_toItEEEE10hipError_tPvRmT2_T3_mT4_T5_T6_T7_T8_P12ihipStream_tbENKUlT_T0_E_clISt17integral_constantIbLb1EESY_IbLb0EEEEDaSU_SV_EUlSU_E_NS1_11comp_targetILNS1_3genE2ELNS1_11target_archE906ELNS1_3gpuE6ELNS1_3repE0EEENS1_30default_config_static_selectorELNS0_4arch9wavefront6targetE0EEEvT1_
	.p2align	8
	.type	_ZN7rocprim17ROCPRIM_400000_NS6detail17trampoline_kernelINS0_14default_configENS1_33run_length_encode_config_selectorItjNS0_4plusIjEEEEZZNS1_33reduce_by_key_impl_wrapped_configILNS1_25lookback_scan_determinismE0ES3_S7_PKtNS0_17constant_iteratorIjlEEPtPlSF_S6_NS0_8equal_toItEEEE10hipError_tPvRmT2_T3_mT4_T5_T6_T7_T8_P12ihipStream_tbENKUlT_T0_E_clISt17integral_constantIbLb1EESY_IbLb0EEEEDaSU_SV_EUlSU_E_NS1_11comp_targetILNS1_3genE2ELNS1_11target_archE906ELNS1_3gpuE6ELNS1_3repE0EEENS1_30default_config_static_selectorELNS0_4arch9wavefront6targetE0EEEvT1_,@function
_ZN7rocprim17ROCPRIM_400000_NS6detail17trampoline_kernelINS0_14default_configENS1_33run_length_encode_config_selectorItjNS0_4plusIjEEEEZZNS1_33reduce_by_key_impl_wrapped_configILNS1_25lookback_scan_determinismE0ES3_S7_PKtNS0_17constant_iteratorIjlEEPtPlSF_S6_NS0_8equal_toItEEEE10hipError_tPvRmT2_T3_mT4_T5_T6_T7_T8_P12ihipStream_tbENKUlT_T0_E_clISt17integral_constantIbLb1EESY_IbLb0EEEEDaSU_SV_EUlSU_E_NS1_11comp_targetILNS1_3genE2ELNS1_11target_archE906ELNS1_3gpuE6ELNS1_3repE0EEENS1_30default_config_static_selectorELNS0_4arch9wavefront6targetE0EEEvT1_: ; @_ZN7rocprim17ROCPRIM_400000_NS6detail17trampoline_kernelINS0_14default_configENS1_33run_length_encode_config_selectorItjNS0_4plusIjEEEEZZNS1_33reduce_by_key_impl_wrapped_configILNS1_25lookback_scan_determinismE0ES3_S7_PKtNS0_17constant_iteratorIjlEEPtPlSF_S6_NS0_8equal_toItEEEE10hipError_tPvRmT2_T3_mT4_T5_T6_T7_T8_P12ihipStream_tbENKUlT_T0_E_clISt17integral_constantIbLb1EESY_IbLb0EEEEDaSU_SV_EUlSU_E_NS1_11comp_targetILNS1_3genE2ELNS1_11target_archE906ELNS1_3gpuE6ELNS1_3repE0EEENS1_30default_config_static_selectorELNS0_4arch9wavefront6targetE0EEEvT1_
; %bb.0:
	.section	.rodata,"a",@progbits
	.p2align	6, 0x0
	.amdhsa_kernel _ZN7rocprim17ROCPRIM_400000_NS6detail17trampoline_kernelINS0_14default_configENS1_33run_length_encode_config_selectorItjNS0_4plusIjEEEEZZNS1_33reduce_by_key_impl_wrapped_configILNS1_25lookback_scan_determinismE0ES3_S7_PKtNS0_17constant_iteratorIjlEEPtPlSF_S6_NS0_8equal_toItEEEE10hipError_tPvRmT2_T3_mT4_T5_T6_T7_T8_P12ihipStream_tbENKUlT_T0_E_clISt17integral_constantIbLb1EESY_IbLb0EEEEDaSU_SV_EUlSU_E_NS1_11comp_targetILNS1_3genE2ELNS1_11target_archE906ELNS1_3gpuE6ELNS1_3repE0EEENS1_30default_config_static_selectorELNS0_4arch9wavefront6targetE0EEEvT1_
		.amdhsa_group_segment_fixed_size 0
		.amdhsa_private_segment_fixed_size 0
		.amdhsa_kernarg_size 128
		.amdhsa_user_sgpr_count 2
		.amdhsa_user_sgpr_dispatch_ptr 0
		.amdhsa_user_sgpr_queue_ptr 0
		.amdhsa_user_sgpr_kernarg_segment_ptr 1
		.amdhsa_user_sgpr_dispatch_id 0
		.amdhsa_user_sgpr_kernarg_preload_length 0
		.amdhsa_user_sgpr_kernarg_preload_offset 0
		.amdhsa_user_sgpr_private_segment_size 0
		.amdhsa_wavefront_size32 1
		.amdhsa_uses_dynamic_stack 0
		.amdhsa_enable_private_segment 0
		.amdhsa_system_sgpr_workgroup_id_x 1
		.amdhsa_system_sgpr_workgroup_id_y 0
		.amdhsa_system_sgpr_workgroup_id_z 0
		.amdhsa_system_sgpr_workgroup_info 0
		.amdhsa_system_vgpr_workitem_id 0
		.amdhsa_next_free_vgpr 1
		.amdhsa_next_free_sgpr 1
		.amdhsa_named_barrier_count 0
		.amdhsa_reserve_vcc 0
		.amdhsa_float_round_mode_32 0
		.amdhsa_float_round_mode_16_64 0
		.amdhsa_float_denorm_mode_32 3
		.amdhsa_float_denorm_mode_16_64 3
		.amdhsa_fp16_overflow 0
		.amdhsa_memory_ordered 1
		.amdhsa_forward_progress 1
		.amdhsa_inst_pref_size 0
		.amdhsa_round_robin_scheduling 0
		.amdhsa_exception_fp_ieee_invalid_op 0
		.amdhsa_exception_fp_denorm_src 0
		.amdhsa_exception_fp_ieee_div_zero 0
		.amdhsa_exception_fp_ieee_overflow 0
		.amdhsa_exception_fp_ieee_underflow 0
		.amdhsa_exception_fp_ieee_inexact 0
		.amdhsa_exception_int_div_zero 0
	.end_amdhsa_kernel
	.section	.text._ZN7rocprim17ROCPRIM_400000_NS6detail17trampoline_kernelINS0_14default_configENS1_33run_length_encode_config_selectorItjNS0_4plusIjEEEEZZNS1_33reduce_by_key_impl_wrapped_configILNS1_25lookback_scan_determinismE0ES3_S7_PKtNS0_17constant_iteratorIjlEEPtPlSF_S6_NS0_8equal_toItEEEE10hipError_tPvRmT2_T3_mT4_T5_T6_T7_T8_P12ihipStream_tbENKUlT_T0_E_clISt17integral_constantIbLb1EESY_IbLb0EEEEDaSU_SV_EUlSU_E_NS1_11comp_targetILNS1_3genE2ELNS1_11target_archE906ELNS1_3gpuE6ELNS1_3repE0EEENS1_30default_config_static_selectorELNS0_4arch9wavefront6targetE0EEEvT1_,"axG",@progbits,_ZN7rocprim17ROCPRIM_400000_NS6detail17trampoline_kernelINS0_14default_configENS1_33run_length_encode_config_selectorItjNS0_4plusIjEEEEZZNS1_33reduce_by_key_impl_wrapped_configILNS1_25lookback_scan_determinismE0ES3_S7_PKtNS0_17constant_iteratorIjlEEPtPlSF_S6_NS0_8equal_toItEEEE10hipError_tPvRmT2_T3_mT4_T5_T6_T7_T8_P12ihipStream_tbENKUlT_T0_E_clISt17integral_constantIbLb1EESY_IbLb0EEEEDaSU_SV_EUlSU_E_NS1_11comp_targetILNS1_3genE2ELNS1_11target_archE906ELNS1_3gpuE6ELNS1_3repE0EEENS1_30default_config_static_selectorELNS0_4arch9wavefront6targetE0EEEvT1_,comdat
.Lfunc_end809:
	.size	_ZN7rocprim17ROCPRIM_400000_NS6detail17trampoline_kernelINS0_14default_configENS1_33run_length_encode_config_selectorItjNS0_4plusIjEEEEZZNS1_33reduce_by_key_impl_wrapped_configILNS1_25lookback_scan_determinismE0ES3_S7_PKtNS0_17constant_iteratorIjlEEPtPlSF_S6_NS0_8equal_toItEEEE10hipError_tPvRmT2_T3_mT4_T5_T6_T7_T8_P12ihipStream_tbENKUlT_T0_E_clISt17integral_constantIbLb1EESY_IbLb0EEEEDaSU_SV_EUlSU_E_NS1_11comp_targetILNS1_3genE2ELNS1_11target_archE906ELNS1_3gpuE6ELNS1_3repE0EEENS1_30default_config_static_selectorELNS0_4arch9wavefront6targetE0EEEvT1_, .Lfunc_end809-_ZN7rocprim17ROCPRIM_400000_NS6detail17trampoline_kernelINS0_14default_configENS1_33run_length_encode_config_selectorItjNS0_4plusIjEEEEZZNS1_33reduce_by_key_impl_wrapped_configILNS1_25lookback_scan_determinismE0ES3_S7_PKtNS0_17constant_iteratorIjlEEPtPlSF_S6_NS0_8equal_toItEEEE10hipError_tPvRmT2_T3_mT4_T5_T6_T7_T8_P12ihipStream_tbENKUlT_T0_E_clISt17integral_constantIbLb1EESY_IbLb0EEEEDaSU_SV_EUlSU_E_NS1_11comp_targetILNS1_3genE2ELNS1_11target_archE906ELNS1_3gpuE6ELNS1_3repE0EEENS1_30default_config_static_selectorELNS0_4arch9wavefront6targetE0EEEvT1_
                                        ; -- End function
	.set _ZN7rocprim17ROCPRIM_400000_NS6detail17trampoline_kernelINS0_14default_configENS1_33run_length_encode_config_selectorItjNS0_4plusIjEEEEZZNS1_33reduce_by_key_impl_wrapped_configILNS1_25lookback_scan_determinismE0ES3_S7_PKtNS0_17constant_iteratorIjlEEPtPlSF_S6_NS0_8equal_toItEEEE10hipError_tPvRmT2_T3_mT4_T5_T6_T7_T8_P12ihipStream_tbENKUlT_T0_E_clISt17integral_constantIbLb1EESY_IbLb0EEEEDaSU_SV_EUlSU_E_NS1_11comp_targetILNS1_3genE2ELNS1_11target_archE906ELNS1_3gpuE6ELNS1_3repE0EEENS1_30default_config_static_selectorELNS0_4arch9wavefront6targetE0EEEvT1_.num_vgpr, 0
	.set _ZN7rocprim17ROCPRIM_400000_NS6detail17trampoline_kernelINS0_14default_configENS1_33run_length_encode_config_selectorItjNS0_4plusIjEEEEZZNS1_33reduce_by_key_impl_wrapped_configILNS1_25lookback_scan_determinismE0ES3_S7_PKtNS0_17constant_iteratorIjlEEPtPlSF_S6_NS0_8equal_toItEEEE10hipError_tPvRmT2_T3_mT4_T5_T6_T7_T8_P12ihipStream_tbENKUlT_T0_E_clISt17integral_constantIbLb1EESY_IbLb0EEEEDaSU_SV_EUlSU_E_NS1_11comp_targetILNS1_3genE2ELNS1_11target_archE906ELNS1_3gpuE6ELNS1_3repE0EEENS1_30default_config_static_selectorELNS0_4arch9wavefront6targetE0EEEvT1_.num_agpr, 0
	.set _ZN7rocprim17ROCPRIM_400000_NS6detail17trampoline_kernelINS0_14default_configENS1_33run_length_encode_config_selectorItjNS0_4plusIjEEEEZZNS1_33reduce_by_key_impl_wrapped_configILNS1_25lookback_scan_determinismE0ES3_S7_PKtNS0_17constant_iteratorIjlEEPtPlSF_S6_NS0_8equal_toItEEEE10hipError_tPvRmT2_T3_mT4_T5_T6_T7_T8_P12ihipStream_tbENKUlT_T0_E_clISt17integral_constantIbLb1EESY_IbLb0EEEEDaSU_SV_EUlSU_E_NS1_11comp_targetILNS1_3genE2ELNS1_11target_archE906ELNS1_3gpuE6ELNS1_3repE0EEENS1_30default_config_static_selectorELNS0_4arch9wavefront6targetE0EEEvT1_.numbered_sgpr, 0
	.set _ZN7rocprim17ROCPRIM_400000_NS6detail17trampoline_kernelINS0_14default_configENS1_33run_length_encode_config_selectorItjNS0_4plusIjEEEEZZNS1_33reduce_by_key_impl_wrapped_configILNS1_25lookback_scan_determinismE0ES3_S7_PKtNS0_17constant_iteratorIjlEEPtPlSF_S6_NS0_8equal_toItEEEE10hipError_tPvRmT2_T3_mT4_T5_T6_T7_T8_P12ihipStream_tbENKUlT_T0_E_clISt17integral_constantIbLb1EESY_IbLb0EEEEDaSU_SV_EUlSU_E_NS1_11comp_targetILNS1_3genE2ELNS1_11target_archE906ELNS1_3gpuE6ELNS1_3repE0EEENS1_30default_config_static_selectorELNS0_4arch9wavefront6targetE0EEEvT1_.num_named_barrier, 0
	.set _ZN7rocprim17ROCPRIM_400000_NS6detail17trampoline_kernelINS0_14default_configENS1_33run_length_encode_config_selectorItjNS0_4plusIjEEEEZZNS1_33reduce_by_key_impl_wrapped_configILNS1_25lookback_scan_determinismE0ES3_S7_PKtNS0_17constant_iteratorIjlEEPtPlSF_S6_NS0_8equal_toItEEEE10hipError_tPvRmT2_T3_mT4_T5_T6_T7_T8_P12ihipStream_tbENKUlT_T0_E_clISt17integral_constantIbLb1EESY_IbLb0EEEEDaSU_SV_EUlSU_E_NS1_11comp_targetILNS1_3genE2ELNS1_11target_archE906ELNS1_3gpuE6ELNS1_3repE0EEENS1_30default_config_static_selectorELNS0_4arch9wavefront6targetE0EEEvT1_.private_seg_size, 0
	.set _ZN7rocprim17ROCPRIM_400000_NS6detail17trampoline_kernelINS0_14default_configENS1_33run_length_encode_config_selectorItjNS0_4plusIjEEEEZZNS1_33reduce_by_key_impl_wrapped_configILNS1_25lookback_scan_determinismE0ES3_S7_PKtNS0_17constant_iteratorIjlEEPtPlSF_S6_NS0_8equal_toItEEEE10hipError_tPvRmT2_T3_mT4_T5_T6_T7_T8_P12ihipStream_tbENKUlT_T0_E_clISt17integral_constantIbLb1EESY_IbLb0EEEEDaSU_SV_EUlSU_E_NS1_11comp_targetILNS1_3genE2ELNS1_11target_archE906ELNS1_3gpuE6ELNS1_3repE0EEENS1_30default_config_static_selectorELNS0_4arch9wavefront6targetE0EEEvT1_.uses_vcc, 0
	.set _ZN7rocprim17ROCPRIM_400000_NS6detail17trampoline_kernelINS0_14default_configENS1_33run_length_encode_config_selectorItjNS0_4plusIjEEEEZZNS1_33reduce_by_key_impl_wrapped_configILNS1_25lookback_scan_determinismE0ES3_S7_PKtNS0_17constant_iteratorIjlEEPtPlSF_S6_NS0_8equal_toItEEEE10hipError_tPvRmT2_T3_mT4_T5_T6_T7_T8_P12ihipStream_tbENKUlT_T0_E_clISt17integral_constantIbLb1EESY_IbLb0EEEEDaSU_SV_EUlSU_E_NS1_11comp_targetILNS1_3genE2ELNS1_11target_archE906ELNS1_3gpuE6ELNS1_3repE0EEENS1_30default_config_static_selectorELNS0_4arch9wavefront6targetE0EEEvT1_.uses_flat_scratch, 0
	.set _ZN7rocprim17ROCPRIM_400000_NS6detail17trampoline_kernelINS0_14default_configENS1_33run_length_encode_config_selectorItjNS0_4plusIjEEEEZZNS1_33reduce_by_key_impl_wrapped_configILNS1_25lookback_scan_determinismE0ES3_S7_PKtNS0_17constant_iteratorIjlEEPtPlSF_S6_NS0_8equal_toItEEEE10hipError_tPvRmT2_T3_mT4_T5_T6_T7_T8_P12ihipStream_tbENKUlT_T0_E_clISt17integral_constantIbLb1EESY_IbLb0EEEEDaSU_SV_EUlSU_E_NS1_11comp_targetILNS1_3genE2ELNS1_11target_archE906ELNS1_3gpuE6ELNS1_3repE0EEENS1_30default_config_static_selectorELNS0_4arch9wavefront6targetE0EEEvT1_.has_dyn_sized_stack, 0
	.set _ZN7rocprim17ROCPRIM_400000_NS6detail17trampoline_kernelINS0_14default_configENS1_33run_length_encode_config_selectorItjNS0_4plusIjEEEEZZNS1_33reduce_by_key_impl_wrapped_configILNS1_25lookback_scan_determinismE0ES3_S7_PKtNS0_17constant_iteratorIjlEEPtPlSF_S6_NS0_8equal_toItEEEE10hipError_tPvRmT2_T3_mT4_T5_T6_T7_T8_P12ihipStream_tbENKUlT_T0_E_clISt17integral_constantIbLb1EESY_IbLb0EEEEDaSU_SV_EUlSU_E_NS1_11comp_targetILNS1_3genE2ELNS1_11target_archE906ELNS1_3gpuE6ELNS1_3repE0EEENS1_30default_config_static_selectorELNS0_4arch9wavefront6targetE0EEEvT1_.has_recursion, 0
	.set _ZN7rocprim17ROCPRIM_400000_NS6detail17trampoline_kernelINS0_14default_configENS1_33run_length_encode_config_selectorItjNS0_4plusIjEEEEZZNS1_33reduce_by_key_impl_wrapped_configILNS1_25lookback_scan_determinismE0ES3_S7_PKtNS0_17constant_iteratorIjlEEPtPlSF_S6_NS0_8equal_toItEEEE10hipError_tPvRmT2_T3_mT4_T5_T6_T7_T8_P12ihipStream_tbENKUlT_T0_E_clISt17integral_constantIbLb1EESY_IbLb0EEEEDaSU_SV_EUlSU_E_NS1_11comp_targetILNS1_3genE2ELNS1_11target_archE906ELNS1_3gpuE6ELNS1_3repE0EEENS1_30default_config_static_selectorELNS0_4arch9wavefront6targetE0EEEvT1_.has_indirect_call, 0
	.section	.AMDGPU.csdata,"",@progbits
; Kernel info:
; codeLenInByte = 0
; TotalNumSgprs: 0
; NumVgprs: 0
; ScratchSize: 0
; MemoryBound: 0
; FloatMode: 240
; IeeeMode: 1
; LDSByteSize: 0 bytes/workgroup (compile time only)
; SGPRBlocks: 0
; VGPRBlocks: 0
; NumSGPRsForWavesPerEU: 1
; NumVGPRsForWavesPerEU: 1
; NamedBarCnt: 0
; Occupancy: 16
; WaveLimiterHint : 0
; COMPUTE_PGM_RSRC2:SCRATCH_EN: 0
; COMPUTE_PGM_RSRC2:USER_SGPR: 2
; COMPUTE_PGM_RSRC2:TRAP_HANDLER: 0
; COMPUTE_PGM_RSRC2:TGID_X_EN: 1
; COMPUTE_PGM_RSRC2:TGID_Y_EN: 0
; COMPUTE_PGM_RSRC2:TGID_Z_EN: 0
; COMPUTE_PGM_RSRC2:TIDIG_COMP_CNT: 0
	.section	.text._ZN7rocprim17ROCPRIM_400000_NS6detail17trampoline_kernelINS0_14default_configENS1_33run_length_encode_config_selectorItjNS0_4plusIjEEEEZZNS1_33reduce_by_key_impl_wrapped_configILNS1_25lookback_scan_determinismE0ES3_S7_PKtNS0_17constant_iteratorIjlEEPtPlSF_S6_NS0_8equal_toItEEEE10hipError_tPvRmT2_T3_mT4_T5_T6_T7_T8_P12ihipStream_tbENKUlT_T0_E_clISt17integral_constantIbLb1EESY_IbLb0EEEEDaSU_SV_EUlSU_E_NS1_11comp_targetILNS1_3genE10ELNS1_11target_archE1201ELNS1_3gpuE5ELNS1_3repE0EEENS1_30default_config_static_selectorELNS0_4arch9wavefront6targetE0EEEvT1_,"axG",@progbits,_ZN7rocprim17ROCPRIM_400000_NS6detail17trampoline_kernelINS0_14default_configENS1_33run_length_encode_config_selectorItjNS0_4plusIjEEEEZZNS1_33reduce_by_key_impl_wrapped_configILNS1_25lookback_scan_determinismE0ES3_S7_PKtNS0_17constant_iteratorIjlEEPtPlSF_S6_NS0_8equal_toItEEEE10hipError_tPvRmT2_T3_mT4_T5_T6_T7_T8_P12ihipStream_tbENKUlT_T0_E_clISt17integral_constantIbLb1EESY_IbLb0EEEEDaSU_SV_EUlSU_E_NS1_11comp_targetILNS1_3genE10ELNS1_11target_archE1201ELNS1_3gpuE5ELNS1_3repE0EEENS1_30default_config_static_selectorELNS0_4arch9wavefront6targetE0EEEvT1_,comdat
	.protected	_ZN7rocprim17ROCPRIM_400000_NS6detail17trampoline_kernelINS0_14default_configENS1_33run_length_encode_config_selectorItjNS0_4plusIjEEEEZZNS1_33reduce_by_key_impl_wrapped_configILNS1_25lookback_scan_determinismE0ES3_S7_PKtNS0_17constant_iteratorIjlEEPtPlSF_S6_NS0_8equal_toItEEEE10hipError_tPvRmT2_T3_mT4_T5_T6_T7_T8_P12ihipStream_tbENKUlT_T0_E_clISt17integral_constantIbLb1EESY_IbLb0EEEEDaSU_SV_EUlSU_E_NS1_11comp_targetILNS1_3genE10ELNS1_11target_archE1201ELNS1_3gpuE5ELNS1_3repE0EEENS1_30default_config_static_selectorELNS0_4arch9wavefront6targetE0EEEvT1_ ; -- Begin function _ZN7rocprim17ROCPRIM_400000_NS6detail17trampoline_kernelINS0_14default_configENS1_33run_length_encode_config_selectorItjNS0_4plusIjEEEEZZNS1_33reduce_by_key_impl_wrapped_configILNS1_25lookback_scan_determinismE0ES3_S7_PKtNS0_17constant_iteratorIjlEEPtPlSF_S6_NS0_8equal_toItEEEE10hipError_tPvRmT2_T3_mT4_T5_T6_T7_T8_P12ihipStream_tbENKUlT_T0_E_clISt17integral_constantIbLb1EESY_IbLb0EEEEDaSU_SV_EUlSU_E_NS1_11comp_targetILNS1_3genE10ELNS1_11target_archE1201ELNS1_3gpuE5ELNS1_3repE0EEENS1_30default_config_static_selectorELNS0_4arch9wavefront6targetE0EEEvT1_
	.globl	_ZN7rocprim17ROCPRIM_400000_NS6detail17trampoline_kernelINS0_14default_configENS1_33run_length_encode_config_selectorItjNS0_4plusIjEEEEZZNS1_33reduce_by_key_impl_wrapped_configILNS1_25lookback_scan_determinismE0ES3_S7_PKtNS0_17constant_iteratorIjlEEPtPlSF_S6_NS0_8equal_toItEEEE10hipError_tPvRmT2_T3_mT4_T5_T6_T7_T8_P12ihipStream_tbENKUlT_T0_E_clISt17integral_constantIbLb1EESY_IbLb0EEEEDaSU_SV_EUlSU_E_NS1_11comp_targetILNS1_3genE10ELNS1_11target_archE1201ELNS1_3gpuE5ELNS1_3repE0EEENS1_30default_config_static_selectorELNS0_4arch9wavefront6targetE0EEEvT1_
	.p2align	8
	.type	_ZN7rocprim17ROCPRIM_400000_NS6detail17trampoline_kernelINS0_14default_configENS1_33run_length_encode_config_selectorItjNS0_4plusIjEEEEZZNS1_33reduce_by_key_impl_wrapped_configILNS1_25lookback_scan_determinismE0ES3_S7_PKtNS0_17constant_iteratorIjlEEPtPlSF_S6_NS0_8equal_toItEEEE10hipError_tPvRmT2_T3_mT4_T5_T6_T7_T8_P12ihipStream_tbENKUlT_T0_E_clISt17integral_constantIbLb1EESY_IbLb0EEEEDaSU_SV_EUlSU_E_NS1_11comp_targetILNS1_3genE10ELNS1_11target_archE1201ELNS1_3gpuE5ELNS1_3repE0EEENS1_30default_config_static_selectorELNS0_4arch9wavefront6targetE0EEEvT1_,@function
_ZN7rocprim17ROCPRIM_400000_NS6detail17trampoline_kernelINS0_14default_configENS1_33run_length_encode_config_selectorItjNS0_4plusIjEEEEZZNS1_33reduce_by_key_impl_wrapped_configILNS1_25lookback_scan_determinismE0ES3_S7_PKtNS0_17constant_iteratorIjlEEPtPlSF_S6_NS0_8equal_toItEEEE10hipError_tPvRmT2_T3_mT4_T5_T6_T7_T8_P12ihipStream_tbENKUlT_T0_E_clISt17integral_constantIbLb1EESY_IbLb0EEEEDaSU_SV_EUlSU_E_NS1_11comp_targetILNS1_3genE10ELNS1_11target_archE1201ELNS1_3gpuE5ELNS1_3repE0EEENS1_30default_config_static_selectorELNS0_4arch9wavefront6targetE0EEEvT1_: ; @_ZN7rocprim17ROCPRIM_400000_NS6detail17trampoline_kernelINS0_14default_configENS1_33run_length_encode_config_selectorItjNS0_4plusIjEEEEZZNS1_33reduce_by_key_impl_wrapped_configILNS1_25lookback_scan_determinismE0ES3_S7_PKtNS0_17constant_iteratorIjlEEPtPlSF_S6_NS0_8equal_toItEEEE10hipError_tPvRmT2_T3_mT4_T5_T6_T7_T8_P12ihipStream_tbENKUlT_T0_E_clISt17integral_constantIbLb1EESY_IbLb0EEEEDaSU_SV_EUlSU_E_NS1_11comp_targetILNS1_3genE10ELNS1_11target_archE1201ELNS1_3gpuE5ELNS1_3repE0EEENS1_30default_config_static_selectorELNS0_4arch9wavefront6targetE0EEEvT1_
; %bb.0:
	.section	.rodata,"a",@progbits
	.p2align	6, 0x0
	.amdhsa_kernel _ZN7rocprim17ROCPRIM_400000_NS6detail17trampoline_kernelINS0_14default_configENS1_33run_length_encode_config_selectorItjNS0_4plusIjEEEEZZNS1_33reduce_by_key_impl_wrapped_configILNS1_25lookback_scan_determinismE0ES3_S7_PKtNS0_17constant_iteratorIjlEEPtPlSF_S6_NS0_8equal_toItEEEE10hipError_tPvRmT2_T3_mT4_T5_T6_T7_T8_P12ihipStream_tbENKUlT_T0_E_clISt17integral_constantIbLb1EESY_IbLb0EEEEDaSU_SV_EUlSU_E_NS1_11comp_targetILNS1_3genE10ELNS1_11target_archE1201ELNS1_3gpuE5ELNS1_3repE0EEENS1_30default_config_static_selectorELNS0_4arch9wavefront6targetE0EEEvT1_
		.amdhsa_group_segment_fixed_size 0
		.amdhsa_private_segment_fixed_size 0
		.amdhsa_kernarg_size 128
		.amdhsa_user_sgpr_count 2
		.amdhsa_user_sgpr_dispatch_ptr 0
		.amdhsa_user_sgpr_queue_ptr 0
		.amdhsa_user_sgpr_kernarg_segment_ptr 1
		.amdhsa_user_sgpr_dispatch_id 0
		.amdhsa_user_sgpr_kernarg_preload_length 0
		.amdhsa_user_sgpr_kernarg_preload_offset 0
		.amdhsa_user_sgpr_private_segment_size 0
		.amdhsa_wavefront_size32 1
		.amdhsa_uses_dynamic_stack 0
		.amdhsa_enable_private_segment 0
		.amdhsa_system_sgpr_workgroup_id_x 1
		.amdhsa_system_sgpr_workgroup_id_y 0
		.amdhsa_system_sgpr_workgroup_id_z 0
		.amdhsa_system_sgpr_workgroup_info 0
		.amdhsa_system_vgpr_workitem_id 0
		.amdhsa_next_free_vgpr 1
		.amdhsa_next_free_sgpr 1
		.amdhsa_named_barrier_count 0
		.amdhsa_reserve_vcc 0
		.amdhsa_float_round_mode_32 0
		.amdhsa_float_round_mode_16_64 0
		.amdhsa_float_denorm_mode_32 3
		.amdhsa_float_denorm_mode_16_64 3
		.amdhsa_fp16_overflow 0
		.amdhsa_memory_ordered 1
		.amdhsa_forward_progress 1
		.amdhsa_inst_pref_size 0
		.amdhsa_round_robin_scheduling 0
		.amdhsa_exception_fp_ieee_invalid_op 0
		.amdhsa_exception_fp_denorm_src 0
		.amdhsa_exception_fp_ieee_div_zero 0
		.amdhsa_exception_fp_ieee_overflow 0
		.amdhsa_exception_fp_ieee_underflow 0
		.amdhsa_exception_fp_ieee_inexact 0
		.amdhsa_exception_int_div_zero 0
	.end_amdhsa_kernel
	.section	.text._ZN7rocprim17ROCPRIM_400000_NS6detail17trampoline_kernelINS0_14default_configENS1_33run_length_encode_config_selectorItjNS0_4plusIjEEEEZZNS1_33reduce_by_key_impl_wrapped_configILNS1_25lookback_scan_determinismE0ES3_S7_PKtNS0_17constant_iteratorIjlEEPtPlSF_S6_NS0_8equal_toItEEEE10hipError_tPvRmT2_T3_mT4_T5_T6_T7_T8_P12ihipStream_tbENKUlT_T0_E_clISt17integral_constantIbLb1EESY_IbLb0EEEEDaSU_SV_EUlSU_E_NS1_11comp_targetILNS1_3genE10ELNS1_11target_archE1201ELNS1_3gpuE5ELNS1_3repE0EEENS1_30default_config_static_selectorELNS0_4arch9wavefront6targetE0EEEvT1_,"axG",@progbits,_ZN7rocprim17ROCPRIM_400000_NS6detail17trampoline_kernelINS0_14default_configENS1_33run_length_encode_config_selectorItjNS0_4plusIjEEEEZZNS1_33reduce_by_key_impl_wrapped_configILNS1_25lookback_scan_determinismE0ES3_S7_PKtNS0_17constant_iteratorIjlEEPtPlSF_S6_NS0_8equal_toItEEEE10hipError_tPvRmT2_T3_mT4_T5_T6_T7_T8_P12ihipStream_tbENKUlT_T0_E_clISt17integral_constantIbLb1EESY_IbLb0EEEEDaSU_SV_EUlSU_E_NS1_11comp_targetILNS1_3genE10ELNS1_11target_archE1201ELNS1_3gpuE5ELNS1_3repE0EEENS1_30default_config_static_selectorELNS0_4arch9wavefront6targetE0EEEvT1_,comdat
.Lfunc_end810:
	.size	_ZN7rocprim17ROCPRIM_400000_NS6detail17trampoline_kernelINS0_14default_configENS1_33run_length_encode_config_selectorItjNS0_4plusIjEEEEZZNS1_33reduce_by_key_impl_wrapped_configILNS1_25lookback_scan_determinismE0ES3_S7_PKtNS0_17constant_iteratorIjlEEPtPlSF_S6_NS0_8equal_toItEEEE10hipError_tPvRmT2_T3_mT4_T5_T6_T7_T8_P12ihipStream_tbENKUlT_T0_E_clISt17integral_constantIbLb1EESY_IbLb0EEEEDaSU_SV_EUlSU_E_NS1_11comp_targetILNS1_3genE10ELNS1_11target_archE1201ELNS1_3gpuE5ELNS1_3repE0EEENS1_30default_config_static_selectorELNS0_4arch9wavefront6targetE0EEEvT1_, .Lfunc_end810-_ZN7rocprim17ROCPRIM_400000_NS6detail17trampoline_kernelINS0_14default_configENS1_33run_length_encode_config_selectorItjNS0_4plusIjEEEEZZNS1_33reduce_by_key_impl_wrapped_configILNS1_25lookback_scan_determinismE0ES3_S7_PKtNS0_17constant_iteratorIjlEEPtPlSF_S6_NS0_8equal_toItEEEE10hipError_tPvRmT2_T3_mT4_T5_T6_T7_T8_P12ihipStream_tbENKUlT_T0_E_clISt17integral_constantIbLb1EESY_IbLb0EEEEDaSU_SV_EUlSU_E_NS1_11comp_targetILNS1_3genE10ELNS1_11target_archE1201ELNS1_3gpuE5ELNS1_3repE0EEENS1_30default_config_static_selectorELNS0_4arch9wavefront6targetE0EEEvT1_
                                        ; -- End function
	.set _ZN7rocprim17ROCPRIM_400000_NS6detail17trampoline_kernelINS0_14default_configENS1_33run_length_encode_config_selectorItjNS0_4plusIjEEEEZZNS1_33reduce_by_key_impl_wrapped_configILNS1_25lookback_scan_determinismE0ES3_S7_PKtNS0_17constant_iteratorIjlEEPtPlSF_S6_NS0_8equal_toItEEEE10hipError_tPvRmT2_T3_mT4_T5_T6_T7_T8_P12ihipStream_tbENKUlT_T0_E_clISt17integral_constantIbLb1EESY_IbLb0EEEEDaSU_SV_EUlSU_E_NS1_11comp_targetILNS1_3genE10ELNS1_11target_archE1201ELNS1_3gpuE5ELNS1_3repE0EEENS1_30default_config_static_selectorELNS0_4arch9wavefront6targetE0EEEvT1_.num_vgpr, 0
	.set _ZN7rocprim17ROCPRIM_400000_NS6detail17trampoline_kernelINS0_14default_configENS1_33run_length_encode_config_selectorItjNS0_4plusIjEEEEZZNS1_33reduce_by_key_impl_wrapped_configILNS1_25lookback_scan_determinismE0ES3_S7_PKtNS0_17constant_iteratorIjlEEPtPlSF_S6_NS0_8equal_toItEEEE10hipError_tPvRmT2_T3_mT4_T5_T6_T7_T8_P12ihipStream_tbENKUlT_T0_E_clISt17integral_constantIbLb1EESY_IbLb0EEEEDaSU_SV_EUlSU_E_NS1_11comp_targetILNS1_3genE10ELNS1_11target_archE1201ELNS1_3gpuE5ELNS1_3repE0EEENS1_30default_config_static_selectorELNS0_4arch9wavefront6targetE0EEEvT1_.num_agpr, 0
	.set _ZN7rocprim17ROCPRIM_400000_NS6detail17trampoline_kernelINS0_14default_configENS1_33run_length_encode_config_selectorItjNS0_4plusIjEEEEZZNS1_33reduce_by_key_impl_wrapped_configILNS1_25lookback_scan_determinismE0ES3_S7_PKtNS0_17constant_iteratorIjlEEPtPlSF_S6_NS0_8equal_toItEEEE10hipError_tPvRmT2_T3_mT4_T5_T6_T7_T8_P12ihipStream_tbENKUlT_T0_E_clISt17integral_constantIbLb1EESY_IbLb0EEEEDaSU_SV_EUlSU_E_NS1_11comp_targetILNS1_3genE10ELNS1_11target_archE1201ELNS1_3gpuE5ELNS1_3repE0EEENS1_30default_config_static_selectorELNS0_4arch9wavefront6targetE0EEEvT1_.numbered_sgpr, 0
	.set _ZN7rocprim17ROCPRIM_400000_NS6detail17trampoline_kernelINS0_14default_configENS1_33run_length_encode_config_selectorItjNS0_4plusIjEEEEZZNS1_33reduce_by_key_impl_wrapped_configILNS1_25lookback_scan_determinismE0ES3_S7_PKtNS0_17constant_iteratorIjlEEPtPlSF_S6_NS0_8equal_toItEEEE10hipError_tPvRmT2_T3_mT4_T5_T6_T7_T8_P12ihipStream_tbENKUlT_T0_E_clISt17integral_constantIbLb1EESY_IbLb0EEEEDaSU_SV_EUlSU_E_NS1_11comp_targetILNS1_3genE10ELNS1_11target_archE1201ELNS1_3gpuE5ELNS1_3repE0EEENS1_30default_config_static_selectorELNS0_4arch9wavefront6targetE0EEEvT1_.num_named_barrier, 0
	.set _ZN7rocprim17ROCPRIM_400000_NS6detail17trampoline_kernelINS0_14default_configENS1_33run_length_encode_config_selectorItjNS0_4plusIjEEEEZZNS1_33reduce_by_key_impl_wrapped_configILNS1_25lookback_scan_determinismE0ES3_S7_PKtNS0_17constant_iteratorIjlEEPtPlSF_S6_NS0_8equal_toItEEEE10hipError_tPvRmT2_T3_mT4_T5_T6_T7_T8_P12ihipStream_tbENKUlT_T0_E_clISt17integral_constantIbLb1EESY_IbLb0EEEEDaSU_SV_EUlSU_E_NS1_11comp_targetILNS1_3genE10ELNS1_11target_archE1201ELNS1_3gpuE5ELNS1_3repE0EEENS1_30default_config_static_selectorELNS0_4arch9wavefront6targetE0EEEvT1_.private_seg_size, 0
	.set _ZN7rocprim17ROCPRIM_400000_NS6detail17trampoline_kernelINS0_14default_configENS1_33run_length_encode_config_selectorItjNS0_4plusIjEEEEZZNS1_33reduce_by_key_impl_wrapped_configILNS1_25lookback_scan_determinismE0ES3_S7_PKtNS0_17constant_iteratorIjlEEPtPlSF_S6_NS0_8equal_toItEEEE10hipError_tPvRmT2_T3_mT4_T5_T6_T7_T8_P12ihipStream_tbENKUlT_T0_E_clISt17integral_constantIbLb1EESY_IbLb0EEEEDaSU_SV_EUlSU_E_NS1_11comp_targetILNS1_3genE10ELNS1_11target_archE1201ELNS1_3gpuE5ELNS1_3repE0EEENS1_30default_config_static_selectorELNS0_4arch9wavefront6targetE0EEEvT1_.uses_vcc, 0
	.set _ZN7rocprim17ROCPRIM_400000_NS6detail17trampoline_kernelINS0_14default_configENS1_33run_length_encode_config_selectorItjNS0_4plusIjEEEEZZNS1_33reduce_by_key_impl_wrapped_configILNS1_25lookback_scan_determinismE0ES3_S7_PKtNS0_17constant_iteratorIjlEEPtPlSF_S6_NS0_8equal_toItEEEE10hipError_tPvRmT2_T3_mT4_T5_T6_T7_T8_P12ihipStream_tbENKUlT_T0_E_clISt17integral_constantIbLb1EESY_IbLb0EEEEDaSU_SV_EUlSU_E_NS1_11comp_targetILNS1_3genE10ELNS1_11target_archE1201ELNS1_3gpuE5ELNS1_3repE0EEENS1_30default_config_static_selectorELNS0_4arch9wavefront6targetE0EEEvT1_.uses_flat_scratch, 0
	.set _ZN7rocprim17ROCPRIM_400000_NS6detail17trampoline_kernelINS0_14default_configENS1_33run_length_encode_config_selectorItjNS0_4plusIjEEEEZZNS1_33reduce_by_key_impl_wrapped_configILNS1_25lookback_scan_determinismE0ES3_S7_PKtNS0_17constant_iteratorIjlEEPtPlSF_S6_NS0_8equal_toItEEEE10hipError_tPvRmT2_T3_mT4_T5_T6_T7_T8_P12ihipStream_tbENKUlT_T0_E_clISt17integral_constantIbLb1EESY_IbLb0EEEEDaSU_SV_EUlSU_E_NS1_11comp_targetILNS1_3genE10ELNS1_11target_archE1201ELNS1_3gpuE5ELNS1_3repE0EEENS1_30default_config_static_selectorELNS0_4arch9wavefront6targetE0EEEvT1_.has_dyn_sized_stack, 0
	.set _ZN7rocprim17ROCPRIM_400000_NS6detail17trampoline_kernelINS0_14default_configENS1_33run_length_encode_config_selectorItjNS0_4plusIjEEEEZZNS1_33reduce_by_key_impl_wrapped_configILNS1_25lookback_scan_determinismE0ES3_S7_PKtNS0_17constant_iteratorIjlEEPtPlSF_S6_NS0_8equal_toItEEEE10hipError_tPvRmT2_T3_mT4_T5_T6_T7_T8_P12ihipStream_tbENKUlT_T0_E_clISt17integral_constantIbLb1EESY_IbLb0EEEEDaSU_SV_EUlSU_E_NS1_11comp_targetILNS1_3genE10ELNS1_11target_archE1201ELNS1_3gpuE5ELNS1_3repE0EEENS1_30default_config_static_selectorELNS0_4arch9wavefront6targetE0EEEvT1_.has_recursion, 0
	.set _ZN7rocprim17ROCPRIM_400000_NS6detail17trampoline_kernelINS0_14default_configENS1_33run_length_encode_config_selectorItjNS0_4plusIjEEEEZZNS1_33reduce_by_key_impl_wrapped_configILNS1_25lookback_scan_determinismE0ES3_S7_PKtNS0_17constant_iteratorIjlEEPtPlSF_S6_NS0_8equal_toItEEEE10hipError_tPvRmT2_T3_mT4_T5_T6_T7_T8_P12ihipStream_tbENKUlT_T0_E_clISt17integral_constantIbLb1EESY_IbLb0EEEEDaSU_SV_EUlSU_E_NS1_11comp_targetILNS1_3genE10ELNS1_11target_archE1201ELNS1_3gpuE5ELNS1_3repE0EEENS1_30default_config_static_selectorELNS0_4arch9wavefront6targetE0EEEvT1_.has_indirect_call, 0
	.section	.AMDGPU.csdata,"",@progbits
; Kernel info:
; codeLenInByte = 0
; TotalNumSgprs: 0
; NumVgprs: 0
; ScratchSize: 0
; MemoryBound: 0
; FloatMode: 240
; IeeeMode: 1
; LDSByteSize: 0 bytes/workgroup (compile time only)
; SGPRBlocks: 0
; VGPRBlocks: 0
; NumSGPRsForWavesPerEU: 1
; NumVGPRsForWavesPerEU: 1
; NamedBarCnt: 0
; Occupancy: 16
; WaveLimiterHint : 0
; COMPUTE_PGM_RSRC2:SCRATCH_EN: 0
; COMPUTE_PGM_RSRC2:USER_SGPR: 2
; COMPUTE_PGM_RSRC2:TRAP_HANDLER: 0
; COMPUTE_PGM_RSRC2:TGID_X_EN: 1
; COMPUTE_PGM_RSRC2:TGID_Y_EN: 0
; COMPUTE_PGM_RSRC2:TGID_Z_EN: 0
; COMPUTE_PGM_RSRC2:TIDIG_COMP_CNT: 0
	.section	.text._ZN7rocprim17ROCPRIM_400000_NS6detail17trampoline_kernelINS0_14default_configENS1_33run_length_encode_config_selectorItjNS0_4plusIjEEEEZZNS1_33reduce_by_key_impl_wrapped_configILNS1_25lookback_scan_determinismE0ES3_S7_PKtNS0_17constant_iteratorIjlEEPtPlSF_S6_NS0_8equal_toItEEEE10hipError_tPvRmT2_T3_mT4_T5_T6_T7_T8_P12ihipStream_tbENKUlT_T0_E_clISt17integral_constantIbLb1EESY_IbLb0EEEEDaSU_SV_EUlSU_E_NS1_11comp_targetILNS1_3genE10ELNS1_11target_archE1200ELNS1_3gpuE4ELNS1_3repE0EEENS1_30default_config_static_selectorELNS0_4arch9wavefront6targetE0EEEvT1_,"axG",@progbits,_ZN7rocprim17ROCPRIM_400000_NS6detail17trampoline_kernelINS0_14default_configENS1_33run_length_encode_config_selectorItjNS0_4plusIjEEEEZZNS1_33reduce_by_key_impl_wrapped_configILNS1_25lookback_scan_determinismE0ES3_S7_PKtNS0_17constant_iteratorIjlEEPtPlSF_S6_NS0_8equal_toItEEEE10hipError_tPvRmT2_T3_mT4_T5_T6_T7_T8_P12ihipStream_tbENKUlT_T0_E_clISt17integral_constantIbLb1EESY_IbLb0EEEEDaSU_SV_EUlSU_E_NS1_11comp_targetILNS1_3genE10ELNS1_11target_archE1200ELNS1_3gpuE4ELNS1_3repE0EEENS1_30default_config_static_selectorELNS0_4arch9wavefront6targetE0EEEvT1_,comdat
	.protected	_ZN7rocprim17ROCPRIM_400000_NS6detail17trampoline_kernelINS0_14default_configENS1_33run_length_encode_config_selectorItjNS0_4plusIjEEEEZZNS1_33reduce_by_key_impl_wrapped_configILNS1_25lookback_scan_determinismE0ES3_S7_PKtNS0_17constant_iteratorIjlEEPtPlSF_S6_NS0_8equal_toItEEEE10hipError_tPvRmT2_T3_mT4_T5_T6_T7_T8_P12ihipStream_tbENKUlT_T0_E_clISt17integral_constantIbLb1EESY_IbLb0EEEEDaSU_SV_EUlSU_E_NS1_11comp_targetILNS1_3genE10ELNS1_11target_archE1200ELNS1_3gpuE4ELNS1_3repE0EEENS1_30default_config_static_selectorELNS0_4arch9wavefront6targetE0EEEvT1_ ; -- Begin function _ZN7rocprim17ROCPRIM_400000_NS6detail17trampoline_kernelINS0_14default_configENS1_33run_length_encode_config_selectorItjNS0_4plusIjEEEEZZNS1_33reduce_by_key_impl_wrapped_configILNS1_25lookback_scan_determinismE0ES3_S7_PKtNS0_17constant_iteratorIjlEEPtPlSF_S6_NS0_8equal_toItEEEE10hipError_tPvRmT2_T3_mT4_T5_T6_T7_T8_P12ihipStream_tbENKUlT_T0_E_clISt17integral_constantIbLb1EESY_IbLb0EEEEDaSU_SV_EUlSU_E_NS1_11comp_targetILNS1_3genE10ELNS1_11target_archE1200ELNS1_3gpuE4ELNS1_3repE0EEENS1_30default_config_static_selectorELNS0_4arch9wavefront6targetE0EEEvT1_
	.globl	_ZN7rocprim17ROCPRIM_400000_NS6detail17trampoline_kernelINS0_14default_configENS1_33run_length_encode_config_selectorItjNS0_4plusIjEEEEZZNS1_33reduce_by_key_impl_wrapped_configILNS1_25lookback_scan_determinismE0ES3_S7_PKtNS0_17constant_iteratorIjlEEPtPlSF_S6_NS0_8equal_toItEEEE10hipError_tPvRmT2_T3_mT4_T5_T6_T7_T8_P12ihipStream_tbENKUlT_T0_E_clISt17integral_constantIbLb1EESY_IbLb0EEEEDaSU_SV_EUlSU_E_NS1_11comp_targetILNS1_3genE10ELNS1_11target_archE1200ELNS1_3gpuE4ELNS1_3repE0EEENS1_30default_config_static_selectorELNS0_4arch9wavefront6targetE0EEEvT1_
	.p2align	8
	.type	_ZN7rocprim17ROCPRIM_400000_NS6detail17trampoline_kernelINS0_14default_configENS1_33run_length_encode_config_selectorItjNS0_4plusIjEEEEZZNS1_33reduce_by_key_impl_wrapped_configILNS1_25lookback_scan_determinismE0ES3_S7_PKtNS0_17constant_iteratorIjlEEPtPlSF_S6_NS0_8equal_toItEEEE10hipError_tPvRmT2_T3_mT4_T5_T6_T7_T8_P12ihipStream_tbENKUlT_T0_E_clISt17integral_constantIbLb1EESY_IbLb0EEEEDaSU_SV_EUlSU_E_NS1_11comp_targetILNS1_3genE10ELNS1_11target_archE1200ELNS1_3gpuE4ELNS1_3repE0EEENS1_30default_config_static_selectorELNS0_4arch9wavefront6targetE0EEEvT1_,@function
_ZN7rocprim17ROCPRIM_400000_NS6detail17trampoline_kernelINS0_14default_configENS1_33run_length_encode_config_selectorItjNS0_4plusIjEEEEZZNS1_33reduce_by_key_impl_wrapped_configILNS1_25lookback_scan_determinismE0ES3_S7_PKtNS0_17constant_iteratorIjlEEPtPlSF_S6_NS0_8equal_toItEEEE10hipError_tPvRmT2_T3_mT4_T5_T6_T7_T8_P12ihipStream_tbENKUlT_T0_E_clISt17integral_constantIbLb1EESY_IbLb0EEEEDaSU_SV_EUlSU_E_NS1_11comp_targetILNS1_3genE10ELNS1_11target_archE1200ELNS1_3gpuE4ELNS1_3repE0EEENS1_30default_config_static_selectorELNS0_4arch9wavefront6targetE0EEEvT1_: ; @_ZN7rocprim17ROCPRIM_400000_NS6detail17trampoline_kernelINS0_14default_configENS1_33run_length_encode_config_selectorItjNS0_4plusIjEEEEZZNS1_33reduce_by_key_impl_wrapped_configILNS1_25lookback_scan_determinismE0ES3_S7_PKtNS0_17constant_iteratorIjlEEPtPlSF_S6_NS0_8equal_toItEEEE10hipError_tPvRmT2_T3_mT4_T5_T6_T7_T8_P12ihipStream_tbENKUlT_T0_E_clISt17integral_constantIbLb1EESY_IbLb0EEEEDaSU_SV_EUlSU_E_NS1_11comp_targetILNS1_3genE10ELNS1_11target_archE1200ELNS1_3gpuE4ELNS1_3repE0EEENS1_30default_config_static_selectorELNS0_4arch9wavefront6targetE0EEEvT1_
; %bb.0:
	.section	.rodata,"a",@progbits
	.p2align	6, 0x0
	.amdhsa_kernel _ZN7rocprim17ROCPRIM_400000_NS6detail17trampoline_kernelINS0_14default_configENS1_33run_length_encode_config_selectorItjNS0_4plusIjEEEEZZNS1_33reduce_by_key_impl_wrapped_configILNS1_25lookback_scan_determinismE0ES3_S7_PKtNS0_17constant_iteratorIjlEEPtPlSF_S6_NS0_8equal_toItEEEE10hipError_tPvRmT2_T3_mT4_T5_T6_T7_T8_P12ihipStream_tbENKUlT_T0_E_clISt17integral_constantIbLb1EESY_IbLb0EEEEDaSU_SV_EUlSU_E_NS1_11comp_targetILNS1_3genE10ELNS1_11target_archE1200ELNS1_3gpuE4ELNS1_3repE0EEENS1_30default_config_static_selectorELNS0_4arch9wavefront6targetE0EEEvT1_
		.amdhsa_group_segment_fixed_size 0
		.amdhsa_private_segment_fixed_size 0
		.amdhsa_kernarg_size 128
		.amdhsa_user_sgpr_count 2
		.amdhsa_user_sgpr_dispatch_ptr 0
		.amdhsa_user_sgpr_queue_ptr 0
		.amdhsa_user_sgpr_kernarg_segment_ptr 1
		.amdhsa_user_sgpr_dispatch_id 0
		.amdhsa_user_sgpr_kernarg_preload_length 0
		.amdhsa_user_sgpr_kernarg_preload_offset 0
		.amdhsa_user_sgpr_private_segment_size 0
		.amdhsa_wavefront_size32 1
		.amdhsa_uses_dynamic_stack 0
		.amdhsa_enable_private_segment 0
		.amdhsa_system_sgpr_workgroup_id_x 1
		.amdhsa_system_sgpr_workgroup_id_y 0
		.amdhsa_system_sgpr_workgroup_id_z 0
		.amdhsa_system_sgpr_workgroup_info 0
		.amdhsa_system_vgpr_workitem_id 0
		.amdhsa_next_free_vgpr 1
		.amdhsa_next_free_sgpr 1
		.amdhsa_named_barrier_count 0
		.amdhsa_reserve_vcc 0
		.amdhsa_float_round_mode_32 0
		.amdhsa_float_round_mode_16_64 0
		.amdhsa_float_denorm_mode_32 3
		.amdhsa_float_denorm_mode_16_64 3
		.amdhsa_fp16_overflow 0
		.amdhsa_memory_ordered 1
		.amdhsa_forward_progress 1
		.amdhsa_inst_pref_size 0
		.amdhsa_round_robin_scheduling 0
		.amdhsa_exception_fp_ieee_invalid_op 0
		.amdhsa_exception_fp_denorm_src 0
		.amdhsa_exception_fp_ieee_div_zero 0
		.amdhsa_exception_fp_ieee_overflow 0
		.amdhsa_exception_fp_ieee_underflow 0
		.amdhsa_exception_fp_ieee_inexact 0
		.amdhsa_exception_int_div_zero 0
	.end_amdhsa_kernel
	.section	.text._ZN7rocprim17ROCPRIM_400000_NS6detail17trampoline_kernelINS0_14default_configENS1_33run_length_encode_config_selectorItjNS0_4plusIjEEEEZZNS1_33reduce_by_key_impl_wrapped_configILNS1_25lookback_scan_determinismE0ES3_S7_PKtNS0_17constant_iteratorIjlEEPtPlSF_S6_NS0_8equal_toItEEEE10hipError_tPvRmT2_T3_mT4_T5_T6_T7_T8_P12ihipStream_tbENKUlT_T0_E_clISt17integral_constantIbLb1EESY_IbLb0EEEEDaSU_SV_EUlSU_E_NS1_11comp_targetILNS1_3genE10ELNS1_11target_archE1200ELNS1_3gpuE4ELNS1_3repE0EEENS1_30default_config_static_selectorELNS0_4arch9wavefront6targetE0EEEvT1_,"axG",@progbits,_ZN7rocprim17ROCPRIM_400000_NS6detail17trampoline_kernelINS0_14default_configENS1_33run_length_encode_config_selectorItjNS0_4plusIjEEEEZZNS1_33reduce_by_key_impl_wrapped_configILNS1_25lookback_scan_determinismE0ES3_S7_PKtNS0_17constant_iteratorIjlEEPtPlSF_S6_NS0_8equal_toItEEEE10hipError_tPvRmT2_T3_mT4_T5_T6_T7_T8_P12ihipStream_tbENKUlT_T0_E_clISt17integral_constantIbLb1EESY_IbLb0EEEEDaSU_SV_EUlSU_E_NS1_11comp_targetILNS1_3genE10ELNS1_11target_archE1200ELNS1_3gpuE4ELNS1_3repE0EEENS1_30default_config_static_selectorELNS0_4arch9wavefront6targetE0EEEvT1_,comdat
.Lfunc_end811:
	.size	_ZN7rocprim17ROCPRIM_400000_NS6detail17trampoline_kernelINS0_14default_configENS1_33run_length_encode_config_selectorItjNS0_4plusIjEEEEZZNS1_33reduce_by_key_impl_wrapped_configILNS1_25lookback_scan_determinismE0ES3_S7_PKtNS0_17constant_iteratorIjlEEPtPlSF_S6_NS0_8equal_toItEEEE10hipError_tPvRmT2_T3_mT4_T5_T6_T7_T8_P12ihipStream_tbENKUlT_T0_E_clISt17integral_constantIbLb1EESY_IbLb0EEEEDaSU_SV_EUlSU_E_NS1_11comp_targetILNS1_3genE10ELNS1_11target_archE1200ELNS1_3gpuE4ELNS1_3repE0EEENS1_30default_config_static_selectorELNS0_4arch9wavefront6targetE0EEEvT1_, .Lfunc_end811-_ZN7rocprim17ROCPRIM_400000_NS6detail17trampoline_kernelINS0_14default_configENS1_33run_length_encode_config_selectorItjNS0_4plusIjEEEEZZNS1_33reduce_by_key_impl_wrapped_configILNS1_25lookback_scan_determinismE0ES3_S7_PKtNS0_17constant_iteratorIjlEEPtPlSF_S6_NS0_8equal_toItEEEE10hipError_tPvRmT2_T3_mT4_T5_T6_T7_T8_P12ihipStream_tbENKUlT_T0_E_clISt17integral_constantIbLb1EESY_IbLb0EEEEDaSU_SV_EUlSU_E_NS1_11comp_targetILNS1_3genE10ELNS1_11target_archE1200ELNS1_3gpuE4ELNS1_3repE0EEENS1_30default_config_static_selectorELNS0_4arch9wavefront6targetE0EEEvT1_
                                        ; -- End function
	.set _ZN7rocprim17ROCPRIM_400000_NS6detail17trampoline_kernelINS0_14default_configENS1_33run_length_encode_config_selectorItjNS0_4plusIjEEEEZZNS1_33reduce_by_key_impl_wrapped_configILNS1_25lookback_scan_determinismE0ES3_S7_PKtNS0_17constant_iteratorIjlEEPtPlSF_S6_NS0_8equal_toItEEEE10hipError_tPvRmT2_T3_mT4_T5_T6_T7_T8_P12ihipStream_tbENKUlT_T0_E_clISt17integral_constantIbLb1EESY_IbLb0EEEEDaSU_SV_EUlSU_E_NS1_11comp_targetILNS1_3genE10ELNS1_11target_archE1200ELNS1_3gpuE4ELNS1_3repE0EEENS1_30default_config_static_selectorELNS0_4arch9wavefront6targetE0EEEvT1_.num_vgpr, 0
	.set _ZN7rocprim17ROCPRIM_400000_NS6detail17trampoline_kernelINS0_14default_configENS1_33run_length_encode_config_selectorItjNS0_4plusIjEEEEZZNS1_33reduce_by_key_impl_wrapped_configILNS1_25lookback_scan_determinismE0ES3_S7_PKtNS0_17constant_iteratorIjlEEPtPlSF_S6_NS0_8equal_toItEEEE10hipError_tPvRmT2_T3_mT4_T5_T6_T7_T8_P12ihipStream_tbENKUlT_T0_E_clISt17integral_constantIbLb1EESY_IbLb0EEEEDaSU_SV_EUlSU_E_NS1_11comp_targetILNS1_3genE10ELNS1_11target_archE1200ELNS1_3gpuE4ELNS1_3repE0EEENS1_30default_config_static_selectorELNS0_4arch9wavefront6targetE0EEEvT1_.num_agpr, 0
	.set _ZN7rocprim17ROCPRIM_400000_NS6detail17trampoline_kernelINS0_14default_configENS1_33run_length_encode_config_selectorItjNS0_4plusIjEEEEZZNS1_33reduce_by_key_impl_wrapped_configILNS1_25lookback_scan_determinismE0ES3_S7_PKtNS0_17constant_iteratorIjlEEPtPlSF_S6_NS0_8equal_toItEEEE10hipError_tPvRmT2_T3_mT4_T5_T6_T7_T8_P12ihipStream_tbENKUlT_T0_E_clISt17integral_constantIbLb1EESY_IbLb0EEEEDaSU_SV_EUlSU_E_NS1_11comp_targetILNS1_3genE10ELNS1_11target_archE1200ELNS1_3gpuE4ELNS1_3repE0EEENS1_30default_config_static_selectorELNS0_4arch9wavefront6targetE0EEEvT1_.numbered_sgpr, 0
	.set _ZN7rocprim17ROCPRIM_400000_NS6detail17trampoline_kernelINS0_14default_configENS1_33run_length_encode_config_selectorItjNS0_4plusIjEEEEZZNS1_33reduce_by_key_impl_wrapped_configILNS1_25lookback_scan_determinismE0ES3_S7_PKtNS0_17constant_iteratorIjlEEPtPlSF_S6_NS0_8equal_toItEEEE10hipError_tPvRmT2_T3_mT4_T5_T6_T7_T8_P12ihipStream_tbENKUlT_T0_E_clISt17integral_constantIbLb1EESY_IbLb0EEEEDaSU_SV_EUlSU_E_NS1_11comp_targetILNS1_3genE10ELNS1_11target_archE1200ELNS1_3gpuE4ELNS1_3repE0EEENS1_30default_config_static_selectorELNS0_4arch9wavefront6targetE0EEEvT1_.num_named_barrier, 0
	.set _ZN7rocprim17ROCPRIM_400000_NS6detail17trampoline_kernelINS0_14default_configENS1_33run_length_encode_config_selectorItjNS0_4plusIjEEEEZZNS1_33reduce_by_key_impl_wrapped_configILNS1_25lookback_scan_determinismE0ES3_S7_PKtNS0_17constant_iteratorIjlEEPtPlSF_S6_NS0_8equal_toItEEEE10hipError_tPvRmT2_T3_mT4_T5_T6_T7_T8_P12ihipStream_tbENKUlT_T0_E_clISt17integral_constantIbLb1EESY_IbLb0EEEEDaSU_SV_EUlSU_E_NS1_11comp_targetILNS1_3genE10ELNS1_11target_archE1200ELNS1_3gpuE4ELNS1_3repE0EEENS1_30default_config_static_selectorELNS0_4arch9wavefront6targetE0EEEvT1_.private_seg_size, 0
	.set _ZN7rocprim17ROCPRIM_400000_NS6detail17trampoline_kernelINS0_14default_configENS1_33run_length_encode_config_selectorItjNS0_4plusIjEEEEZZNS1_33reduce_by_key_impl_wrapped_configILNS1_25lookback_scan_determinismE0ES3_S7_PKtNS0_17constant_iteratorIjlEEPtPlSF_S6_NS0_8equal_toItEEEE10hipError_tPvRmT2_T3_mT4_T5_T6_T7_T8_P12ihipStream_tbENKUlT_T0_E_clISt17integral_constantIbLb1EESY_IbLb0EEEEDaSU_SV_EUlSU_E_NS1_11comp_targetILNS1_3genE10ELNS1_11target_archE1200ELNS1_3gpuE4ELNS1_3repE0EEENS1_30default_config_static_selectorELNS0_4arch9wavefront6targetE0EEEvT1_.uses_vcc, 0
	.set _ZN7rocprim17ROCPRIM_400000_NS6detail17trampoline_kernelINS0_14default_configENS1_33run_length_encode_config_selectorItjNS0_4plusIjEEEEZZNS1_33reduce_by_key_impl_wrapped_configILNS1_25lookback_scan_determinismE0ES3_S7_PKtNS0_17constant_iteratorIjlEEPtPlSF_S6_NS0_8equal_toItEEEE10hipError_tPvRmT2_T3_mT4_T5_T6_T7_T8_P12ihipStream_tbENKUlT_T0_E_clISt17integral_constantIbLb1EESY_IbLb0EEEEDaSU_SV_EUlSU_E_NS1_11comp_targetILNS1_3genE10ELNS1_11target_archE1200ELNS1_3gpuE4ELNS1_3repE0EEENS1_30default_config_static_selectorELNS0_4arch9wavefront6targetE0EEEvT1_.uses_flat_scratch, 0
	.set _ZN7rocprim17ROCPRIM_400000_NS6detail17trampoline_kernelINS0_14default_configENS1_33run_length_encode_config_selectorItjNS0_4plusIjEEEEZZNS1_33reduce_by_key_impl_wrapped_configILNS1_25lookback_scan_determinismE0ES3_S7_PKtNS0_17constant_iteratorIjlEEPtPlSF_S6_NS0_8equal_toItEEEE10hipError_tPvRmT2_T3_mT4_T5_T6_T7_T8_P12ihipStream_tbENKUlT_T0_E_clISt17integral_constantIbLb1EESY_IbLb0EEEEDaSU_SV_EUlSU_E_NS1_11comp_targetILNS1_3genE10ELNS1_11target_archE1200ELNS1_3gpuE4ELNS1_3repE0EEENS1_30default_config_static_selectorELNS0_4arch9wavefront6targetE0EEEvT1_.has_dyn_sized_stack, 0
	.set _ZN7rocprim17ROCPRIM_400000_NS6detail17trampoline_kernelINS0_14default_configENS1_33run_length_encode_config_selectorItjNS0_4plusIjEEEEZZNS1_33reduce_by_key_impl_wrapped_configILNS1_25lookback_scan_determinismE0ES3_S7_PKtNS0_17constant_iteratorIjlEEPtPlSF_S6_NS0_8equal_toItEEEE10hipError_tPvRmT2_T3_mT4_T5_T6_T7_T8_P12ihipStream_tbENKUlT_T0_E_clISt17integral_constantIbLb1EESY_IbLb0EEEEDaSU_SV_EUlSU_E_NS1_11comp_targetILNS1_3genE10ELNS1_11target_archE1200ELNS1_3gpuE4ELNS1_3repE0EEENS1_30default_config_static_selectorELNS0_4arch9wavefront6targetE0EEEvT1_.has_recursion, 0
	.set _ZN7rocprim17ROCPRIM_400000_NS6detail17trampoline_kernelINS0_14default_configENS1_33run_length_encode_config_selectorItjNS0_4plusIjEEEEZZNS1_33reduce_by_key_impl_wrapped_configILNS1_25lookback_scan_determinismE0ES3_S7_PKtNS0_17constant_iteratorIjlEEPtPlSF_S6_NS0_8equal_toItEEEE10hipError_tPvRmT2_T3_mT4_T5_T6_T7_T8_P12ihipStream_tbENKUlT_T0_E_clISt17integral_constantIbLb1EESY_IbLb0EEEEDaSU_SV_EUlSU_E_NS1_11comp_targetILNS1_3genE10ELNS1_11target_archE1200ELNS1_3gpuE4ELNS1_3repE0EEENS1_30default_config_static_selectorELNS0_4arch9wavefront6targetE0EEEvT1_.has_indirect_call, 0
	.section	.AMDGPU.csdata,"",@progbits
; Kernel info:
; codeLenInByte = 0
; TotalNumSgprs: 0
; NumVgprs: 0
; ScratchSize: 0
; MemoryBound: 0
; FloatMode: 240
; IeeeMode: 1
; LDSByteSize: 0 bytes/workgroup (compile time only)
; SGPRBlocks: 0
; VGPRBlocks: 0
; NumSGPRsForWavesPerEU: 1
; NumVGPRsForWavesPerEU: 1
; NamedBarCnt: 0
; Occupancy: 16
; WaveLimiterHint : 0
; COMPUTE_PGM_RSRC2:SCRATCH_EN: 0
; COMPUTE_PGM_RSRC2:USER_SGPR: 2
; COMPUTE_PGM_RSRC2:TRAP_HANDLER: 0
; COMPUTE_PGM_RSRC2:TGID_X_EN: 1
; COMPUTE_PGM_RSRC2:TGID_Y_EN: 0
; COMPUTE_PGM_RSRC2:TGID_Z_EN: 0
; COMPUTE_PGM_RSRC2:TIDIG_COMP_CNT: 0
	.section	.text._ZN7rocprim17ROCPRIM_400000_NS6detail17trampoline_kernelINS0_14default_configENS1_33run_length_encode_config_selectorItjNS0_4plusIjEEEEZZNS1_33reduce_by_key_impl_wrapped_configILNS1_25lookback_scan_determinismE0ES3_S7_PKtNS0_17constant_iteratorIjlEEPtPlSF_S6_NS0_8equal_toItEEEE10hipError_tPvRmT2_T3_mT4_T5_T6_T7_T8_P12ihipStream_tbENKUlT_T0_E_clISt17integral_constantIbLb1EESY_IbLb0EEEEDaSU_SV_EUlSU_E_NS1_11comp_targetILNS1_3genE9ELNS1_11target_archE1100ELNS1_3gpuE3ELNS1_3repE0EEENS1_30default_config_static_selectorELNS0_4arch9wavefront6targetE0EEEvT1_,"axG",@progbits,_ZN7rocprim17ROCPRIM_400000_NS6detail17trampoline_kernelINS0_14default_configENS1_33run_length_encode_config_selectorItjNS0_4plusIjEEEEZZNS1_33reduce_by_key_impl_wrapped_configILNS1_25lookback_scan_determinismE0ES3_S7_PKtNS0_17constant_iteratorIjlEEPtPlSF_S6_NS0_8equal_toItEEEE10hipError_tPvRmT2_T3_mT4_T5_T6_T7_T8_P12ihipStream_tbENKUlT_T0_E_clISt17integral_constantIbLb1EESY_IbLb0EEEEDaSU_SV_EUlSU_E_NS1_11comp_targetILNS1_3genE9ELNS1_11target_archE1100ELNS1_3gpuE3ELNS1_3repE0EEENS1_30default_config_static_selectorELNS0_4arch9wavefront6targetE0EEEvT1_,comdat
	.protected	_ZN7rocprim17ROCPRIM_400000_NS6detail17trampoline_kernelINS0_14default_configENS1_33run_length_encode_config_selectorItjNS0_4plusIjEEEEZZNS1_33reduce_by_key_impl_wrapped_configILNS1_25lookback_scan_determinismE0ES3_S7_PKtNS0_17constant_iteratorIjlEEPtPlSF_S6_NS0_8equal_toItEEEE10hipError_tPvRmT2_T3_mT4_T5_T6_T7_T8_P12ihipStream_tbENKUlT_T0_E_clISt17integral_constantIbLb1EESY_IbLb0EEEEDaSU_SV_EUlSU_E_NS1_11comp_targetILNS1_3genE9ELNS1_11target_archE1100ELNS1_3gpuE3ELNS1_3repE0EEENS1_30default_config_static_selectorELNS0_4arch9wavefront6targetE0EEEvT1_ ; -- Begin function _ZN7rocprim17ROCPRIM_400000_NS6detail17trampoline_kernelINS0_14default_configENS1_33run_length_encode_config_selectorItjNS0_4plusIjEEEEZZNS1_33reduce_by_key_impl_wrapped_configILNS1_25lookback_scan_determinismE0ES3_S7_PKtNS0_17constant_iteratorIjlEEPtPlSF_S6_NS0_8equal_toItEEEE10hipError_tPvRmT2_T3_mT4_T5_T6_T7_T8_P12ihipStream_tbENKUlT_T0_E_clISt17integral_constantIbLb1EESY_IbLb0EEEEDaSU_SV_EUlSU_E_NS1_11comp_targetILNS1_3genE9ELNS1_11target_archE1100ELNS1_3gpuE3ELNS1_3repE0EEENS1_30default_config_static_selectorELNS0_4arch9wavefront6targetE0EEEvT1_
	.globl	_ZN7rocprim17ROCPRIM_400000_NS6detail17trampoline_kernelINS0_14default_configENS1_33run_length_encode_config_selectorItjNS0_4plusIjEEEEZZNS1_33reduce_by_key_impl_wrapped_configILNS1_25lookback_scan_determinismE0ES3_S7_PKtNS0_17constant_iteratorIjlEEPtPlSF_S6_NS0_8equal_toItEEEE10hipError_tPvRmT2_T3_mT4_T5_T6_T7_T8_P12ihipStream_tbENKUlT_T0_E_clISt17integral_constantIbLb1EESY_IbLb0EEEEDaSU_SV_EUlSU_E_NS1_11comp_targetILNS1_3genE9ELNS1_11target_archE1100ELNS1_3gpuE3ELNS1_3repE0EEENS1_30default_config_static_selectorELNS0_4arch9wavefront6targetE0EEEvT1_
	.p2align	8
	.type	_ZN7rocprim17ROCPRIM_400000_NS6detail17trampoline_kernelINS0_14default_configENS1_33run_length_encode_config_selectorItjNS0_4plusIjEEEEZZNS1_33reduce_by_key_impl_wrapped_configILNS1_25lookback_scan_determinismE0ES3_S7_PKtNS0_17constant_iteratorIjlEEPtPlSF_S6_NS0_8equal_toItEEEE10hipError_tPvRmT2_T3_mT4_T5_T6_T7_T8_P12ihipStream_tbENKUlT_T0_E_clISt17integral_constantIbLb1EESY_IbLb0EEEEDaSU_SV_EUlSU_E_NS1_11comp_targetILNS1_3genE9ELNS1_11target_archE1100ELNS1_3gpuE3ELNS1_3repE0EEENS1_30default_config_static_selectorELNS0_4arch9wavefront6targetE0EEEvT1_,@function
_ZN7rocprim17ROCPRIM_400000_NS6detail17trampoline_kernelINS0_14default_configENS1_33run_length_encode_config_selectorItjNS0_4plusIjEEEEZZNS1_33reduce_by_key_impl_wrapped_configILNS1_25lookback_scan_determinismE0ES3_S7_PKtNS0_17constant_iteratorIjlEEPtPlSF_S6_NS0_8equal_toItEEEE10hipError_tPvRmT2_T3_mT4_T5_T6_T7_T8_P12ihipStream_tbENKUlT_T0_E_clISt17integral_constantIbLb1EESY_IbLb0EEEEDaSU_SV_EUlSU_E_NS1_11comp_targetILNS1_3genE9ELNS1_11target_archE1100ELNS1_3gpuE3ELNS1_3repE0EEENS1_30default_config_static_selectorELNS0_4arch9wavefront6targetE0EEEvT1_: ; @_ZN7rocprim17ROCPRIM_400000_NS6detail17trampoline_kernelINS0_14default_configENS1_33run_length_encode_config_selectorItjNS0_4plusIjEEEEZZNS1_33reduce_by_key_impl_wrapped_configILNS1_25lookback_scan_determinismE0ES3_S7_PKtNS0_17constant_iteratorIjlEEPtPlSF_S6_NS0_8equal_toItEEEE10hipError_tPvRmT2_T3_mT4_T5_T6_T7_T8_P12ihipStream_tbENKUlT_T0_E_clISt17integral_constantIbLb1EESY_IbLb0EEEEDaSU_SV_EUlSU_E_NS1_11comp_targetILNS1_3genE9ELNS1_11target_archE1100ELNS1_3gpuE3ELNS1_3repE0EEENS1_30default_config_static_selectorELNS0_4arch9wavefront6targetE0EEEvT1_
; %bb.0:
	.section	.rodata,"a",@progbits
	.p2align	6, 0x0
	.amdhsa_kernel _ZN7rocprim17ROCPRIM_400000_NS6detail17trampoline_kernelINS0_14default_configENS1_33run_length_encode_config_selectorItjNS0_4plusIjEEEEZZNS1_33reduce_by_key_impl_wrapped_configILNS1_25lookback_scan_determinismE0ES3_S7_PKtNS0_17constant_iteratorIjlEEPtPlSF_S6_NS0_8equal_toItEEEE10hipError_tPvRmT2_T3_mT4_T5_T6_T7_T8_P12ihipStream_tbENKUlT_T0_E_clISt17integral_constantIbLb1EESY_IbLb0EEEEDaSU_SV_EUlSU_E_NS1_11comp_targetILNS1_3genE9ELNS1_11target_archE1100ELNS1_3gpuE3ELNS1_3repE0EEENS1_30default_config_static_selectorELNS0_4arch9wavefront6targetE0EEEvT1_
		.amdhsa_group_segment_fixed_size 0
		.amdhsa_private_segment_fixed_size 0
		.amdhsa_kernarg_size 128
		.amdhsa_user_sgpr_count 2
		.amdhsa_user_sgpr_dispatch_ptr 0
		.amdhsa_user_sgpr_queue_ptr 0
		.amdhsa_user_sgpr_kernarg_segment_ptr 1
		.amdhsa_user_sgpr_dispatch_id 0
		.amdhsa_user_sgpr_kernarg_preload_length 0
		.amdhsa_user_sgpr_kernarg_preload_offset 0
		.amdhsa_user_sgpr_private_segment_size 0
		.amdhsa_wavefront_size32 1
		.amdhsa_uses_dynamic_stack 0
		.amdhsa_enable_private_segment 0
		.amdhsa_system_sgpr_workgroup_id_x 1
		.amdhsa_system_sgpr_workgroup_id_y 0
		.amdhsa_system_sgpr_workgroup_id_z 0
		.amdhsa_system_sgpr_workgroup_info 0
		.amdhsa_system_vgpr_workitem_id 0
		.amdhsa_next_free_vgpr 1
		.amdhsa_next_free_sgpr 1
		.amdhsa_named_barrier_count 0
		.amdhsa_reserve_vcc 0
		.amdhsa_float_round_mode_32 0
		.amdhsa_float_round_mode_16_64 0
		.amdhsa_float_denorm_mode_32 3
		.amdhsa_float_denorm_mode_16_64 3
		.amdhsa_fp16_overflow 0
		.amdhsa_memory_ordered 1
		.amdhsa_forward_progress 1
		.amdhsa_inst_pref_size 0
		.amdhsa_round_robin_scheduling 0
		.amdhsa_exception_fp_ieee_invalid_op 0
		.amdhsa_exception_fp_denorm_src 0
		.amdhsa_exception_fp_ieee_div_zero 0
		.amdhsa_exception_fp_ieee_overflow 0
		.amdhsa_exception_fp_ieee_underflow 0
		.amdhsa_exception_fp_ieee_inexact 0
		.amdhsa_exception_int_div_zero 0
	.end_amdhsa_kernel
	.section	.text._ZN7rocprim17ROCPRIM_400000_NS6detail17trampoline_kernelINS0_14default_configENS1_33run_length_encode_config_selectorItjNS0_4plusIjEEEEZZNS1_33reduce_by_key_impl_wrapped_configILNS1_25lookback_scan_determinismE0ES3_S7_PKtNS0_17constant_iteratorIjlEEPtPlSF_S6_NS0_8equal_toItEEEE10hipError_tPvRmT2_T3_mT4_T5_T6_T7_T8_P12ihipStream_tbENKUlT_T0_E_clISt17integral_constantIbLb1EESY_IbLb0EEEEDaSU_SV_EUlSU_E_NS1_11comp_targetILNS1_3genE9ELNS1_11target_archE1100ELNS1_3gpuE3ELNS1_3repE0EEENS1_30default_config_static_selectorELNS0_4arch9wavefront6targetE0EEEvT1_,"axG",@progbits,_ZN7rocprim17ROCPRIM_400000_NS6detail17trampoline_kernelINS0_14default_configENS1_33run_length_encode_config_selectorItjNS0_4plusIjEEEEZZNS1_33reduce_by_key_impl_wrapped_configILNS1_25lookback_scan_determinismE0ES3_S7_PKtNS0_17constant_iteratorIjlEEPtPlSF_S6_NS0_8equal_toItEEEE10hipError_tPvRmT2_T3_mT4_T5_T6_T7_T8_P12ihipStream_tbENKUlT_T0_E_clISt17integral_constantIbLb1EESY_IbLb0EEEEDaSU_SV_EUlSU_E_NS1_11comp_targetILNS1_3genE9ELNS1_11target_archE1100ELNS1_3gpuE3ELNS1_3repE0EEENS1_30default_config_static_selectorELNS0_4arch9wavefront6targetE0EEEvT1_,comdat
.Lfunc_end812:
	.size	_ZN7rocprim17ROCPRIM_400000_NS6detail17trampoline_kernelINS0_14default_configENS1_33run_length_encode_config_selectorItjNS0_4plusIjEEEEZZNS1_33reduce_by_key_impl_wrapped_configILNS1_25lookback_scan_determinismE0ES3_S7_PKtNS0_17constant_iteratorIjlEEPtPlSF_S6_NS0_8equal_toItEEEE10hipError_tPvRmT2_T3_mT4_T5_T6_T7_T8_P12ihipStream_tbENKUlT_T0_E_clISt17integral_constantIbLb1EESY_IbLb0EEEEDaSU_SV_EUlSU_E_NS1_11comp_targetILNS1_3genE9ELNS1_11target_archE1100ELNS1_3gpuE3ELNS1_3repE0EEENS1_30default_config_static_selectorELNS0_4arch9wavefront6targetE0EEEvT1_, .Lfunc_end812-_ZN7rocprim17ROCPRIM_400000_NS6detail17trampoline_kernelINS0_14default_configENS1_33run_length_encode_config_selectorItjNS0_4plusIjEEEEZZNS1_33reduce_by_key_impl_wrapped_configILNS1_25lookback_scan_determinismE0ES3_S7_PKtNS0_17constant_iteratorIjlEEPtPlSF_S6_NS0_8equal_toItEEEE10hipError_tPvRmT2_T3_mT4_T5_T6_T7_T8_P12ihipStream_tbENKUlT_T0_E_clISt17integral_constantIbLb1EESY_IbLb0EEEEDaSU_SV_EUlSU_E_NS1_11comp_targetILNS1_3genE9ELNS1_11target_archE1100ELNS1_3gpuE3ELNS1_3repE0EEENS1_30default_config_static_selectorELNS0_4arch9wavefront6targetE0EEEvT1_
                                        ; -- End function
	.set _ZN7rocprim17ROCPRIM_400000_NS6detail17trampoline_kernelINS0_14default_configENS1_33run_length_encode_config_selectorItjNS0_4plusIjEEEEZZNS1_33reduce_by_key_impl_wrapped_configILNS1_25lookback_scan_determinismE0ES3_S7_PKtNS0_17constant_iteratorIjlEEPtPlSF_S6_NS0_8equal_toItEEEE10hipError_tPvRmT2_T3_mT4_T5_T6_T7_T8_P12ihipStream_tbENKUlT_T0_E_clISt17integral_constantIbLb1EESY_IbLb0EEEEDaSU_SV_EUlSU_E_NS1_11comp_targetILNS1_3genE9ELNS1_11target_archE1100ELNS1_3gpuE3ELNS1_3repE0EEENS1_30default_config_static_selectorELNS0_4arch9wavefront6targetE0EEEvT1_.num_vgpr, 0
	.set _ZN7rocprim17ROCPRIM_400000_NS6detail17trampoline_kernelINS0_14default_configENS1_33run_length_encode_config_selectorItjNS0_4plusIjEEEEZZNS1_33reduce_by_key_impl_wrapped_configILNS1_25lookback_scan_determinismE0ES3_S7_PKtNS0_17constant_iteratorIjlEEPtPlSF_S6_NS0_8equal_toItEEEE10hipError_tPvRmT2_T3_mT4_T5_T6_T7_T8_P12ihipStream_tbENKUlT_T0_E_clISt17integral_constantIbLb1EESY_IbLb0EEEEDaSU_SV_EUlSU_E_NS1_11comp_targetILNS1_3genE9ELNS1_11target_archE1100ELNS1_3gpuE3ELNS1_3repE0EEENS1_30default_config_static_selectorELNS0_4arch9wavefront6targetE0EEEvT1_.num_agpr, 0
	.set _ZN7rocprim17ROCPRIM_400000_NS6detail17trampoline_kernelINS0_14default_configENS1_33run_length_encode_config_selectorItjNS0_4plusIjEEEEZZNS1_33reduce_by_key_impl_wrapped_configILNS1_25lookback_scan_determinismE0ES3_S7_PKtNS0_17constant_iteratorIjlEEPtPlSF_S6_NS0_8equal_toItEEEE10hipError_tPvRmT2_T3_mT4_T5_T6_T7_T8_P12ihipStream_tbENKUlT_T0_E_clISt17integral_constantIbLb1EESY_IbLb0EEEEDaSU_SV_EUlSU_E_NS1_11comp_targetILNS1_3genE9ELNS1_11target_archE1100ELNS1_3gpuE3ELNS1_3repE0EEENS1_30default_config_static_selectorELNS0_4arch9wavefront6targetE0EEEvT1_.numbered_sgpr, 0
	.set _ZN7rocprim17ROCPRIM_400000_NS6detail17trampoline_kernelINS0_14default_configENS1_33run_length_encode_config_selectorItjNS0_4plusIjEEEEZZNS1_33reduce_by_key_impl_wrapped_configILNS1_25lookback_scan_determinismE0ES3_S7_PKtNS0_17constant_iteratorIjlEEPtPlSF_S6_NS0_8equal_toItEEEE10hipError_tPvRmT2_T3_mT4_T5_T6_T7_T8_P12ihipStream_tbENKUlT_T0_E_clISt17integral_constantIbLb1EESY_IbLb0EEEEDaSU_SV_EUlSU_E_NS1_11comp_targetILNS1_3genE9ELNS1_11target_archE1100ELNS1_3gpuE3ELNS1_3repE0EEENS1_30default_config_static_selectorELNS0_4arch9wavefront6targetE0EEEvT1_.num_named_barrier, 0
	.set _ZN7rocprim17ROCPRIM_400000_NS6detail17trampoline_kernelINS0_14default_configENS1_33run_length_encode_config_selectorItjNS0_4plusIjEEEEZZNS1_33reduce_by_key_impl_wrapped_configILNS1_25lookback_scan_determinismE0ES3_S7_PKtNS0_17constant_iteratorIjlEEPtPlSF_S6_NS0_8equal_toItEEEE10hipError_tPvRmT2_T3_mT4_T5_T6_T7_T8_P12ihipStream_tbENKUlT_T0_E_clISt17integral_constantIbLb1EESY_IbLb0EEEEDaSU_SV_EUlSU_E_NS1_11comp_targetILNS1_3genE9ELNS1_11target_archE1100ELNS1_3gpuE3ELNS1_3repE0EEENS1_30default_config_static_selectorELNS0_4arch9wavefront6targetE0EEEvT1_.private_seg_size, 0
	.set _ZN7rocprim17ROCPRIM_400000_NS6detail17trampoline_kernelINS0_14default_configENS1_33run_length_encode_config_selectorItjNS0_4plusIjEEEEZZNS1_33reduce_by_key_impl_wrapped_configILNS1_25lookback_scan_determinismE0ES3_S7_PKtNS0_17constant_iteratorIjlEEPtPlSF_S6_NS0_8equal_toItEEEE10hipError_tPvRmT2_T3_mT4_T5_T6_T7_T8_P12ihipStream_tbENKUlT_T0_E_clISt17integral_constantIbLb1EESY_IbLb0EEEEDaSU_SV_EUlSU_E_NS1_11comp_targetILNS1_3genE9ELNS1_11target_archE1100ELNS1_3gpuE3ELNS1_3repE0EEENS1_30default_config_static_selectorELNS0_4arch9wavefront6targetE0EEEvT1_.uses_vcc, 0
	.set _ZN7rocprim17ROCPRIM_400000_NS6detail17trampoline_kernelINS0_14default_configENS1_33run_length_encode_config_selectorItjNS0_4plusIjEEEEZZNS1_33reduce_by_key_impl_wrapped_configILNS1_25lookback_scan_determinismE0ES3_S7_PKtNS0_17constant_iteratorIjlEEPtPlSF_S6_NS0_8equal_toItEEEE10hipError_tPvRmT2_T3_mT4_T5_T6_T7_T8_P12ihipStream_tbENKUlT_T0_E_clISt17integral_constantIbLb1EESY_IbLb0EEEEDaSU_SV_EUlSU_E_NS1_11comp_targetILNS1_3genE9ELNS1_11target_archE1100ELNS1_3gpuE3ELNS1_3repE0EEENS1_30default_config_static_selectorELNS0_4arch9wavefront6targetE0EEEvT1_.uses_flat_scratch, 0
	.set _ZN7rocprim17ROCPRIM_400000_NS6detail17trampoline_kernelINS0_14default_configENS1_33run_length_encode_config_selectorItjNS0_4plusIjEEEEZZNS1_33reduce_by_key_impl_wrapped_configILNS1_25lookback_scan_determinismE0ES3_S7_PKtNS0_17constant_iteratorIjlEEPtPlSF_S6_NS0_8equal_toItEEEE10hipError_tPvRmT2_T3_mT4_T5_T6_T7_T8_P12ihipStream_tbENKUlT_T0_E_clISt17integral_constantIbLb1EESY_IbLb0EEEEDaSU_SV_EUlSU_E_NS1_11comp_targetILNS1_3genE9ELNS1_11target_archE1100ELNS1_3gpuE3ELNS1_3repE0EEENS1_30default_config_static_selectorELNS0_4arch9wavefront6targetE0EEEvT1_.has_dyn_sized_stack, 0
	.set _ZN7rocprim17ROCPRIM_400000_NS6detail17trampoline_kernelINS0_14default_configENS1_33run_length_encode_config_selectorItjNS0_4plusIjEEEEZZNS1_33reduce_by_key_impl_wrapped_configILNS1_25lookback_scan_determinismE0ES3_S7_PKtNS0_17constant_iteratorIjlEEPtPlSF_S6_NS0_8equal_toItEEEE10hipError_tPvRmT2_T3_mT4_T5_T6_T7_T8_P12ihipStream_tbENKUlT_T0_E_clISt17integral_constantIbLb1EESY_IbLb0EEEEDaSU_SV_EUlSU_E_NS1_11comp_targetILNS1_3genE9ELNS1_11target_archE1100ELNS1_3gpuE3ELNS1_3repE0EEENS1_30default_config_static_selectorELNS0_4arch9wavefront6targetE0EEEvT1_.has_recursion, 0
	.set _ZN7rocprim17ROCPRIM_400000_NS6detail17trampoline_kernelINS0_14default_configENS1_33run_length_encode_config_selectorItjNS0_4plusIjEEEEZZNS1_33reduce_by_key_impl_wrapped_configILNS1_25lookback_scan_determinismE0ES3_S7_PKtNS0_17constant_iteratorIjlEEPtPlSF_S6_NS0_8equal_toItEEEE10hipError_tPvRmT2_T3_mT4_T5_T6_T7_T8_P12ihipStream_tbENKUlT_T0_E_clISt17integral_constantIbLb1EESY_IbLb0EEEEDaSU_SV_EUlSU_E_NS1_11comp_targetILNS1_3genE9ELNS1_11target_archE1100ELNS1_3gpuE3ELNS1_3repE0EEENS1_30default_config_static_selectorELNS0_4arch9wavefront6targetE0EEEvT1_.has_indirect_call, 0
	.section	.AMDGPU.csdata,"",@progbits
; Kernel info:
; codeLenInByte = 0
; TotalNumSgprs: 0
; NumVgprs: 0
; ScratchSize: 0
; MemoryBound: 0
; FloatMode: 240
; IeeeMode: 1
; LDSByteSize: 0 bytes/workgroup (compile time only)
; SGPRBlocks: 0
; VGPRBlocks: 0
; NumSGPRsForWavesPerEU: 1
; NumVGPRsForWavesPerEU: 1
; NamedBarCnt: 0
; Occupancy: 16
; WaveLimiterHint : 0
; COMPUTE_PGM_RSRC2:SCRATCH_EN: 0
; COMPUTE_PGM_RSRC2:USER_SGPR: 2
; COMPUTE_PGM_RSRC2:TRAP_HANDLER: 0
; COMPUTE_PGM_RSRC2:TGID_X_EN: 1
; COMPUTE_PGM_RSRC2:TGID_Y_EN: 0
; COMPUTE_PGM_RSRC2:TGID_Z_EN: 0
; COMPUTE_PGM_RSRC2:TIDIG_COMP_CNT: 0
	.section	.text._ZN7rocprim17ROCPRIM_400000_NS6detail17trampoline_kernelINS0_14default_configENS1_33run_length_encode_config_selectorItjNS0_4plusIjEEEEZZNS1_33reduce_by_key_impl_wrapped_configILNS1_25lookback_scan_determinismE0ES3_S7_PKtNS0_17constant_iteratorIjlEEPtPlSF_S6_NS0_8equal_toItEEEE10hipError_tPvRmT2_T3_mT4_T5_T6_T7_T8_P12ihipStream_tbENKUlT_T0_E_clISt17integral_constantIbLb1EESY_IbLb0EEEEDaSU_SV_EUlSU_E_NS1_11comp_targetILNS1_3genE8ELNS1_11target_archE1030ELNS1_3gpuE2ELNS1_3repE0EEENS1_30default_config_static_selectorELNS0_4arch9wavefront6targetE0EEEvT1_,"axG",@progbits,_ZN7rocprim17ROCPRIM_400000_NS6detail17trampoline_kernelINS0_14default_configENS1_33run_length_encode_config_selectorItjNS0_4plusIjEEEEZZNS1_33reduce_by_key_impl_wrapped_configILNS1_25lookback_scan_determinismE0ES3_S7_PKtNS0_17constant_iteratorIjlEEPtPlSF_S6_NS0_8equal_toItEEEE10hipError_tPvRmT2_T3_mT4_T5_T6_T7_T8_P12ihipStream_tbENKUlT_T0_E_clISt17integral_constantIbLb1EESY_IbLb0EEEEDaSU_SV_EUlSU_E_NS1_11comp_targetILNS1_3genE8ELNS1_11target_archE1030ELNS1_3gpuE2ELNS1_3repE0EEENS1_30default_config_static_selectorELNS0_4arch9wavefront6targetE0EEEvT1_,comdat
	.protected	_ZN7rocprim17ROCPRIM_400000_NS6detail17trampoline_kernelINS0_14default_configENS1_33run_length_encode_config_selectorItjNS0_4plusIjEEEEZZNS1_33reduce_by_key_impl_wrapped_configILNS1_25lookback_scan_determinismE0ES3_S7_PKtNS0_17constant_iteratorIjlEEPtPlSF_S6_NS0_8equal_toItEEEE10hipError_tPvRmT2_T3_mT4_T5_T6_T7_T8_P12ihipStream_tbENKUlT_T0_E_clISt17integral_constantIbLb1EESY_IbLb0EEEEDaSU_SV_EUlSU_E_NS1_11comp_targetILNS1_3genE8ELNS1_11target_archE1030ELNS1_3gpuE2ELNS1_3repE0EEENS1_30default_config_static_selectorELNS0_4arch9wavefront6targetE0EEEvT1_ ; -- Begin function _ZN7rocprim17ROCPRIM_400000_NS6detail17trampoline_kernelINS0_14default_configENS1_33run_length_encode_config_selectorItjNS0_4plusIjEEEEZZNS1_33reduce_by_key_impl_wrapped_configILNS1_25lookback_scan_determinismE0ES3_S7_PKtNS0_17constant_iteratorIjlEEPtPlSF_S6_NS0_8equal_toItEEEE10hipError_tPvRmT2_T3_mT4_T5_T6_T7_T8_P12ihipStream_tbENKUlT_T0_E_clISt17integral_constantIbLb1EESY_IbLb0EEEEDaSU_SV_EUlSU_E_NS1_11comp_targetILNS1_3genE8ELNS1_11target_archE1030ELNS1_3gpuE2ELNS1_3repE0EEENS1_30default_config_static_selectorELNS0_4arch9wavefront6targetE0EEEvT1_
	.globl	_ZN7rocprim17ROCPRIM_400000_NS6detail17trampoline_kernelINS0_14default_configENS1_33run_length_encode_config_selectorItjNS0_4plusIjEEEEZZNS1_33reduce_by_key_impl_wrapped_configILNS1_25lookback_scan_determinismE0ES3_S7_PKtNS0_17constant_iteratorIjlEEPtPlSF_S6_NS0_8equal_toItEEEE10hipError_tPvRmT2_T3_mT4_T5_T6_T7_T8_P12ihipStream_tbENKUlT_T0_E_clISt17integral_constantIbLb1EESY_IbLb0EEEEDaSU_SV_EUlSU_E_NS1_11comp_targetILNS1_3genE8ELNS1_11target_archE1030ELNS1_3gpuE2ELNS1_3repE0EEENS1_30default_config_static_selectorELNS0_4arch9wavefront6targetE0EEEvT1_
	.p2align	8
	.type	_ZN7rocprim17ROCPRIM_400000_NS6detail17trampoline_kernelINS0_14default_configENS1_33run_length_encode_config_selectorItjNS0_4plusIjEEEEZZNS1_33reduce_by_key_impl_wrapped_configILNS1_25lookback_scan_determinismE0ES3_S7_PKtNS0_17constant_iteratorIjlEEPtPlSF_S6_NS0_8equal_toItEEEE10hipError_tPvRmT2_T3_mT4_T5_T6_T7_T8_P12ihipStream_tbENKUlT_T0_E_clISt17integral_constantIbLb1EESY_IbLb0EEEEDaSU_SV_EUlSU_E_NS1_11comp_targetILNS1_3genE8ELNS1_11target_archE1030ELNS1_3gpuE2ELNS1_3repE0EEENS1_30default_config_static_selectorELNS0_4arch9wavefront6targetE0EEEvT1_,@function
_ZN7rocprim17ROCPRIM_400000_NS6detail17trampoline_kernelINS0_14default_configENS1_33run_length_encode_config_selectorItjNS0_4plusIjEEEEZZNS1_33reduce_by_key_impl_wrapped_configILNS1_25lookback_scan_determinismE0ES3_S7_PKtNS0_17constant_iteratorIjlEEPtPlSF_S6_NS0_8equal_toItEEEE10hipError_tPvRmT2_T3_mT4_T5_T6_T7_T8_P12ihipStream_tbENKUlT_T0_E_clISt17integral_constantIbLb1EESY_IbLb0EEEEDaSU_SV_EUlSU_E_NS1_11comp_targetILNS1_3genE8ELNS1_11target_archE1030ELNS1_3gpuE2ELNS1_3repE0EEENS1_30default_config_static_selectorELNS0_4arch9wavefront6targetE0EEEvT1_: ; @_ZN7rocprim17ROCPRIM_400000_NS6detail17trampoline_kernelINS0_14default_configENS1_33run_length_encode_config_selectorItjNS0_4plusIjEEEEZZNS1_33reduce_by_key_impl_wrapped_configILNS1_25lookback_scan_determinismE0ES3_S7_PKtNS0_17constant_iteratorIjlEEPtPlSF_S6_NS0_8equal_toItEEEE10hipError_tPvRmT2_T3_mT4_T5_T6_T7_T8_P12ihipStream_tbENKUlT_T0_E_clISt17integral_constantIbLb1EESY_IbLb0EEEEDaSU_SV_EUlSU_E_NS1_11comp_targetILNS1_3genE8ELNS1_11target_archE1030ELNS1_3gpuE2ELNS1_3repE0EEENS1_30default_config_static_selectorELNS0_4arch9wavefront6targetE0EEEvT1_
; %bb.0:
	.section	.rodata,"a",@progbits
	.p2align	6, 0x0
	.amdhsa_kernel _ZN7rocprim17ROCPRIM_400000_NS6detail17trampoline_kernelINS0_14default_configENS1_33run_length_encode_config_selectorItjNS0_4plusIjEEEEZZNS1_33reduce_by_key_impl_wrapped_configILNS1_25lookback_scan_determinismE0ES3_S7_PKtNS0_17constant_iteratorIjlEEPtPlSF_S6_NS0_8equal_toItEEEE10hipError_tPvRmT2_T3_mT4_T5_T6_T7_T8_P12ihipStream_tbENKUlT_T0_E_clISt17integral_constantIbLb1EESY_IbLb0EEEEDaSU_SV_EUlSU_E_NS1_11comp_targetILNS1_3genE8ELNS1_11target_archE1030ELNS1_3gpuE2ELNS1_3repE0EEENS1_30default_config_static_selectorELNS0_4arch9wavefront6targetE0EEEvT1_
		.amdhsa_group_segment_fixed_size 0
		.amdhsa_private_segment_fixed_size 0
		.amdhsa_kernarg_size 128
		.amdhsa_user_sgpr_count 2
		.amdhsa_user_sgpr_dispatch_ptr 0
		.amdhsa_user_sgpr_queue_ptr 0
		.amdhsa_user_sgpr_kernarg_segment_ptr 1
		.amdhsa_user_sgpr_dispatch_id 0
		.amdhsa_user_sgpr_kernarg_preload_length 0
		.amdhsa_user_sgpr_kernarg_preload_offset 0
		.amdhsa_user_sgpr_private_segment_size 0
		.amdhsa_wavefront_size32 1
		.amdhsa_uses_dynamic_stack 0
		.amdhsa_enable_private_segment 0
		.amdhsa_system_sgpr_workgroup_id_x 1
		.amdhsa_system_sgpr_workgroup_id_y 0
		.amdhsa_system_sgpr_workgroup_id_z 0
		.amdhsa_system_sgpr_workgroup_info 0
		.amdhsa_system_vgpr_workitem_id 0
		.amdhsa_next_free_vgpr 1
		.amdhsa_next_free_sgpr 1
		.amdhsa_named_barrier_count 0
		.amdhsa_reserve_vcc 0
		.amdhsa_float_round_mode_32 0
		.amdhsa_float_round_mode_16_64 0
		.amdhsa_float_denorm_mode_32 3
		.amdhsa_float_denorm_mode_16_64 3
		.amdhsa_fp16_overflow 0
		.amdhsa_memory_ordered 1
		.amdhsa_forward_progress 1
		.amdhsa_inst_pref_size 0
		.amdhsa_round_robin_scheduling 0
		.amdhsa_exception_fp_ieee_invalid_op 0
		.amdhsa_exception_fp_denorm_src 0
		.amdhsa_exception_fp_ieee_div_zero 0
		.amdhsa_exception_fp_ieee_overflow 0
		.amdhsa_exception_fp_ieee_underflow 0
		.amdhsa_exception_fp_ieee_inexact 0
		.amdhsa_exception_int_div_zero 0
	.end_amdhsa_kernel
	.section	.text._ZN7rocprim17ROCPRIM_400000_NS6detail17trampoline_kernelINS0_14default_configENS1_33run_length_encode_config_selectorItjNS0_4plusIjEEEEZZNS1_33reduce_by_key_impl_wrapped_configILNS1_25lookback_scan_determinismE0ES3_S7_PKtNS0_17constant_iteratorIjlEEPtPlSF_S6_NS0_8equal_toItEEEE10hipError_tPvRmT2_T3_mT4_T5_T6_T7_T8_P12ihipStream_tbENKUlT_T0_E_clISt17integral_constantIbLb1EESY_IbLb0EEEEDaSU_SV_EUlSU_E_NS1_11comp_targetILNS1_3genE8ELNS1_11target_archE1030ELNS1_3gpuE2ELNS1_3repE0EEENS1_30default_config_static_selectorELNS0_4arch9wavefront6targetE0EEEvT1_,"axG",@progbits,_ZN7rocprim17ROCPRIM_400000_NS6detail17trampoline_kernelINS0_14default_configENS1_33run_length_encode_config_selectorItjNS0_4plusIjEEEEZZNS1_33reduce_by_key_impl_wrapped_configILNS1_25lookback_scan_determinismE0ES3_S7_PKtNS0_17constant_iteratorIjlEEPtPlSF_S6_NS0_8equal_toItEEEE10hipError_tPvRmT2_T3_mT4_T5_T6_T7_T8_P12ihipStream_tbENKUlT_T0_E_clISt17integral_constantIbLb1EESY_IbLb0EEEEDaSU_SV_EUlSU_E_NS1_11comp_targetILNS1_3genE8ELNS1_11target_archE1030ELNS1_3gpuE2ELNS1_3repE0EEENS1_30default_config_static_selectorELNS0_4arch9wavefront6targetE0EEEvT1_,comdat
.Lfunc_end813:
	.size	_ZN7rocprim17ROCPRIM_400000_NS6detail17trampoline_kernelINS0_14default_configENS1_33run_length_encode_config_selectorItjNS0_4plusIjEEEEZZNS1_33reduce_by_key_impl_wrapped_configILNS1_25lookback_scan_determinismE0ES3_S7_PKtNS0_17constant_iteratorIjlEEPtPlSF_S6_NS0_8equal_toItEEEE10hipError_tPvRmT2_T3_mT4_T5_T6_T7_T8_P12ihipStream_tbENKUlT_T0_E_clISt17integral_constantIbLb1EESY_IbLb0EEEEDaSU_SV_EUlSU_E_NS1_11comp_targetILNS1_3genE8ELNS1_11target_archE1030ELNS1_3gpuE2ELNS1_3repE0EEENS1_30default_config_static_selectorELNS0_4arch9wavefront6targetE0EEEvT1_, .Lfunc_end813-_ZN7rocprim17ROCPRIM_400000_NS6detail17trampoline_kernelINS0_14default_configENS1_33run_length_encode_config_selectorItjNS0_4plusIjEEEEZZNS1_33reduce_by_key_impl_wrapped_configILNS1_25lookback_scan_determinismE0ES3_S7_PKtNS0_17constant_iteratorIjlEEPtPlSF_S6_NS0_8equal_toItEEEE10hipError_tPvRmT2_T3_mT4_T5_T6_T7_T8_P12ihipStream_tbENKUlT_T0_E_clISt17integral_constantIbLb1EESY_IbLb0EEEEDaSU_SV_EUlSU_E_NS1_11comp_targetILNS1_3genE8ELNS1_11target_archE1030ELNS1_3gpuE2ELNS1_3repE0EEENS1_30default_config_static_selectorELNS0_4arch9wavefront6targetE0EEEvT1_
                                        ; -- End function
	.set _ZN7rocprim17ROCPRIM_400000_NS6detail17trampoline_kernelINS0_14default_configENS1_33run_length_encode_config_selectorItjNS0_4plusIjEEEEZZNS1_33reduce_by_key_impl_wrapped_configILNS1_25lookback_scan_determinismE0ES3_S7_PKtNS0_17constant_iteratorIjlEEPtPlSF_S6_NS0_8equal_toItEEEE10hipError_tPvRmT2_T3_mT4_T5_T6_T7_T8_P12ihipStream_tbENKUlT_T0_E_clISt17integral_constantIbLb1EESY_IbLb0EEEEDaSU_SV_EUlSU_E_NS1_11comp_targetILNS1_3genE8ELNS1_11target_archE1030ELNS1_3gpuE2ELNS1_3repE0EEENS1_30default_config_static_selectorELNS0_4arch9wavefront6targetE0EEEvT1_.num_vgpr, 0
	.set _ZN7rocprim17ROCPRIM_400000_NS6detail17trampoline_kernelINS0_14default_configENS1_33run_length_encode_config_selectorItjNS0_4plusIjEEEEZZNS1_33reduce_by_key_impl_wrapped_configILNS1_25lookback_scan_determinismE0ES3_S7_PKtNS0_17constant_iteratorIjlEEPtPlSF_S6_NS0_8equal_toItEEEE10hipError_tPvRmT2_T3_mT4_T5_T6_T7_T8_P12ihipStream_tbENKUlT_T0_E_clISt17integral_constantIbLb1EESY_IbLb0EEEEDaSU_SV_EUlSU_E_NS1_11comp_targetILNS1_3genE8ELNS1_11target_archE1030ELNS1_3gpuE2ELNS1_3repE0EEENS1_30default_config_static_selectorELNS0_4arch9wavefront6targetE0EEEvT1_.num_agpr, 0
	.set _ZN7rocprim17ROCPRIM_400000_NS6detail17trampoline_kernelINS0_14default_configENS1_33run_length_encode_config_selectorItjNS0_4plusIjEEEEZZNS1_33reduce_by_key_impl_wrapped_configILNS1_25lookback_scan_determinismE0ES3_S7_PKtNS0_17constant_iteratorIjlEEPtPlSF_S6_NS0_8equal_toItEEEE10hipError_tPvRmT2_T3_mT4_T5_T6_T7_T8_P12ihipStream_tbENKUlT_T0_E_clISt17integral_constantIbLb1EESY_IbLb0EEEEDaSU_SV_EUlSU_E_NS1_11comp_targetILNS1_3genE8ELNS1_11target_archE1030ELNS1_3gpuE2ELNS1_3repE0EEENS1_30default_config_static_selectorELNS0_4arch9wavefront6targetE0EEEvT1_.numbered_sgpr, 0
	.set _ZN7rocprim17ROCPRIM_400000_NS6detail17trampoline_kernelINS0_14default_configENS1_33run_length_encode_config_selectorItjNS0_4plusIjEEEEZZNS1_33reduce_by_key_impl_wrapped_configILNS1_25lookback_scan_determinismE0ES3_S7_PKtNS0_17constant_iteratorIjlEEPtPlSF_S6_NS0_8equal_toItEEEE10hipError_tPvRmT2_T3_mT4_T5_T6_T7_T8_P12ihipStream_tbENKUlT_T0_E_clISt17integral_constantIbLb1EESY_IbLb0EEEEDaSU_SV_EUlSU_E_NS1_11comp_targetILNS1_3genE8ELNS1_11target_archE1030ELNS1_3gpuE2ELNS1_3repE0EEENS1_30default_config_static_selectorELNS0_4arch9wavefront6targetE0EEEvT1_.num_named_barrier, 0
	.set _ZN7rocprim17ROCPRIM_400000_NS6detail17trampoline_kernelINS0_14default_configENS1_33run_length_encode_config_selectorItjNS0_4plusIjEEEEZZNS1_33reduce_by_key_impl_wrapped_configILNS1_25lookback_scan_determinismE0ES3_S7_PKtNS0_17constant_iteratorIjlEEPtPlSF_S6_NS0_8equal_toItEEEE10hipError_tPvRmT2_T3_mT4_T5_T6_T7_T8_P12ihipStream_tbENKUlT_T0_E_clISt17integral_constantIbLb1EESY_IbLb0EEEEDaSU_SV_EUlSU_E_NS1_11comp_targetILNS1_3genE8ELNS1_11target_archE1030ELNS1_3gpuE2ELNS1_3repE0EEENS1_30default_config_static_selectorELNS0_4arch9wavefront6targetE0EEEvT1_.private_seg_size, 0
	.set _ZN7rocprim17ROCPRIM_400000_NS6detail17trampoline_kernelINS0_14default_configENS1_33run_length_encode_config_selectorItjNS0_4plusIjEEEEZZNS1_33reduce_by_key_impl_wrapped_configILNS1_25lookback_scan_determinismE0ES3_S7_PKtNS0_17constant_iteratorIjlEEPtPlSF_S6_NS0_8equal_toItEEEE10hipError_tPvRmT2_T3_mT4_T5_T6_T7_T8_P12ihipStream_tbENKUlT_T0_E_clISt17integral_constantIbLb1EESY_IbLb0EEEEDaSU_SV_EUlSU_E_NS1_11comp_targetILNS1_3genE8ELNS1_11target_archE1030ELNS1_3gpuE2ELNS1_3repE0EEENS1_30default_config_static_selectorELNS0_4arch9wavefront6targetE0EEEvT1_.uses_vcc, 0
	.set _ZN7rocprim17ROCPRIM_400000_NS6detail17trampoline_kernelINS0_14default_configENS1_33run_length_encode_config_selectorItjNS0_4plusIjEEEEZZNS1_33reduce_by_key_impl_wrapped_configILNS1_25lookback_scan_determinismE0ES3_S7_PKtNS0_17constant_iteratorIjlEEPtPlSF_S6_NS0_8equal_toItEEEE10hipError_tPvRmT2_T3_mT4_T5_T6_T7_T8_P12ihipStream_tbENKUlT_T0_E_clISt17integral_constantIbLb1EESY_IbLb0EEEEDaSU_SV_EUlSU_E_NS1_11comp_targetILNS1_3genE8ELNS1_11target_archE1030ELNS1_3gpuE2ELNS1_3repE0EEENS1_30default_config_static_selectorELNS0_4arch9wavefront6targetE0EEEvT1_.uses_flat_scratch, 0
	.set _ZN7rocprim17ROCPRIM_400000_NS6detail17trampoline_kernelINS0_14default_configENS1_33run_length_encode_config_selectorItjNS0_4plusIjEEEEZZNS1_33reduce_by_key_impl_wrapped_configILNS1_25lookback_scan_determinismE0ES3_S7_PKtNS0_17constant_iteratorIjlEEPtPlSF_S6_NS0_8equal_toItEEEE10hipError_tPvRmT2_T3_mT4_T5_T6_T7_T8_P12ihipStream_tbENKUlT_T0_E_clISt17integral_constantIbLb1EESY_IbLb0EEEEDaSU_SV_EUlSU_E_NS1_11comp_targetILNS1_3genE8ELNS1_11target_archE1030ELNS1_3gpuE2ELNS1_3repE0EEENS1_30default_config_static_selectorELNS0_4arch9wavefront6targetE0EEEvT1_.has_dyn_sized_stack, 0
	.set _ZN7rocprim17ROCPRIM_400000_NS6detail17trampoline_kernelINS0_14default_configENS1_33run_length_encode_config_selectorItjNS0_4plusIjEEEEZZNS1_33reduce_by_key_impl_wrapped_configILNS1_25lookback_scan_determinismE0ES3_S7_PKtNS0_17constant_iteratorIjlEEPtPlSF_S6_NS0_8equal_toItEEEE10hipError_tPvRmT2_T3_mT4_T5_T6_T7_T8_P12ihipStream_tbENKUlT_T0_E_clISt17integral_constantIbLb1EESY_IbLb0EEEEDaSU_SV_EUlSU_E_NS1_11comp_targetILNS1_3genE8ELNS1_11target_archE1030ELNS1_3gpuE2ELNS1_3repE0EEENS1_30default_config_static_selectorELNS0_4arch9wavefront6targetE0EEEvT1_.has_recursion, 0
	.set _ZN7rocprim17ROCPRIM_400000_NS6detail17trampoline_kernelINS0_14default_configENS1_33run_length_encode_config_selectorItjNS0_4plusIjEEEEZZNS1_33reduce_by_key_impl_wrapped_configILNS1_25lookback_scan_determinismE0ES3_S7_PKtNS0_17constant_iteratorIjlEEPtPlSF_S6_NS0_8equal_toItEEEE10hipError_tPvRmT2_T3_mT4_T5_T6_T7_T8_P12ihipStream_tbENKUlT_T0_E_clISt17integral_constantIbLb1EESY_IbLb0EEEEDaSU_SV_EUlSU_E_NS1_11comp_targetILNS1_3genE8ELNS1_11target_archE1030ELNS1_3gpuE2ELNS1_3repE0EEENS1_30default_config_static_selectorELNS0_4arch9wavefront6targetE0EEEvT1_.has_indirect_call, 0
	.section	.AMDGPU.csdata,"",@progbits
; Kernel info:
; codeLenInByte = 0
; TotalNumSgprs: 0
; NumVgprs: 0
; ScratchSize: 0
; MemoryBound: 0
; FloatMode: 240
; IeeeMode: 1
; LDSByteSize: 0 bytes/workgroup (compile time only)
; SGPRBlocks: 0
; VGPRBlocks: 0
; NumSGPRsForWavesPerEU: 1
; NumVGPRsForWavesPerEU: 1
; NamedBarCnt: 0
; Occupancy: 16
; WaveLimiterHint : 0
; COMPUTE_PGM_RSRC2:SCRATCH_EN: 0
; COMPUTE_PGM_RSRC2:USER_SGPR: 2
; COMPUTE_PGM_RSRC2:TRAP_HANDLER: 0
; COMPUTE_PGM_RSRC2:TGID_X_EN: 1
; COMPUTE_PGM_RSRC2:TGID_Y_EN: 0
; COMPUTE_PGM_RSRC2:TGID_Z_EN: 0
; COMPUTE_PGM_RSRC2:TIDIG_COMP_CNT: 0
	.section	.text._ZN7rocprim17ROCPRIM_400000_NS6detail17trampoline_kernelINS0_14default_configENS1_33run_length_encode_config_selectorItjNS0_4plusIjEEEEZZNS1_33reduce_by_key_impl_wrapped_configILNS1_25lookback_scan_determinismE0ES3_S7_PKtNS0_17constant_iteratorIjlEEPtPlSF_S6_NS0_8equal_toItEEEE10hipError_tPvRmT2_T3_mT4_T5_T6_T7_T8_P12ihipStream_tbENKUlT_T0_E_clISt17integral_constantIbLb0EESY_IbLb1EEEEDaSU_SV_EUlSU_E_NS1_11comp_targetILNS1_3genE0ELNS1_11target_archE4294967295ELNS1_3gpuE0ELNS1_3repE0EEENS1_30default_config_static_selectorELNS0_4arch9wavefront6targetE0EEEvT1_,"axG",@progbits,_ZN7rocprim17ROCPRIM_400000_NS6detail17trampoline_kernelINS0_14default_configENS1_33run_length_encode_config_selectorItjNS0_4plusIjEEEEZZNS1_33reduce_by_key_impl_wrapped_configILNS1_25lookback_scan_determinismE0ES3_S7_PKtNS0_17constant_iteratorIjlEEPtPlSF_S6_NS0_8equal_toItEEEE10hipError_tPvRmT2_T3_mT4_T5_T6_T7_T8_P12ihipStream_tbENKUlT_T0_E_clISt17integral_constantIbLb0EESY_IbLb1EEEEDaSU_SV_EUlSU_E_NS1_11comp_targetILNS1_3genE0ELNS1_11target_archE4294967295ELNS1_3gpuE0ELNS1_3repE0EEENS1_30default_config_static_selectorELNS0_4arch9wavefront6targetE0EEEvT1_,comdat
	.protected	_ZN7rocprim17ROCPRIM_400000_NS6detail17trampoline_kernelINS0_14default_configENS1_33run_length_encode_config_selectorItjNS0_4plusIjEEEEZZNS1_33reduce_by_key_impl_wrapped_configILNS1_25lookback_scan_determinismE0ES3_S7_PKtNS0_17constant_iteratorIjlEEPtPlSF_S6_NS0_8equal_toItEEEE10hipError_tPvRmT2_T3_mT4_T5_T6_T7_T8_P12ihipStream_tbENKUlT_T0_E_clISt17integral_constantIbLb0EESY_IbLb1EEEEDaSU_SV_EUlSU_E_NS1_11comp_targetILNS1_3genE0ELNS1_11target_archE4294967295ELNS1_3gpuE0ELNS1_3repE0EEENS1_30default_config_static_selectorELNS0_4arch9wavefront6targetE0EEEvT1_ ; -- Begin function _ZN7rocprim17ROCPRIM_400000_NS6detail17trampoline_kernelINS0_14default_configENS1_33run_length_encode_config_selectorItjNS0_4plusIjEEEEZZNS1_33reduce_by_key_impl_wrapped_configILNS1_25lookback_scan_determinismE0ES3_S7_PKtNS0_17constant_iteratorIjlEEPtPlSF_S6_NS0_8equal_toItEEEE10hipError_tPvRmT2_T3_mT4_T5_T6_T7_T8_P12ihipStream_tbENKUlT_T0_E_clISt17integral_constantIbLb0EESY_IbLb1EEEEDaSU_SV_EUlSU_E_NS1_11comp_targetILNS1_3genE0ELNS1_11target_archE4294967295ELNS1_3gpuE0ELNS1_3repE0EEENS1_30default_config_static_selectorELNS0_4arch9wavefront6targetE0EEEvT1_
	.globl	_ZN7rocprim17ROCPRIM_400000_NS6detail17trampoline_kernelINS0_14default_configENS1_33run_length_encode_config_selectorItjNS0_4plusIjEEEEZZNS1_33reduce_by_key_impl_wrapped_configILNS1_25lookback_scan_determinismE0ES3_S7_PKtNS0_17constant_iteratorIjlEEPtPlSF_S6_NS0_8equal_toItEEEE10hipError_tPvRmT2_T3_mT4_T5_T6_T7_T8_P12ihipStream_tbENKUlT_T0_E_clISt17integral_constantIbLb0EESY_IbLb1EEEEDaSU_SV_EUlSU_E_NS1_11comp_targetILNS1_3genE0ELNS1_11target_archE4294967295ELNS1_3gpuE0ELNS1_3repE0EEENS1_30default_config_static_selectorELNS0_4arch9wavefront6targetE0EEEvT1_
	.p2align	8
	.type	_ZN7rocprim17ROCPRIM_400000_NS6detail17trampoline_kernelINS0_14default_configENS1_33run_length_encode_config_selectorItjNS0_4plusIjEEEEZZNS1_33reduce_by_key_impl_wrapped_configILNS1_25lookback_scan_determinismE0ES3_S7_PKtNS0_17constant_iteratorIjlEEPtPlSF_S6_NS0_8equal_toItEEEE10hipError_tPvRmT2_T3_mT4_T5_T6_T7_T8_P12ihipStream_tbENKUlT_T0_E_clISt17integral_constantIbLb0EESY_IbLb1EEEEDaSU_SV_EUlSU_E_NS1_11comp_targetILNS1_3genE0ELNS1_11target_archE4294967295ELNS1_3gpuE0ELNS1_3repE0EEENS1_30default_config_static_selectorELNS0_4arch9wavefront6targetE0EEEvT1_,@function
_ZN7rocprim17ROCPRIM_400000_NS6detail17trampoline_kernelINS0_14default_configENS1_33run_length_encode_config_selectorItjNS0_4plusIjEEEEZZNS1_33reduce_by_key_impl_wrapped_configILNS1_25lookback_scan_determinismE0ES3_S7_PKtNS0_17constant_iteratorIjlEEPtPlSF_S6_NS0_8equal_toItEEEE10hipError_tPvRmT2_T3_mT4_T5_T6_T7_T8_P12ihipStream_tbENKUlT_T0_E_clISt17integral_constantIbLb0EESY_IbLb1EEEEDaSU_SV_EUlSU_E_NS1_11comp_targetILNS1_3genE0ELNS1_11target_archE4294967295ELNS1_3gpuE0ELNS1_3repE0EEENS1_30default_config_static_selectorELNS0_4arch9wavefront6targetE0EEEvT1_: ; @_ZN7rocprim17ROCPRIM_400000_NS6detail17trampoline_kernelINS0_14default_configENS1_33run_length_encode_config_selectorItjNS0_4plusIjEEEEZZNS1_33reduce_by_key_impl_wrapped_configILNS1_25lookback_scan_determinismE0ES3_S7_PKtNS0_17constant_iteratorIjlEEPtPlSF_S6_NS0_8equal_toItEEEE10hipError_tPvRmT2_T3_mT4_T5_T6_T7_T8_P12ihipStream_tbENKUlT_T0_E_clISt17integral_constantIbLb0EESY_IbLb1EEEEDaSU_SV_EUlSU_E_NS1_11comp_targetILNS1_3genE0ELNS1_11target_archE4294967295ELNS1_3gpuE0ELNS1_3repE0EEENS1_30default_config_static_selectorELNS0_4arch9wavefront6targetE0EEEvT1_
; %bb.0:
	s_clause 0x5
	s_load_b32 s8, s[0:1], 0x10
	s_load_b128 s[24:27], s[0:1], 0x20
	s_load_b64 s[34:35], s[0:1], 0x30
	s_load_b64 s[36:37], s[0:1], 0x70
	s_load_b128 s[28:31], s[0:1], 0x60
	s_load_b256 s[16:23], s[0:1], 0x40
	v_cmp_ne_u32_e64 s3, 0, v0
	v_cmp_eq_u32_e64 s2, 0, v0
	s_and_saveexec_b32 s4, s2
	s_cbranch_execz .LBB814_4
; %bb.1:
	s_mov_b32 s6, exec_lo
	s_mov_b32 s5, exec_lo
	v_mbcnt_lo_u32_b32 v1, s6, 0
                                        ; implicit-def: $vgpr2
	s_delay_alu instid0(VALU_DEP_1)
	v_cmpx_eq_u32_e32 0, v1
	s_cbranch_execz .LBB814_3
; %bb.2:
	s_load_b64 s[10:11], s[0:1], 0x78
	s_bcnt1_i32_b32 s6, s6
	s_delay_alu instid0(SALU_CYCLE_1)
	v_dual_mov_b32 v2, 0 :: v_dual_mov_b32 v3, s6
	s_wait_xcnt 0x0
	s_wait_kmcnt 0x0
	global_atomic_add_u32 v2, v2, v3, s[10:11] th:TH_ATOMIC_RETURN scope:SCOPE_DEV
.LBB814_3:
	s_wait_xcnt 0x0
	s_or_b32 exec_lo, exec_lo, s5
	s_wait_loadcnt 0x0
	v_readfirstlane_b32 s5, v2
	s_delay_alu instid0(VALU_DEP_1)
	v_dual_mov_b32 v2, 0 :: v_dual_add_nc_u32 v1, s5, v1
	ds_store_b32 v2, v1
.LBB814_4:
	s_or_b32 exec_lo, exec_lo, s4
	v_mov_b32_e32 v3, 0
	s_wait_dscnt 0x0
	s_barrier_signal -1
	s_barrier_wait -1
	ds_load_b32 v1, v3
	s_load_b128 s[4:7], s[0:1], 0x0
	s_wait_kmcnt 0x0
	s_mul_u64 s[0:1], s[20:21], s[18:19]
	s_mov_b32 s21, 0
	s_wait_dscnt 0x0
	s_barrier_signal -1
	s_barrier_wait -1
	v_mul_lo_u32 v2, 0x1400, v1
	v_readfirstlane_b32 s20, v1
	s_lshl_b64 s[6:7], s[6:7], 1
	s_delay_alu instid0(SALU_CYCLE_1)
	s_add_nc_u64 s[4:5], s[4:5], s[6:7]
	s_add_nc_u64 s[6:7], s[22:23], -1
	s_add_nc_u64 s[10:11], s[0:1], s[20:21]
	s_mul_i32 s33, s6, 0xffffec00
	s_cmp_eq_u64 s[10:11], s[6:7]
	s_cselect_b32 s15, -1, 0
	v_lshlrev_b64_e32 v[2:3], 1, v[2:3]
	s_cmp_lg_u64 s[10:11], s[6:7]
	s_cselect_b32 s0, -1, 0
	s_and_b32 vcc_lo, exec_lo, s15
	s_delay_alu instid0(VALU_DEP_1)
	v_add_nc_u64_e32 v[2:3], s[4:5], v[2:3]
	s_cbranch_vccnz .LBB814_6
; %bb.5:
	s_delay_alu instid0(VALU_DEP_1) | instskip(NEXT) | instid1(VALU_DEP_2)
	v_readfirstlane_b32 s4, v2
	v_readfirstlane_b32 s5, v3
	v_lshlrev_b32_e32 v13, 1, v0
	s_mov_b32 s1, 0
	s_mov_b32 s21, -1
	s_clause 0x9
	global_load_u16 v1, v0, s[4:5] scale_offset
	global_load_u16 v4, v0, s[4:5] offset:1024 scale_offset
	global_load_u16 v5, v0, s[4:5] offset:2048 scale_offset
	;; [unrolled: 1-line block ×9, first 2 shown]
	v_mad_u32_u24 v14, v0, 18, v13
	s_wait_loadcnt 0x9
	ds_store_b16 v13, v1
	s_wait_loadcnt 0x8
	ds_store_b16 v13, v4 offset:1024
	s_wait_loadcnt 0x7
	ds_store_b16 v13, v5 offset:2048
	;; [unrolled: 2-line block ×9, first 2 shown]
	s_wait_dscnt 0x0
	s_barrier_signal -1
	s_barrier_wait -1
	ds_load_2addr_b32 v[12:13], v14 offset1:1
	ds_load_2addr_b32 v[10:11], v14 offset0:2 offset1:3
	ds_load_b32 v1, v14 offset:16
	s_branch .LBB814_7
.LBB814_6:
	s_mov_b32 s1, -1
                                        ; implicit-def: $vgpr12
                                        ; implicit-def: $vgpr10
                                        ; implicit-def: $vgpr1
.LBB814_7:
	v_dual_mov_b32 v36, s8 :: v_dual_mov_b32 v37, s8
	v_dual_mov_b32 v38, s8 :: v_dual_mov_b32 v40, s8
	;; [unrolled: 1-line block ×4, first 2 shown]
	v_mov_b32_e32 v39, s8
	s_and_not1_b32 vcc_lo, exec_lo, s1
	s_add_co_i32 s33, s33, s28
                                        ; implicit-def: $vgpr60
	s_cbranch_vccnz .LBB814_29
; %bb.8:
	s_mov_b32 s1, exec_lo
                                        ; implicit-def: $vgpr1
	v_cmpx_gt_u32_e64 s33, v0
	s_cbranch_execz .LBB814_10
; %bb.9:
	v_readfirstlane_b32 s4, v2
	v_readfirstlane_b32 s5, v3
	s_wait_dscnt 0x0
	global_load_u16 v1, v0, s[4:5] scale_offset
.LBB814_10:
	s_wait_xcnt 0x0
	s_or_b32 exec_lo, exec_lo, s1
	v_or_b32_e32 v4, 0x200, v0
	s_delay_alu instid0(VALU_DEP_1)
	v_cmp_gt_u32_e32 vcc_lo, s33, v4
                                        ; implicit-def: $vgpr4
	s_and_saveexec_b32 s1, vcc_lo
	s_cbranch_execz .LBB814_12
; %bb.11:
	v_readfirstlane_b32 s4, v2
	v_readfirstlane_b32 s5, v3
	global_load_u16 v4, v0, s[4:5] offset:1024 scale_offset
.LBB814_12:
	s_wait_xcnt 0x0
	s_or_b32 exec_lo, exec_lo, s1
	v_or_b32_e32 v5, 0x400, v0
	s_delay_alu instid0(VALU_DEP_1)
	v_cmp_gt_u32_e32 vcc_lo, s33, v5
                                        ; implicit-def: $vgpr5
	s_and_saveexec_b32 s1, vcc_lo
	s_cbranch_execz .LBB814_14
; %bb.13:
	v_readfirstlane_b32 s4, v2
	v_readfirstlane_b32 s5, v3
	global_load_u16 v5, v0, s[4:5] offset:2048 scale_offset
.LBB814_14:
	s_wait_xcnt 0x0
	s_or_b32 exec_lo, exec_lo, s1
	v_or_b32_e32 v6, 0x600, v0
	s_delay_alu instid0(VALU_DEP_1)
	v_cmp_gt_u32_e32 vcc_lo, s33, v6
                                        ; implicit-def: $vgpr6
	s_and_saveexec_b32 s1, vcc_lo
	s_cbranch_execz .LBB814_16
; %bb.15:
	v_readfirstlane_b32 s4, v2
	v_readfirstlane_b32 s5, v3
	global_load_u16 v6, v0, s[4:5] offset:3072 scale_offset
.LBB814_16:
	s_wait_xcnt 0x0
	s_or_b32 exec_lo, exec_lo, s1
	v_or_b32_e32 v7, 0x800, v0
	s_delay_alu instid0(VALU_DEP_1)
	v_cmp_gt_u32_e32 vcc_lo, s33, v7
                                        ; implicit-def: $vgpr7
	s_and_saveexec_b32 s1, vcc_lo
	s_cbranch_execz .LBB814_18
; %bb.17:
	v_readfirstlane_b32 s4, v2
	v_readfirstlane_b32 s5, v3
	global_load_u16 v7, v0, s[4:5] offset:4096 scale_offset
.LBB814_18:
	s_wait_xcnt 0x0
	s_or_b32 exec_lo, exec_lo, s1
	v_or_b32_e32 v8, 0xa00, v0
	s_delay_alu instid0(VALU_DEP_1)
	v_cmp_gt_u32_e32 vcc_lo, s33, v8
                                        ; implicit-def: $vgpr8
	s_and_saveexec_b32 s1, vcc_lo
	s_cbranch_execz .LBB814_20
; %bb.19:
	v_readfirstlane_b32 s4, v2
	v_readfirstlane_b32 s5, v3
	global_load_u16 v8, v0, s[4:5] offset:5120 scale_offset
.LBB814_20:
	s_wait_xcnt 0x0
	s_or_b32 exec_lo, exec_lo, s1
	v_or_b32_e32 v9, 0xc00, v0
	s_delay_alu instid0(VALU_DEP_1)
	v_cmp_gt_u32_e32 vcc_lo, s33, v9
                                        ; implicit-def: $vgpr9
	s_and_saveexec_b32 s1, vcc_lo
	s_cbranch_execz .LBB814_22
; %bb.21:
	v_readfirstlane_b32 s4, v2
	v_readfirstlane_b32 s5, v3
	global_load_u16 v9, v0, s[4:5] offset:6144 scale_offset
.LBB814_22:
	s_wait_xcnt 0x0
	s_or_b32 exec_lo, exec_lo, s1
	s_wait_dscnt 0x1
	v_or_b32_e32 v10, 0xe00, v0
	s_delay_alu instid0(VALU_DEP_1)
	v_cmp_gt_u32_e32 vcc_lo, s33, v10
                                        ; implicit-def: $vgpr10
	s_and_saveexec_b32 s1, vcc_lo
	s_cbranch_execz .LBB814_24
; %bb.23:
	v_readfirstlane_b32 s4, v2
	v_readfirstlane_b32 s5, v3
	global_load_u16 v10, v0, s[4:5] offset:7168 scale_offset
.LBB814_24:
	s_wait_xcnt 0x0
	s_or_b32 exec_lo, exec_lo, s1
	v_or_b32_e32 v11, 0x1000, v0
	s_delay_alu instid0(VALU_DEP_1)
	v_cmp_gt_u32_e32 vcc_lo, s33, v11
                                        ; implicit-def: $vgpr11
	s_and_saveexec_b32 s1, vcc_lo
	s_cbranch_execz .LBB814_26
; %bb.25:
	v_readfirstlane_b32 s4, v2
	v_readfirstlane_b32 s5, v3
	global_load_u16 v11, v0, s[4:5] offset:8192 scale_offset
.LBB814_26:
	s_wait_xcnt 0x0
	s_or_b32 exec_lo, exec_lo, s1
	v_or_b32_e32 v12, 0x1200, v0
	s_delay_alu instid0(VALU_DEP_1)
	v_cmp_gt_u32_e32 vcc_lo, s33, v12
                                        ; implicit-def: $vgpr12
	s_and_saveexec_b32 s1, vcc_lo
	s_cbranch_execz .LBB814_28
; %bb.27:
	v_readfirstlane_b32 s4, v2
	v_readfirstlane_b32 s5, v3
	global_load_u16 v12, v0, s[4:5] offset:9216 scale_offset
.LBB814_28:
	s_wait_xcnt 0x0
	s_or_b32 exec_lo, exec_lo, s1
	v_dual_mov_b32 v60, 0 :: v_dual_lshlrev_b32 v13, 1, v0
	s_wait_loadcnt_dscnt 0x0
	ds_store_b16 v13, v1
	ds_store_b16 v13, v4 offset:1024
	ds_store_b16 v13, v5 offset:2048
	;; [unrolled: 1-line block ×9, first 2 shown]
	v_mul_u32_u24_e32 v4, 10, v0
	v_mad_u32_u24 v6, v0, 10, 4
	v_mad_u32_u24 v1, v0, 18, v13
	s_wait_dscnt 0x0
	s_barrier_signal -1
	v_or_b32_e32 v5, 1, v4
	v_cmp_gt_u32_e32 vcc_lo, s33, v4
	v_mad_u32_u24 v4, v0, 10, 2
	s_barrier_wait -1
	ds_load_2addr_b32 v[12:13], v1 offset1:1
	ds_load_2addr_b32 v[10:11], v1 offset0:2 offset1:3
	ds_load_b32 v1, v1 offset:16
	v_cndmask_b32_e64 v39, 0, s8, vcc_lo
	v_cmp_gt_u32_e32 vcc_lo, s33, v5
	v_mad_u32_u24 v5, v0, 10, 3
	v_cndmask_b32_e64 v41, 0, s8, vcc_lo
	v_cmp_gt_u32_e32 vcc_lo, s33, v4
	v_mad_u32_u24 v4, v0, 10, 5
	v_cndmask_b32_e64 v43, 0, s8, vcc_lo
	v_cmp_gt_u32_e32 vcc_lo, s33, v5
	v_mad_u32_u24 v5, v0, 10, 6
	v_cndmask_b32_e64 v59, 0, s8, vcc_lo
	v_cmp_gt_u32_e32 vcc_lo, s33, v6
	v_mad_u32_u24 v6, v0, 10, 8
	v_cndmask_b32_e64 v42, 0, s8, vcc_lo
	v_cmp_gt_u32_e32 vcc_lo, s33, v4
	v_mad_u32_u24 v4, v0, 10, 7
	v_cndmask_b32_e64 v40, 0, s8, vcc_lo
	v_cmp_gt_u32_e32 vcc_lo, s33, v5
	v_mad_u32_u24 v5, v0, 10, 9
	v_cndmask_b32_e64 v38, 0, s8, vcc_lo
	v_cmp_gt_u32_e32 vcc_lo, s33, v4
	s_delay_alu instid0(VALU_DEP_3)
	v_cmp_gt_u32_e64 s21, s33, v5
	v_cndmask_b32_e64 v37, 0, s8, vcc_lo
	v_cmp_gt_u32_e32 vcc_lo, s33, v6
	v_cndmask_b32_e64 v36, 0, s8, vcc_lo
.LBB814_29:
	s_delay_alu instid0(VALU_DEP_4)
	s_and_saveexec_b32 s1, s21
; %bb.30:
	v_mov_b32_e32 v60, s8
; %bb.31:
	s_or_b32 exec_lo, exec_lo, s1
	s_cmp_eq_u64 s[10:11], 0
	s_wait_dscnt 0x2
	v_dual_lshrrev_b32 v57, 16, v12 :: v_dual_lshrrev_b32 v56, 16, v13
	s_wait_dscnt 0x1
	v_dual_lshrrev_b32 v55, 16, v10 :: v_dual_lshrrev_b32 v54, 16, v11
	s_wait_dscnt 0x0
	v_lshrrev_b32_e32 v53, 16, v1
	s_cselect_b32 s21, -1, 0
	s_cmp_lg_u64 s[10:11], 0
	s_cselect_b32 s14, -1, 0
	s_and_b32 vcc_lo, exec_lo, s0
	s_barrier_signal -1
	s_barrier_wait -1
	s_cbranch_vccz .LBB814_36
; %bb.32:
	s_and_b32 vcc_lo, exec_lo, s14
	s_cbranch_vccz .LBB814_37
; %bb.33:
	global_load_u16 v4, v[2:3], off offset:-2
	v_lshlrev_b32_e32 v5, 1, v0
	v_cmp_ne_u16_e64 s0, v54, v1
	v_cmp_ne_u16_e64 s1, v11, v54
	;; [unrolled: 1-line block ×8, first 2 shown]
	ds_store_b16 v5, v53
	v_cmp_ne_u16_e32 vcc_lo, v1, v53
	s_wait_loadcnt_dscnt 0x0
	s_barrier_signal -1
	s_barrier_wait -1
	s_and_saveexec_b32 s12, s3
; %bb.34:
	v_add_nc_u32_e32 v4, -2, v5
	ds_load_u16 v4, v4
; %bb.35:
	s_or_b32 exec_lo, exec_lo, s12
	v_cndmask_b32_e64 v49, 0, 1, vcc_lo
	v_cndmask_b32_e64 v46, 0, 1, s0
	v_cndmask_b32_e64 v44, 0, 1, s1
	;; [unrolled: 1-line block ×8, first 2 shown]
	s_wait_dscnt 0x0
	v_cmp_ne_u16_e64 s13, v4, v12
	s_mov_b32 s12, -1
	s_branch .LBB814_41
.LBB814_36:
	s_mov_b32 s12, 0
                                        ; implicit-def: $sgpr13
                                        ; implicit-def: $vgpr49
                                        ; implicit-def: $vgpr46
                                        ; implicit-def: $vgpr44
                                        ; implicit-def: $vgpr45
                                        ; implicit-def: $vgpr47
                                        ; implicit-def: $vgpr48
                                        ; implicit-def: $vgpr50
                                        ; implicit-def: $vgpr51
                                        ; implicit-def: $vgpr52
	s_cbranch_execnz .LBB814_42
	s_branch .LBB814_50
.LBB814_37:
	s_mov_b32 s12, 0
                                        ; implicit-def: $sgpr13
                                        ; implicit-def: $vgpr49
                                        ; implicit-def: $vgpr46
                                        ; implicit-def: $vgpr44
                                        ; implicit-def: $vgpr45
                                        ; implicit-def: $vgpr47
                                        ; implicit-def: $vgpr48
                                        ; implicit-def: $vgpr50
                                        ; implicit-def: $vgpr51
                                        ; implicit-def: $vgpr52
	s_cbranch_execz .LBB814_41
; %bb.38:
	v_lshlrev_b32_e32 v4, 1, v0
	v_cmp_ne_u16_e64 s0, v54, v1
	v_cmp_ne_u16_e64 s1, v11, v54
	;; [unrolled: 1-line block ×8, first 2 shown]
	v_cmp_ne_u16_e32 vcc_lo, v1, v53
	ds_store_b16 v4, v53
	s_wait_dscnt 0x0
	s_barrier_signal -1
	s_barrier_wait -1
                                        ; implicit-def: $sgpr13
	s_and_saveexec_b32 s22, s3
	s_delay_alu instid0(SALU_CYCLE_1)
	s_xor_b32 s22, exec_lo, s22
	s_cbranch_execz .LBB814_40
; %bb.39:
	v_add_nc_u32_e32 v4, -2, v4
	s_or_b32 s12, s12, exec_lo
	ds_load_u16 v4, v4
	s_wait_dscnt 0x0
	v_cmp_ne_u16_e64 s13, v4, v12
.LBB814_40:
	s_or_b32 exec_lo, exec_lo, s22
	v_cndmask_b32_e64 v49, 0, 1, vcc_lo
	v_cndmask_b32_e64 v46, 0, 1, s0
	v_cndmask_b32_e64 v44, 0, 1, s1
	;; [unrolled: 1-line block ×8, first 2 shown]
.LBB814_41:
	s_branch .LBB814_50
.LBB814_42:
	s_mov_b64 s[0:1], 0xffffffffffffec00
	v_cmp_ne_u16_e64 s9, v1, v53
	s_mul_u64 s[22:23], s[10:11], s[0:1]
	v_cmp_ne_u16_e64 s10, v54, v1
	v_cmp_ne_u16_e64 s0, v11, v54
	;; [unrolled: 1-line block ×8, first 2 shown]
	v_mul_u32_u24_e32 v4, 10, v0
	v_mad_u32_u24 v6, v0, 10, 9
	v_mad_u32_u24 v24, v0, 10, 8
	;; [unrolled: 1-line block ×8, first 2 shown]
	s_and_b32 vcc_lo, exec_lo, s14
	s_add_nc_u64 s[22:23], s[22:23], s[28:29]
	s_cbranch_vccz .LBB814_46
; %bb.43:
	global_load_u16 v2, v[2:3], off offset:-2
	s_wait_xcnt 0x0
	v_dual_mov_b32 v7, 0 :: v_dual_lshlrev_b32 v3, 1, v0
	s_delay_alu instid0(VALU_DEP_1) | instskip(SKIP_3) | instid1(VALU_DEP_3)
	v_dual_mov_b32 v9, v7 :: v_dual_bitop2_b32 v26, 1, v4 bitop3:0x54
	v_dual_mov_b32 v25, v7 :: v_dual_mov_b32 v23, v7
	v_cmp_gt_u64_e32 vcc_lo, s[22:23], v[6:7]
	v_dual_mov_b32 v21, v7 :: v_dual_mov_b32 v19, v7
	v_cmp_gt_u64_e64 s11, s[22:23], v[24:25]
	v_dual_mov_b32 v17, v7 :: v_dual_mov_b32 v15, v7
	v_mov_b32_e32 v27, v7
	s_and_b32 s28, vcc_lo, s9
	v_cmp_gt_u64_e32 vcc_lo, s[22:23], v[22:23]
	v_cmp_gt_u64_e64 s9, s[22:23], v[20:21]
	s_and_b32 s29, s11, s10
	v_cmp_gt_u64_e64 s10, s[22:23], v[18:19]
	v_cmp_gt_u64_e64 s11, s[22:23], v[16:17]
	;; [unrolled: 1-line block ×5, first 2 shown]
	s_and_b32 s38, vcc_lo, s0
	s_and_b32 s9, s9, s1
	s_and_b32 s0, s10, s4
	;; [unrolled: 1-line block ×6, first 2 shown]
	ds_store_b16 v3, v53
	s_wait_loadcnt_dscnt 0x0
	s_barrier_signal -1
	s_barrier_wait -1
	s_and_saveexec_b32 s7, s3
; %bb.44:
	v_add_nc_u32_e32 v2, -2, v3
	ds_load_u16 v2, v2
; %bb.45:
	s_or_b32 exec_lo, exec_lo, s7
	v_mov_b32_e32 v5, v7
	v_cndmask_b32_e64 v47, 0, 1, s0
	s_wait_dscnt 0x0
	v_cmp_ne_u16_e64 s0, v2, v12
	v_cndmask_b32_e64 v49, 0, 1, s28
	v_cndmask_b32_e64 v46, 0, 1, s29
	v_cmp_gt_u64_e32 vcc_lo, s[22:23], v[4:5]
	v_cndmask_b32_e64 v44, 0, 1, s38
	v_cndmask_b32_e64 v45, 0, 1, s9
	;; [unrolled: 1-line block ×6, first 2 shown]
	s_and_b32 s13, vcc_lo, s0
	s_mov_b32 s12, -1
	s_branch .LBB814_50
.LBB814_46:
                                        ; implicit-def: $sgpr13
                                        ; implicit-def: $vgpr49
                                        ; implicit-def: $vgpr46
                                        ; implicit-def: $vgpr44
                                        ; implicit-def: $vgpr45
                                        ; implicit-def: $vgpr47
                                        ; implicit-def: $vgpr48
                                        ; implicit-def: $vgpr50
                                        ; implicit-def: $vgpr51
                                        ; implicit-def: $vgpr52
	s_cbranch_execz .LBB814_50
; %bb.47:
	v_dual_mov_b32 v7, 0 :: v_dual_lshlrev_b32 v2, 1, v0
	v_cmp_ne_u16_e32 vcc_lo, v1, v53
	v_cmp_ne_u16_e64 s0, v54, v1
	v_cmp_ne_u16_e64 s1, v11, v54
	s_delay_alu instid0(VALU_DEP_4) | instskip(SKIP_2) | instid1(VALU_DEP_3)
	v_dual_mov_b32 v25, v7 :: v_dual_mov_b32 v23, v7
	v_dual_mov_b32 v21, v7 :: v_dual_mov_b32 v19, v7
	v_cmp_gt_u64_e64 s4, s[22:23], v[6:7]
	v_cmp_gt_u64_e64 s5, s[22:23], v[24:25]
	s_delay_alu instid0(VALU_DEP_4) | instskip(NEXT) | instid1(VALU_DEP_4)
	v_cmp_gt_u64_e64 s6, s[22:23], v[22:23]
	v_cmp_gt_u64_e64 s8, s[22:23], v[20:21]
	v_cmp_ne_u16_e64 s7, v55, v11
	v_dual_mov_b32 v17, v7 :: v_dual_mov_b32 v15, v7
	v_dual_mov_b32 v9, v7 :: v_dual_bitop2_b32 v6, 1, v4 bitop3:0x54
	s_and_b32 s11, s4, vcc_lo
	s_and_b32 s14, s5, s0
	s_and_b32 s28, s6, s1
	;; [unrolled: 1-line block ×3, first 2 shown]
	v_cmp_gt_u64_e32 vcc_lo, s[22:23], v[18:19]
	v_cmp_gt_u64_e64 s1, s[22:23], v[16:17]
	v_cmp_gt_u64_e64 s5, s[22:23], v[14:15]
	;; [unrolled: 1-line block ×4, first 2 shown]
	v_cmp_ne_u16_e64 s0, v10, v55
	v_cmp_ne_u16_e64 s4, v56, v10
	;; [unrolled: 1-line block ×5, first 2 shown]
	s_and_b32 s38, vcc_lo, s0
	s_and_b32 s1, s1, s4
	s_and_b32 s4, s5, s6
	;; [unrolled: 1-line block ×4, first 2 shown]
	ds_store_b16 v2, v53
	s_wait_dscnt 0x0
	s_barrier_signal -1
	s_barrier_wait -1
                                        ; implicit-def: $sgpr13
	s_and_saveexec_b32 s7, s3
	s_cbranch_execz .LBB814_49
; %bb.48:
	v_dual_mov_b32 v5, v7 :: v_dual_add_nc_u32 v2, -2, v2
	s_or_b32 s12, s12, exec_lo
	ds_load_u16 v2, v2
	v_cmp_gt_u64_e32 vcc_lo, s[22:23], v[4:5]
	s_wait_dscnt 0x0
	v_cmp_ne_u16_e64 s0, v2, v12
	s_and_b32 s13, vcc_lo, s0
.LBB814_49:
	s_or_b32 exec_lo, exec_lo, s7
	v_cndmask_b32_e64 v49, 0, 1, s11
	v_cndmask_b32_e64 v46, 0, 1, s14
	;; [unrolled: 1-line block ×9, first 2 shown]
.LBB814_50:
	v_mov_b32_e32 v58, 1
	s_and_saveexec_b32 s0, s12
; %bb.51:
	v_cndmask_b32_e64 v58, 0, 1, s13
; %bb.52:
	s_or_b32 exec_lo, exec_lo, s0
	s_delay_alu instid0(VALU_DEP_1) | instskip(SKIP_3) | instid1(VALU_DEP_4)
	v_dual_add_nc_u32 v2, v52, v58 :: v_dual_lshrrev_b32 v62, 5, v0
	v_cmp_eq_u32_e64 s8, 0, v52
	v_cmp_eq_u32_e64 s7, 0, v51
	;; [unrolled: 1-line block ×3, first 2 shown]
	v_add3_u32 v64, v2, v51, v50
	v_cmp_eq_u32_e64 s5, 0, v48
	v_cmp_eq_u32_e64 s4, 0, v47
	;; [unrolled: 1-line block ×5, first 2 shown]
	v_mbcnt_lo_u32_b32 v61, -1, 0
	v_or_b32_e32 v63, 31, v0
	s_cmp_eq_u64 s[18:19], 0
	v_cmp_eq_u32_e32 vcc_lo, 0, v49
	s_cselect_b32 s13, -1, 0
	s_cmp_lg_u32 s20, 0
	s_cbranch_scc0 .LBB814_73
; %bb.53:
	v_add3_u32 v3, v64, v48, v47
	v_dual_cndmask_b32 v2, 0, v39, s8 :: v_dual_bitop2_b32 v5, 15, v61 bitop3:0x40
	s_mov_b32 s14, exec_lo
	s_delay_alu instid0(VALU_DEP_2) | instskip(NEXT) | instid1(VALU_DEP_2)
	v_add3_u32 v3, v3, v45, v44
	v_add_nc_u32_e32 v2, v2, v41
	s_delay_alu instid0(VALU_DEP_3) | instskip(NEXT) | instid1(VALU_DEP_3)
	v_cmp_eq_u32_e64 s10, 0, v5
	v_add3_u32 v3, v3, v46, v49
	s_delay_alu instid0(VALU_DEP_1) | instskip(NEXT) | instid1(VALU_DEP_1)
	v_mov_b32_dpp v6, v3 row_shr:1 row_mask:0xf bank_mask:0xf
	v_cndmask_b32_e64 v6, v6, 0, s10
	v_cndmask_b32_e64 v2, 0, v2, s7
	s_delay_alu instid0(VALU_DEP_1) | instskip(NEXT) | instid1(VALU_DEP_1)
	v_add_nc_u32_e32 v2, v2, v43
	v_cndmask_b32_e64 v2, 0, v2, s6
	s_delay_alu instid0(VALU_DEP_1) | instskip(NEXT) | instid1(VALU_DEP_1)
	v_add_nc_u32_e32 v2, v2, v59
	;; [unrolled: 3-line block ×7, first 2 shown]
	v_cndmask_b32_e32 v2, 0, v2, vcc_lo
	v_cmp_eq_u32_e32 vcc_lo, 0, v3
	v_add_nc_u32_e32 v3, v6, v3
	s_delay_alu instid0(VALU_DEP_3) | instskip(NEXT) | instid1(VALU_DEP_2)
	v_add_nc_u32_e32 v2, v2, v60
	v_cmp_eq_u32_e64 s9, 0, v3
	s_delay_alu instid0(VALU_DEP_2) | instskip(NEXT) | instid1(VALU_DEP_1)
	v_mov_b32_dpp v4, v2 row_shr:1 row_mask:0xf bank_mask:0xf
	v_cndmask_b32_e32 v4, 0, v4, vcc_lo
	v_cmp_lt_u32_e32 vcc_lo, 1, v5
	s_delay_alu instid0(VALU_DEP_2) | instskip(SKIP_1) | instid1(VALU_DEP_1)
	v_cndmask_b32_e64 v4, v4, 0, s10
	s_and_b32 s9, vcc_lo, s9
	v_add_nc_u32_e32 v2, v4, v2
	v_mov_b32_dpp v4, v3 row_shr:2 row_mask:0xf bank_mask:0xf
	s_delay_alu instid0(VALU_DEP_2) | instskip(NEXT) | instid1(VALU_DEP_1)
	v_mov_b32_dpp v6, v2 row_shr:2 row_mask:0xf bank_mask:0xf
	v_dual_cndmask_b32 v4, 0, v4, vcc_lo :: v_dual_cndmask_b32 v6, 0, v6, s9
	s_delay_alu instid0(VALU_DEP_1) | instskip(SKIP_1) | instid1(VALU_DEP_3)
	v_add_nc_u32_e32 v3, v3, v4
	v_cmp_lt_u32_e64 s9, 3, v5
	v_add_nc_u32_e32 v2, v6, v2
	s_delay_alu instid0(VALU_DEP_3) | instskip(SKIP_1) | instid1(VALU_DEP_3)
	v_mov_b32_dpp v4, v3 row_shr:4 row_mask:0xf bank_mask:0xf
	v_cmp_eq_u32_e64 s11, 0, v3
	v_mov_b32_dpp v6, v2 row_shr:4 row_mask:0xf bank_mask:0xf
	s_delay_alu instid0(VALU_DEP_3)
	v_cndmask_b32_e64 v4, 0, v4, s9
	s_and_b32 s11, s9, s11
	s_delay_alu instid0(VALU_DEP_1) | instid1(SALU_CYCLE_1)
	v_dual_cndmask_b32 v6, 0, v6, s11 :: v_dual_add_nc_u32 v3, v4, v3
	v_cmp_lt_u32_e64 s11, 7, v5
	s_delay_alu instid0(VALU_DEP_2) | instskip(NEXT) | instid1(VALU_DEP_3)
	v_add_nc_u32_e32 v2, v2, v6
	v_cmp_eq_u32_e64 s12, 0, v3
	v_mov_b32_dpp v4, v3 row_shr:8 row_mask:0xf bank_mask:0xf
	v_bfe_i32 v6, v61, 4, 1
	s_delay_alu instid0(VALU_DEP_4)
	v_mov_b32_dpp v5, v2 row_shr:8 row_mask:0xf bank_mask:0xf
	s_and_b32 s12, s11, s12
	s_delay_alu instid0(VALU_DEP_1) | instid1(SALU_CYCLE_1)
	v_dual_cndmask_b32 v4, 0, v4, s11 :: v_dual_cndmask_b32 v5, 0, v5, s12
	s_delay_alu instid0(VALU_DEP_1) | instskip(SKIP_4) | instid1(VALU_DEP_1)
	v_dual_add_nc_u32 v5, v5, v2 :: v_dual_add_nc_u32 v2, v4, v3
	ds_swizzle_b32 v3, v5 offset:swizzle(BROADCAST,32,15)
	ds_swizzle_b32 v4, v2 offset:swizzle(BROADCAST,32,15)
	v_cmp_eq_u32_e64 s12, 0, v2
	s_wait_dscnt 0x0
	v_dual_cndmask_b32 v3, 0, v3, s12 :: v_dual_bitop2_b32 v4, v6, v4 bitop3:0x40
	s_delay_alu instid0(VALU_DEP_1) | instskip(NEXT) | instid1(VALU_DEP_1)
	v_dual_add_nc_u32 v2, v4, v2 :: v_dual_bitop2_b32 v3, v6, v3 bitop3:0x40
	v_dual_lshlrev_b32 v4, 3, v62 :: v_dual_add_nc_u32 v3, v3, v5
	v_cmpx_eq_u32_e64 v0, v63
; %bb.54:
	ds_store_b64 v4, v[2:3] offset:2064
; %bb.55:
	s_or_b32 exec_lo, exec_lo, s14
	s_delay_alu instid0(SALU_CYCLE_1)
	s_mov_b32 s14, exec_lo
	s_wait_dscnt 0x0
	s_barrier_signal -1
	s_barrier_wait -1
	v_cmpx_gt_u32_e32 16, v0
	s_cbranch_execz .LBB814_57
; %bb.56:
	v_lshlrev_b32_e32 v5, 3, v0
	ds_load_b64 v[6:7], v5 offset:2064
	s_wait_dscnt 0x0
	v_mov_b32_dpp v8, v7 row_shr:1 row_mask:0xf bank_mask:0xf
	v_mov_b32_dpp v9, v6 row_shr:1 row_mask:0xf bank_mask:0xf
	v_cmp_eq_u32_e64 s12, 0, v6
	s_delay_alu instid0(VALU_DEP_2) | instskip(NEXT) | instid1(VALU_DEP_1)
	v_cndmask_b32_e64 v9, v9, 0, s10
	v_dual_cndmask_b32 v8, 0, v8, s12 :: v_dual_add_nc_u32 v6, v9, v6
	s_delay_alu instid0(VALU_DEP_1) | instskip(NEXT) | instid1(VALU_DEP_2)
	v_cndmask_b32_e64 v8, v8, 0, s10
	v_cmp_eq_u32_e64 s10, 0, v6
	s_delay_alu instid0(VALU_DEP_2) | instskip(SKIP_1) | instid1(VALU_DEP_1)
	v_add_nc_u32_e32 v7, v8, v7
	v_mov_b32_dpp v8, v6 row_shr:2 row_mask:0xf bank_mask:0xf
	v_cndmask_b32_e32 v8, 0, v8, vcc_lo
	s_delay_alu instid0(VALU_DEP_3) | instskip(SKIP_1) | instid1(VALU_DEP_1)
	v_mov_b32_dpp v9, v7 row_shr:2 row_mask:0xf bank_mask:0xf
	s_and_b32 vcc_lo, vcc_lo, s10
	v_dual_cndmask_b32 v9, 0, v9 :: v_dual_add_nc_u32 v6, v8, v6
	s_delay_alu instid0(VALU_DEP_1) | instskip(NEXT) | instid1(VALU_DEP_2)
	v_add_nc_u32_e32 v7, v9, v7
	v_mov_b32_dpp v8, v6 row_shr:4 row_mask:0xf bank_mask:0xf
	v_cmp_eq_u32_e32 vcc_lo, 0, v6
	s_delay_alu instid0(VALU_DEP_3)
	v_mov_b32_dpp v9, v7 row_shr:4 row_mask:0xf bank_mask:0xf
	s_and_b32 vcc_lo, s9, vcc_lo
	s_delay_alu instid0(VALU_DEP_1) | instid1(SALU_CYCLE_1)
	v_dual_cndmask_b32 v8, 0, v8, s9 :: v_dual_cndmask_b32 v9, 0, v9, vcc_lo
	s_delay_alu instid0(VALU_DEP_1) | instskip(NEXT) | instid1(VALU_DEP_1)
	v_dual_add_nc_u32 v6, v8, v6 :: v_dual_add_nc_u32 v7, v9, v7
	v_cmp_eq_u32_e32 vcc_lo, 0, v6
	v_mov_b32_dpp v8, v6 row_shr:8 row_mask:0xf bank_mask:0xf
	s_delay_alu instid0(VALU_DEP_3)
	v_mov_b32_dpp v9, v7 row_shr:8 row_mask:0xf bank_mask:0xf
	s_and_b32 vcc_lo, s11, vcc_lo
	s_delay_alu instid0(VALU_DEP_1) | instid1(SALU_CYCLE_1)
	v_dual_cndmask_b32 v8, 0, v8, s11 :: v_dual_cndmask_b32 v9, 0, v9, vcc_lo
	s_delay_alu instid0(VALU_DEP_1)
	v_dual_add_nc_u32 v6, v8, v6 :: v_dual_add_nc_u32 v7, v9, v7
	ds_store_b64 v5, v[6:7] offset:2064
.LBB814_57:
	s_or_b32 exec_lo, exec_lo, s14
	v_dual_mov_b32 v14, 0 :: v_dual_mov_b32 v15, 0
	s_mov_b32 s10, exec_lo
	v_cmp_gt_u32_e32 vcc_lo, 32, v0
	s_wait_dscnt 0x0
	s_barrier_signal -1
	s_barrier_wait -1
	v_cmpx_lt_u32_e32 31, v0
	s_cbranch_execz .LBB814_59
; %bb.58:
	ds_load_b64 v[14:15], v4 offset:2056
	v_cmp_eq_u32_e64 s9, 0, v2
	s_wait_dscnt 0x0
	s_delay_alu instid0(VALU_DEP_1) | instskip(NEXT) | instid1(VALU_DEP_1)
	v_dual_cndmask_b32 v4, 0, v15, s9 :: v_dual_add_nc_u32 v2, v14, v2
	v_add_nc_u32_e32 v3, v4, v3
.LBB814_59:
	s_or_b32 exec_lo, exec_lo, s10
	v_sub_co_u32 v4, s9, v61, 1
	s_delay_alu instid0(VALU_DEP_1) | instskip(NEXT) | instid1(VALU_DEP_1)
	v_cmp_gt_i32_e64 s10, 0, v4
	v_cndmask_b32_e64 v4, v4, v61, s10
	s_delay_alu instid0(VALU_DEP_1)
	v_lshlrev_b32_e32 v4, 2, v4
	ds_bpermute_b32 v20, v4, v2
	ds_bpermute_b32 v21, v4, v3
	s_and_saveexec_b32 s12, vcc_lo
	s_cbranch_execz .LBB814_78
; %bb.60:
	v_mov_b32_e32 v5, 0
	ds_load_b64 v[2:3], v5 offset:2184
	s_and_saveexec_b32 s10, s9
	s_cbranch_execz .LBB814_62
; %bb.61:
	s_add_co_i32 s18, s20, 32
	s_mov_b32 s19, 0
	v_mov_b32_e32 v4, 1
	s_lshl_b64 s[18:19], s[18:19], 4
	s_delay_alu instid0(SALU_CYCLE_1) | instskip(NEXT) | instid1(SALU_CYCLE_1)
	s_add_nc_u64 s[18:19], s[16:17], s[18:19]
	v_mov_b64_e32 v[6:7], s[18:19]
	s_wait_dscnt 0x0
	;;#ASMSTART
	global_store_b128 v[6:7], v[2:5] off scope:SCOPE_DEV	
s_wait_storecnt 0x0
	;;#ASMEND
.LBB814_62:
	s_or_b32 exec_lo, exec_lo, s10
	v_xad_u32 v16, v61, -1, s20
	s_mov_b32 s11, 0
	s_mov_b32 s10, exec_lo
	s_delay_alu instid0(VALU_DEP_1) | instskip(NEXT) | instid1(VALU_DEP_1)
	v_add_nc_u32_e32 v4, 32, v16
	v_lshl_add_u64 v[4:5], v[4:5], 4, s[16:17]
	;;#ASMSTART
	global_load_b128 v[6:9], v[4:5] off scope:SCOPE_DEV	
s_wait_loadcnt 0x0
	;;#ASMEND
	v_and_b32_e32 v9, 0xff, v8
	s_delay_alu instid0(VALU_DEP_1)
	v_cmpx_eq_u16_e32 0, v9
	s_cbranch_execz .LBB814_65
.LBB814_63:                             ; =>This Inner Loop Header: Depth=1
	;;#ASMSTART
	global_load_b128 v[6:9], v[4:5] off scope:SCOPE_DEV	
s_wait_loadcnt 0x0
	;;#ASMEND
	v_and_b32_e32 v9, 0xff, v8
	s_delay_alu instid0(VALU_DEP_1) | instskip(SKIP_1) | instid1(SALU_CYCLE_1)
	v_cmp_ne_u16_e32 vcc_lo, 0, v9
	s_or_b32 s11, vcc_lo, s11
	s_and_not1_b32 exec_lo, exec_lo, s11
	s_cbranch_execnz .LBB814_63
; %bb.64:
	s_or_b32 exec_lo, exec_lo, s11
.LBB814_65:
	s_delay_alu instid0(SALU_CYCLE_1)
	s_or_b32 exec_lo, exec_lo, s10
	v_cmp_ne_u32_e32 vcc_lo, 31, v61
	v_lshlrev_b32_e64 v23, v61, -1
	v_cmp_gt_u32_e64 s11, 30, v61
	v_lshl_or_b32 v30, v61, 2, 64
	v_add_nc_u32_e32 v25, 2, v61
	v_add_co_ci_u32_e64 v4, null, 0, v61, vcc_lo
	s_delay_alu instid0(VALU_DEP_4) | instskip(SKIP_1) | instid1(VALU_DEP_3)
	v_cndmask_b32_e64 v17, 0, 2, s11
	v_dual_add_nc_u32 v27, 4, v61 :: v_dual_add_nc_u32 v29, 8, v61
	v_lshlrev_b32_e32 v22, 2, v4
	v_and_b32_e32 v4, 0xff, v8
	s_delay_alu instid0(VALU_DEP_4)
	v_add_lshl_u32 v24, v17, v61, 2
	v_add_nc_u32_e32 v31, 16, v61
	ds_bpermute_b32 v5, v22, v6
	v_cmp_eq_u16_e32 vcc_lo, 2, v4
	v_and_or_b32 v9, vcc_lo, v23, 0x80000000
	v_cmp_eq_u32_e32 vcc_lo, 0, v6
	s_delay_alu instid0(VALU_DEP_2) | instskip(NEXT) | instid1(VALU_DEP_1)
	v_ctz_i32_b32_e32 v9, v9
	v_cmp_lt_u32_e64 s10, v61, v9
	s_wait_dscnt 0x0
	s_delay_alu instid0(VALU_DEP_1) | instskip(SKIP_4) | instid1(VALU_DEP_1)
	v_cndmask_b32_e64 v5, 0, v5, s10
	ds_bpermute_b32 v4, v22, v7
	s_and_b32 vcc_lo, s10, vcc_lo
	s_wait_dscnt 0x0
	v_dual_cndmask_b32 v4, 0, v4 :: v_dual_add_nc_u32 v5, v5, v6
	v_cmp_eq_u32_e32 vcc_lo, 0, v5
	s_delay_alu instid0(VALU_DEP_2)
	v_add_nc_u32_e32 v4, v4, v7
	ds_bpermute_b32 v7, v24, v4
	s_wait_dscnt 0x0
	v_cndmask_b32_e32 v6, 0, v7, vcc_lo
	ds_bpermute_b32 v7, v24, v5
	v_cmp_gt_u32_e32 vcc_lo, 28, v61
	v_cndmask_b32_e64 v17, 0, 4, vcc_lo
	v_cmp_gt_u32_e32 vcc_lo, v25, v9
	s_delay_alu instid0(VALU_DEP_2) | instskip(SKIP_2) | instid1(VALU_DEP_1)
	v_add_lshl_u32 v26, v17, v61, 2
	s_wait_dscnt 0x0
	v_cndmask_b32_e64 v7, v7, 0, vcc_lo
	v_add_nc_u32_e32 v5, v5, v7
	v_cndmask_b32_e64 v6, v6, 0, vcc_lo
	ds_bpermute_b32 v7, v26, v5
	v_add_nc_u32_e32 v4, v6, v4
	v_cmp_eq_u32_e32 vcc_lo, 0, v5
	ds_bpermute_b32 v6, v26, v4
	s_wait_dscnt 0x0
	v_cndmask_b32_e32 v6, 0, v6, vcc_lo
	v_cmp_gt_u32_e32 vcc_lo, 24, v61
	v_cndmask_b32_e64 v17, 0, 8, vcc_lo
	v_cmp_gt_u32_e32 vcc_lo, v27, v9
	s_delay_alu instid0(VALU_DEP_2) | instskip(SKIP_1) | instid1(VALU_DEP_1)
	v_add_lshl_u32 v28, v17, v61, 2
	v_cndmask_b32_e64 v7, v7, 0, vcc_lo
	v_dual_mov_b32 v17, 0 :: v_dual_add_nc_u32 v5, v5, v7
	v_cndmask_b32_e64 v6, v6, 0, vcc_lo
	ds_bpermute_b32 v7, v28, v5
	v_add_nc_u32_e32 v4, v4, v6
	v_cmp_eq_u32_e32 vcc_lo, 0, v5
	ds_bpermute_b32 v6, v28, v4
	s_wait_dscnt 0x0
	v_cndmask_b32_e32 v6, 0, v6, vcc_lo
	v_cmp_gt_u32_e32 vcc_lo, v29, v9
	s_delay_alu instid0(VALU_DEP_2) | instskip(NEXT) | instid1(VALU_DEP_1)
	v_cndmask_b32_e64 v6, v6, 0, vcc_lo
	v_add_nc_u32_e32 v4, v4, v6
	v_cndmask_b32_e64 v6, v7, 0, vcc_lo
	s_delay_alu instid0(VALU_DEP_1)
	v_add_nc_u32_e32 v5, v5, v6
	ds_bpermute_b32 v7, v30, v4
	ds_bpermute_b32 v6, v30, v5
	v_cmp_eq_u32_e32 vcc_lo, 0, v5
	s_wait_dscnt 0x1
	v_cndmask_b32_e32 v7, 0, v7, vcc_lo
	v_cmp_gt_u32_e32 vcc_lo, v31, v9
	s_wait_dscnt 0x0
	v_cndmask_b32_e64 v6, v6, 0, vcc_lo
	s_delay_alu instid0(VALU_DEP_1) | instskip(SKIP_1) | instid1(VALU_DEP_1)
	v_add_nc_u32_e32 v6, v6, v5
	v_cndmask_b32_e64 v7, v7, 0, vcc_lo
	v_add_nc_u32_e32 v7, v7, v4
	s_branch .LBB814_69
.LBB814_66:                             ;   in Loop: Header=BB814_69 Depth=1
	s_or_b32 exec_lo, exec_lo, s11
.LBB814_67:                             ;   in Loop: Header=BB814_69 Depth=1
	s_delay_alu instid0(SALU_CYCLE_1)
	s_or_b32 exec_lo, exec_lo, s10
	v_and_b32_e32 v9, 0xff, v8
	ds_bpermute_b32 v18, v22, v6
	v_subrev_nc_u32_e32 v16, 32, v16
	v_cmp_eq_u16_e32 vcc_lo, 2, v9
	ds_bpermute_b32 v9, v22, v7
	v_and_or_b32 v19, vcc_lo, v23, 0x80000000
	v_cmp_eq_u32_e32 vcc_lo, 0, v6
	s_delay_alu instid0(VALU_DEP_2) | instskip(NEXT) | instid1(VALU_DEP_1)
	v_ctz_i32_b32_e32 v19, v19
	v_cmp_lt_u32_e64 s10, v61, v19
	s_and_b32 vcc_lo, s10, vcc_lo
	s_wait_dscnt 0x0
	v_dual_cndmask_b32 v18, 0, v18, s10 :: v_dual_cndmask_b32 v9, 0, v9, vcc_lo
	s_mov_b32 s10, 0
	s_delay_alu instid0(VALU_DEP_1)
	v_dual_add_nc_u32 v6, v18, v6 :: v_dual_add_nc_u32 v7, v9, v7
	ds_bpermute_b32 v18, v24, v6
	ds_bpermute_b32 v9, v24, v7
	v_cmp_eq_u32_e32 vcc_lo, 0, v6
	s_wait_dscnt 0x0
	v_cndmask_b32_e32 v9, 0, v9, vcc_lo
	v_cmp_gt_u32_e32 vcc_lo, v25, v19
	v_cndmask_b32_e64 v18, v18, 0, vcc_lo
	s_delay_alu instid0(VALU_DEP_1) | instskip(NEXT) | instid1(VALU_DEP_4)
	v_add_nc_u32_e32 v6, v6, v18
	v_cndmask_b32_e64 v9, v9, 0, vcc_lo
	s_delay_alu instid0(VALU_DEP_2) | instskip(NEXT) | instid1(VALU_DEP_2)
	v_cmp_eq_u32_e32 vcc_lo, 0, v6
	v_add_nc_u32_e32 v7, v9, v7
	ds_bpermute_b32 v18, v26, v6
	ds_bpermute_b32 v9, v26, v7
	s_wait_dscnt 0x0
	v_cndmask_b32_e32 v9, 0, v9, vcc_lo
	v_cmp_gt_u32_e32 vcc_lo, v27, v19
	s_delay_alu instid0(VALU_DEP_2) | instskip(SKIP_1) | instid1(VALU_DEP_1)
	v_cndmask_b32_e64 v9, v9, 0, vcc_lo
	v_cndmask_b32_e64 v18, v18, 0, vcc_lo
	v_dual_add_nc_u32 v7, v7, v9 :: v_dual_add_nc_u32 v6, v6, v18
	ds_bpermute_b32 v9, v28, v7
	ds_bpermute_b32 v18, v28, v6
	v_cmp_eq_u32_e32 vcc_lo, 0, v6
	s_wait_dscnt 0x1
	v_cndmask_b32_e32 v9, 0, v9, vcc_lo
	v_cmp_gt_u32_e32 vcc_lo, v29, v19
	s_wait_dscnt 0x0
	v_cndmask_b32_e64 v18, v18, 0, vcc_lo
	s_delay_alu instid0(VALU_DEP_1) | instskip(SKIP_1) | instid1(VALU_DEP_2)
	v_add_nc_u32_e32 v6, v6, v18
	v_cndmask_b32_e64 v9, v9, 0, vcc_lo
	v_cmp_eq_u32_e32 vcc_lo, 0, v6
	s_delay_alu instid0(VALU_DEP_2)
	v_add_nc_u32_e32 v7, v7, v9
	ds_bpermute_b32 v18, v30, v6
	ds_bpermute_b32 v9, v30, v7
	s_wait_dscnt 0x0
	v_cndmask_b32_e32 v9, 0, v9, vcc_lo
	v_cmp_gt_u32_e32 vcc_lo, v31, v19
	s_delay_alu instid0(VALU_DEP_2) | instskip(NEXT) | instid1(VALU_DEP_1)
	v_cndmask_b32_e64 v9, v9, 0, vcc_lo
	v_add_nc_u32_e32 v7, v9, v7
	v_cndmask_b32_e64 v9, v18, 0, vcc_lo
	v_cmp_eq_u32_e32 vcc_lo, 0, v4
	s_delay_alu instid0(VALU_DEP_2) | instskip(NEXT) | instid1(VALU_DEP_4)
	v_add3_u32 v6, v6, v4, v9
	v_cndmask_b32_e32 v7, 0, v7, vcc_lo
	s_delay_alu instid0(VALU_DEP_1)
	v_add_nc_u32_e32 v7, v7, v5
.LBB814_68:                             ;   in Loop: Header=BB814_69 Depth=1
	s_and_b32 vcc_lo, exec_lo, s10
	s_cbranch_vccnz .LBB814_74
.LBB814_69:                             ; =>This Loop Header: Depth=1
                                        ;     Child Loop BB814_72 Depth 2
	v_and_b32_e32 v4, 0xff, v8
	s_delay_alu instid0(VALU_DEP_2) | instskip(SKIP_1) | instid1(VALU_DEP_2)
	v_mov_b32_e32 v5, v7
	s_mov_b32 s10, -1
                                        ; implicit-def: $vgpr7
                                        ; implicit-def: $vgpr8
	v_cmp_ne_u16_e32 vcc_lo, 2, v4
	v_mov_b32_e32 v4, v6
                                        ; implicit-def: $vgpr6
	s_cmp_lg_u32 vcc_lo, exec_lo
	s_cbranch_scc1 .LBB814_68
; %bb.70:                               ;   in Loop: Header=BB814_69 Depth=1
	v_lshl_add_u64 v[18:19], v[16:17], 4, s[16:17]
	;;#ASMSTART
	global_load_b128 v[6:9], v[18:19] off scope:SCOPE_DEV	
s_wait_loadcnt 0x0
	;;#ASMEND
	v_and_b32_e32 v9, 0xff, v8
	s_mov_b32 s10, exec_lo
	s_delay_alu instid0(VALU_DEP_1)
	v_cmpx_eq_u16_e32 0, v9
	s_cbranch_execz .LBB814_67
; %bb.71:                               ;   in Loop: Header=BB814_69 Depth=1
	s_mov_b32 s11, 0
.LBB814_72:                             ;   Parent Loop BB814_69 Depth=1
                                        ; =>  This Inner Loop Header: Depth=2
	;;#ASMSTART
	global_load_b128 v[6:9], v[18:19] off scope:SCOPE_DEV	
s_wait_loadcnt 0x0
	;;#ASMEND
	v_and_b32_e32 v9, 0xff, v8
	s_delay_alu instid0(VALU_DEP_1) | instskip(SKIP_1) | instid1(SALU_CYCLE_1)
	v_cmp_ne_u16_e32 vcc_lo, 0, v9
	s_or_b32 s11, vcc_lo, s11
	s_and_not1_b32 exec_lo, exec_lo, s11
	s_cbranch_execnz .LBB814_72
	s_branch .LBB814_66
.LBB814_73:
                                        ; implicit-def: $vgpr4
                                        ; implicit-def: $vgpr14
                                        ; implicit-def: $vgpr20_vgpr21
                                        ; implicit-def: $vgpr22_vgpr23
                                        ; implicit-def: $vgpr34_vgpr35
                                        ; implicit-def: $vgpr24_vgpr25
                                        ; implicit-def: $vgpr28_vgpr29
                                        ; implicit-def: $vgpr32_vgpr33
                                        ; implicit-def: $vgpr30_vgpr31
                                        ; implicit-def: $vgpr26_vgpr27
                                        ; implicit-def: $vgpr16_vgpr17
                                        ; implicit-def: $vgpr18_vgpr19
	s_cbranch_execnz .LBB814_79
	s_branch .LBB814_90
.LBB814_74:
	s_and_saveexec_b32 s10, s9
	s_cbranch_execz .LBB814_76
; %bb.75:
	v_cmp_eq_u32_e32 vcc_lo, 0, v2
	s_mov_b32 s19, 0
	s_add_co_i32 s18, s20, 32
	v_mov_b32_e32 v9, 0
	s_lshl_b64 s[18:19], s[18:19], 4
	v_dual_cndmask_b32 v7, 0, v5 :: v_dual_add_nc_u32 v6, v4, v2
	s_add_nc_u64 s[18:19], s[16:17], s[18:19]
	v_mov_b32_e32 v8, 2
	v_mov_b64_e32 v[16:17], s[18:19]
	s_delay_alu instid0(VALU_DEP_3)
	v_add_nc_u32_e32 v7, v7, v3
	;;#ASMSTART
	global_store_b128 v[16:17], v[6:9] off scope:SCOPE_DEV	
s_wait_storecnt 0x0
	;;#ASMEND
	ds_store_b128 v9, v[2:5] offset:2048
.LBB814_76:
	s_or_b32 exec_lo, exec_lo, s10
	s_delay_alu instid0(SALU_CYCLE_1)
	s_and_b32 exec_lo, exec_lo, s2
; %bb.77:
	v_mov_b32_e32 v2, 0
	ds_store_b64 v2, v[4:5] offset:2184
.LBB814_78:
	s_or_b32 exec_lo, exec_lo, s12
	s_wait_dscnt 0x1
	v_dual_mov_b32 v4, 0 :: v_dual_cndmask_b32 v5, v20, v14, s9
	s_wait_dscnt 0x0
	s_barrier_signal -1
	s_barrier_wait -1
	ds_load_b64 v[2:3], v4 offset:2184
	v_cmp_eq_u32_e32 vcc_lo, 0, v5
	v_cndmask_b32_e64 v5, v5, 0, s2
	s_wait_dscnt 0x0
	s_barrier_signal -1
	s_barrier_wait -1
	v_cndmask_b32_e32 v7, 0, v3, vcc_lo
	v_cmp_eq_u32_e32 vcc_lo, 0, v58
	v_dual_cndmask_b32 v6, v21, v15, s9 :: v_dual_add_nc_u32 v28, v2, v5
	s_delay_alu instid0(VALU_DEP_1) | instskip(NEXT) | instid1(VALU_DEP_1)
	v_add_nc_u32_e32 v6, v7, v6
	v_dual_add_nc_u32 v32, v28, v58 :: v_dual_cndmask_b32 v29, v6, v3, s2
	ds_load_b128 v[4:7], v4 offset:2048
	v_cndmask_b32_e32 v3, 0, v29, vcc_lo
	s_delay_alu instid0(VALU_DEP_1) | instskip(NEXT) | instid1(VALU_DEP_1)
	v_add_nc_u32_e32 v33, v3, v39
	v_cndmask_b32_e64 v3, 0, v33, s8
	s_delay_alu instid0(VALU_DEP_1) | instskip(SKIP_2) | instid1(VALU_DEP_2)
	v_add_nc_u32_e32 v31, v3, v41
	s_wait_dscnt 0x0
	v_cmp_eq_u32_e32 vcc_lo, 0, v4
	v_cndmask_b32_e64 v3, 0, v31, s7
	s_delay_alu instid0(VALU_DEP_1) | instskip(NEXT) | instid1(VALU_DEP_1)
	v_add_nc_u32_e32 v27, v3, v43
	v_cndmask_b32_e64 v3, 0, v27, s6
	s_delay_alu instid0(VALU_DEP_1) | instskip(NEXT) | instid1(VALU_DEP_1)
	v_add_nc_u32_e32 v17, v3, v59
	v_dual_cndmask_b32 v3, 0, v7, vcc_lo :: v_dual_cndmask_b32 v2, 0, v17, s5
	s_delay_alu instid0(VALU_DEP_1) | instskip(NEXT) | instid1(VALU_DEP_1)
	v_dual_add_nc_u32 v14, v3, v5 :: v_dual_add_nc_u32 v19, v2, v42
	v_dual_add_nc_u32 v30, v32, v52 :: v_dual_cndmask_b32 v2, 0, v19, s4
	s_delay_alu instid0(VALU_DEP_1) | instskip(NEXT) | instid1(VALU_DEP_1)
	v_add_nc_u32_e32 v25, v2, v40
	v_dual_add_nc_u32 v26, v30, v51 :: v_dual_cndmask_b32 v2, 0, v25, s3
	s_delay_alu instid0(VALU_DEP_1) | instskip(NEXT) | instid1(VALU_DEP_1)
	v_add_nc_u32_e32 v35, v2, v38
	v_dual_add_nc_u32 v16, v26, v50 :: v_dual_cndmask_b32 v2, 0, v35, s1
	s_delay_alu instid0(VALU_DEP_1) | instskip(NEXT) | instid1(VALU_DEP_1)
	v_dual_add_nc_u32 v18, v16, v48 :: v_dual_add_nc_u32 v23, v2, v37
	v_add_nc_u32_e32 v24, v18, v47
	s_delay_alu instid0(VALU_DEP_1) | instskip(NEXT) | instid1(VALU_DEP_1)
	v_dual_cndmask_b32 v2, 0, v23, s0 :: v_dual_add_nc_u32 v34, v24, v45
	v_add_nc_u32_e32 v21, v2, v36
	s_delay_alu instid0(VALU_DEP_2) | instskip(NEXT) | instid1(VALU_DEP_1)
	v_add_nc_u32_e32 v22, v34, v44
	v_add_nc_u32_e32 v20, v22, v46
	s_branch .LBB814_90
.LBB814_79:
	s_cmp_eq_u64 s[36:37], 0
	v_mov_b32_e32 v6, v39
	s_cselect_b32 s0, -1, 0
	s_delay_alu instid0(SALU_CYCLE_1) | instskip(NEXT) | instid1(SALU_CYCLE_1)
	s_or_b32 s0, s13, s0
	s_and_b32 vcc_lo, exec_lo, s0
	s_cbranch_vccnz .LBB814_81
; %bb.80:
	v_mov_b32_e32 v2, 0
	global_load_b32 v6, v2, s[36:37]
.LBB814_81:
	v_add3_u32 v3, v64, v48, v47
	v_cmp_eq_u32_e64 s5, 0, v52
	v_cmp_eq_u32_e64 s6, 0, v51
	;; [unrolled: 1-line block ×4, first 2 shown]
	v_add3_u32 v3, v3, v45, v44
	s_wait_xcnt 0x0
	v_dual_cndmask_b32 v2, 0, v39, s5 :: v_dual_bitop2_b32 v5, 15, v61 bitop3:0x40
	v_cmp_eq_u32_e64 s3, 0, v47
	v_cmp_eq_u32_e64 s1, 0, v45
	v_add3_u32 v3, v3, v46, v49
	s_delay_alu instid0(VALU_DEP_4)
	v_add_nc_u32_e32 v2, v2, v41
	v_cmp_eq_u32_e64 s10, 0, v5
	v_cmp_eq_u32_e64 s0, 0, v44
	v_cmp_eq_u32_e32 vcc_lo, 0, v46
	v_mov_b32_dpp v7, v3 row_shr:1 row_mask:0xf bank_mask:0xf
	v_cmp_eq_u32_e64 s8, 0, v49
	s_mov_b32 s14, exec_lo
	v_cndmask_b32_e64 v7, v7, 0, s10
	v_cndmask_b32_e64 v2, 0, v2, s6
	s_delay_alu instid0(VALU_DEP_1) | instskip(NEXT) | instid1(VALU_DEP_1)
	v_add_nc_u32_e32 v2, v2, v43
	v_cndmask_b32_e64 v2, 0, v2, s7
	s_delay_alu instid0(VALU_DEP_1) | instskip(NEXT) | instid1(VALU_DEP_1)
	v_add_nc_u32_e32 v2, v2, v59
	;; [unrolled: 3-line block ×6, first 2 shown]
	v_cndmask_b32_e32 v2, 0, v2, vcc_lo
	s_delay_alu instid0(VALU_DEP_1) | instskip(NEXT) | instid1(VALU_DEP_1)
	v_add_nc_u32_e32 v2, v2, v36
	v_cndmask_b32_e64 v2, 0, v2, s8
	v_cmp_eq_u32_e64 s8, 0, v3
	s_delay_alu instid0(VALU_DEP_2) | instskip(NEXT) | instid1(VALU_DEP_1)
	v_dual_add_nc_u32 v3, v7, v3 :: v_dual_add_nc_u32 v2, v2, v60
	v_cmp_eq_u32_e64 s9, 0, v3
	s_delay_alu instid0(VALU_DEP_2) | instskip(NEXT) | instid1(VALU_DEP_1)
	v_mov_b32_dpp v4, v2 row_shr:1 row_mask:0xf bank_mask:0xf
	v_cndmask_b32_e64 v4, 0, v4, s8
	v_cmp_lt_u32_e64 s8, 1, v5
	s_delay_alu instid0(VALU_DEP_2) | instskip(SKIP_1) | instid1(VALU_DEP_1)
	v_cndmask_b32_e64 v4, v4, 0, s10
	s_and_b32 s9, s8, s9
	v_add_nc_u32_e32 v2, v4, v2
	v_mov_b32_dpp v4, v3 row_shr:2 row_mask:0xf bank_mask:0xf
	s_delay_alu instid0(VALU_DEP_2) | instskip(NEXT) | instid1(VALU_DEP_1)
	v_mov_b32_dpp v7, v2 row_shr:2 row_mask:0xf bank_mask:0xf
	v_dual_cndmask_b32 v4, 0, v4, s8 :: v_dual_cndmask_b32 v7, 0, v7, s9
	s_delay_alu instid0(VALU_DEP_1) | instskip(SKIP_1) | instid1(VALU_DEP_3)
	v_add_nc_u32_e32 v3, v3, v4
	v_cmp_lt_u32_e64 s9, 3, v5
	v_add_nc_u32_e32 v2, v7, v2
	s_delay_alu instid0(VALU_DEP_3) | instskip(SKIP_1) | instid1(VALU_DEP_3)
	v_mov_b32_dpp v4, v3 row_shr:4 row_mask:0xf bank_mask:0xf
	v_cmp_eq_u32_e64 s11, 0, v3
	v_mov_b32_dpp v7, v2 row_shr:4 row_mask:0xf bank_mask:0xf
	s_delay_alu instid0(VALU_DEP_3)
	v_cndmask_b32_e64 v4, 0, v4, s9
	s_and_b32 s11, s9, s11
	s_delay_alu instid0(VALU_DEP_2) | instid1(SALU_CYCLE_1)
	v_cndmask_b32_e64 v7, 0, v7, s11
	s_delay_alu instid0(VALU_DEP_2) | instskip(SKIP_1) | instid1(VALU_DEP_3)
	v_add_nc_u32_e32 v3, v4, v3
	v_cmp_lt_u32_e64 s11, 7, v5
	v_add_nc_u32_e32 v2, v2, v7
	s_delay_alu instid0(VALU_DEP_3) | instskip(SKIP_2) | instid1(VALU_DEP_4)
	v_cmp_eq_u32_e64 s12, 0, v3
	v_mov_b32_dpp v4, v3 row_shr:8 row_mask:0xf bank_mask:0xf
	v_bfe_i32 v7, v61, 4, 1
	v_mov_b32_dpp v5, v2 row_shr:8 row_mask:0xf bank_mask:0xf
	s_and_b32 s12, s11, s12
	s_delay_alu instid0(VALU_DEP_1) | instid1(SALU_CYCLE_1)
	v_dual_cndmask_b32 v4, 0, v4, s11 :: v_dual_cndmask_b32 v5, 0, v5, s12
	s_delay_alu instid0(VALU_DEP_1) | instskip(SKIP_4) | instid1(VALU_DEP_1)
	v_dual_add_nc_u32 v5, v5, v2 :: v_dual_add_nc_u32 v2, v4, v3
	ds_swizzle_b32 v3, v5 offset:swizzle(BROADCAST,32,15)
	ds_swizzle_b32 v4, v2 offset:swizzle(BROADCAST,32,15)
	v_cmp_eq_u32_e64 s12, 0, v2
	s_wait_dscnt 0x0
	v_dual_cndmask_b32 v3, 0, v3, s12 :: v_dual_bitop2_b32 v4, v7, v4 bitop3:0x40
	s_delay_alu instid0(VALU_DEP_1) | instskip(NEXT) | instid1(VALU_DEP_1)
	v_dual_add_nc_u32 v2, v4, v2 :: v_dual_bitop2_b32 v3, v7, v3 bitop3:0x40
	v_dual_add_nc_u32 v3, v3, v5 :: v_dual_lshlrev_b32 v5, 3, v62
	v_cmpx_eq_u32_e64 v0, v63
; %bb.82:
	ds_store_b64 v5, v[2:3] offset:2064
; %bb.83:
	s_or_b32 exec_lo, exec_lo, s14
	s_delay_alu instid0(SALU_CYCLE_1)
	s_mov_b32 s14, exec_lo
	s_wait_loadcnt_dscnt 0x0
	s_barrier_signal -1
	s_barrier_wait -1
	v_cmpx_gt_u32_e32 16, v0
	s_cbranch_execz .LBB814_85
; %bb.84:
	v_lshlrev_b32_e32 v4, 3, v0
	ds_load_b64 v[8:9], v4 offset:2064
	s_wait_dscnt 0x0
	v_mov_b32_dpp v7, v9 row_shr:1 row_mask:0xf bank_mask:0xf
	v_cmp_eq_u32_e64 s12, 0, v8
	v_mov_b32_dpp v14, v8 row_shr:1 row_mask:0xf bank_mask:0xf
	s_delay_alu instid0(VALU_DEP_2) | instskip(NEXT) | instid1(VALU_DEP_2)
	v_cndmask_b32_e64 v7, 0, v7, s12
	v_cndmask_b32_e64 v14, v14, 0, s10
	s_delay_alu instid0(VALU_DEP_2) | instskip(NEXT) | instid1(VALU_DEP_1)
	v_cndmask_b32_e64 v7, v7, 0, s10
	v_dual_add_nc_u32 v8, v14, v8 :: v_dual_add_nc_u32 v7, v7, v9
	s_delay_alu instid0(VALU_DEP_1) | instskip(SKIP_1) | instid1(VALU_DEP_3)
	v_mov_b32_dpp v9, v8 row_shr:2 row_mask:0xf bank_mask:0xf
	v_cmp_eq_u32_e64 s10, 0, v8
	v_mov_b32_dpp v14, v7 row_shr:2 row_mask:0xf bank_mask:0xf
	s_delay_alu instid0(VALU_DEP_3)
	v_cndmask_b32_e64 v9, 0, v9, s8
	s_and_b32 s8, s8, s10
	s_delay_alu instid0(VALU_DEP_1) | instid1(SALU_CYCLE_1)
	v_dual_cndmask_b32 v14, 0, v14, s8 :: v_dual_add_nc_u32 v8, v9, v8
	s_delay_alu instid0(VALU_DEP_1) | instskip(NEXT) | instid1(VALU_DEP_2)
	v_add_nc_u32_e32 v7, v14, v7
	v_mov_b32_dpp v9, v8 row_shr:4 row_mask:0xf bank_mask:0xf
	v_cmp_eq_u32_e64 s8, 0, v8
	s_delay_alu instid0(VALU_DEP_3)
	v_mov_b32_dpp v14, v7 row_shr:4 row_mask:0xf bank_mask:0xf
	s_and_b32 s8, s9, s8
	s_delay_alu instid0(VALU_DEP_1) | instid1(SALU_CYCLE_1)
	v_dual_cndmask_b32 v9, 0, v9, s9 :: v_dual_cndmask_b32 v14, 0, v14, s8
	s_delay_alu instid0(VALU_DEP_1) | instskip(NEXT) | instid1(VALU_DEP_1)
	v_dual_add_nc_u32 v8, v9, v8 :: v_dual_add_nc_u32 v7, v14, v7
	v_cmp_eq_u32_e64 s8, 0, v8
	v_mov_b32_dpp v9, v8 row_shr:8 row_mask:0xf bank_mask:0xf
	s_delay_alu instid0(VALU_DEP_3)
	v_mov_b32_dpp v14, v7 row_shr:8 row_mask:0xf bank_mask:0xf
	s_and_b32 s8, s11, s8
	s_delay_alu instid0(VALU_DEP_1) | instid1(SALU_CYCLE_1)
	v_dual_cndmask_b32 v9, 0, v9, s11 :: v_dual_cndmask_b32 v14, 0, v14, s8
	s_delay_alu instid0(VALU_DEP_1)
	v_dual_add_nc_u32 v8, v9, v8 :: v_dual_add_nc_u32 v9, v14, v7
	ds_store_b64 v4, v[8:9] offset:2064
.LBB814_85:
	s_or_b32 exec_lo, exec_lo, s14
	v_dual_mov_b32 v7, 0 :: v_dual_mov_b32 v4, 0
	v_mov_b32_e32 v8, v6
	s_mov_b32 s9, exec_lo
	s_wait_dscnt 0x0
	s_barrier_signal -1
	s_barrier_wait -1
	v_cmpx_lt_u32_e32 31, v0
	s_cbranch_execz .LBB814_87
; %bb.86:
	ds_load_b64 v[4:5], v5 offset:2056
	s_wait_dscnt 0x0
	v_cmp_eq_u32_e64 s8, 0, v4
	s_delay_alu instid0(VALU_DEP_1) | instskip(NEXT) | instid1(VALU_DEP_1)
	v_cndmask_b32_e64 v8, 0, v6, s8
	v_add_nc_u32_e32 v8, v8, v5
.LBB814_87:
	s_or_b32 exec_lo, exec_lo, s9
	v_sub_co_u32 v5, s8, v61, 1
	s_delay_alu instid0(VALU_DEP_1) | instskip(NEXT) | instid1(VALU_DEP_1)
	v_cmp_gt_i32_e64 s9, 0, v5
	v_cndmask_b32_e64 v5, v5, v61, s9
	v_cmp_eq_u32_e64 s9, 0, v2
	s_delay_alu instid0(VALU_DEP_1) | instskip(NEXT) | instid1(VALU_DEP_3)
	v_dual_cndmask_b32 v9, 0, v8, s9 :: v_dual_add_nc_u32 v2, v4, v2
	v_lshlrev_b32_e32 v5, 2, v5
	ds_bpermute_b32 v2, v5, v2
	s_wait_dscnt 0x0
	v_dual_add_nc_u32 v3, v9, v3 :: v_dual_cndmask_b32 v2, v2, v4, s8
	ds_bpermute_b32 v3, v5, v3
	ds_load_b64 v[4:5], v7 offset:2184
	v_cndmask_b32_e64 v28, v2, 0, s2
	s_delay_alu instid0(VALU_DEP_1) | instskip(NEXT) | instid1(VALU_DEP_1)
	v_add_nc_u32_e32 v32, v28, v58
	v_add_nc_u32_e32 v30, v32, v52
	s_wait_dscnt 0x1
	s_delay_alu instid0(VALU_DEP_1) | instskip(SKIP_1) | instid1(VALU_DEP_2)
	v_dual_add_nc_u32 v26, v30, v51 :: v_dual_cndmask_b32 v3, v3, v8, s8
	v_cmp_eq_u32_e64 s8, 0, v58
	v_add_nc_u32_e32 v16, v26, v50
	s_delay_alu instid0(VALU_DEP_1) | instskip(NEXT) | instid1(VALU_DEP_1)
	v_dual_cndmask_b32 v29, v3, v6, s2 :: v_dual_add_nc_u32 v18, v16, v48
	v_dual_cndmask_b32 v3, 0, v29, s8 :: v_dual_add_nc_u32 v24, v18, v47
	s_delay_alu instid0(VALU_DEP_1) | instskip(NEXT) | instid1(VALU_DEP_1)
	v_dual_add_nc_u32 v33, v3, v39 :: v_dual_add_nc_u32 v34, v24, v45
	v_dual_cndmask_b32 v3, 0, v33, s5 :: v_dual_add_nc_u32 v22, v34, v44
	s_delay_alu instid0(VALU_DEP_1) | instskip(NEXT) | instid1(VALU_DEP_1)
	v_dual_add_nc_u32 v31, v3, v41 :: v_dual_add_nc_u32 v20, v22, v46
	v_cndmask_b32_e64 v3, 0, v31, s6
	s_delay_alu instid0(VALU_DEP_1) | instskip(NEXT) | instid1(VALU_DEP_1)
	v_add_nc_u32_e32 v27, v3, v43
	v_cndmask_b32_e64 v3, 0, v27, s7
	s_delay_alu instid0(VALU_DEP_1) | instskip(NEXT) | instid1(VALU_DEP_1)
	v_add_nc_u32_e32 v17, v3, v59
	;; [unrolled: 3-line block ×6, first 2 shown]
	v_cndmask_b32_e32 v2, 0, v23, vcc_lo
	s_wait_dscnt 0x0
	v_cmp_eq_u32_e32 vcc_lo, 0, v4
	s_delay_alu instid0(VALU_DEP_2) | instskip(NEXT) | instid1(VALU_DEP_1)
	v_dual_add_nc_u32 v21, v2, v36 :: v_dual_cndmask_b32 v3, 0, v6, vcc_lo
	v_add_nc_u32_e32 v14, v3, v5
	s_and_saveexec_b32 s0, s2
	s_cbranch_execz .LBB814_89
; %bb.88:
	s_add_nc_u64 s[4:5], s[16:17], 0x200
	v_dual_mov_b32 v6, 2 :: v_dual_mov_b32 v7, 0
	v_mov_b32_e32 v5, v14
	v_mov_b64_e32 v[2:3], s[4:5]
	;;#ASMSTART
	global_store_b128 v[2:3], v[4:7] off scope:SCOPE_DEV	
s_wait_storecnt 0x0
	;;#ASMEND
.LBB814_89:
	s_or_b32 exec_lo, exec_lo, s0
	v_mov_b32_e32 v6, 0
.LBB814_90:
	s_cmp_eq_u64 s[30:31], 0
	v_mov_b64_e32 v[36:37], 0
	s_cselect_b32 s0, -1, 0
	s_delay_alu instid0(SALU_CYCLE_1)
	s_or_b32 s0, s13, s0
	s_barrier_signal -1
	s_and_b32 vcc_lo, exec_lo, s0
	s_barrier_wait -1
	s_cbranch_vccnz .LBB814_92
; %bb.91:
	v_mov_b32_e32 v2, 0
	global_load_b64 v[36:37], v2, s[30:31]
.LBB814_92:
	v_cmp_eq_u32_e32 vcc_lo, 0, v58
	s_wait_loadcnt 0x0
	v_lshlrev_b64_e32 v[38:39], 1, v[36:37]
	v_cmp_ne_u32_e64 s10, 0, v58
	v_cmp_ne_u32_e64 s9, 0, v52
	;; [unrolled: 1-line block ×3, first 2 shown]
	v_cndmask_b32_e64 v2, 1, 2, vcc_lo
	v_cmp_eq_u32_e32 vcc_lo, 0, v52
	v_cmp_ne_u32_e64 s7, 0, v50
	v_cmp_ne_u32_e64 s6, 0, v48
	;; [unrolled: 1-line block ×4, first 2 shown]
	v_cndmask_b32_e64 v3, 1, 2, vcc_lo
	v_cmp_eq_u32_e32 vcc_lo, 0, v51
	v_cmp_ne_u32_e64 s3, 0, v44
	v_cmp_ne_u32_e64 s1, 0, v46
	s_delay_alu instid0(VALU_DEP_4) | instskip(SKIP_3) | instid1(VALU_DEP_4)
	v_dual_mov_b32 v7, 0 :: v_dual_bitop2_b32 v2, v3, v2 bitop3:0x40
	v_cndmask_b32_e64 v3, 1, 2, vcc_lo
	v_cmp_eq_u32_e32 vcc_lo, 0, v50
	v_cmp_ne_u32_e64 s0, 0, v49
	v_lshlrev_b64_e32 v[40:41], 1, v[6:7]
	s_mov_b32 s12, -1
	v_cndmask_b32_e64 v5, 1, 2, vcc_lo
	v_cmp_eq_u32_e32 vcc_lo, 0, v48
	s_delay_alu instid0(VALU_DEP_2)
	v_bitop3_b16 v5, v2, v5, v3 bitop3:0x80
	v_cndmask_b32_e64 v8, 1, 2, vcc_lo
	v_cmp_eq_u32_e32 vcc_lo, 0, v47
	v_add_nc_u64_e32 v[2:3], s[24:25], v[38:39]
	v_cndmask_b32_e64 v9, 1, 2, vcc_lo
	v_cmp_eq_u32_e32 vcc_lo, 0, v45
	s_delay_alu instid0(VALU_DEP_3) | instskip(NEXT) | instid1(VALU_DEP_3)
	v_add_nc_u64_e32 v[42:43], v[2:3], v[40:41]
	v_bitop3_b16 v5, v5, v9, v8 bitop3:0x80
	v_cndmask_b32_e64 v8, 1, 2, vcc_lo
	v_cmp_eq_u32_e32 vcc_lo, 0, v44
	v_cndmask_b32_e64 v9, 1, 2, vcc_lo
	v_cmp_eq_u32_e32 vcc_lo, 0, v46
	s_delay_alu instid0(VALU_DEP_2) | instskip(SKIP_4) | instid1(VALU_DEP_2)
	v_bitop3_b16 v2, v5, v9, v8 bitop3:0x80
	v_cndmask_b32_e64 v3, 1, 2, vcc_lo
	v_cmp_eq_u32_e32 vcc_lo, 0, v49
	v_cndmask_b32_e64 v5, 1, 2, vcc_lo
	v_cmp_gt_u32_e32 vcc_lo, 0x200, v4
	v_bitop3_b16 v2, v2, v5, v3 bitop3:0x80
	s_delay_alu instid0(VALU_DEP_1)
	v_cmp_gt_i16_e64 s11, 2, v2
	s_cbranch_vccz .LBB814_99
; %bb.93:
	s_and_saveexec_b32 s12, s11
	s_cbranch_execz .LBB814_98
; %bb.94:
	s_mov_b32 s13, 0
	s_mov_b32 s11, exec_lo
	v_cmpx_ne_u16_e32 1, v2
	s_xor_b32 s11, exec_lo, s11
	s_cbranch_execnz .LBB814_140
; %bb.95:
	s_and_not1_saveexec_b32 s11, s11
	s_cbranch_execnz .LBB814_151
.LBB814_96:
	s_or_b32 exec_lo, exec_lo, s11
	s_delay_alu instid0(SALU_CYCLE_1)
	s_and_b32 exec_lo, exec_lo, s13
	s_cbranch_execz .LBB814_98
.LBB814_97:
	v_sub_nc_u32_e32 v3, v20, v6
	v_readfirstlane_b32 s16, v42
	v_readfirstlane_b32 s17, v43
	global_store_b16 v3, v53, s[16:17] scale_offset
.LBB814_98:
	s_wait_xcnt 0x0
	s_or_b32 exec_lo, exec_lo, s12
	s_mov_b32 s12, 0
.LBB814_99:
	s_delay_alu instid0(SALU_CYCLE_1)
	s_and_b32 vcc_lo, exec_lo, s12
	s_cbranch_vccz .LBB814_119
; %bb.100:
	s_mov_b32 s11, exec_lo
	v_cmpx_gt_i16_e32 2, v2
	s_cbranch_execz .LBB814_105
; %bb.101:
	s_mov_b32 s13, 0
	s_mov_b32 s12, exec_lo
	v_cmpx_ne_u16_e32 1, v2
	s_xor_b32 s12, exec_lo, s12
	s_cbranch_execnz .LBB814_152
; %bb.102:
	s_and_not1_saveexec_b32 s0, s12
	s_cbranch_execnz .LBB814_163
.LBB814_103:
	s_or_b32 exec_lo, exec_lo, s0
	s_delay_alu instid0(SALU_CYCLE_1)
	s_and_b32 exec_lo, exec_lo, s13
.LBB814_104:
	v_sub_nc_u32_e32 v1, v20, v6
	s_delay_alu instid0(VALU_DEP_1)
	v_lshlrev_b32_e32 v1, 1, v1
	ds_store_b16 v1, v53
.LBB814_105:
	s_or_b32 exec_lo, exec_lo, s11
	s_delay_alu instid0(SALU_CYCLE_1)
	s_mov_b32 s0, exec_lo
	s_wait_storecnt_dscnt 0x0
	s_barrier_signal -1
	s_barrier_wait -1
	v_cmpx_lt_u32_e64 v0, v4
	s_cbranch_execz .LBB814_118
; %bb.106:
	v_xad_u32 v1, v0, -1, v4
	v_mov_b32_e32 v2, v0
	s_mov_b32 s3, -1
	s_mov_b32 s1, exec_lo
	s_delay_alu instid0(VALU_DEP_2)
	v_cmpx_lt_u32_e32 0x5ff, v1
	s_cbranch_execz .LBB814_115
; %bb.107:
	v_lshrrev_b32_e32 v5, 9, v1
	v_or_b32_e32 v3, 0x600, v0
	v_or_b32_e32 v2, 0x400, v0
	;; [unrolled: 1-line block ×3, first 2 shown]
	s_delay_alu instid0(VALU_DEP_4) | instskip(NEXT) | instid1(VALU_DEP_1)
	v_dual_mov_b32 v55, 0 :: v_dual_add_nc_u32 v8, -3, v5
	v_lshrrev_b32_e32 v9, 2, v8
	v_cmp_lt_u32_e32 vcc_lo, 11, v8
	s_delay_alu instid0(VALU_DEP_2)
	v_add_nc_u32_e32 v15, 1, v9
	v_mov_b64_e32 v[10:11], v[2:3]
	v_mov_b64_e32 v[8:9], v[0:1]
	s_and_saveexec_b32 s3, vcc_lo
	s_cbranch_execz .LBB814_111
; %bb.108:
	v_mov_b64_e32 v[10:11], v[2:3]
	v_mov_b64_e32 v[8:9], v[0:1]
	v_and_b32_e32 v53, 0x7ffffffc, v15
	v_dual_mov_b32 v13, 0 :: v_dual_lshlrev_b32 v54, 1, v0
	s_mov_b32 s4, 0
	s_mov_b32 s5, 0
.LBB814_109:                            ; =>This Inner Loop Header: Depth=1
	s_delay_alu instid0(VALU_DEP_1) | instskip(SKIP_2) | instid1(VALU_DEP_3)
	v_dual_mov_b32 v12, v8 :: v_dual_mov_b32 v61, v13
	v_add_nc_u32_e32 v53, -4, v53
	v_dual_mov_b32 v67, v13 :: v_dual_add_nc_u32 v60, 0x800, v9
	v_lshl_add_u64 v[74:75], v[12:13], 1, v[42:43]
	v_mov_b32_e32 v12, v9
	ds_load_u16 v1, v54
	ds_load_u16 v59, v54 offset:1024
	ds_load_u16 v82, v54 offset:2048
	ds_load_u16 v83, v54 offset:3072
	ds_load_u16 v84, v54 offset:4096
	ds_load_u16 v85, v54 offset:5120
	ds_load_u16 v86, v54 offset:6144
	ds_load_u16 v87, v54 offset:7168
	v_dual_mov_b32 v73, v13 :: v_dual_add_nc_u32 v66, 0x1000, v9
	s_add_co_i32 s5, s5, 16
	s_delay_alu instid0(SALU_CYCLE_1)
	v_dual_mov_b32 v55, s5 :: v_dual_add_nc_u32 v72, 0x1800, v9
	v_add_nc_u32_e32 v9, 0x2000, v9
	v_lshl_add_u64 v[76:77], v[12:13], 1, v[42:43]
	v_mov_b32_e32 v12, v10
	ds_load_u16 v88, v54 offset:8192
	ds_load_u16 v89, v54 offset:9216
	ds_load_u16 v90, v54 offset:10240
	ds_load_u16 v91, v54 offset:11264
	ds_load_u16 v92, v54 offset:12288
	ds_load_u16 v93, v54 offset:13312
	ds_load_u16 v94, v54 offset:14336
	ds_load_u16 v95, v54 offset:15360
	v_dual_mov_b32 v57, v13 :: v_dual_add_nc_u32 v2, 0x800, v11
	v_dual_mov_b32 v65, v13 :: v_dual_add_nc_u32 v62, 0x1000, v11
	v_lshl_add_u64 v[78:79], v[12:13], 1, v[42:43]
	v_mov_b32_e32 v12, v11
	v_dual_mov_b32 v71, v13 :: v_dual_add_nc_u32 v68, 0x1800, v11
	v_add_nc_u32_e32 v11, 0x2000, v11
	s_wait_dscnt 0xf
	global_store_b16 v[74:75], v1, off
	s_wait_dscnt 0xe
	global_store_b16 v[76:77], v59, off
	;; [unrolled: 2-line block ×3, first 2 shown]
	v_lshl_add_u64 v[80:81], v[12:13], 1, v[42:43]
	v_add_nc_u32_e32 v12, 0x800, v8
	v_dual_mov_b32 v3, v13 :: v_dual_add_nc_u32 v56, 0x800, v10
	v_dual_mov_b32 v63, v13 :: v_dual_add_nc_u32 v64, 0x1000, v10
	s_wait_xcnt 0x2
	s_delay_alu instid0(VALU_DEP_3)
	v_lshl_add_u64 v[74:75], v[12:13], 1, v[42:43]
	v_add_nc_u32_e32 v12, 0x1000, v8
	v_cmp_eq_u32_e32 vcc_lo, 0, v53
	v_lshl_add_u64 v[60:61], v[60:61], 1, v[42:43]
	s_wait_dscnt 0xc
	global_store_b16 v[80:81], v83, off
	s_wait_dscnt 0xb
	global_store_b16 v[74:75], v84, off
	v_dual_mov_b32 v69, v13 :: v_dual_add_nc_u32 v70, 0x1800, v10
	s_wait_xcnt 0x0
	v_lshl_add_u64 v[74:75], v[12:13], 1, v[42:43]
	v_add_nc_u32_e32 v12, 0x1800, v8
	v_add_nc_u32_e32 v54, 0x4000, v54
	v_lshl_add_u64 v[56:57], v[56:57], 1, v[42:43]
	v_add_nc_u32_e32 v10, 0x2000, v10
	v_add_nc_u32_e32 v8, 0x2000, v8
	v_lshl_add_u64 v[2:3], v[2:3], 1, v[42:43]
	v_lshl_add_u64 v[66:67], v[66:67], 1, v[42:43]
	;; [unrolled: 1-line block ×4, first 2 shown]
	s_or_b32 s4, vcc_lo, s4
	s_wait_dscnt 0xa
	global_store_b16 v[60:61], v85, off
	s_wait_dscnt 0x9
	global_store_b16 v[56:57], v86, off
	s_wait_dscnt 0x8
	global_store_b16 v[2:3], v87, off
	s_wait_xcnt 0x0
	v_lshl_add_u64 v[2:3], v[12:13], 1, v[42:43]
	v_lshl_add_u64 v[72:73], v[72:73], 1, v[42:43]
	;; [unrolled: 1-line block ×4, first 2 shown]
	s_wait_dscnt 0x7
	global_store_b16 v[74:75], v88, off
	s_wait_dscnt 0x6
	global_store_b16 v[66:67], v89, off
	;; [unrolled: 2-line block ×8, first 2 shown]
	s_wait_xcnt 0x0
	s_and_not1_b32 exec_lo, exec_lo, s4
	s_cbranch_execnz .LBB814_109
; %bb.110:
	s_or_b32 exec_lo, exec_lo, s4
.LBB814_111:
	s_delay_alu instid0(SALU_CYCLE_1) | instskip(SKIP_3) | instid1(VALU_DEP_1)
	s_or_b32 exec_lo, exec_lo, s3
	v_and_b32_e32 v1, 3, v15
	s_mov_b32 s4, 0
	s_mov_b32 s3, exec_lo
	v_cmpx_ne_u32_e32 0, v1
	s_cbranch_execz .LBB814_114
; %bb.112:
	v_dual_mov_b32 v3, 0 :: v_dual_lshlrev_b32 v2, 1, v0
	s_delay_alu instid0(VALU_DEP_1)
	v_lshl_or_b32 v12, v55, 10, v2
.LBB814_113:                            ; =>This Inner Loop Header: Depth=1
	v_dual_mov_b32 v2, v8 :: v_dual_add_nc_u32 v1, -1, v1
	ds_load_u16 v13, v12
	ds_load_u16 v15, v12 offset:1024
	ds_load_u16 v53, v12 offset:2048
	;; [unrolled: 1-line block ×3, first 2 shown]
	v_add_nc_u32_e32 v8, 0x800, v8
	v_add_nc_u32_e32 v12, 0x1000, v12
	v_lshl_add_u64 v[54:55], v[2:3], 1, v[42:43]
	v_dual_mov_b32 v2, v9 :: v_dual_add_nc_u32 v9, 0x800, v9
	v_cmp_eq_u32_e32 vcc_lo, 0, v1
	s_delay_alu instid0(VALU_DEP_2) | instskip(SKIP_3) | instid1(VALU_DEP_2)
	v_lshl_add_u64 v[56:57], v[2:3], 1, v[42:43]
	v_mov_b32_e32 v2, v10
	v_add_nc_u32_e32 v10, 0x800, v10
	s_or_b32 s4, vcc_lo, s4
	v_lshl_add_u64 v[60:61], v[2:3], 1, v[42:43]
	v_dual_mov_b32 v2, v11 :: v_dual_add_nc_u32 v11, 0x800, v11
	s_delay_alu instid0(VALU_DEP_1)
	v_lshl_add_u64 v[62:63], v[2:3], 1, v[42:43]
	s_wait_dscnt 0x3
	global_store_b16 v[54:55], v13, off
	s_wait_dscnt 0x2
	global_store_b16 v[56:57], v15, off
	;; [unrolled: 2-line block ×4, first 2 shown]
	s_wait_xcnt 0x0
	s_and_not1_b32 exec_lo, exec_lo, s4
	s_cbranch_execnz .LBB814_113
.LBB814_114:
	s_or_b32 exec_lo, exec_lo, s3
	v_add_nc_u32_e32 v1, 1, v5
	s_delay_alu instid0(VALU_DEP_1) | instskip(NEXT) | instid1(VALU_DEP_1)
	v_and_b32_e32 v2, 0xfffffc, v1
	v_cmp_ne_u32_e32 vcc_lo, v1, v2
	v_lshl_or_b32 v2, v2, 9, v0
	s_or_not1_b32 s3, vcc_lo, exec_lo
.LBB814_115:
	s_or_b32 exec_lo, exec_lo, s1
	s_delay_alu instid0(SALU_CYCLE_1)
	s_and_b32 exec_lo, exec_lo, s3
	s_cbranch_execz .LBB814_118
; %bb.116:
	v_add_nc_u64_e32 v[8:9], v[38:39], v[40:41]
	v_dual_mov_b32 v3, 0 :: v_dual_lshlrev_b32 v1, 1, v2
	s_mov_b32 s1, 0
	s_delay_alu instid0(VALU_DEP_2) | instskip(NEXT) | instid1(VALU_DEP_1)
	v_add_nc_u64_e32 v[8:9], s[24:25], v[8:9]
	v_lshl_add_u64 v[8:9], v[2:3], 1, v[8:9]
.LBB814_117:                            ; =>This Inner Loop Header: Depth=1
	ds_load_u16 v3, v1
	v_add_nc_u32_e32 v2, 0x200, v2
	v_add_nc_u32_e32 v1, 0x400, v1
	s_delay_alu instid0(VALU_DEP_2)
	v_cmp_ge_u32_e32 vcc_lo, v2, v4
	s_or_b32 s1, vcc_lo, s1
	s_wait_dscnt 0x0
	global_store_b16 v[8:9], v3, off
	s_wait_xcnt 0x0
	v_add_nc_u64_e32 v[8:9], 0x400, v[8:9]
	s_and_not1_b32 exec_lo, exec_lo, s1
	s_cbranch_execnz .LBB814_117
.LBB814_118:
	s_or_b32 exec_lo, exec_lo, s0
.LBB814_119:
	s_cmp_lg_u32 s33, 0x1400
	v_cndmask_b32_e64 v5, 0, 1, s21
	s_cselect_b32 s0, -1, 0
	s_and_b32 s1, s2, s21
	s_and_b32 s0, s0, s15
	v_cndmask_b32_e64 v3, v58, 0, s1
	v_cndmask_b32_e64 v1, 0, 1, s0
	v_sub_nc_u32_e32 v2, v4, v5
	s_mul_hi_u32 s0, s33, 0xcccccccd
	v_readfirstlane_b32 s12, v5
	s_lshr_b32 s0, s0, 3
	s_mov_b32 s13, 0
	v_add_nc_u32_e32 v1, v2, v1
	v_mad_i32_i24 v2, v0, -10, s33
	v_cmp_eq_u32_e32 vcc_lo, s0, v0
	s_add_nc_u64 s[12:13], s[12:13], -1
	s_mov_b32 s11, -1
	s_wait_storecnt 0x0
	v_cmp_ne_u32_e64 s0, 0, v2
	s_and_b32 vcc_lo, vcc_lo, s15
	s_barrier_signal -1
	s_barrier_wait -1
	v_cndmask_b32_e64 v8, 1, v3, s0
	v_cmp_ne_u32_e64 s0, 1, v2
	s_delay_alu instid0(VALU_DEP_2) | instskip(NEXT) | instid1(VALU_DEP_2)
	v_dual_add_nc_u32 v5, v6, v5 :: v_dual_cndmask_b32 v39, v3, v8, vcc_lo
	v_cndmask_b32_e64 v9, 1, v52, s0
	v_cmp_ne_u32_e64 s0, 2, v2
	s_delay_alu instid0(VALU_DEP_3) | instskip(NEXT) | instid1(VALU_DEP_2)
	v_cmp_ne_u32_e64 s9, 0, v39
	v_dual_cndmask_b32 v41, v52, v9, vcc_lo :: v_dual_cndmask_b32 v10, 1, v51, s0
	v_cmp_ne_u32_e64 s0, 3, v2
	v_lshlrev_b64_e32 v[8:9], 3, v[36:37]
	s_delay_alu instid0(VALU_DEP_3) | instskip(NEXT) | instid1(VALU_DEP_3)
	v_cmp_ne_u32_e64 s8, 0, v41
	v_cndmask_b32_e64 v11, 1, v50, s0
	v_cmp_ne_u32_e64 s0, 4, v2
	s_delay_alu instid0(VALU_DEP_1) | instskip(SKIP_1) | instid1(VALU_DEP_1)
	v_cndmask_b32_e64 v12, 1, v48, s0
	v_cmp_ne_u32_e64 s0, 9, v2
	v_cndmask_b32_e64 v13, 1, v49, s0
	v_cmp_ne_u32_e64 s0, 5, v2
	s_delay_alu instid0(VALU_DEP_2) | instskip(NEXT) | instid1(VALU_DEP_2)
	v_dual_cndmask_b32 v12, v48, v12 :: v_dual_cndmask_b32 v13, v49, v13
	v_cndmask_b32_e64 v15, 1, v47, s0
	v_cmp_ne_u32_e64 s0, 6, v2
	v_cndmask_b32_e32 v49, v50, v11, vcc_lo
	s_delay_alu instid0(VALU_DEP_4) | instskip(NEXT) | instid1(VALU_DEP_3)
	v_cmp_ne_u32_e64 s5, 0, v12
	v_cndmask_b32_e64 v38, 1, v45, s0
	v_cmp_ne_u32_e64 s0, 7, v2
	v_cndmask_b32_e32 v15, v47, v15, vcc_lo
	v_cmp_ne_u32_e64 s6, 0, v49
	s_delay_alu instid0(VALU_DEP_3) | instskip(SKIP_1) | instid1(VALU_DEP_4)
	v_dual_cndmask_b32 v38, v45, v38, vcc_lo :: v_dual_cndmask_b32 v40, 1, v44, s0
	v_cmp_ne_u32_e64 s0, 8, v2
	v_cmp_ne_u32_e64 s4, 0, v15
	s_delay_alu instid0(VALU_DEP_3) | instskip(NEXT) | instid1(VALU_DEP_3)
	v_cmp_ne_u32_e64 s3, 0, v38
	v_dual_cndmask_b32 v40, v44, v40, vcc_lo :: v_dual_cndmask_b32 v2, 1, v46, s0
	v_cmp_eq_u32_e64 s0, 0, v39
	s_delay_alu instid0(VALU_DEP_2) | instskip(NEXT) | instid1(VALU_DEP_3)
	v_cmp_ne_u32_e64 s2, 0, v40
	v_cndmask_b32_e32 v46, v46, v2, vcc_lo
	s_delay_alu instid0(VALU_DEP_3) | instskip(SKIP_1) | instid1(VALU_DEP_3)
	v_cndmask_b32_e64 v3, 1, 2, s0
	v_cmp_eq_u32_e64 s0, 0, v41
	v_cmp_ne_u32_e64 s1, 0, v46
	s_delay_alu instid0(VALU_DEP_2) | instskip(SKIP_3) | instid1(VALU_DEP_4)
	v_cndmask_b32_e64 v42, 1, 2, s0
	v_cndmask_b32_e32 v43, v51, v10, vcc_lo
	v_cmp_eq_u32_e32 vcc_lo, 0, v38
	v_lshlrev_b64_e32 v[10:11], 3, v[6:7]
	v_and_b32_e32 v42, v42, v3
	s_delay_alu instid0(VALU_DEP_4)
	v_cmp_eq_u32_e64 s0, 0, v43
	v_cndmask_b32_e64 v44, 1, 2, vcc_lo
	v_cmp_eq_u32_e32 vcc_lo, 0, v40
	v_add_nc_u64_e32 v[2:3], s[26:27], v[8:9]
	v_cmp_ne_u32_e64 s7, 0, v43
	v_cndmask_b32_e64 v50, 1, 2, s0
	v_cmp_eq_u32_e64 s0, 0, v49
	v_cndmask_b32_e64 v45, 1, 2, vcc_lo
	v_cmp_eq_u32_e32 vcc_lo, 0, v46
	v_add_nc_u64_e32 v[2:3], v[2:3], v[10:11]
	s_delay_alu instid0(VALU_DEP_4) | instskip(SKIP_3) | instid1(VALU_DEP_4)
	v_cndmask_b32_e64 v51, 1, 2, s0
	v_cmp_eq_u32_e64 s0, 0, v12
	v_cndmask_b32_e64 v41, 1, 2, vcc_lo
	v_cmp_eq_u32_e32 vcc_lo, 0, v13
	v_bitop3_b16 v42, v42, v51, v50 bitop3:0x80
	s_delay_alu instid0(VALU_DEP_4) | instskip(SKIP_1) | instid1(VALU_DEP_1)
	v_cndmask_b32_e64 v47, 1, 2, s0
	v_cmp_eq_u32_e64 s0, 0, v15
	v_cndmask_b32_e64 v48, 1, 2, s0
	v_cmp_ne_u32_e64 s0, 0, v13
	s_delay_alu instid0(VALU_DEP_2) | instskip(NEXT) | instid1(VALU_DEP_1)
	v_bitop3_b16 v42, v42, v48, v47 bitop3:0x80
	v_bitop3_b16 v39, v42, v45, v44 bitop3:0x80
	v_cndmask_b32_e64 v42, 1, 2, vcc_lo
	v_cmp_gt_u32_e32 vcc_lo, 0x200, v1
	s_delay_alu instid0(VALU_DEP_2) | instskip(NEXT) | instid1(VALU_DEP_1)
	v_bitop3_b16 v15, v39, v42, v41 bitop3:0x80
	v_cmp_gt_i16_e64 s10, 2, v15
	s_cbranch_vccnz .LBB814_123
; %bb.120:
	s_and_b32 vcc_lo, exec_lo, s11
	s_cbranch_vccnz .LBB814_129
.LBB814_121:
	v_cmp_eq_u32_e32 vcc_lo, 0x1ff, v0
	s_and_b32 s0, vcc_lo, s15
	s_delay_alu instid0(SALU_CYCLE_1)
	s_and_saveexec_b32 s1, s0
	s_cbranch_execnz .LBB814_138
.LBB814_122:
	s_sendmsg sendmsg(MSG_DEALLOC_VGPRS)
	s_endpgm
.LBB814_123:
	s_and_saveexec_b32 s11, s10
	s_cbranch_execz .LBB814_128
; %bb.124:
	s_lshl_b64 s[16:17], s[12:13], 3
	s_mov_b32 s14, 0
	v_add_nc_u64_e32 v[12:13], s[16:17], v[2:3]
	s_mov_b32 s10, exec_lo
	v_cmpx_ne_u16_e32 1, v15
	s_xor_b32 s10, exec_lo, s10
	s_cbranch_execnz .LBB814_164
; %bb.125:
	s_and_not1_saveexec_b32 s10, s10
	s_cbranch_execnz .LBB814_175
.LBB814_126:
	s_or_b32 exec_lo, exec_lo, s10
	s_delay_alu instid0(SALU_CYCLE_1)
	s_and_b32 exec_lo, exec_lo, s14
	s_cbranch_execz .LBB814_128
.LBB814_127:
	v_dual_mov_b32 v39, 0 :: v_dual_mov_b32 v38, v21
	v_sub_nc_u32_e32 v40, v20, v5
	v_readfirstlane_b32 s16, v12
	v_readfirstlane_b32 s17, v13
	global_store_b64 v40, v[38:39], s[16:17] scale_offset
.LBB814_128:
	s_wait_xcnt 0x0
	s_or_b32 exec_lo, exec_lo, s11
	s_branch .LBB814_121
.LBB814_129:
	s_mov_b32 s10, exec_lo
	v_cmpx_gt_i16_e32 2, v15
	s_cbranch_execz .LBB814_134
; %bb.130:
	s_mov_b32 s14, 0
	s_mov_b32 s11, exec_lo
	v_cmpx_ne_u16_e32 1, v15
	s_xor_b32 s11, exec_lo, s11
	s_cbranch_execnz .LBB814_176
; %bb.131:
	s_and_not1_saveexec_b32 s0, s11
	s_cbranch_execnz .LBB814_187
.LBB814_132:
	s_or_b32 exec_lo, exec_lo, s0
	s_delay_alu instid0(SALU_CYCLE_1)
	s_and_b32 exec_lo, exec_lo, s14
.LBB814_133:
	v_sub_nc_u32_e32 v5, v20, v5
	s_delay_alu instid0(VALU_DEP_1)
	v_lshlrev_b32_e32 v5, 2, v5
	ds_store_b32 v5, v21
.LBB814_134:
	s_or_b32 exec_lo, exec_lo, s10
	s_delay_alu instid0(SALU_CYCLE_1)
	s_mov_b32 s0, exec_lo
	s_wait_storecnt_dscnt 0x0
	s_barrier_signal -1
	s_barrier_wait -1
	v_cmpx_lt_u32_e64 v0, v1
	s_cbranch_execz .LBB814_137
; %bb.135:
	s_lshl_b64 s[2:3], s[12:13], 3
	v_dual_mov_b32 v12, v0 :: v_dual_lshlrev_b32 v5, 2, v0
	v_add_nc_u64_e32 v[8:9], s[2:3], v[8:9]
	s_mov_b32 s1, 0
	s_delay_alu instid0(VALU_DEP_1) | instskip(NEXT) | instid1(VALU_DEP_1)
	v_add_nc_u64_e32 v[8:9], v[8:9], v[10:11]
	v_add_nc_u64_e32 v[10:11], s[26:27], v[8:9]
	v_dual_mov_b32 v9, 0 :: v_dual_lshlrev_b32 v8, 3, v0
	s_delay_alu instid0(VALU_DEP_1)
	v_add_nc_u64_e32 v[10:11], v[10:11], v[8:9]
.LBB814_136:                            ; =>This Inner Loop Header: Depth=1
	ds_load_b32 v8, v5
	v_add_nc_u32_e32 v12, 0x200, v12
	v_add_nc_u32_e32 v5, 0x800, v5
	s_delay_alu instid0(VALU_DEP_2)
	v_cmp_ge_u32_e32 vcc_lo, v12, v1
	s_or_b32 s1, vcc_lo, s1
	s_wait_dscnt 0x0
	global_store_b64 v[10:11], v[8:9], off
	s_wait_xcnt 0x0
	v_add_nc_u64_e32 v[10:11], 0x1000, v[10:11]
	s_and_not1_b32 exec_lo, exec_lo, s1
	s_cbranch_execnz .LBB814_136
.LBB814_137:
	s_or_b32 exec_lo, exec_lo, s0
	v_cmp_eq_u32_e32 vcc_lo, 0x1ff, v0
	s_and_b32 s0, vcc_lo, s15
	s_delay_alu instid0(SALU_CYCLE_1)
	s_and_saveexec_b32 s1, s0
	s_cbranch_execz .LBB814_122
.LBB814_138:
	v_mov_b32_e32 v5, 0
	s_cmp_lg_u32 s33, 0x1400
	s_delay_alu instid0(VALU_DEP_1) | instskip(NEXT) | instid1(VALU_DEP_1)
	v_add_nc_u64_e32 v[0:1], v[4:5], v[6:7]
	v_add_nc_u64_e32 v[0:1], v[0:1], v[36:37]
	global_store_b64 v5, v[0:1], s[34:35]
	s_cbranch_scc1 .LBB814_122
; %bb.139:
	s_wait_xcnt 0x0
	v_lshlrev_b64_e32 v[0:1], 3, v[4:5]
	v_mov_b32_e32 v15, v5
	s_delay_alu instid0(VALU_DEP_2)
	v_add_nc_u64_e32 v[0:1], v[2:3], v[0:1]
	global_store_b64 v[0:1], v[14:15], off offset:-8
	s_sendmsg sendmsg(MSG_DEALLOC_VGPRS)
	s_endpgm
.LBB814_140:
	s_and_saveexec_b32 s13, s10
	s_cbranch_execnz .LBB814_188
; %bb.141:
	s_or_b32 exec_lo, exec_lo, s13
	s_and_saveexec_b32 s13, s9
	s_cbranch_execnz .LBB814_189
.LBB814_142:
	s_or_b32 exec_lo, exec_lo, s13
	s_and_saveexec_b32 s13, s8
	s_cbranch_execnz .LBB814_190
.LBB814_143:
	s_or_b32 exec_lo, exec_lo, s13
	s_and_saveexec_b32 s13, s7
	s_cbranch_execnz .LBB814_191
.LBB814_144:
	s_or_b32 exec_lo, exec_lo, s13
	s_and_saveexec_b32 s13, s6
	s_cbranch_execnz .LBB814_192
.LBB814_145:
	s_or_b32 exec_lo, exec_lo, s13
	s_and_saveexec_b32 s13, s5
	s_cbranch_execnz .LBB814_193
.LBB814_146:
	s_or_b32 exec_lo, exec_lo, s13
	s_and_saveexec_b32 s13, s4
	s_cbranch_execnz .LBB814_194
.LBB814_147:
	s_or_b32 exec_lo, exec_lo, s13
	s_and_saveexec_b32 s13, s3
	s_cbranch_execnz .LBB814_195
.LBB814_148:
	s_or_b32 exec_lo, exec_lo, s13
	s_and_saveexec_b32 s13, s1
	s_cbranch_execz .LBB814_150
.LBB814_149:
	v_sub_nc_u32_e32 v3, v22, v6
	v_readfirstlane_b32 s16, v42
	v_readfirstlane_b32 s17, v43
	global_store_b16 v3, v1, s[16:17] scale_offset
.LBB814_150:
	s_wait_xcnt 0x0
	s_or_b32 exec_lo, exec_lo, s13
	s_delay_alu instid0(SALU_CYCLE_1)
	s_and_b32 s13, s0, exec_lo
	s_and_not1_saveexec_b32 s11, s11
	s_cbranch_execz .LBB814_96
.LBB814_151:
	v_dual_sub_nc_u32 v3, v28, v6 :: v_dual_sub_nc_u32 v8, v30, v6
	v_readfirstlane_b32 s16, v42
	v_readfirstlane_b32 s17, v43
	v_dual_sub_nc_u32 v5, v32, v6 :: v_dual_sub_nc_u32 v9, v26, v6
	s_clause 0x2
	global_store_b16 v3, v12, s[16:17] scale_offset
	global_store_b16 v5, v57, s[16:17] scale_offset
	;; [unrolled: 1-line block ×3, first 2 shown]
	s_wait_xcnt 0x1
	v_dual_sub_nc_u32 v3, v16, v6 :: v_dual_sub_nc_u32 v5, v18, v6
	global_store_b16 v9, v56, s[16:17] scale_offset
	s_wait_xcnt 0x0
	v_dual_sub_nc_u32 v8, v24, v6 :: v_dual_sub_nc_u32 v9, v34, v6
	global_store_b16 v3, v10, s[16:17] scale_offset
	s_wait_xcnt 0x0
	v_sub_nc_u32_e32 v3, v22, v6
	s_or_b32 s13, s13, exec_lo
	s_clause 0x3
	global_store_b16 v5, v55, s[16:17] scale_offset
	global_store_b16 v8, v11, s[16:17] scale_offset
	;; [unrolled: 1-line block ×4, first 2 shown]
	s_wait_xcnt 0x0
	s_or_b32 exec_lo, exec_lo, s11
	s_delay_alu instid0(SALU_CYCLE_1)
	s_and_b32 exec_lo, exec_lo, s13
	s_cbranch_execnz .LBB814_97
	s_branch .LBB814_98
.LBB814_152:
	s_and_saveexec_b32 s13, s10
	s_cbranch_execnz .LBB814_196
; %bb.153:
	s_or_b32 exec_lo, exec_lo, s13
	s_and_saveexec_b32 s10, s9
	s_cbranch_execnz .LBB814_197
.LBB814_154:
	s_or_b32 exec_lo, exec_lo, s10
	s_and_saveexec_b32 s9, s8
	s_cbranch_execnz .LBB814_198
.LBB814_155:
	s_or_b32 exec_lo, exec_lo, s9
	s_and_saveexec_b32 s8, s7
	s_cbranch_execnz .LBB814_199
.LBB814_156:
	s_or_b32 exec_lo, exec_lo, s8
	s_and_saveexec_b32 s7, s6
	s_cbranch_execnz .LBB814_200
.LBB814_157:
	s_or_b32 exec_lo, exec_lo, s7
	s_and_saveexec_b32 s6, s5
	s_cbranch_execnz .LBB814_201
.LBB814_158:
	s_or_b32 exec_lo, exec_lo, s6
	s_and_saveexec_b32 s5, s4
	s_cbranch_execnz .LBB814_202
.LBB814_159:
	s_or_b32 exec_lo, exec_lo, s5
	s_and_saveexec_b32 s4, s3
	s_cbranch_execnz .LBB814_203
.LBB814_160:
	s_or_b32 exec_lo, exec_lo, s4
	s_and_saveexec_b32 s3, s1
.LBB814_161:
	v_sub_nc_u32_e32 v2, v22, v6
	s_delay_alu instid0(VALU_DEP_1)
	v_lshlrev_b32_e32 v2, 1, v2
	ds_store_b16 v2, v1
.LBB814_162:
	s_or_b32 exec_lo, exec_lo, s3
	s_delay_alu instid0(SALU_CYCLE_1)
	s_and_b32 s13, s0, exec_lo
                                        ; implicit-def: $vgpr12
                                        ; implicit-def: $vgpr10
                                        ; implicit-def: $vgpr1
                                        ; implicit-def: $vgpr57
                                        ; implicit-def: $vgpr56
                                        ; implicit-def: $vgpr55
                                        ; implicit-def: $vgpr54
	s_and_not1_saveexec_b32 s0, s12
	s_cbranch_execz .LBB814_103
.LBB814_163:
	v_dual_sub_nc_u32 v2, v28, v6 :: v_dual_sub_nc_u32 v5, v30, v6
	v_dual_sub_nc_u32 v3, v32, v6 :: v_dual_sub_nc_u32 v8, v26, v6
	s_or_b32 s13, s13, exec_lo
	s_delay_alu instid0(VALU_DEP_2) | instskip(NEXT) | instid1(VALU_DEP_2)
	v_dual_lshlrev_b32 v2, 1, v2 :: v_dual_lshlrev_b32 v5, 1, v5
	v_dual_lshlrev_b32 v3, 1, v3 :: v_dual_lshlrev_b32 v8, 1, v8
	ds_store_b16 v2, v12
	ds_store_b16 v3, v57
	;; [unrolled: 1-line block ×3, first 2 shown]
	v_dual_sub_nc_u32 v2, v16, v6 :: v_dual_sub_nc_u32 v3, v18, v6
	ds_store_b16 v8, v56
	v_dual_sub_nc_u32 v5, v24, v6 :: v_dual_sub_nc_u32 v8, v34, v6
	v_dual_lshlrev_b32 v2, 1, v2 :: v_dual_lshlrev_b32 v3, 1, v3
	s_delay_alu instid0(VALU_DEP_2) | instskip(NEXT) | instid1(VALU_DEP_3)
	v_dual_sub_nc_u32 v9, v22, v6 :: v_dual_lshlrev_b32 v5, 1, v5
	v_lshlrev_b32_e32 v8, 1, v8
	ds_store_b16 v2, v10
	v_lshlrev_b32_e32 v2, 1, v9
	ds_store_b16 v3, v55
	ds_store_b16 v5, v11
	;; [unrolled: 1-line block ×4, first 2 shown]
	s_or_b32 exec_lo, exec_lo, s0
	s_delay_alu instid0(SALU_CYCLE_1)
	s_and_b32 exec_lo, exec_lo, s13
	s_cbranch_execnz .LBB814_104
	s_branch .LBB814_105
.LBB814_164:
	s_and_saveexec_b32 s14, s9
	s_cbranch_execnz .LBB814_204
; %bb.165:
	s_or_b32 exec_lo, exec_lo, s14
	s_and_saveexec_b32 s14, s8
	s_cbranch_execnz .LBB814_205
.LBB814_166:
	s_or_b32 exec_lo, exec_lo, s14
	s_and_saveexec_b32 s14, s7
	s_cbranch_execnz .LBB814_206
.LBB814_167:
	s_or_b32 exec_lo, exec_lo, s14
	s_and_saveexec_b32 s14, s6
	s_cbranch_execnz .LBB814_207
.LBB814_168:
	s_or_b32 exec_lo, exec_lo, s14
	s_and_saveexec_b32 s14, s5
	s_cbranch_execnz .LBB814_208
.LBB814_169:
	s_or_b32 exec_lo, exec_lo, s14
	s_and_saveexec_b32 s14, s4
	s_cbranch_execnz .LBB814_209
.LBB814_170:
	s_or_b32 exec_lo, exec_lo, s14
	s_and_saveexec_b32 s14, s3
	s_cbranch_execnz .LBB814_210
.LBB814_171:
	s_or_b32 exec_lo, exec_lo, s14
	s_and_saveexec_b32 s14, s2
	s_cbranch_execnz .LBB814_211
.LBB814_172:
	s_or_b32 exec_lo, exec_lo, s14
	s_and_saveexec_b32 s14, s1
	s_cbranch_execz .LBB814_174
.LBB814_173:
	v_dual_mov_b32 v39, 0 :: v_dual_sub_nc_u32 v40, v22, v5
	v_mov_b32_e32 v38, v23
	v_readfirstlane_b32 s16, v12
	v_readfirstlane_b32 s17, v13
	global_store_b64 v40, v[38:39], s[16:17] scale_offset
.LBB814_174:
	s_wait_xcnt 0x0
	s_or_b32 exec_lo, exec_lo, s14
	s_delay_alu instid0(SALU_CYCLE_1)
	s_and_b32 s14, s0, exec_lo
	s_and_not1_saveexec_b32 s10, s10
	s_cbranch_execz .LBB814_126
.LBB814_175:
	v_dual_mov_b32 v39, 0 :: v_dual_mov_b32 v38, v29
	v_sub_nc_u32_e32 v40, v28, v5
	v_readfirstlane_b32 s16, v12
	v_readfirstlane_b32 s17, v13
	v_sub_nc_u32_e32 v41, v30, v5
	s_or_b32 s14, s14, exec_lo
	global_store_b64 v40, v[38:39], s[16:17] scale_offset
	s_wait_xcnt 0x0
	v_dual_sub_nc_u32 v40, v32, v5 :: v_dual_mov_b32 v38, v33
	global_store_b64 v40, v[38:39], s[16:17] scale_offset
	s_wait_xcnt 0x0
	v_dual_mov_b32 v38, v31 :: v_dual_sub_nc_u32 v40, v26, v5
	global_store_b64 v41, v[38:39], s[16:17] scale_offset
	s_wait_xcnt 0x0
	v_dual_mov_b32 v38, v27 :: v_dual_sub_nc_u32 v41, v16, v5
	;; [unrolled: 3-line block ×5, first 2 shown]
	global_store_b64 v41, v[38:39], s[16:17] scale_offset
	s_wait_xcnt 0x0
	v_mov_b32_e32 v38, v35
	global_store_b64 v40, v[38:39], s[16:17] scale_offset
	s_wait_xcnt 0x0
	v_dual_mov_b32 v38, v23 :: v_dual_sub_nc_u32 v40, v22, v5
	global_store_b64 v40, v[38:39], s[16:17] scale_offset
	s_wait_xcnt 0x0
	s_or_b32 exec_lo, exec_lo, s10
	s_delay_alu instid0(SALU_CYCLE_1)
	s_and_b32 exec_lo, exec_lo, s14
	s_cbranch_execnz .LBB814_127
	s_branch .LBB814_128
.LBB814_176:
	s_and_saveexec_b32 s14, s9
	s_cbranch_execnz .LBB814_212
; %bb.177:
	s_or_b32 exec_lo, exec_lo, s14
	s_and_saveexec_b32 s9, s8
	s_cbranch_execnz .LBB814_213
.LBB814_178:
	s_or_b32 exec_lo, exec_lo, s9
	s_and_saveexec_b32 s8, s7
	s_cbranch_execnz .LBB814_214
.LBB814_179:
	s_or_b32 exec_lo, exec_lo, s8
	s_and_saveexec_b32 s7, s6
	s_cbranch_execnz .LBB814_215
.LBB814_180:
	s_or_b32 exec_lo, exec_lo, s7
	s_and_saveexec_b32 s6, s5
	s_cbranch_execnz .LBB814_216
.LBB814_181:
	s_or_b32 exec_lo, exec_lo, s6
	s_and_saveexec_b32 s5, s4
	s_cbranch_execnz .LBB814_217
.LBB814_182:
	s_or_b32 exec_lo, exec_lo, s5
	s_and_saveexec_b32 s4, s3
	s_cbranch_execnz .LBB814_218
.LBB814_183:
	s_or_b32 exec_lo, exec_lo, s4
	s_and_saveexec_b32 s3, s2
	s_cbranch_execnz .LBB814_219
.LBB814_184:
	s_or_b32 exec_lo, exec_lo, s3
	s_and_saveexec_b32 s2, s1
.LBB814_185:
	v_sub_nc_u32_e32 v12, v22, v5
	s_delay_alu instid0(VALU_DEP_1)
	v_lshlrev_b32_e32 v12, 2, v12
	ds_store_b32 v12, v23
.LBB814_186:
	s_or_b32 exec_lo, exec_lo, s2
	s_delay_alu instid0(SALU_CYCLE_1)
	s_and_b32 s14, s0, exec_lo
                                        ; implicit-def: $vgpr22_vgpr23
                                        ; implicit-def: $vgpr34_vgpr35
                                        ; implicit-def: $vgpr24_vgpr25
                                        ; implicit-def: $vgpr28_vgpr29
                                        ; implicit-def: $vgpr32_vgpr33
                                        ; implicit-def: $vgpr30_vgpr31
                                        ; implicit-def: $vgpr26_vgpr27
                                        ; implicit-def: $vgpr16_vgpr17
                                        ; implicit-def: $vgpr18_vgpr19
	s_and_not1_saveexec_b32 s0, s11
	s_cbranch_execz .LBB814_132
.LBB814_187:
	v_dual_sub_nc_u32 v12, v28, v5 :: v_dual_sub_nc_u32 v15, v30, v5
	v_dual_sub_nc_u32 v13, v32, v5 :: v_dual_sub_nc_u32 v26, v26, v5
	s_or_b32 s14, s14, exec_lo
	s_delay_alu instid0(VALU_DEP_2) | instskip(NEXT) | instid1(VALU_DEP_2)
	v_dual_lshlrev_b32 v12, 2, v12 :: v_dual_lshlrev_b32 v15, 2, v15
	v_dual_lshlrev_b32 v13, 2, v13 :: v_dual_lshlrev_b32 v26, 2, v26
	ds_store_b32 v12, v29
	ds_store_b32 v13, v33
	ds_store_b32 v15, v31
	v_dual_sub_nc_u32 v12, v16, v5 :: v_dual_sub_nc_u32 v13, v18, v5
	v_dual_sub_nc_u32 v15, v24, v5 :: v_dual_sub_nc_u32 v16, v34, v5
	s_delay_alu instid0(VALU_DEP_2)
	v_dual_sub_nc_u32 v18, v22, v5 :: v_dual_lshlrev_b32 v12, 2, v12
	ds_store_b32 v26, v27
	v_dual_lshlrev_b32 v13, 2, v13 :: v_dual_lshlrev_b32 v15, 2, v15
	v_lshlrev_b32_e32 v16, 2, v16
	ds_store_b32 v12, v17
	v_lshlrev_b32_e32 v12, 2, v18
	ds_store_b32 v13, v19
	ds_store_b32 v15, v25
	;; [unrolled: 1-line block ×4, first 2 shown]
	s_or_b32 exec_lo, exec_lo, s0
	s_delay_alu instid0(SALU_CYCLE_1)
	s_and_b32 exec_lo, exec_lo, s14
	s_cbranch_execnz .LBB814_133
	s_branch .LBB814_134
.LBB814_188:
	v_sub_nc_u32_e32 v3, v28, v6
	v_readfirstlane_b32 s16, v42
	v_readfirstlane_b32 s17, v43
	global_store_b16 v3, v12, s[16:17] scale_offset
	s_wait_xcnt 0x0
	s_or_b32 exec_lo, exec_lo, s13
	s_and_saveexec_b32 s13, s9
	s_cbranch_execz .LBB814_142
.LBB814_189:
	v_sub_nc_u32_e32 v3, v32, v6
	v_readfirstlane_b32 s16, v42
	v_readfirstlane_b32 s17, v43
	global_store_b16 v3, v57, s[16:17] scale_offset
	s_wait_xcnt 0x0
	s_or_b32 exec_lo, exec_lo, s13
	s_and_saveexec_b32 s13, s8
	s_cbranch_execz .LBB814_143
.LBB814_190:
	v_sub_nc_u32_e32 v3, v30, v6
	v_readfirstlane_b32 s16, v42
	v_readfirstlane_b32 s17, v43
	global_store_b16 v3, v13, s[16:17] scale_offset
	s_wait_xcnt 0x0
	s_or_b32 exec_lo, exec_lo, s13
	s_and_saveexec_b32 s13, s7
	s_cbranch_execz .LBB814_144
.LBB814_191:
	v_sub_nc_u32_e32 v3, v26, v6
	v_readfirstlane_b32 s16, v42
	v_readfirstlane_b32 s17, v43
	global_store_b16 v3, v56, s[16:17] scale_offset
	s_wait_xcnt 0x0
	s_or_b32 exec_lo, exec_lo, s13
	s_and_saveexec_b32 s13, s6
	s_cbranch_execz .LBB814_145
.LBB814_192:
	v_sub_nc_u32_e32 v3, v16, v6
	v_readfirstlane_b32 s16, v42
	v_readfirstlane_b32 s17, v43
	global_store_b16 v3, v10, s[16:17] scale_offset
	s_wait_xcnt 0x0
	s_or_b32 exec_lo, exec_lo, s13
	s_and_saveexec_b32 s13, s5
	s_cbranch_execz .LBB814_146
.LBB814_193:
	v_sub_nc_u32_e32 v3, v18, v6
	v_readfirstlane_b32 s16, v42
	v_readfirstlane_b32 s17, v43
	global_store_b16 v3, v55, s[16:17] scale_offset
	s_wait_xcnt 0x0
	s_or_b32 exec_lo, exec_lo, s13
	s_and_saveexec_b32 s13, s4
	s_cbranch_execz .LBB814_147
.LBB814_194:
	v_sub_nc_u32_e32 v3, v24, v6
	v_readfirstlane_b32 s16, v42
	v_readfirstlane_b32 s17, v43
	global_store_b16 v3, v11, s[16:17] scale_offset
	s_wait_xcnt 0x0
	s_or_b32 exec_lo, exec_lo, s13
	s_and_saveexec_b32 s13, s3
	s_cbranch_execz .LBB814_148
.LBB814_195:
	v_sub_nc_u32_e32 v3, v34, v6
	v_readfirstlane_b32 s16, v42
	v_readfirstlane_b32 s17, v43
	global_store_b16 v3, v54, s[16:17] scale_offset
	s_wait_xcnt 0x0
	s_or_b32 exec_lo, exec_lo, s13
	s_and_saveexec_b32 s13, s1
	s_cbranch_execnz .LBB814_149
	s_branch .LBB814_150
.LBB814_196:
	v_sub_nc_u32_e32 v2, v28, v6
	s_delay_alu instid0(VALU_DEP_1)
	v_lshlrev_b32_e32 v2, 1, v2
	ds_store_b16 v2, v12
	s_or_b32 exec_lo, exec_lo, s13
	s_and_saveexec_b32 s10, s9
	s_cbranch_execz .LBB814_154
.LBB814_197:
	v_sub_nc_u32_e32 v2, v32, v6
	s_delay_alu instid0(VALU_DEP_1)
	v_lshlrev_b32_e32 v2, 1, v2
	ds_store_b16 v2, v57
	s_or_b32 exec_lo, exec_lo, s10
	s_and_saveexec_b32 s9, s8
	s_cbranch_execz .LBB814_155
.LBB814_198:
	v_sub_nc_u32_e32 v2, v30, v6
	s_delay_alu instid0(VALU_DEP_1)
	v_lshlrev_b32_e32 v2, 1, v2
	ds_store_b16 v2, v13
	s_or_b32 exec_lo, exec_lo, s9
	s_and_saveexec_b32 s8, s7
	s_cbranch_execz .LBB814_156
.LBB814_199:
	v_sub_nc_u32_e32 v2, v26, v6
	s_delay_alu instid0(VALU_DEP_1)
	v_lshlrev_b32_e32 v2, 1, v2
	ds_store_b16 v2, v56
	s_or_b32 exec_lo, exec_lo, s8
	s_and_saveexec_b32 s7, s6
	s_cbranch_execz .LBB814_157
.LBB814_200:
	v_sub_nc_u32_e32 v2, v16, v6
	s_delay_alu instid0(VALU_DEP_1)
	v_lshlrev_b32_e32 v2, 1, v2
	ds_store_b16 v2, v10
	s_or_b32 exec_lo, exec_lo, s7
	s_and_saveexec_b32 s6, s5
	s_cbranch_execz .LBB814_158
.LBB814_201:
	v_sub_nc_u32_e32 v2, v18, v6
	s_delay_alu instid0(VALU_DEP_1)
	v_lshlrev_b32_e32 v2, 1, v2
	ds_store_b16 v2, v55
	s_or_b32 exec_lo, exec_lo, s6
	s_and_saveexec_b32 s5, s4
	s_cbranch_execz .LBB814_159
.LBB814_202:
	v_sub_nc_u32_e32 v2, v24, v6
	s_delay_alu instid0(VALU_DEP_1)
	v_lshlrev_b32_e32 v2, 1, v2
	ds_store_b16 v2, v11
	s_or_b32 exec_lo, exec_lo, s5
	s_and_saveexec_b32 s4, s3
	s_cbranch_execz .LBB814_160
.LBB814_203:
	v_sub_nc_u32_e32 v2, v34, v6
	s_delay_alu instid0(VALU_DEP_1)
	v_lshlrev_b32_e32 v2, 1, v2
	ds_store_b16 v2, v54
	s_or_b32 exec_lo, exec_lo, s4
	s_and_saveexec_b32 s3, s1
	s_cbranch_execnz .LBB814_161
	s_branch .LBB814_162
.LBB814_204:
	v_dual_mov_b32 v39, 0 :: v_dual_sub_nc_u32 v40, v28, v5
	v_mov_b32_e32 v38, v29
	v_readfirstlane_b32 s16, v12
	v_readfirstlane_b32 s17, v13
	global_store_b64 v40, v[38:39], s[16:17] scale_offset
	s_wait_xcnt 0x0
	s_or_b32 exec_lo, exec_lo, s14
	s_and_saveexec_b32 s14, s8
	s_cbranch_execz .LBB814_166
.LBB814_205:
	v_dual_mov_b32 v39, 0 :: v_dual_sub_nc_u32 v40, v32, v5
	v_mov_b32_e32 v38, v33
	v_readfirstlane_b32 s16, v12
	v_readfirstlane_b32 s17, v13
	global_store_b64 v40, v[38:39], s[16:17] scale_offset
	s_wait_xcnt 0x0
	s_or_b32 exec_lo, exec_lo, s14
	s_and_saveexec_b32 s14, s7
	s_cbranch_execz .LBB814_167
.LBB814_206:
	v_dual_mov_b32 v39, 0 :: v_dual_sub_nc_u32 v40, v30, v5
	v_mov_b32_e32 v38, v31
	v_readfirstlane_b32 s16, v12
	v_readfirstlane_b32 s17, v13
	global_store_b64 v40, v[38:39], s[16:17] scale_offset
	s_wait_xcnt 0x0
	s_or_b32 exec_lo, exec_lo, s14
	s_and_saveexec_b32 s14, s6
	s_cbranch_execz .LBB814_168
.LBB814_207:
	v_dual_mov_b32 v39, 0 :: v_dual_sub_nc_u32 v40, v26, v5
	v_mov_b32_e32 v38, v27
	v_readfirstlane_b32 s16, v12
	v_readfirstlane_b32 s17, v13
	global_store_b64 v40, v[38:39], s[16:17] scale_offset
	s_wait_xcnt 0x0
	s_or_b32 exec_lo, exec_lo, s14
	s_and_saveexec_b32 s14, s5
	s_cbranch_execz .LBB814_169
.LBB814_208:
	v_dual_mov_b32 v39, 0 :: v_dual_sub_nc_u32 v40, v16, v5
	v_mov_b32_e32 v38, v17
	v_readfirstlane_b32 s16, v12
	v_readfirstlane_b32 s17, v13
	global_store_b64 v40, v[38:39], s[16:17] scale_offset
	s_wait_xcnt 0x0
	s_or_b32 exec_lo, exec_lo, s14
	s_and_saveexec_b32 s14, s4
	s_cbranch_execz .LBB814_170
.LBB814_209:
	v_dual_mov_b32 v39, 0 :: v_dual_sub_nc_u32 v40, v18, v5
	v_mov_b32_e32 v38, v19
	v_readfirstlane_b32 s16, v12
	v_readfirstlane_b32 s17, v13
	global_store_b64 v40, v[38:39], s[16:17] scale_offset
	s_wait_xcnt 0x0
	s_or_b32 exec_lo, exec_lo, s14
	s_and_saveexec_b32 s14, s3
	s_cbranch_execz .LBB814_171
.LBB814_210:
	v_dual_mov_b32 v39, 0 :: v_dual_sub_nc_u32 v40, v24, v5
	v_mov_b32_e32 v38, v25
	v_readfirstlane_b32 s16, v12
	v_readfirstlane_b32 s17, v13
	global_store_b64 v40, v[38:39], s[16:17] scale_offset
	s_wait_xcnt 0x0
	s_or_b32 exec_lo, exec_lo, s14
	s_and_saveexec_b32 s14, s2
	s_cbranch_execz .LBB814_172
.LBB814_211:
	v_dual_mov_b32 v39, 0 :: v_dual_sub_nc_u32 v40, v34, v5
	v_mov_b32_e32 v38, v35
	v_readfirstlane_b32 s16, v12
	v_readfirstlane_b32 s17, v13
	global_store_b64 v40, v[38:39], s[16:17] scale_offset
	s_wait_xcnt 0x0
	s_or_b32 exec_lo, exec_lo, s14
	s_and_saveexec_b32 s14, s1
	s_cbranch_execnz .LBB814_173
	s_branch .LBB814_174
.LBB814_212:
	v_sub_nc_u32_e32 v12, v28, v5
	s_delay_alu instid0(VALU_DEP_1)
	v_lshlrev_b32_e32 v12, 2, v12
	ds_store_b32 v12, v29
	s_or_b32 exec_lo, exec_lo, s14
	s_and_saveexec_b32 s9, s8
	s_cbranch_execz .LBB814_178
.LBB814_213:
	v_sub_nc_u32_e32 v12, v32, v5
	s_delay_alu instid0(VALU_DEP_1)
	v_lshlrev_b32_e32 v12, 2, v12
	ds_store_b32 v12, v33
	s_or_b32 exec_lo, exec_lo, s9
	s_and_saveexec_b32 s8, s7
	s_cbranch_execz .LBB814_179
.LBB814_214:
	v_sub_nc_u32_e32 v12, v30, v5
	s_delay_alu instid0(VALU_DEP_1)
	v_lshlrev_b32_e32 v12, 2, v12
	ds_store_b32 v12, v31
	s_or_b32 exec_lo, exec_lo, s8
	s_and_saveexec_b32 s7, s6
	s_cbranch_execz .LBB814_180
.LBB814_215:
	v_sub_nc_u32_e32 v12, v26, v5
	s_delay_alu instid0(VALU_DEP_1)
	v_lshlrev_b32_e32 v12, 2, v12
	ds_store_b32 v12, v27
	s_or_b32 exec_lo, exec_lo, s7
	s_and_saveexec_b32 s6, s5
	s_cbranch_execz .LBB814_181
.LBB814_216:
	v_sub_nc_u32_e32 v12, v16, v5
	s_delay_alu instid0(VALU_DEP_1)
	v_lshlrev_b32_e32 v12, 2, v12
	ds_store_b32 v12, v17
	s_or_b32 exec_lo, exec_lo, s6
	s_and_saveexec_b32 s5, s4
	s_cbranch_execz .LBB814_182
.LBB814_217:
	v_sub_nc_u32_e32 v12, v18, v5
	s_delay_alu instid0(VALU_DEP_1)
	v_lshlrev_b32_e32 v12, 2, v12
	ds_store_b32 v12, v19
	s_or_b32 exec_lo, exec_lo, s5
	s_and_saveexec_b32 s4, s3
	s_cbranch_execz .LBB814_183
.LBB814_218:
	v_sub_nc_u32_e32 v12, v24, v5
	s_delay_alu instid0(VALU_DEP_1)
	v_lshlrev_b32_e32 v12, 2, v12
	ds_store_b32 v12, v25
	s_or_b32 exec_lo, exec_lo, s4
	s_and_saveexec_b32 s3, s2
	s_cbranch_execz .LBB814_184
.LBB814_219:
	v_sub_nc_u32_e32 v12, v34, v5
	s_delay_alu instid0(VALU_DEP_1)
	v_lshlrev_b32_e32 v12, 2, v12
	ds_store_b32 v12, v35
	s_or_b32 exec_lo, exec_lo, s3
	s_and_saveexec_b32 s2, s1
	s_cbranch_execnz .LBB814_185
	s_branch .LBB814_186
	.section	.rodata,"a",@progbits
	.p2align	6, 0x0
	.amdhsa_kernel _ZN7rocprim17ROCPRIM_400000_NS6detail17trampoline_kernelINS0_14default_configENS1_33run_length_encode_config_selectorItjNS0_4plusIjEEEEZZNS1_33reduce_by_key_impl_wrapped_configILNS1_25lookback_scan_determinismE0ES3_S7_PKtNS0_17constant_iteratorIjlEEPtPlSF_S6_NS0_8equal_toItEEEE10hipError_tPvRmT2_T3_mT4_T5_T6_T7_T8_P12ihipStream_tbENKUlT_T0_E_clISt17integral_constantIbLb0EESY_IbLb1EEEEDaSU_SV_EUlSU_E_NS1_11comp_targetILNS1_3genE0ELNS1_11target_archE4294967295ELNS1_3gpuE0ELNS1_3repE0EEENS1_30default_config_static_selectorELNS0_4arch9wavefront6targetE0EEEvT1_
		.amdhsa_group_segment_fixed_size 20480
		.amdhsa_private_segment_fixed_size 0
		.amdhsa_kernarg_size 128
		.amdhsa_user_sgpr_count 2
		.amdhsa_user_sgpr_dispatch_ptr 0
		.amdhsa_user_sgpr_queue_ptr 0
		.amdhsa_user_sgpr_kernarg_segment_ptr 1
		.amdhsa_user_sgpr_dispatch_id 0
		.amdhsa_user_sgpr_kernarg_preload_length 0
		.amdhsa_user_sgpr_kernarg_preload_offset 0
		.amdhsa_user_sgpr_private_segment_size 0
		.amdhsa_wavefront_size32 1
		.amdhsa_uses_dynamic_stack 0
		.amdhsa_enable_private_segment 0
		.amdhsa_system_sgpr_workgroup_id_x 1
		.amdhsa_system_sgpr_workgroup_id_y 0
		.amdhsa_system_sgpr_workgroup_id_z 0
		.amdhsa_system_sgpr_workgroup_info 0
		.amdhsa_system_vgpr_workitem_id 0
		.amdhsa_next_free_vgpr 96
		.amdhsa_next_free_sgpr 39
		.amdhsa_named_barrier_count 0
		.amdhsa_reserve_vcc 1
		.amdhsa_float_round_mode_32 0
		.amdhsa_float_round_mode_16_64 0
		.amdhsa_float_denorm_mode_32 3
		.amdhsa_float_denorm_mode_16_64 3
		.amdhsa_fp16_overflow 0
		.amdhsa_memory_ordered 1
		.amdhsa_forward_progress 1
		.amdhsa_inst_pref_size 101
		.amdhsa_round_robin_scheduling 0
		.amdhsa_exception_fp_ieee_invalid_op 0
		.amdhsa_exception_fp_denorm_src 0
		.amdhsa_exception_fp_ieee_div_zero 0
		.amdhsa_exception_fp_ieee_overflow 0
		.amdhsa_exception_fp_ieee_underflow 0
		.amdhsa_exception_fp_ieee_inexact 0
		.amdhsa_exception_int_div_zero 0
	.end_amdhsa_kernel
	.section	.text._ZN7rocprim17ROCPRIM_400000_NS6detail17trampoline_kernelINS0_14default_configENS1_33run_length_encode_config_selectorItjNS0_4plusIjEEEEZZNS1_33reduce_by_key_impl_wrapped_configILNS1_25lookback_scan_determinismE0ES3_S7_PKtNS0_17constant_iteratorIjlEEPtPlSF_S6_NS0_8equal_toItEEEE10hipError_tPvRmT2_T3_mT4_T5_T6_T7_T8_P12ihipStream_tbENKUlT_T0_E_clISt17integral_constantIbLb0EESY_IbLb1EEEEDaSU_SV_EUlSU_E_NS1_11comp_targetILNS1_3genE0ELNS1_11target_archE4294967295ELNS1_3gpuE0ELNS1_3repE0EEENS1_30default_config_static_selectorELNS0_4arch9wavefront6targetE0EEEvT1_,"axG",@progbits,_ZN7rocprim17ROCPRIM_400000_NS6detail17trampoline_kernelINS0_14default_configENS1_33run_length_encode_config_selectorItjNS0_4plusIjEEEEZZNS1_33reduce_by_key_impl_wrapped_configILNS1_25lookback_scan_determinismE0ES3_S7_PKtNS0_17constant_iteratorIjlEEPtPlSF_S6_NS0_8equal_toItEEEE10hipError_tPvRmT2_T3_mT4_T5_T6_T7_T8_P12ihipStream_tbENKUlT_T0_E_clISt17integral_constantIbLb0EESY_IbLb1EEEEDaSU_SV_EUlSU_E_NS1_11comp_targetILNS1_3genE0ELNS1_11target_archE4294967295ELNS1_3gpuE0ELNS1_3repE0EEENS1_30default_config_static_selectorELNS0_4arch9wavefront6targetE0EEEvT1_,comdat
.Lfunc_end814:
	.size	_ZN7rocprim17ROCPRIM_400000_NS6detail17trampoline_kernelINS0_14default_configENS1_33run_length_encode_config_selectorItjNS0_4plusIjEEEEZZNS1_33reduce_by_key_impl_wrapped_configILNS1_25lookback_scan_determinismE0ES3_S7_PKtNS0_17constant_iteratorIjlEEPtPlSF_S6_NS0_8equal_toItEEEE10hipError_tPvRmT2_T3_mT4_T5_T6_T7_T8_P12ihipStream_tbENKUlT_T0_E_clISt17integral_constantIbLb0EESY_IbLb1EEEEDaSU_SV_EUlSU_E_NS1_11comp_targetILNS1_3genE0ELNS1_11target_archE4294967295ELNS1_3gpuE0ELNS1_3repE0EEENS1_30default_config_static_selectorELNS0_4arch9wavefront6targetE0EEEvT1_, .Lfunc_end814-_ZN7rocprim17ROCPRIM_400000_NS6detail17trampoline_kernelINS0_14default_configENS1_33run_length_encode_config_selectorItjNS0_4plusIjEEEEZZNS1_33reduce_by_key_impl_wrapped_configILNS1_25lookback_scan_determinismE0ES3_S7_PKtNS0_17constant_iteratorIjlEEPtPlSF_S6_NS0_8equal_toItEEEE10hipError_tPvRmT2_T3_mT4_T5_T6_T7_T8_P12ihipStream_tbENKUlT_T0_E_clISt17integral_constantIbLb0EESY_IbLb1EEEEDaSU_SV_EUlSU_E_NS1_11comp_targetILNS1_3genE0ELNS1_11target_archE4294967295ELNS1_3gpuE0ELNS1_3repE0EEENS1_30default_config_static_selectorELNS0_4arch9wavefront6targetE0EEEvT1_
                                        ; -- End function
	.set _ZN7rocprim17ROCPRIM_400000_NS6detail17trampoline_kernelINS0_14default_configENS1_33run_length_encode_config_selectorItjNS0_4plusIjEEEEZZNS1_33reduce_by_key_impl_wrapped_configILNS1_25lookback_scan_determinismE0ES3_S7_PKtNS0_17constant_iteratorIjlEEPtPlSF_S6_NS0_8equal_toItEEEE10hipError_tPvRmT2_T3_mT4_T5_T6_T7_T8_P12ihipStream_tbENKUlT_T0_E_clISt17integral_constantIbLb0EESY_IbLb1EEEEDaSU_SV_EUlSU_E_NS1_11comp_targetILNS1_3genE0ELNS1_11target_archE4294967295ELNS1_3gpuE0ELNS1_3repE0EEENS1_30default_config_static_selectorELNS0_4arch9wavefront6targetE0EEEvT1_.num_vgpr, 96
	.set _ZN7rocprim17ROCPRIM_400000_NS6detail17trampoline_kernelINS0_14default_configENS1_33run_length_encode_config_selectorItjNS0_4plusIjEEEEZZNS1_33reduce_by_key_impl_wrapped_configILNS1_25lookback_scan_determinismE0ES3_S7_PKtNS0_17constant_iteratorIjlEEPtPlSF_S6_NS0_8equal_toItEEEE10hipError_tPvRmT2_T3_mT4_T5_T6_T7_T8_P12ihipStream_tbENKUlT_T0_E_clISt17integral_constantIbLb0EESY_IbLb1EEEEDaSU_SV_EUlSU_E_NS1_11comp_targetILNS1_3genE0ELNS1_11target_archE4294967295ELNS1_3gpuE0ELNS1_3repE0EEENS1_30default_config_static_selectorELNS0_4arch9wavefront6targetE0EEEvT1_.num_agpr, 0
	.set _ZN7rocprim17ROCPRIM_400000_NS6detail17trampoline_kernelINS0_14default_configENS1_33run_length_encode_config_selectorItjNS0_4plusIjEEEEZZNS1_33reduce_by_key_impl_wrapped_configILNS1_25lookback_scan_determinismE0ES3_S7_PKtNS0_17constant_iteratorIjlEEPtPlSF_S6_NS0_8equal_toItEEEE10hipError_tPvRmT2_T3_mT4_T5_T6_T7_T8_P12ihipStream_tbENKUlT_T0_E_clISt17integral_constantIbLb0EESY_IbLb1EEEEDaSU_SV_EUlSU_E_NS1_11comp_targetILNS1_3genE0ELNS1_11target_archE4294967295ELNS1_3gpuE0ELNS1_3repE0EEENS1_30default_config_static_selectorELNS0_4arch9wavefront6targetE0EEEvT1_.numbered_sgpr, 39
	.set _ZN7rocprim17ROCPRIM_400000_NS6detail17trampoline_kernelINS0_14default_configENS1_33run_length_encode_config_selectorItjNS0_4plusIjEEEEZZNS1_33reduce_by_key_impl_wrapped_configILNS1_25lookback_scan_determinismE0ES3_S7_PKtNS0_17constant_iteratorIjlEEPtPlSF_S6_NS0_8equal_toItEEEE10hipError_tPvRmT2_T3_mT4_T5_T6_T7_T8_P12ihipStream_tbENKUlT_T0_E_clISt17integral_constantIbLb0EESY_IbLb1EEEEDaSU_SV_EUlSU_E_NS1_11comp_targetILNS1_3genE0ELNS1_11target_archE4294967295ELNS1_3gpuE0ELNS1_3repE0EEENS1_30default_config_static_selectorELNS0_4arch9wavefront6targetE0EEEvT1_.num_named_barrier, 0
	.set _ZN7rocprim17ROCPRIM_400000_NS6detail17trampoline_kernelINS0_14default_configENS1_33run_length_encode_config_selectorItjNS0_4plusIjEEEEZZNS1_33reduce_by_key_impl_wrapped_configILNS1_25lookback_scan_determinismE0ES3_S7_PKtNS0_17constant_iteratorIjlEEPtPlSF_S6_NS0_8equal_toItEEEE10hipError_tPvRmT2_T3_mT4_T5_T6_T7_T8_P12ihipStream_tbENKUlT_T0_E_clISt17integral_constantIbLb0EESY_IbLb1EEEEDaSU_SV_EUlSU_E_NS1_11comp_targetILNS1_3genE0ELNS1_11target_archE4294967295ELNS1_3gpuE0ELNS1_3repE0EEENS1_30default_config_static_selectorELNS0_4arch9wavefront6targetE0EEEvT1_.private_seg_size, 0
	.set _ZN7rocprim17ROCPRIM_400000_NS6detail17trampoline_kernelINS0_14default_configENS1_33run_length_encode_config_selectorItjNS0_4plusIjEEEEZZNS1_33reduce_by_key_impl_wrapped_configILNS1_25lookback_scan_determinismE0ES3_S7_PKtNS0_17constant_iteratorIjlEEPtPlSF_S6_NS0_8equal_toItEEEE10hipError_tPvRmT2_T3_mT4_T5_T6_T7_T8_P12ihipStream_tbENKUlT_T0_E_clISt17integral_constantIbLb0EESY_IbLb1EEEEDaSU_SV_EUlSU_E_NS1_11comp_targetILNS1_3genE0ELNS1_11target_archE4294967295ELNS1_3gpuE0ELNS1_3repE0EEENS1_30default_config_static_selectorELNS0_4arch9wavefront6targetE0EEEvT1_.uses_vcc, 1
	.set _ZN7rocprim17ROCPRIM_400000_NS6detail17trampoline_kernelINS0_14default_configENS1_33run_length_encode_config_selectorItjNS0_4plusIjEEEEZZNS1_33reduce_by_key_impl_wrapped_configILNS1_25lookback_scan_determinismE0ES3_S7_PKtNS0_17constant_iteratorIjlEEPtPlSF_S6_NS0_8equal_toItEEEE10hipError_tPvRmT2_T3_mT4_T5_T6_T7_T8_P12ihipStream_tbENKUlT_T0_E_clISt17integral_constantIbLb0EESY_IbLb1EEEEDaSU_SV_EUlSU_E_NS1_11comp_targetILNS1_3genE0ELNS1_11target_archE4294967295ELNS1_3gpuE0ELNS1_3repE0EEENS1_30default_config_static_selectorELNS0_4arch9wavefront6targetE0EEEvT1_.uses_flat_scratch, 0
	.set _ZN7rocprim17ROCPRIM_400000_NS6detail17trampoline_kernelINS0_14default_configENS1_33run_length_encode_config_selectorItjNS0_4plusIjEEEEZZNS1_33reduce_by_key_impl_wrapped_configILNS1_25lookback_scan_determinismE0ES3_S7_PKtNS0_17constant_iteratorIjlEEPtPlSF_S6_NS0_8equal_toItEEEE10hipError_tPvRmT2_T3_mT4_T5_T6_T7_T8_P12ihipStream_tbENKUlT_T0_E_clISt17integral_constantIbLb0EESY_IbLb1EEEEDaSU_SV_EUlSU_E_NS1_11comp_targetILNS1_3genE0ELNS1_11target_archE4294967295ELNS1_3gpuE0ELNS1_3repE0EEENS1_30default_config_static_selectorELNS0_4arch9wavefront6targetE0EEEvT1_.has_dyn_sized_stack, 0
	.set _ZN7rocprim17ROCPRIM_400000_NS6detail17trampoline_kernelINS0_14default_configENS1_33run_length_encode_config_selectorItjNS0_4plusIjEEEEZZNS1_33reduce_by_key_impl_wrapped_configILNS1_25lookback_scan_determinismE0ES3_S7_PKtNS0_17constant_iteratorIjlEEPtPlSF_S6_NS0_8equal_toItEEEE10hipError_tPvRmT2_T3_mT4_T5_T6_T7_T8_P12ihipStream_tbENKUlT_T0_E_clISt17integral_constantIbLb0EESY_IbLb1EEEEDaSU_SV_EUlSU_E_NS1_11comp_targetILNS1_3genE0ELNS1_11target_archE4294967295ELNS1_3gpuE0ELNS1_3repE0EEENS1_30default_config_static_selectorELNS0_4arch9wavefront6targetE0EEEvT1_.has_recursion, 0
	.set _ZN7rocprim17ROCPRIM_400000_NS6detail17trampoline_kernelINS0_14default_configENS1_33run_length_encode_config_selectorItjNS0_4plusIjEEEEZZNS1_33reduce_by_key_impl_wrapped_configILNS1_25lookback_scan_determinismE0ES3_S7_PKtNS0_17constant_iteratorIjlEEPtPlSF_S6_NS0_8equal_toItEEEE10hipError_tPvRmT2_T3_mT4_T5_T6_T7_T8_P12ihipStream_tbENKUlT_T0_E_clISt17integral_constantIbLb0EESY_IbLb1EEEEDaSU_SV_EUlSU_E_NS1_11comp_targetILNS1_3genE0ELNS1_11target_archE4294967295ELNS1_3gpuE0ELNS1_3repE0EEENS1_30default_config_static_selectorELNS0_4arch9wavefront6targetE0EEEvT1_.has_indirect_call, 0
	.section	.AMDGPU.csdata,"",@progbits
; Kernel info:
; codeLenInByte = 12888
; TotalNumSgprs: 41
; NumVgprs: 96
; ScratchSize: 0
; MemoryBound: 0
; FloatMode: 240
; IeeeMode: 1
; LDSByteSize: 20480 bytes/workgroup (compile time only)
; SGPRBlocks: 0
; VGPRBlocks: 5
; NumSGPRsForWavesPerEU: 41
; NumVGPRsForWavesPerEU: 96
; NamedBarCnt: 0
; Occupancy: 10
; WaveLimiterHint : 1
; COMPUTE_PGM_RSRC2:SCRATCH_EN: 0
; COMPUTE_PGM_RSRC2:USER_SGPR: 2
; COMPUTE_PGM_RSRC2:TRAP_HANDLER: 0
; COMPUTE_PGM_RSRC2:TGID_X_EN: 1
; COMPUTE_PGM_RSRC2:TGID_Y_EN: 0
; COMPUTE_PGM_RSRC2:TGID_Z_EN: 0
; COMPUTE_PGM_RSRC2:TIDIG_COMP_CNT: 0
	.section	.text._ZN7rocprim17ROCPRIM_400000_NS6detail17trampoline_kernelINS0_14default_configENS1_33run_length_encode_config_selectorItjNS0_4plusIjEEEEZZNS1_33reduce_by_key_impl_wrapped_configILNS1_25lookback_scan_determinismE0ES3_S7_PKtNS0_17constant_iteratorIjlEEPtPlSF_S6_NS0_8equal_toItEEEE10hipError_tPvRmT2_T3_mT4_T5_T6_T7_T8_P12ihipStream_tbENKUlT_T0_E_clISt17integral_constantIbLb0EESY_IbLb1EEEEDaSU_SV_EUlSU_E_NS1_11comp_targetILNS1_3genE5ELNS1_11target_archE942ELNS1_3gpuE9ELNS1_3repE0EEENS1_30default_config_static_selectorELNS0_4arch9wavefront6targetE0EEEvT1_,"axG",@progbits,_ZN7rocprim17ROCPRIM_400000_NS6detail17trampoline_kernelINS0_14default_configENS1_33run_length_encode_config_selectorItjNS0_4plusIjEEEEZZNS1_33reduce_by_key_impl_wrapped_configILNS1_25lookback_scan_determinismE0ES3_S7_PKtNS0_17constant_iteratorIjlEEPtPlSF_S6_NS0_8equal_toItEEEE10hipError_tPvRmT2_T3_mT4_T5_T6_T7_T8_P12ihipStream_tbENKUlT_T0_E_clISt17integral_constantIbLb0EESY_IbLb1EEEEDaSU_SV_EUlSU_E_NS1_11comp_targetILNS1_3genE5ELNS1_11target_archE942ELNS1_3gpuE9ELNS1_3repE0EEENS1_30default_config_static_selectorELNS0_4arch9wavefront6targetE0EEEvT1_,comdat
	.protected	_ZN7rocprim17ROCPRIM_400000_NS6detail17trampoline_kernelINS0_14default_configENS1_33run_length_encode_config_selectorItjNS0_4plusIjEEEEZZNS1_33reduce_by_key_impl_wrapped_configILNS1_25lookback_scan_determinismE0ES3_S7_PKtNS0_17constant_iteratorIjlEEPtPlSF_S6_NS0_8equal_toItEEEE10hipError_tPvRmT2_T3_mT4_T5_T6_T7_T8_P12ihipStream_tbENKUlT_T0_E_clISt17integral_constantIbLb0EESY_IbLb1EEEEDaSU_SV_EUlSU_E_NS1_11comp_targetILNS1_3genE5ELNS1_11target_archE942ELNS1_3gpuE9ELNS1_3repE0EEENS1_30default_config_static_selectorELNS0_4arch9wavefront6targetE0EEEvT1_ ; -- Begin function _ZN7rocprim17ROCPRIM_400000_NS6detail17trampoline_kernelINS0_14default_configENS1_33run_length_encode_config_selectorItjNS0_4plusIjEEEEZZNS1_33reduce_by_key_impl_wrapped_configILNS1_25lookback_scan_determinismE0ES3_S7_PKtNS0_17constant_iteratorIjlEEPtPlSF_S6_NS0_8equal_toItEEEE10hipError_tPvRmT2_T3_mT4_T5_T6_T7_T8_P12ihipStream_tbENKUlT_T0_E_clISt17integral_constantIbLb0EESY_IbLb1EEEEDaSU_SV_EUlSU_E_NS1_11comp_targetILNS1_3genE5ELNS1_11target_archE942ELNS1_3gpuE9ELNS1_3repE0EEENS1_30default_config_static_selectorELNS0_4arch9wavefront6targetE0EEEvT1_
	.globl	_ZN7rocprim17ROCPRIM_400000_NS6detail17trampoline_kernelINS0_14default_configENS1_33run_length_encode_config_selectorItjNS0_4plusIjEEEEZZNS1_33reduce_by_key_impl_wrapped_configILNS1_25lookback_scan_determinismE0ES3_S7_PKtNS0_17constant_iteratorIjlEEPtPlSF_S6_NS0_8equal_toItEEEE10hipError_tPvRmT2_T3_mT4_T5_T6_T7_T8_P12ihipStream_tbENKUlT_T0_E_clISt17integral_constantIbLb0EESY_IbLb1EEEEDaSU_SV_EUlSU_E_NS1_11comp_targetILNS1_3genE5ELNS1_11target_archE942ELNS1_3gpuE9ELNS1_3repE0EEENS1_30default_config_static_selectorELNS0_4arch9wavefront6targetE0EEEvT1_
	.p2align	8
	.type	_ZN7rocprim17ROCPRIM_400000_NS6detail17trampoline_kernelINS0_14default_configENS1_33run_length_encode_config_selectorItjNS0_4plusIjEEEEZZNS1_33reduce_by_key_impl_wrapped_configILNS1_25lookback_scan_determinismE0ES3_S7_PKtNS0_17constant_iteratorIjlEEPtPlSF_S6_NS0_8equal_toItEEEE10hipError_tPvRmT2_T3_mT4_T5_T6_T7_T8_P12ihipStream_tbENKUlT_T0_E_clISt17integral_constantIbLb0EESY_IbLb1EEEEDaSU_SV_EUlSU_E_NS1_11comp_targetILNS1_3genE5ELNS1_11target_archE942ELNS1_3gpuE9ELNS1_3repE0EEENS1_30default_config_static_selectorELNS0_4arch9wavefront6targetE0EEEvT1_,@function
_ZN7rocprim17ROCPRIM_400000_NS6detail17trampoline_kernelINS0_14default_configENS1_33run_length_encode_config_selectorItjNS0_4plusIjEEEEZZNS1_33reduce_by_key_impl_wrapped_configILNS1_25lookback_scan_determinismE0ES3_S7_PKtNS0_17constant_iteratorIjlEEPtPlSF_S6_NS0_8equal_toItEEEE10hipError_tPvRmT2_T3_mT4_T5_T6_T7_T8_P12ihipStream_tbENKUlT_T0_E_clISt17integral_constantIbLb0EESY_IbLb1EEEEDaSU_SV_EUlSU_E_NS1_11comp_targetILNS1_3genE5ELNS1_11target_archE942ELNS1_3gpuE9ELNS1_3repE0EEENS1_30default_config_static_selectorELNS0_4arch9wavefront6targetE0EEEvT1_: ; @_ZN7rocprim17ROCPRIM_400000_NS6detail17trampoline_kernelINS0_14default_configENS1_33run_length_encode_config_selectorItjNS0_4plusIjEEEEZZNS1_33reduce_by_key_impl_wrapped_configILNS1_25lookback_scan_determinismE0ES3_S7_PKtNS0_17constant_iteratorIjlEEPtPlSF_S6_NS0_8equal_toItEEEE10hipError_tPvRmT2_T3_mT4_T5_T6_T7_T8_P12ihipStream_tbENKUlT_T0_E_clISt17integral_constantIbLb0EESY_IbLb1EEEEDaSU_SV_EUlSU_E_NS1_11comp_targetILNS1_3genE5ELNS1_11target_archE942ELNS1_3gpuE9ELNS1_3repE0EEENS1_30default_config_static_selectorELNS0_4arch9wavefront6targetE0EEEvT1_
; %bb.0:
	.section	.rodata,"a",@progbits
	.p2align	6, 0x0
	.amdhsa_kernel _ZN7rocprim17ROCPRIM_400000_NS6detail17trampoline_kernelINS0_14default_configENS1_33run_length_encode_config_selectorItjNS0_4plusIjEEEEZZNS1_33reduce_by_key_impl_wrapped_configILNS1_25lookback_scan_determinismE0ES3_S7_PKtNS0_17constant_iteratorIjlEEPtPlSF_S6_NS0_8equal_toItEEEE10hipError_tPvRmT2_T3_mT4_T5_T6_T7_T8_P12ihipStream_tbENKUlT_T0_E_clISt17integral_constantIbLb0EESY_IbLb1EEEEDaSU_SV_EUlSU_E_NS1_11comp_targetILNS1_3genE5ELNS1_11target_archE942ELNS1_3gpuE9ELNS1_3repE0EEENS1_30default_config_static_selectorELNS0_4arch9wavefront6targetE0EEEvT1_
		.amdhsa_group_segment_fixed_size 0
		.amdhsa_private_segment_fixed_size 0
		.amdhsa_kernarg_size 128
		.amdhsa_user_sgpr_count 2
		.amdhsa_user_sgpr_dispatch_ptr 0
		.amdhsa_user_sgpr_queue_ptr 0
		.amdhsa_user_sgpr_kernarg_segment_ptr 1
		.amdhsa_user_sgpr_dispatch_id 0
		.amdhsa_user_sgpr_kernarg_preload_length 0
		.amdhsa_user_sgpr_kernarg_preload_offset 0
		.amdhsa_user_sgpr_private_segment_size 0
		.amdhsa_wavefront_size32 1
		.amdhsa_uses_dynamic_stack 0
		.amdhsa_enable_private_segment 0
		.amdhsa_system_sgpr_workgroup_id_x 1
		.amdhsa_system_sgpr_workgroup_id_y 0
		.amdhsa_system_sgpr_workgroup_id_z 0
		.amdhsa_system_sgpr_workgroup_info 0
		.amdhsa_system_vgpr_workitem_id 0
		.amdhsa_next_free_vgpr 1
		.amdhsa_next_free_sgpr 1
		.amdhsa_named_barrier_count 0
		.amdhsa_reserve_vcc 0
		.amdhsa_float_round_mode_32 0
		.amdhsa_float_round_mode_16_64 0
		.amdhsa_float_denorm_mode_32 3
		.amdhsa_float_denorm_mode_16_64 3
		.amdhsa_fp16_overflow 0
		.amdhsa_memory_ordered 1
		.amdhsa_forward_progress 1
		.amdhsa_inst_pref_size 0
		.amdhsa_round_robin_scheduling 0
		.amdhsa_exception_fp_ieee_invalid_op 0
		.amdhsa_exception_fp_denorm_src 0
		.amdhsa_exception_fp_ieee_div_zero 0
		.amdhsa_exception_fp_ieee_overflow 0
		.amdhsa_exception_fp_ieee_underflow 0
		.amdhsa_exception_fp_ieee_inexact 0
		.amdhsa_exception_int_div_zero 0
	.end_amdhsa_kernel
	.section	.text._ZN7rocprim17ROCPRIM_400000_NS6detail17trampoline_kernelINS0_14default_configENS1_33run_length_encode_config_selectorItjNS0_4plusIjEEEEZZNS1_33reduce_by_key_impl_wrapped_configILNS1_25lookback_scan_determinismE0ES3_S7_PKtNS0_17constant_iteratorIjlEEPtPlSF_S6_NS0_8equal_toItEEEE10hipError_tPvRmT2_T3_mT4_T5_T6_T7_T8_P12ihipStream_tbENKUlT_T0_E_clISt17integral_constantIbLb0EESY_IbLb1EEEEDaSU_SV_EUlSU_E_NS1_11comp_targetILNS1_3genE5ELNS1_11target_archE942ELNS1_3gpuE9ELNS1_3repE0EEENS1_30default_config_static_selectorELNS0_4arch9wavefront6targetE0EEEvT1_,"axG",@progbits,_ZN7rocprim17ROCPRIM_400000_NS6detail17trampoline_kernelINS0_14default_configENS1_33run_length_encode_config_selectorItjNS0_4plusIjEEEEZZNS1_33reduce_by_key_impl_wrapped_configILNS1_25lookback_scan_determinismE0ES3_S7_PKtNS0_17constant_iteratorIjlEEPtPlSF_S6_NS0_8equal_toItEEEE10hipError_tPvRmT2_T3_mT4_T5_T6_T7_T8_P12ihipStream_tbENKUlT_T0_E_clISt17integral_constantIbLb0EESY_IbLb1EEEEDaSU_SV_EUlSU_E_NS1_11comp_targetILNS1_3genE5ELNS1_11target_archE942ELNS1_3gpuE9ELNS1_3repE0EEENS1_30default_config_static_selectorELNS0_4arch9wavefront6targetE0EEEvT1_,comdat
.Lfunc_end815:
	.size	_ZN7rocprim17ROCPRIM_400000_NS6detail17trampoline_kernelINS0_14default_configENS1_33run_length_encode_config_selectorItjNS0_4plusIjEEEEZZNS1_33reduce_by_key_impl_wrapped_configILNS1_25lookback_scan_determinismE0ES3_S7_PKtNS0_17constant_iteratorIjlEEPtPlSF_S6_NS0_8equal_toItEEEE10hipError_tPvRmT2_T3_mT4_T5_T6_T7_T8_P12ihipStream_tbENKUlT_T0_E_clISt17integral_constantIbLb0EESY_IbLb1EEEEDaSU_SV_EUlSU_E_NS1_11comp_targetILNS1_3genE5ELNS1_11target_archE942ELNS1_3gpuE9ELNS1_3repE0EEENS1_30default_config_static_selectorELNS0_4arch9wavefront6targetE0EEEvT1_, .Lfunc_end815-_ZN7rocprim17ROCPRIM_400000_NS6detail17trampoline_kernelINS0_14default_configENS1_33run_length_encode_config_selectorItjNS0_4plusIjEEEEZZNS1_33reduce_by_key_impl_wrapped_configILNS1_25lookback_scan_determinismE0ES3_S7_PKtNS0_17constant_iteratorIjlEEPtPlSF_S6_NS0_8equal_toItEEEE10hipError_tPvRmT2_T3_mT4_T5_T6_T7_T8_P12ihipStream_tbENKUlT_T0_E_clISt17integral_constantIbLb0EESY_IbLb1EEEEDaSU_SV_EUlSU_E_NS1_11comp_targetILNS1_3genE5ELNS1_11target_archE942ELNS1_3gpuE9ELNS1_3repE0EEENS1_30default_config_static_selectorELNS0_4arch9wavefront6targetE0EEEvT1_
                                        ; -- End function
	.set _ZN7rocprim17ROCPRIM_400000_NS6detail17trampoline_kernelINS0_14default_configENS1_33run_length_encode_config_selectorItjNS0_4plusIjEEEEZZNS1_33reduce_by_key_impl_wrapped_configILNS1_25lookback_scan_determinismE0ES3_S7_PKtNS0_17constant_iteratorIjlEEPtPlSF_S6_NS0_8equal_toItEEEE10hipError_tPvRmT2_T3_mT4_T5_T6_T7_T8_P12ihipStream_tbENKUlT_T0_E_clISt17integral_constantIbLb0EESY_IbLb1EEEEDaSU_SV_EUlSU_E_NS1_11comp_targetILNS1_3genE5ELNS1_11target_archE942ELNS1_3gpuE9ELNS1_3repE0EEENS1_30default_config_static_selectorELNS0_4arch9wavefront6targetE0EEEvT1_.num_vgpr, 0
	.set _ZN7rocprim17ROCPRIM_400000_NS6detail17trampoline_kernelINS0_14default_configENS1_33run_length_encode_config_selectorItjNS0_4plusIjEEEEZZNS1_33reduce_by_key_impl_wrapped_configILNS1_25lookback_scan_determinismE0ES3_S7_PKtNS0_17constant_iteratorIjlEEPtPlSF_S6_NS0_8equal_toItEEEE10hipError_tPvRmT2_T3_mT4_T5_T6_T7_T8_P12ihipStream_tbENKUlT_T0_E_clISt17integral_constantIbLb0EESY_IbLb1EEEEDaSU_SV_EUlSU_E_NS1_11comp_targetILNS1_3genE5ELNS1_11target_archE942ELNS1_3gpuE9ELNS1_3repE0EEENS1_30default_config_static_selectorELNS0_4arch9wavefront6targetE0EEEvT1_.num_agpr, 0
	.set _ZN7rocprim17ROCPRIM_400000_NS6detail17trampoline_kernelINS0_14default_configENS1_33run_length_encode_config_selectorItjNS0_4plusIjEEEEZZNS1_33reduce_by_key_impl_wrapped_configILNS1_25lookback_scan_determinismE0ES3_S7_PKtNS0_17constant_iteratorIjlEEPtPlSF_S6_NS0_8equal_toItEEEE10hipError_tPvRmT2_T3_mT4_T5_T6_T7_T8_P12ihipStream_tbENKUlT_T0_E_clISt17integral_constantIbLb0EESY_IbLb1EEEEDaSU_SV_EUlSU_E_NS1_11comp_targetILNS1_3genE5ELNS1_11target_archE942ELNS1_3gpuE9ELNS1_3repE0EEENS1_30default_config_static_selectorELNS0_4arch9wavefront6targetE0EEEvT1_.numbered_sgpr, 0
	.set _ZN7rocprim17ROCPRIM_400000_NS6detail17trampoline_kernelINS0_14default_configENS1_33run_length_encode_config_selectorItjNS0_4plusIjEEEEZZNS1_33reduce_by_key_impl_wrapped_configILNS1_25lookback_scan_determinismE0ES3_S7_PKtNS0_17constant_iteratorIjlEEPtPlSF_S6_NS0_8equal_toItEEEE10hipError_tPvRmT2_T3_mT4_T5_T6_T7_T8_P12ihipStream_tbENKUlT_T0_E_clISt17integral_constantIbLb0EESY_IbLb1EEEEDaSU_SV_EUlSU_E_NS1_11comp_targetILNS1_3genE5ELNS1_11target_archE942ELNS1_3gpuE9ELNS1_3repE0EEENS1_30default_config_static_selectorELNS0_4arch9wavefront6targetE0EEEvT1_.num_named_barrier, 0
	.set _ZN7rocprim17ROCPRIM_400000_NS6detail17trampoline_kernelINS0_14default_configENS1_33run_length_encode_config_selectorItjNS0_4plusIjEEEEZZNS1_33reduce_by_key_impl_wrapped_configILNS1_25lookback_scan_determinismE0ES3_S7_PKtNS0_17constant_iteratorIjlEEPtPlSF_S6_NS0_8equal_toItEEEE10hipError_tPvRmT2_T3_mT4_T5_T6_T7_T8_P12ihipStream_tbENKUlT_T0_E_clISt17integral_constantIbLb0EESY_IbLb1EEEEDaSU_SV_EUlSU_E_NS1_11comp_targetILNS1_3genE5ELNS1_11target_archE942ELNS1_3gpuE9ELNS1_3repE0EEENS1_30default_config_static_selectorELNS0_4arch9wavefront6targetE0EEEvT1_.private_seg_size, 0
	.set _ZN7rocprim17ROCPRIM_400000_NS6detail17trampoline_kernelINS0_14default_configENS1_33run_length_encode_config_selectorItjNS0_4plusIjEEEEZZNS1_33reduce_by_key_impl_wrapped_configILNS1_25lookback_scan_determinismE0ES3_S7_PKtNS0_17constant_iteratorIjlEEPtPlSF_S6_NS0_8equal_toItEEEE10hipError_tPvRmT2_T3_mT4_T5_T6_T7_T8_P12ihipStream_tbENKUlT_T0_E_clISt17integral_constantIbLb0EESY_IbLb1EEEEDaSU_SV_EUlSU_E_NS1_11comp_targetILNS1_3genE5ELNS1_11target_archE942ELNS1_3gpuE9ELNS1_3repE0EEENS1_30default_config_static_selectorELNS0_4arch9wavefront6targetE0EEEvT1_.uses_vcc, 0
	.set _ZN7rocprim17ROCPRIM_400000_NS6detail17trampoline_kernelINS0_14default_configENS1_33run_length_encode_config_selectorItjNS0_4plusIjEEEEZZNS1_33reduce_by_key_impl_wrapped_configILNS1_25lookback_scan_determinismE0ES3_S7_PKtNS0_17constant_iteratorIjlEEPtPlSF_S6_NS0_8equal_toItEEEE10hipError_tPvRmT2_T3_mT4_T5_T6_T7_T8_P12ihipStream_tbENKUlT_T0_E_clISt17integral_constantIbLb0EESY_IbLb1EEEEDaSU_SV_EUlSU_E_NS1_11comp_targetILNS1_3genE5ELNS1_11target_archE942ELNS1_3gpuE9ELNS1_3repE0EEENS1_30default_config_static_selectorELNS0_4arch9wavefront6targetE0EEEvT1_.uses_flat_scratch, 0
	.set _ZN7rocprim17ROCPRIM_400000_NS6detail17trampoline_kernelINS0_14default_configENS1_33run_length_encode_config_selectorItjNS0_4plusIjEEEEZZNS1_33reduce_by_key_impl_wrapped_configILNS1_25lookback_scan_determinismE0ES3_S7_PKtNS0_17constant_iteratorIjlEEPtPlSF_S6_NS0_8equal_toItEEEE10hipError_tPvRmT2_T3_mT4_T5_T6_T7_T8_P12ihipStream_tbENKUlT_T0_E_clISt17integral_constantIbLb0EESY_IbLb1EEEEDaSU_SV_EUlSU_E_NS1_11comp_targetILNS1_3genE5ELNS1_11target_archE942ELNS1_3gpuE9ELNS1_3repE0EEENS1_30default_config_static_selectorELNS0_4arch9wavefront6targetE0EEEvT1_.has_dyn_sized_stack, 0
	.set _ZN7rocprim17ROCPRIM_400000_NS6detail17trampoline_kernelINS0_14default_configENS1_33run_length_encode_config_selectorItjNS0_4plusIjEEEEZZNS1_33reduce_by_key_impl_wrapped_configILNS1_25lookback_scan_determinismE0ES3_S7_PKtNS0_17constant_iteratorIjlEEPtPlSF_S6_NS0_8equal_toItEEEE10hipError_tPvRmT2_T3_mT4_T5_T6_T7_T8_P12ihipStream_tbENKUlT_T0_E_clISt17integral_constantIbLb0EESY_IbLb1EEEEDaSU_SV_EUlSU_E_NS1_11comp_targetILNS1_3genE5ELNS1_11target_archE942ELNS1_3gpuE9ELNS1_3repE0EEENS1_30default_config_static_selectorELNS0_4arch9wavefront6targetE0EEEvT1_.has_recursion, 0
	.set _ZN7rocprim17ROCPRIM_400000_NS6detail17trampoline_kernelINS0_14default_configENS1_33run_length_encode_config_selectorItjNS0_4plusIjEEEEZZNS1_33reduce_by_key_impl_wrapped_configILNS1_25lookback_scan_determinismE0ES3_S7_PKtNS0_17constant_iteratorIjlEEPtPlSF_S6_NS0_8equal_toItEEEE10hipError_tPvRmT2_T3_mT4_T5_T6_T7_T8_P12ihipStream_tbENKUlT_T0_E_clISt17integral_constantIbLb0EESY_IbLb1EEEEDaSU_SV_EUlSU_E_NS1_11comp_targetILNS1_3genE5ELNS1_11target_archE942ELNS1_3gpuE9ELNS1_3repE0EEENS1_30default_config_static_selectorELNS0_4arch9wavefront6targetE0EEEvT1_.has_indirect_call, 0
	.section	.AMDGPU.csdata,"",@progbits
; Kernel info:
; codeLenInByte = 0
; TotalNumSgprs: 0
; NumVgprs: 0
; ScratchSize: 0
; MemoryBound: 0
; FloatMode: 240
; IeeeMode: 1
; LDSByteSize: 0 bytes/workgroup (compile time only)
; SGPRBlocks: 0
; VGPRBlocks: 0
; NumSGPRsForWavesPerEU: 1
; NumVGPRsForWavesPerEU: 1
; NamedBarCnt: 0
; Occupancy: 16
; WaveLimiterHint : 0
; COMPUTE_PGM_RSRC2:SCRATCH_EN: 0
; COMPUTE_PGM_RSRC2:USER_SGPR: 2
; COMPUTE_PGM_RSRC2:TRAP_HANDLER: 0
; COMPUTE_PGM_RSRC2:TGID_X_EN: 1
; COMPUTE_PGM_RSRC2:TGID_Y_EN: 0
; COMPUTE_PGM_RSRC2:TGID_Z_EN: 0
; COMPUTE_PGM_RSRC2:TIDIG_COMP_CNT: 0
	.section	.text._ZN7rocprim17ROCPRIM_400000_NS6detail17trampoline_kernelINS0_14default_configENS1_33run_length_encode_config_selectorItjNS0_4plusIjEEEEZZNS1_33reduce_by_key_impl_wrapped_configILNS1_25lookback_scan_determinismE0ES3_S7_PKtNS0_17constant_iteratorIjlEEPtPlSF_S6_NS0_8equal_toItEEEE10hipError_tPvRmT2_T3_mT4_T5_T6_T7_T8_P12ihipStream_tbENKUlT_T0_E_clISt17integral_constantIbLb0EESY_IbLb1EEEEDaSU_SV_EUlSU_E_NS1_11comp_targetILNS1_3genE4ELNS1_11target_archE910ELNS1_3gpuE8ELNS1_3repE0EEENS1_30default_config_static_selectorELNS0_4arch9wavefront6targetE0EEEvT1_,"axG",@progbits,_ZN7rocprim17ROCPRIM_400000_NS6detail17trampoline_kernelINS0_14default_configENS1_33run_length_encode_config_selectorItjNS0_4plusIjEEEEZZNS1_33reduce_by_key_impl_wrapped_configILNS1_25lookback_scan_determinismE0ES3_S7_PKtNS0_17constant_iteratorIjlEEPtPlSF_S6_NS0_8equal_toItEEEE10hipError_tPvRmT2_T3_mT4_T5_T6_T7_T8_P12ihipStream_tbENKUlT_T0_E_clISt17integral_constantIbLb0EESY_IbLb1EEEEDaSU_SV_EUlSU_E_NS1_11comp_targetILNS1_3genE4ELNS1_11target_archE910ELNS1_3gpuE8ELNS1_3repE0EEENS1_30default_config_static_selectorELNS0_4arch9wavefront6targetE0EEEvT1_,comdat
	.protected	_ZN7rocprim17ROCPRIM_400000_NS6detail17trampoline_kernelINS0_14default_configENS1_33run_length_encode_config_selectorItjNS0_4plusIjEEEEZZNS1_33reduce_by_key_impl_wrapped_configILNS1_25lookback_scan_determinismE0ES3_S7_PKtNS0_17constant_iteratorIjlEEPtPlSF_S6_NS0_8equal_toItEEEE10hipError_tPvRmT2_T3_mT4_T5_T6_T7_T8_P12ihipStream_tbENKUlT_T0_E_clISt17integral_constantIbLb0EESY_IbLb1EEEEDaSU_SV_EUlSU_E_NS1_11comp_targetILNS1_3genE4ELNS1_11target_archE910ELNS1_3gpuE8ELNS1_3repE0EEENS1_30default_config_static_selectorELNS0_4arch9wavefront6targetE0EEEvT1_ ; -- Begin function _ZN7rocprim17ROCPRIM_400000_NS6detail17trampoline_kernelINS0_14default_configENS1_33run_length_encode_config_selectorItjNS0_4plusIjEEEEZZNS1_33reduce_by_key_impl_wrapped_configILNS1_25lookback_scan_determinismE0ES3_S7_PKtNS0_17constant_iteratorIjlEEPtPlSF_S6_NS0_8equal_toItEEEE10hipError_tPvRmT2_T3_mT4_T5_T6_T7_T8_P12ihipStream_tbENKUlT_T0_E_clISt17integral_constantIbLb0EESY_IbLb1EEEEDaSU_SV_EUlSU_E_NS1_11comp_targetILNS1_3genE4ELNS1_11target_archE910ELNS1_3gpuE8ELNS1_3repE0EEENS1_30default_config_static_selectorELNS0_4arch9wavefront6targetE0EEEvT1_
	.globl	_ZN7rocprim17ROCPRIM_400000_NS6detail17trampoline_kernelINS0_14default_configENS1_33run_length_encode_config_selectorItjNS0_4plusIjEEEEZZNS1_33reduce_by_key_impl_wrapped_configILNS1_25lookback_scan_determinismE0ES3_S7_PKtNS0_17constant_iteratorIjlEEPtPlSF_S6_NS0_8equal_toItEEEE10hipError_tPvRmT2_T3_mT4_T5_T6_T7_T8_P12ihipStream_tbENKUlT_T0_E_clISt17integral_constantIbLb0EESY_IbLb1EEEEDaSU_SV_EUlSU_E_NS1_11comp_targetILNS1_3genE4ELNS1_11target_archE910ELNS1_3gpuE8ELNS1_3repE0EEENS1_30default_config_static_selectorELNS0_4arch9wavefront6targetE0EEEvT1_
	.p2align	8
	.type	_ZN7rocprim17ROCPRIM_400000_NS6detail17trampoline_kernelINS0_14default_configENS1_33run_length_encode_config_selectorItjNS0_4plusIjEEEEZZNS1_33reduce_by_key_impl_wrapped_configILNS1_25lookback_scan_determinismE0ES3_S7_PKtNS0_17constant_iteratorIjlEEPtPlSF_S6_NS0_8equal_toItEEEE10hipError_tPvRmT2_T3_mT4_T5_T6_T7_T8_P12ihipStream_tbENKUlT_T0_E_clISt17integral_constantIbLb0EESY_IbLb1EEEEDaSU_SV_EUlSU_E_NS1_11comp_targetILNS1_3genE4ELNS1_11target_archE910ELNS1_3gpuE8ELNS1_3repE0EEENS1_30default_config_static_selectorELNS0_4arch9wavefront6targetE0EEEvT1_,@function
_ZN7rocprim17ROCPRIM_400000_NS6detail17trampoline_kernelINS0_14default_configENS1_33run_length_encode_config_selectorItjNS0_4plusIjEEEEZZNS1_33reduce_by_key_impl_wrapped_configILNS1_25lookback_scan_determinismE0ES3_S7_PKtNS0_17constant_iteratorIjlEEPtPlSF_S6_NS0_8equal_toItEEEE10hipError_tPvRmT2_T3_mT4_T5_T6_T7_T8_P12ihipStream_tbENKUlT_T0_E_clISt17integral_constantIbLb0EESY_IbLb1EEEEDaSU_SV_EUlSU_E_NS1_11comp_targetILNS1_3genE4ELNS1_11target_archE910ELNS1_3gpuE8ELNS1_3repE0EEENS1_30default_config_static_selectorELNS0_4arch9wavefront6targetE0EEEvT1_: ; @_ZN7rocprim17ROCPRIM_400000_NS6detail17trampoline_kernelINS0_14default_configENS1_33run_length_encode_config_selectorItjNS0_4plusIjEEEEZZNS1_33reduce_by_key_impl_wrapped_configILNS1_25lookback_scan_determinismE0ES3_S7_PKtNS0_17constant_iteratorIjlEEPtPlSF_S6_NS0_8equal_toItEEEE10hipError_tPvRmT2_T3_mT4_T5_T6_T7_T8_P12ihipStream_tbENKUlT_T0_E_clISt17integral_constantIbLb0EESY_IbLb1EEEEDaSU_SV_EUlSU_E_NS1_11comp_targetILNS1_3genE4ELNS1_11target_archE910ELNS1_3gpuE8ELNS1_3repE0EEENS1_30default_config_static_selectorELNS0_4arch9wavefront6targetE0EEEvT1_
; %bb.0:
	.section	.rodata,"a",@progbits
	.p2align	6, 0x0
	.amdhsa_kernel _ZN7rocprim17ROCPRIM_400000_NS6detail17trampoline_kernelINS0_14default_configENS1_33run_length_encode_config_selectorItjNS0_4plusIjEEEEZZNS1_33reduce_by_key_impl_wrapped_configILNS1_25lookback_scan_determinismE0ES3_S7_PKtNS0_17constant_iteratorIjlEEPtPlSF_S6_NS0_8equal_toItEEEE10hipError_tPvRmT2_T3_mT4_T5_T6_T7_T8_P12ihipStream_tbENKUlT_T0_E_clISt17integral_constantIbLb0EESY_IbLb1EEEEDaSU_SV_EUlSU_E_NS1_11comp_targetILNS1_3genE4ELNS1_11target_archE910ELNS1_3gpuE8ELNS1_3repE0EEENS1_30default_config_static_selectorELNS0_4arch9wavefront6targetE0EEEvT1_
		.amdhsa_group_segment_fixed_size 0
		.amdhsa_private_segment_fixed_size 0
		.amdhsa_kernarg_size 128
		.amdhsa_user_sgpr_count 2
		.amdhsa_user_sgpr_dispatch_ptr 0
		.amdhsa_user_sgpr_queue_ptr 0
		.amdhsa_user_sgpr_kernarg_segment_ptr 1
		.amdhsa_user_sgpr_dispatch_id 0
		.amdhsa_user_sgpr_kernarg_preload_length 0
		.amdhsa_user_sgpr_kernarg_preload_offset 0
		.amdhsa_user_sgpr_private_segment_size 0
		.amdhsa_wavefront_size32 1
		.amdhsa_uses_dynamic_stack 0
		.amdhsa_enable_private_segment 0
		.amdhsa_system_sgpr_workgroup_id_x 1
		.amdhsa_system_sgpr_workgroup_id_y 0
		.amdhsa_system_sgpr_workgroup_id_z 0
		.amdhsa_system_sgpr_workgroup_info 0
		.amdhsa_system_vgpr_workitem_id 0
		.amdhsa_next_free_vgpr 1
		.amdhsa_next_free_sgpr 1
		.amdhsa_named_barrier_count 0
		.amdhsa_reserve_vcc 0
		.amdhsa_float_round_mode_32 0
		.amdhsa_float_round_mode_16_64 0
		.amdhsa_float_denorm_mode_32 3
		.amdhsa_float_denorm_mode_16_64 3
		.amdhsa_fp16_overflow 0
		.amdhsa_memory_ordered 1
		.amdhsa_forward_progress 1
		.amdhsa_inst_pref_size 0
		.amdhsa_round_robin_scheduling 0
		.amdhsa_exception_fp_ieee_invalid_op 0
		.amdhsa_exception_fp_denorm_src 0
		.amdhsa_exception_fp_ieee_div_zero 0
		.amdhsa_exception_fp_ieee_overflow 0
		.amdhsa_exception_fp_ieee_underflow 0
		.amdhsa_exception_fp_ieee_inexact 0
		.amdhsa_exception_int_div_zero 0
	.end_amdhsa_kernel
	.section	.text._ZN7rocprim17ROCPRIM_400000_NS6detail17trampoline_kernelINS0_14default_configENS1_33run_length_encode_config_selectorItjNS0_4plusIjEEEEZZNS1_33reduce_by_key_impl_wrapped_configILNS1_25lookback_scan_determinismE0ES3_S7_PKtNS0_17constant_iteratorIjlEEPtPlSF_S6_NS0_8equal_toItEEEE10hipError_tPvRmT2_T3_mT4_T5_T6_T7_T8_P12ihipStream_tbENKUlT_T0_E_clISt17integral_constantIbLb0EESY_IbLb1EEEEDaSU_SV_EUlSU_E_NS1_11comp_targetILNS1_3genE4ELNS1_11target_archE910ELNS1_3gpuE8ELNS1_3repE0EEENS1_30default_config_static_selectorELNS0_4arch9wavefront6targetE0EEEvT1_,"axG",@progbits,_ZN7rocprim17ROCPRIM_400000_NS6detail17trampoline_kernelINS0_14default_configENS1_33run_length_encode_config_selectorItjNS0_4plusIjEEEEZZNS1_33reduce_by_key_impl_wrapped_configILNS1_25lookback_scan_determinismE0ES3_S7_PKtNS0_17constant_iteratorIjlEEPtPlSF_S6_NS0_8equal_toItEEEE10hipError_tPvRmT2_T3_mT4_T5_T6_T7_T8_P12ihipStream_tbENKUlT_T0_E_clISt17integral_constantIbLb0EESY_IbLb1EEEEDaSU_SV_EUlSU_E_NS1_11comp_targetILNS1_3genE4ELNS1_11target_archE910ELNS1_3gpuE8ELNS1_3repE0EEENS1_30default_config_static_selectorELNS0_4arch9wavefront6targetE0EEEvT1_,comdat
.Lfunc_end816:
	.size	_ZN7rocprim17ROCPRIM_400000_NS6detail17trampoline_kernelINS0_14default_configENS1_33run_length_encode_config_selectorItjNS0_4plusIjEEEEZZNS1_33reduce_by_key_impl_wrapped_configILNS1_25lookback_scan_determinismE0ES3_S7_PKtNS0_17constant_iteratorIjlEEPtPlSF_S6_NS0_8equal_toItEEEE10hipError_tPvRmT2_T3_mT4_T5_T6_T7_T8_P12ihipStream_tbENKUlT_T0_E_clISt17integral_constantIbLb0EESY_IbLb1EEEEDaSU_SV_EUlSU_E_NS1_11comp_targetILNS1_3genE4ELNS1_11target_archE910ELNS1_3gpuE8ELNS1_3repE0EEENS1_30default_config_static_selectorELNS0_4arch9wavefront6targetE0EEEvT1_, .Lfunc_end816-_ZN7rocprim17ROCPRIM_400000_NS6detail17trampoline_kernelINS0_14default_configENS1_33run_length_encode_config_selectorItjNS0_4plusIjEEEEZZNS1_33reduce_by_key_impl_wrapped_configILNS1_25lookback_scan_determinismE0ES3_S7_PKtNS0_17constant_iteratorIjlEEPtPlSF_S6_NS0_8equal_toItEEEE10hipError_tPvRmT2_T3_mT4_T5_T6_T7_T8_P12ihipStream_tbENKUlT_T0_E_clISt17integral_constantIbLb0EESY_IbLb1EEEEDaSU_SV_EUlSU_E_NS1_11comp_targetILNS1_3genE4ELNS1_11target_archE910ELNS1_3gpuE8ELNS1_3repE0EEENS1_30default_config_static_selectorELNS0_4arch9wavefront6targetE0EEEvT1_
                                        ; -- End function
	.set _ZN7rocprim17ROCPRIM_400000_NS6detail17trampoline_kernelINS0_14default_configENS1_33run_length_encode_config_selectorItjNS0_4plusIjEEEEZZNS1_33reduce_by_key_impl_wrapped_configILNS1_25lookback_scan_determinismE0ES3_S7_PKtNS0_17constant_iteratorIjlEEPtPlSF_S6_NS0_8equal_toItEEEE10hipError_tPvRmT2_T3_mT4_T5_T6_T7_T8_P12ihipStream_tbENKUlT_T0_E_clISt17integral_constantIbLb0EESY_IbLb1EEEEDaSU_SV_EUlSU_E_NS1_11comp_targetILNS1_3genE4ELNS1_11target_archE910ELNS1_3gpuE8ELNS1_3repE0EEENS1_30default_config_static_selectorELNS0_4arch9wavefront6targetE0EEEvT1_.num_vgpr, 0
	.set _ZN7rocprim17ROCPRIM_400000_NS6detail17trampoline_kernelINS0_14default_configENS1_33run_length_encode_config_selectorItjNS0_4plusIjEEEEZZNS1_33reduce_by_key_impl_wrapped_configILNS1_25lookback_scan_determinismE0ES3_S7_PKtNS0_17constant_iteratorIjlEEPtPlSF_S6_NS0_8equal_toItEEEE10hipError_tPvRmT2_T3_mT4_T5_T6_T7_T8_P12ihipStream_tbENKUlT_T0_E_clISt17integral_constantIbLb0EESY_IbLb1EEEEDaSU_SV_EUlSU_E_NS1_11comp_targetILNS1_3genE4ELNS1_11target_archE910ELNS1_3gpuE8ELNS1_3repE0EEENS1_30default_config_static_selectorELNS0_4arch9wavefront6targetE0EEEvT1_.num_agpr, 0
	.set _ZN7rocprim17ROCPRIM_400000_NS6detail17trampoline_kernelINS0_14default_configENS1_33run_length_encode_config_selectorItjNS0_4plusIjEEEEZZNS1_33reduce_by_key_impl_wrapped_configILNS1_25lookback_scan_determinismE0ES3_S7_PKtNS0_17constant_iteratorIjlEEPtPlSF_S6_NS0_8equal_toItEEEE10hipError_tPvRmT2_T3_mT4_T5_T6_T7_T8_P12ihipStream_tbENKUlT_T0_E_clISt17integral_constantIbLb0EESY_IbLb1EEEEDaSU_SV_EUlSU_E_NS1_11comp_targetILNS1_3genE4ELNS1_11target_archE910ELNS1_3gpuE8ELNS1_3repE0EEENS1_30default_config_static_selectorELNS0_4arch9wavefront6targetE0EEEvT1_.numbered_sgpr, 0
	.set _ZN7rocprim17ROCPRIM_400000_NS6detail17trampoline_kernelINS0_14default_configENS1_33run_length_encode_config_selectorItjNS0_4plusIjEEEEZZNS1_33reduce_by_key_impl_wrapped_configILNS1_25lookback_scan_determinismE0ES3_S7_PKtNS0_17constant_iteratorIjlEEPtPlSF_S6_NS0_8equal_toItEEEE10hipError_tPvRmT2_T3_mT4_T5_T6_T7_T8_P12ihipStream_tbENKUlT_T0_E_clISt17integral_constantIbLb0EESY_IbLb1EEEEDaSU_SV_EUlSU_E_NS1_11comp_targetILNS1_3genE4ELNS1_11target_archE910ELNS1_3gpuE8ELNS1_3repE0EEENS1_30default_config_static_selectorELNS0_4arch9wavefront6targetE0EEEvT1_.num_named_barrier, 0
	.set _ZN7rocprim17ROCPRIM_400000_NS6detail17trampoline_kernelINS0_14default_configENS1_33run_length_encode_config_selectorItjNS0_4plusIjEEEEZZNS1_33reduce_by_key_impl_wrapped_configILNS1_25lookback_scan_determinismE0ES3_S7_PKtNS0_17constant_iteratorIjlEEPtPlSF_S6_NS0_8equal_toItEEEE10hipError_tPvRmT2_T3_mT4_T5_T6_T7_T8_P12ihipStream_tbENKUlT_T0_E_clISt17integral_constantIbLb0EESY_IbLb1EEEEDaSU_SV_EUlSU_E_NS1_11comp_targetILNS1_3genE4ELNS1_11target_archE910ELNS1_3gpuE8ELNS1_3repE0EEENS1_30default_config_static_selectorELNS0_4arch9wavefront6targetE0EEEvT1_.private_seg_size, 0
	.set _ZN7rocprim17ROCPRIM_400000_NS6detail17trampoline_kernelINS0_14default_configENS1_33run_length_encode_config_selectorItjNS0_4plusIjEEEEZZNS1_33reduce_by_key_impl_wrapped_configILNS1_25lookback_scan_determinismE0ES3_S7_PKtNS0_17constant_iteratorIjlEEPtPlSF_S6_NS0_8equal_toItEEEE10hipError_tPvRmT2_T3_mT4_T5_T6_T7_T8_P12ihipStream_tbENKUlT_T0_E_clISt17integral_constantIbLb0EESY_IbLb1EEEEDaSU_SV_EUlSU_E_NS1_11comp_targetILNS1_3genE4ELNS1_11target_archE910ELNS1_3gpuE8ELNS1_3repE0EEENS1_30default_config_static_selectorELNS0_4arch9wavefront6targetE0EEEvT1_.uses_vcc, 0
	.set _ZN7rocprim17ROCPRIM_400000_NS6detail17trampoline_kernelINS0_14default_configENS1_33run_length_encode_config_selectorItjNS0_4plusIjEEEEZZNS1_33reduce_by_key_impl_wrapped_configILNS1_25lookback_scan_determinismE0ES3_S7_PKtNS0_17constant_iteratorIjlEEPtPlSF_S6_NS0_8equal_toItEEEE10hipError_tPvRmT2_T3_mT4_T5_T6_T7_T8_P12ihipStream_tbENKUlT_T0_E_clISt17integral_constantIbLb0EESY_IbLb1EEEEDaSU_SV_EUlSU_E_NS1_11comp_targetILNS1_3genE4ELNS1_11target_archE910ELNS1_3gpuE8ELNS1_3repE0EEENS1_30default_config_static_selectorELNS0_4arch9wavefront6targetE0EEEvT1_.uses_flat_scratch, 0
	.set _ZN7rocprim17ROCPRIM_400000_NS6detail17trampoline_kernelINS0_14default_configENS1_33run_length_encode_config_selectorItjNS0_4plusIjEEEEZZNS1_33reduce_by_key_impl_wrapped_configILNS1_25lookback_scan_determinismE0ES3_S7_PKtNS0_17constant_iteratorIjlEEPtPlSF_S6_NS0_8equal_toItEEEE10hipError_tPvRmT2_T3_mT4_T5_T6_T7_T8_P12ihipStream_tbENKUlT_T0_E_clISt17integral_constantIbLb0EESY_IbLb1EEEEDaSU_SV_EUlSU_E_NS1_11comp_targetILNS1_3genE4ELNS1_11target_archE910ELNS1_3gpuE8ELNS1_3repE0EEENS1_30default_config_static_selectorELNS0_4arch9wavefront6targetE0EEEvT1_.has_dyn_sized_stack, 0
	.set _ZN7rocprim17ROCPRIM_400000_NS6detail17trampoline_kernelINS0_14default_configENS1_33run_length_encode_config_selectorItjNS0_4plusIjEEEEZZNS1_33reduce_by_key_impl_wrapped_configILNS1_25lookback_scan_determinismE0ES3_S7_PKtNS0_17constant_iteratorIjlEEPtPlSF_S6_NS0_8equal_toItEEEE10hipError_tPvRmT2_T3_mT4_T5_T6_T7_T8_P12ihipStream_tbENKUlT_T0_E_clISt17integral_constantIbLb0EESY_IbLb1EEEEDaSU_SV_EUlSU_E_NS1_11comp_targetILNS1_3genE4ELNS1_11target_archE910ELNS1_3gpuE8ELNS1_3repE0EEENS1_30default_config_static_selectorELNS0_4arch9wavefront6targetE0EEEvT1_.has_recursion, 0
	.set _ZN7rocprim17ROCPRIM_400000_NS6detail17trampoline_kernelINS0_14default_configENS1_33run_length_encode_config_selectorItjNS0_4plusIjEEEEZZNS1_33reduce_by_key_impl_wrapped_configILNS1_25lookback_scan_determinismE0ES3_S7_PKtNS0_17constant_iteratorIjlEEPtPlSF_S6_NS0_8equal_toItEEEE10hipError_tPvRmT2_T3_mT4_T5_T6_T7_T8_P12ihipStream_tbENKUlT_T0_E_clISt17integral_constantIbLb0EESY_IbLb1EEEEDaSU_SV_EUlSU_E_NS1_11comp_targetILNS1_3genE4ELNS1_11target_archE910ELNS1_3gpuE8ELNS1_3repE0EEENS1_30default_config_static_selectorELNS0_4arch9wavefront6targetE0EEEvT1_.has_indirect_call, 0
	.section	.AMDGPU.csdata,"",@progbits
; Kernel info:
; codeLenInByte = 0
; TotalNumSgprs: 0
; NumVgprs: 0
; ScratchSize: 0
; MemoryBound: 0
; FloatMode: 240
; IeeeMode: 1
; LDSByteSize: 0 bytes/workgroup (compile time only)
; SGPRBlocks: 0
; VGPRBlocks: 0
; NumSGPRsForWavesPerEU: 1
; NumVGPRsForWavesPerEU: 1
; NamedBarCnt: 0
; Occupancy: 16
; WaveLimiterHint : 0
; COMPUTE_PGM_RSRC2:SCRATCH_EN: 0
; COMPUTE_PGM_RSRC2:USER_SGPR: 2
; COMPUTE_PGM_RSRC2:TRAP_HANDLER: 0
; COMPUTE_PGM_RSRC2:TGID_X_EN: 1
; COMPUTE_PGM_RSRC2:TGID_Y_EN: 0
; COMPUTE_PGM_RSRC2:TGID_Z_EN: 0
; COMPUTE_PGM_RSRC2:TIDIG_COMP_CNT: 0
	.section	.text._ZN7rocprim17ROCPRIM_400000_NS6detail17trampoline_kernelINS0_14default_configENS1_33run_length_encode_config_selectorItjNS0_4plusIjEEEEZZNS1_33reduce_by_key_impl_wrapped_configILNS1_25lookback_scan_determinismE0ES3_S7_PKtNS0_17constant_iteratorIjlEEPtPlSF_S6_NS0_8equal_toItEEEE10hipError_tPvRmT2_T3_mT4_T5_T6_T7_T8_P12ihipStream_tbENKUlT_T0_E_clISt17integral_constantIbLb0EESY_IbLb1EEEEDaSU_SV_EUlSU_E_NS1_11comp_targetILNS1_3genE3ELNS1_11target_archE908ELNS1_3gpuE7ELNS1_3repE0EEENS1_30default_config_static_selectorELNS0_4arch9wavefront6targetE0EEEvT1_,"axG",@progbits,_ZN7rocprim17ROCPRIM_400000_NS6detail17trampoline_kernelINS0_14default_configENS1_33run_length_encode_config_selectorItjNS0_4plusIjEEEEZZNS1_33reduce_by_key_impl_wrapped_configILNS1_25lookback_scan_determinismE0ES3_S7_PKtNS0_17constant_iteratorIjlEEPtPlSF_S6_NS0_8equal_toItEEEE10hipError_tPvRmT2_T3_mT4_T5_T6_T7_T8_P12ihipStream_tbENKUlT_T0_E_clISt17integral_constantIbLb0EESY_IbLb1EEEEDaSU_SV_EUlSU_E_NS1_11comp_targetILNS1_3genE3ELNS1_11target_archE908ELNS1_3gpuE7ELNS1_3repE0EEENS1_30default_config_static_selectorELNS0_4arch9wavefront6targetE0EEEvT1_,comdat
	.protected	_ZN7rocprim17ROCPRIM_400000_NS6detail17trampoline_kernelINS0_14default_configENS1_33run_length_encode_config_selectorItjNS0_4plusIjEEEEZZNS1_33reduce_by_key_impl_wrapped_configILNS1_25lookback_scan_determinismE0ES3_S7_PKtNS0_17constant_iteratorIjlEEPtPlSF_S6_NS0_8equal_toItEEEE10hipError_tPvRmT2_T3_mT4_T5_T6_T7_T8_P12ihipStream_tbENKUlT_T0_E_clISt17integral_constantIbLb0EESY_IbLb1EEEEDaSU_SV_EUlSU_E_NS1_11comp_targetILNS1_3genE3ELNS1_11target_archE908ELNS1_3gpuE7ELNS1_3repE0EEENS1_30default_config_static_selectorELNS0_4arch9wavefront6targetE0EEEvT1_ ; -- Begin function _ZN7rocprim17ROCPRIM_400000_NS6detail17trampoline_kernelINS0_14default_configENS1_33run_length_encode_config_selectorItjNS0_4plusIjEEEEZZNS1_33reduce_by_key_impl_wrapped_configILNS1_25lookback_scan_determinismE0ES3_S7_PKtNS0_17constant_iteratorIjlEEPtPlSF_S6_NS0_8equal_toItEEEE10hipError_tPvRmT2_T3_mT4_T5_T6_T7_T8_P12ihipStream_tbENKUlT_T0_E_clISt17integral_constantIbLb0EESY_IbLb1EEEEDaSU_SV_EUlSU_E_NS1_11comp_targetILNS1_3genE3ELNS1_11target_archE908ELNS1_3gpuE7ELNS1_3repE0EEENS1_30default_config_static_selectorELNS0_4arch9wavefront6targetE0EEEvT1_
	.globl	_ZN7rocprim17ROCPRIM_400000_NS6detail17trampoline_kernelINS0_14default_configENS1_33run_length_encode_config_selectorItjNS0_4plusIjEEEEZZNS1_33reduce_by_key_impl_wrapped_configILNS1_25lookback_scan_determinismE0ES3_S7_PKtNS0_17constant_iteratorIjlEEPtPlSF_S6_NS0_8equal_toItEEEE10hipError_tPvRmT2_T3_mT4_T5_T6_T7_T8_P12ihipStream_tbENKUlT_T0_E_clISt17integral_constantIbLb0EESY_IbLb1EEEEDaSU_SV_EUlSU_E_NS1_11comp_targetILNS1_3genE3ELNS1_11target_archE908ELNS1_3gpuE7ELNS1_3repE0EEENS1_30default_config_static_selectorELNS0_4arch9wavefront6targetE0EEEvT1_
	.p2align	8
	.type	_ZN7rocprim17ROCPRIM_400000_NS6detail17trampoline_kernelINS0_14default_configENS1_33run_length_encode_config_selectorItjNS0_4plusIjEEEEZZNS1_33reduce_by_key_impl_wrapped_configILNS1_25lookback_scan_determinismE0ES3_S7_PKtNS0_17constant_iteratorIjlEEPtPlSF_S6_NS0_8equal_toItEEEE10hipError_tPvRmT2_T3_mT4_T5_T6_T7_T8_P12ihipStream_tbENKUlT_T0_E_clISt17integral_constantIbLb0EESY_IbLb1EEEEDaSU_SV_EUlSU_E_NS1_11comp_targetILNS1_3genE3ELNS1_11target_archE908ELNS1_3gpuE7ELNS1_3repE0EEENS1_30default_config_static_selectorELNS0_4arch9wavefront6targetE0EEEvT1_,@function
_ZN7rocprim17ROCPRIM_400000_NS6detail17trampoline_kernelINS0_14default_configENS1_33run_length_encode_config_selectorItjNS0_4plusIjEEEEZZNS1_33reduce_by_key_impl_wrapped_configILNS1_25lookback_scan_determinismE0ES3_S7_PKtNS0_17constant_iteratorIjlEEPtPlSF_S6_NS0_8equal_toItEEEE10hipError_tPvRmT2_T3_mT4_T5_T6_T7_T8_P12ihipStream_tbENKUlT_T0_E_clISt17integral_constantIbLb0EESY_IbLb1EEEEDaSU_SV_EUlSU_E_NS1_11comp_targetILNS1_3genE3ELNS1_11target_archE908ELNS1_3gpuE7ELNS1_3repE0EEENS1_30default_config_static_selectorELNS0_4arch9wavefront6targetE0EEEvT1_: ; @_ZN7rocprim17ROCPRIM_400000_NS6detail17trampoline_kernelINS0_14default_configENS1_33run_length_encode_config_selectorItjNS0_4plusIjEEEEZZNS1_33reduce_by_key_impl_wrapped_configILNS1_25lookback_scan_determinismE0ES3_S7_PKtNS0_17constant_iteratorIjlEEPtPlSF_S6_NS0_8equal_toItEEEE10hipError_tPvRmT2_T3_mT4_T5_T6_T7_T8_P12ihipStream_tbENKUlT_T0_E_clISt17integral_constantIbLb0EESY_IbLb1EEEEDaSU_SV_EUlSU_E_NS1_11comp_targetILNS1_3genE3ELNS1_11target_archE908ELNS1_3gpuE7ELNS1_3repE0EEENS1_30default_config_static_selectorELNS0_4arch9wavefront6targetE0EEEvT1_
; %bb.0:
	.section	.rodata,"a",@progbits
	.p2align	6, 0x0
	.amdhsa_kernel _ZN7rocprim17ROCPRIM_400000_NS6detail17trampoline_kernelINS0_14default_configENS1_33run_length_encode_config_selectorItjNS0_4plusIjEEEEZZNS1_33reduce_by_key_impl_wrapped_configILNS1_25lookback_scan_determinismE0ES3_S7_PKtNS0_17constant_iteratorIjlEEPtPlSF_S6_NS0_8equal_toItEEEE10hipError_tPvRmT2_T3_mT4_T5_T6_T7_T8_P12ihipStream_tbENKUlT_T0_E_clISt17integral_constantIbLb0EESY_IbLb1EEEEDaSU_SV_EUlSU_E_NS1_11comp_targetILNS1_3genE3ELNS1_11target_archE908ELNS1_3gpuE7ELNS1_3repE0EEENS1_30default_config_static_selectorELNS0_4arch9wavefront6targetE0EEEvT1_
		.amdhsa_group_segment_fixed_size 0
		.amdhsa_private_segment_fixed_size 0
		.amdhsa_kernarg_size 128
		.amdhsa_user_sgpr_count 2
		.amdhsa_user_sgpr_dispatch_ptr 0
		.amdhsa_user_sgpr_queue_ptr 0
		.amdhsa_user_sgpr_kernarg_segment_ptr 1
		.amdhsa_user_sgpr_dispatch_id 0
		.amdhsa_user_sgpr_kernarg_preload_length 0
		.amdhsa_user_sgpr_kernarg_preload_offset 0
		.amdhsa_user_sgpr_private_segment_size 0
		.amdhsa_wavefront_size32 1
		.amdhsa_uses_dynamic_stack 0
		.amdhsa_enable_private_segment 0
		.amdhsa_system_sgpr_workgroup_id_x 1
		.amdhsa_system_sgpr_workgroup_id_y 0
		.amdhsa_system_sgpr_workgroup_id_z 0
		.amdhsa_system_sgpr_workgroup_info 0
		.amdhsa_system_vgpr_workitem_id 0
		.amdhsa_next_free_vgpr 1
		.amdhsa_next_free_sgpr 1
		.amdhsa_named_barrier_count 0
		.amdhsa_reserve_vcc 0
		.amdhsa_float_round_mode_32 0
		.amdhsa_float_round_mode_16_64 0
		.amdhsa_float_denorm_mode_32 3
		.amdhsa_float_denorm_mode_16_64 3
		.amdhsa_fp16_overflow 0
		.amdhsa_memory_ordered 1
		.amdhsa_forward_progress 1
		.amdhsa_inst_pref_size 0
		.amdhsa_round_robin_scheduling 0
		.amdhsa_exception_fp_ieee_invalid_op 0
		.amdhsa_exception_fp_denorm_src 0
		.amdhsa_exception_fp_ieee_div_zero 0
		.amdhsa_exception_fp_ieee_overflow 0
		.amdhsa_exception_fp_ieee_underflow 0
		.amdhsa_exception_fp_ieee_inexact 0
		.amdhsa_exception_int_div_zero 0
	.end_amdhsa_kernel
	.section	.text._ZN7rocprim17ROCPRIM_400000_NS6detail17trampoline_kernelINS0_14default_configENS1_33run_length_encode_config_selectorItjNS0_4plusIjEEEEZZNS1_33reduce_by_key_impl_wrapped_configILNS1_25lookback_scan_determinismE0ES3_S7_PKtNS0_17constant_iteratorIjlEEPtPlSF_S6_NS0_8equal_toItEEEE10hipError_tPvRmT2_T3_mT4_T5_T6_T7_T8_P12ihipStream_tbENKUlT_T0_E_clISt17integral_constantIbLb0EESY_IbLb1EEEEDaSU_SV_EUlSU_E_NS1_11comp_targetILNS1_3genE3ELNS1_11target_archE908ELNS1_3gpuE7ELNS1_3repE0EEENS1_30default_config_static_selectorELNS0_4arch9wavefront6targetE0EEEvT1_,"axG",@progbits,_ZN7rocprim17ROCPRIM_400000_NS6detail17trampoline_kernelINS0_14default_configENS1_33run_length_encode_config_selectorItjNS0_4plusIjEEEEZZNS1_33reduce_by_key_impl_wrapped_configILNS1_25lookback_scan_determinismE0ES3_S7_PKtNS0_17constant_iteratorIjlEEPtPlSF_S6_NS0_8equal_toItEEEE10hipError_tPvRmT2_T3_mT4_T5_T6_T7_T8_P12ihipStream_tbENKUlT_T0_E_clISt17integral_constantIbLb0EESY_IbLb1EEEEDaSU_SV_EUlSU_E_NS1_11comp_targetILNS1_3genE3ELNS1_11target_archE908ELNS1_3gpuE7ELNS1_3repE0EEENS1_30default_config_static_selectorELNS0_4arch9wavefront6targetE0EEEvT1_,comdat
.Lfunc_end817:
	.size	_ZN7rocprim17ROCPRIM_400000_NS6detail17trampoline_kernelINS0_14default_configENS1_33run_length_encode_config_selectorItjNS0_4plusIjEEEEZZNS1_33reduce_by_key_impl_wrapped_configILNS1_25lookback_scan_determinismE0ES3_S7_PKtNS0_17constant_iteratorIjlEEPtPlSF_S6_NS0_8equal_toItEEEE10hipError_tPvRmT2_T3_mT4_T5_T6_T7_T8_P12ihipStream_tbENKUlT_T0_E_clISt17integral_constantIbLb0EESY_IbLb1EEEEDaSU_SV_EUlSU_E_NS1_11comp_targetILNS1_3genE3ELNS1_11target_archE908ELNS1_3gpuE7ELNS1_3repE0EEENS1_30default_config_static_selectorELNS0_4arch9wavefront6targetE0EEEvT1_, .Lfunc_end817-_ZN7rocprim17ROCPRIM_400000_NS6detail17trampoline_kernelINS0_14default_configENS1_33run_length_encode_config_selectorItjNS0_4plusIjEEEEZZNS1_33reduce_by_key_impl_wrapped_configILNS1_25lookback_scan_determinismE0ES3_S7_PKtNS0_17constant_iteratorIjlEEPtPlSF_S6_NS0_8equal_toItEEEE10hipError_tPvRmT2_T3_mT4_T5_T6_T7_T8_P12ihipStream_tbENKUlT_T0_E_clISt17integral_constantIbLb0EESY_IbLb1EEEEDaSU_SV_EUlSU_E_NS1_11comp_targetILNS1_3genE3ELNS1_11target_archE908ELNS1_3gpuE7ELNS1_3repE0EEENS1_30default_config_static_selectorELNS0_4arch9wavefront6targetE0EEEvT1_
                                        ; -- End function
	.set _ZN7rocprim17ROCPRIM_400000_NS6detail17trampoline_kernelINS0_14default_configENS1_33run_length_encode_config_selectorItjNS0_4plusIjEEEEZZNS1_33reduce_by_key_impl_wrapped_configILNS1_25lookback_scan_determinismE0ES3_S7_PKtNS0_17constant_iteratorIjlEEPtPlSF_S6_NS0_8equal_toItEEEE10hipError_tPvRmT2_T3_mT4_T5_T6_T7_T8_P12ihipStream_tbENKUlT_T0_E_clISt17integral_constantIbLb0EESY_IbLb1EEEEDaSU_SV_EUlSU_E_NS1_11comp_targetILNS1_3genE3ELNS1_11target_archE908ELNS1_3gpuE7ELNS1_3repE0EEENS1_30default_config_static_selectorELNS0_4arch9wavefront6targetE0EEEvT1_.num_vgpr, 0
	.set _ZN7rocprim17ROCPRIM_400000_NS6detail17trampoline_kernelINS0_14default_configENS1_33run_length_encode_config_selectorItjNS0_4plusIjEEEEZZNS1_33reduce_by_key_impl_wrapped_configILNS1_25lookback_scan_determinismE0ES3_S7_PKtNS0_17constant_iteratorIjlEEPtPlSF_S6_NS0_8equal_toItEEEE10hipError_tPvRmT2_T3_mT4_T5_T6_T7_T8_P12ihipStream_tbENKUlT_T0_E_clISt17integral_constantIbLb0EESY_IbLb1EEEEDaSU_SV_EUlSU_E_NS1_11comp_targetILNS1_3genE3ELNS1_11target_archE908ELNS1_3gpuE7ELNS1_3repE0EEENS1_30default_config_static_selectorELNS0_4arch9wavefront6targetE0EEEvT1_.num_agpr, 0
	.set _ZN7rocprim17ROCPRIM_400000_NS6detail17trampoline_kernelINS0_14default_configENS1_33run_length_encode_config_selectorItjNS0_4plusIjEEEEZZNS1_33reduce_by_key_impl_wrapped_configILNS1_25lookback_scan_determinismE0ES3_S7_PKtNS0_17constant_iteratorIjlEEPtPlSF_S6_NS0_8equal_toItEEEE10hipError_tPvRmT2_T3_mT4_T5_T6_T7_T8_P12ihipStream_tbENKUlT_T0_E_clISt17integral_constantIbLb0EESY_IbLb1EEEEDaSU_SV_EUlSU_E_NS1_11comp_targetILNS1_3genE3ELNS1_11target_archE908ELNS1_3gpuE7ELNS1_3repE0EEENS1_30default_config_static_selectorELNS0_4arch9wavefront6targetE0EEEvT1_.numbered_sgpr, 0
	.set _ZN7rocprim17ROCPRIM_400000_NS6detail17trampoline_kernelINS0_14default_configENS1_33run_length_encode_config_selectorItjNS0_4plusIjEEEEZZNS1_33reduce_by_key_impl_wrapped_configILNS1_25lookback_scan_determinismE0ES3_S7_PKtNS0_17constant_iteratorIjlEEPtPlSF_S6_NS0_8equal_toItEEEE10hipError_tPvRmT2_T3_mT4_T5_T6_T7_T8_P12ihipStream_tbENKUlT_T0_E_clISt17integral_constantIbLb0EESY_IbLb1EEEEDaSU_SV_EUlSU_E_NS1_11comp_targetILNS1_3genE3ELNS1_11target_archE908ELNS1_3gpuE7ELNS1_3repE0EEENS1_30default_config_static_selectorELNS0_4arch9wavefront6targetE0EEEvT1_.num_named_barrier, 0
	.set _ZN7rocprim17ROCPRIM_400000_NS6detail17trampoline_kernelINS0_14default_configENS1_33run_length_encode_config_selectorItjNS0_4plusIjEEEEZZNS1_33reduce_by_key_impl_wrapped_configILNS1_25lookback_scan_determinismE0ES3_S7_PKtNS0_17constant_iteratorIjlEEPtPlSF_S6_NS0_8equal_toItEEEE10hipError_tPvRmT2_T3_mT4_T5_T6_T7_T8_P12ihipStream_tbENKUlT_T0_E_clISt17integral_constantIbLb0EESY_IbLb1EEEEDaSU_SV_EUlSU_E_NS1_11comp_targetILNS1_3genE3ELNS1_11target_archE908ELNS1_3gpuE7ELNS1_3repE0EEENS1_30default_config_static_selectorELNS0_4arch9wavefront6targetE0EEEvT1_.private_seg_size, 0
	.set _ZN7rocprim17ROCPRIM_400000_NS6detail17trampoline_kernelINS0_14default_configENS1_33run_length_encode_config_selectorItjNS0_4plusIjEEEEZZNS1_33reduce_by_key_impl_wrapped_configILNS1_25lookback_scan_determinismE0ES3_S7_PKtNS0_17constant_iteratorIjlEEPtPlSF_S6_NS0_8equal_toItEEEE10hipError_tPvRmT2_T3_mT4_T5_T6_T7_T8_P12ihipStream_tbENKUlT_T0_E_clISt17integral_constantIbLb0EESY_IbLb1EEEEDaSU_SV_EUlSU_E_NS1_11comp_targetILNS1_3genE3ELNS1_11target_archE908ELNS1_3gpuE7ELNS1_3repE0EEENS1_30default_config_static_selectorELNS0_4arch9wavefront6targetE0EEEvT1_.uses_vcc, 0
	.set _ZN7rocprim17ROCPRIM_400000_NS6detail17trampoline_kernelINS0_14default_configENS1_33run_length_encode_config_selectorItjNS0_4plusIjEEEEZZNS1_33reduce_by_key_impl_wrapped_configILNS1_25lookback_scan_determinismE0ES3_S7_PKtNS0_17constant_iteratorIjlEEPtPlSF_S6_NS0_8equal_toItEEEE10hipError_tPvRmT2_T3_mT4_T5_T6_T7_T8_P12ihipStream_tbENKUlT_T0_E_clISt17integral_constantIbLb0EESY_IbLb1EEEEDaSU_SV_EUlSU_E_NS1_11comp_targetILNS1_3genE3ELNS1_11target_archE908ELNS1_3gpuE7ELNS1_3repE0EEENS1_30default_config_static_selectorELNS0_4arch9wavefront6targetE0EEEvT1_.uses_flat_scratch, 0
	.set _ZN7rocprim17ROCPRIM_400000_NS6detail17trampoline_kernelINS0_14default_configENS1_33run_length_encode_config_selectorItjNS0_4plusIjEEEEZZNS1_33reduce_by_key_impl_wrapped_configILNS1_25lookback_scan_determinismE0ES3_S7_PKtNS0_17constant_iteratorIjlEEPtPlSF_S6_NS0_8equal_toItEEEE10hipError_tPvRmT2_T3_mT4_T5_T6_T7_T8_P12ihipStream_tbENKUlT_T0_E_clISt17integral_constantIbLb0EESY_IbLb1EEEEDaSU_SV_EUlSU_E_NS1_11comp_targetILNS1_3genE3ELNS1_11target_archE908ELNS1_3gpuE7ELNS1_3repE0EEENS1_30default_config_static_selectorELNS0_4arch9wavefront6targetE0EEEvT1_.has_dyn_sized_stack, 0
	.set _ZN7rocprim17ROCPRIM_400000_NS6detail17trampoline_kernelINS0_14default_configENS1_33run_length_encode_config_selectorItjNS0_4plusIjEEEEZZNS1_33reduce_by_key_impl_wrapped_configILNS1_25lookback_scan_determinismE0ES3_S7_PKtNS0_17constant_iteratorIjlEEPtPlSF_S6_NS0_8equal_toItEEEE10hipError_tPvRmT2_T3_mT4_T5_T6_T7_T8_P12ihipStream_tbENKUlT_T0_E_clISt17integral_constantIbLb0EESY_IbLb1EEEEDaSU_SV_EUlSU_E_NS1_11comp_targetILNS1_3genE3ELNS1_11target_archE908ELNS1_3gpuE7ELNS1_3repE0EEENS1_30default_config_static_selectorELNS0_4arch9wavefront6targetE0EEEvT1_.has_recursion, 0
	.set _ZN7rocprim17ROCPRIM_400000_NS6detail17trampoline_kernelINS0_14default_configENS1_33run_length_encode_config_selectorItjNS0_4plusIjEEEEZZNS1_33reduce_by_key_impl_wrapped_configILNS1_25lookback_scan_determinismE0ES3_S7_PKtNS0_17constant_iteratorIjlEEPtPlSF_S6_NS0_8equal_toItEEEE10hipError_tPvRmT2_T3_mT4_T5_T6_T7_T8_P12ihipStream_tbENKUlT_T0_E_clISt17integral_constantIbLb0EESY_IbLb1EEEEDaSU_SV_EUlSU_E_NS1_11comp_targetILNS1_3genE3ELNS1_11target_archE908ELNS1_3gpuE7ELNS1_3repE0EEENS1_30default_config_static_selectorELNS0_4arch9wavefront6targetE0EEEvT1_.has_indirect_call, 0
	.section	.AMDGPU.csdata,"",@progbits
; Kernel info:
; codeLenInByte = 0
; TotalNumSgprs: 0
; NumVgprs: 0
; ScratchSize: 0
; MemoryBound: 0
; FloatMode: 240
; IeeeMode: 1
; LDSByteSize: 0 bytes/workgroup (compile time only)
; SGPRBlocks: 0
; VGPRBlocks: 0
; NumSGPRsForWavesPerEU: 1
; NumVGPRsForWavesPerEU: 1
; NamedBarCnt: 0
; Occupancy: 16
; WaveLimiterHint : 0
; COMPUTE_PGM_RSRC2:SCRATCH_EN: 0
; COMPUTE_PGM_RSRC2:USER_SGPR: 2
; COMPUTE_PGM_RSRC2:TRAP_HANDLER: 0
; COMPUTE_PGM_RSRC2:TGID_X_EN: 1
; COMPUTE_PGM_RSRC2:TGID_Y_EN: 0
; COMPUTE_PGM_RSRC2:TGID_Z_EN: 0
; COMPUTE_PGM_RSRC2:TIDIG_COMP_CNT: 0
	.section	.text._ZN7rocprim17ROCPRIM_400000_NS6detail17trampoline_kernelINS0_14default_configENS1_33run_length_encode_config_selectorItjNS0_4plusIjEEEEZZNS1_33reduce_by_key_impl_wrapped_configILNS1_25lookback_scan_determinismE0ES3_S7_PKtNS0_17constant_iteratorIjlEEPtPlSF_S6_NS0_8equal_toItEEEE10hipError_tPvRmT2_T3_mT4_T5_T6_T7_T8_P12ihipStream_tbENKUlT_T0_E_clISt17integral_constantIbLb0EESY_IbLb1EEEEDaSU_SV_EUlSU_E_NS1_11comp_targetILNS1_3genE2ELNS1_11target_archE906ELNS1_3gpuE6ELNS1_3repE0EEENS1_30default_config_static_selectorELNS0_4arch9wavefront6targetE0EEEvT1_,"axG",@progbits,_ZN7rocprim17ROCPRIM_400000_NS6detail17trampoline_kernelINS0_14default_configENS1_33run_length_encode_config_selectorItjNS0_4plusIjEEEEZZNS1_33reduce_by_key_impl_wrapped_configILNS1_25lookback_scan_determinismE0ES3_S7_PKtNS0_17constant_iteratorIjlEEPtPlSF_S6_NS0_8equal_toItEEEE10hipError_tPvRmT2_T3_mT4_T5_T6_T7_T8_P12ihipStream_tbENKUlT_T0_E_clISt17integral_constantIbLb0EESY_IbLb1EEEEDaSU_SV_EUlSU_E_NS1_11comp_targetILNS1_3genE2ELNS1_11target_archE906ELNS1_3gpuE6ELNS1_3repE0EEENS1_30default_config_static_selectorELNS0_4arch9wavefront6targetE0EEEvT1_,comdat
	.protected	_ZN7rocprim17ROCPRIM_400000_NS6detail17trampoline_kernelINS0_14default_configENS1_33run_length_encode_config_selectorItjNS0_4plusIjEEEEZZNS1_33reduce_by_key_impl_wrapped_configILNS1_25lookback_scan_determinismE0ES3_S7_PKtNS0_17constant_iteratorIjlEEPtPlSF_S6_NS0_8equal_toItEEEE10hipError_tPvRmT2_T3_mT4_T5_T6_T7_T8_P12ihipStream_tbENKUlT_T0_E_clISt17integral_constantIbLb0EESY_IbLb1EEEEDaSU_SV_EUlSU_E_NS1_11comp_targetILNS1_3genE2ELNS1_11target_archE906ELNS1_3gpuE6ELNS1_3repE0EEENS1_30default_config_static_selectorELNS0_4arch9wavefront6targetE0EEEvT1_ ; -- Begin function _ZN7rocprim17ROCPRIM_400000_NS6detail17trampoline_kernelINS0_14default_configENS1_33run_length_encode_config_selectorItjNS0_4plusIjEEEEZZNS1_33reduce_by_key_impl_wrapped_configILNS1_25lookback_scan_determinismE0ES3_S7_PKtNS0_17constant_iteratorIjlEEPtPlSF_S6_NS0_8equal_toItEEEE10hipError_tPvRmT2_T3_mT4_T5_T6_T7_T8_P12ihipStream_tbENKUlT_T0_E_clISt17integral_constantIbLb0EESY_IbLb1EEEEDaSU_SV_EUlSU_E_NS1_11comp_targetILNS1_3genE2ELNS1_11target_archE906ELNS1_3gpuE6ELNS1_3repE0EEENS1_30default_config_static_selectorELNS0_4arch9wavefront6targetE0EEEvT1_
	.globl	_ZN7rocprim17ROCPRIM_400000_NS6detail17trampoline_kernelINS0_14default_configENS1_33run_length_encode_config_selectorItjNS0_4plusIjEEEEZZNS1_33reduce_by_key_impl_wrapped_configILNS1_25lookback_scan_determinismE0ES3_S7_PKtNS0_17constant_iteratorIjlEEPtPlSF_S6_NS0_8equal_toItEEEE10hipError_tPvRmT2_T3_mT4_T5_T6_T7_T8_P12ihipStream_tbENKUlT_T0_E_clISt17integral_constantIbLb0EESY_IbLb1EEEEDaSU_SV_EUlSU_E_NS1_11comp_targetILNS1_3genE2ELNS1_11target_archE906ELNS1_3gpuE6ELNS1_3repE0EEENS1_30default_config_static_selectorELNS0_4arch9wavefront6targetE0EEEvT1_
	.p2align	8
	.type	_ZN7rocprim17ROCPRIM_400000_NS6detail17trampoline_kernelINS0_14default_configENS1_33run_length_encode_config_selectorItjNS0_4plusIjEEEEZZNS1_33reduce_by_key_impl_wrapped_configILNS1_25lookback_scan_determinismE0ES3_S7_PKtNS0_17constant_iteratorIjlEEPtPlSF_S6_NS0_8equal_toItEEEE10hipError_tPvRmT2_T3_mT4_T5_T6_T7_T8_P12ihipStream_tbENKUlT_T0_E_clISt17integral_constantIbLb0EESY_IbLb1EEEEDaSU_SV_EUlSU_E_NS1_11comp_targetILNS1_3genE2ELNS1_11target_archE906ELNS1_3gpuE6ELNS1_3repE0EEENS1_30default_config_static_selectorELNS0_4arch9wavefront6targetE0EEEvT1_,@function
_ZN7rocprim17ROCPRIM_400000_NS6detail17trampoline_kernelINS0_14default_configENS1_33run_length_encode_config_selectorItjNS0_4plusIjEEEEZZNS1_33reduce_by_key_impl_wrapped_configILNS1_25lookback_scan_determinismE0ES3_S7_PKtNS0_17constant_iteratorIjlEEPtPlSF_S6_NS0_8equal_toItEEEE10hipError_tPvRmT2_T3_mT4_T5_T6_T7_T8_P12ihipStream_tbENKUlT_T0_E_clISt17integral_constantIbLb0EESY_IbLb1EEEEDaSU_SV_EUlSU_E_NS1_11comp_targetILNS1_3genE2ELNS1_11target_archE906ELNS1_3gpuE6ELNS1_3repE0EEENS1_30default_config_static_selectorELNS0_4arch9wavefront6targetE0EEEvT1_: ; @_ZN7rocprim17ROCPRIM_400000_NS6detail17trampoline_kernelINS0_14default_configENS1_33run_length_encode_config_selectorItjNS0_4plusIjEEEEZZNS1_33reduce_by_key_impl_wrapped_configILNS1_25lookback_scan_determinismE0ES3_S7_PKtNS0_17constant_iteratorIjlEEPtPlSF_S6_NS0_8equal_toItEEEE10hipError_tPvRmT2_T3_mT4_T5_T6_T7_T8_P12ihipStream_tbENKUlT_T0_E_clISt17integral_constantIbLb0EESY_IbLb1EEEEDaSU_SV_EUlSU_E_NS1_11comp_targetILNS1_3genE2ELNS1_11target_archE906ELNS1_3gpuE6ELNS1_3repE0EEENS1_30default_config_static_selectorELNS0_4arch9wavefront6targetE0EEEvT1_
; %bb.0:
	.section	.rodata,"a",@progbits
	.p2align	6, 0x0
	.amdhsa_kernel _ZN7rocprim17ROCPRIM_400000_NS6detail17trampoline_kernelINS0_14default_configENS1_33run_length_encode_config_selectorItjNS0_4plusIjEEEEZZNS1_33reduce_by_key_impl_wrapped_configILNS1_25lookback_scan_determinismE0ES3_S7_PKtNS0_17constant_iteratorIjlEEPtPlSF_S6_NS0_8equal_toItEEEE10hipError_tPvRmT2_T3_mT4_T5_T6_T7_T8_P12ihipStream_tbENKUlT_T0_E_clISt17integral_constantIbLb0EESY_IbLb1EEEEDaSU_SV_EUlSU_E_NS1_11comp_targetILNS1_3genE2ELNS1_11target_archE906ELNS1_3gpuE6ELNS1_3repE0EEENS1_30default_config_static_selectorELNS0_4arch9wavefront6targetE0EEEvT1_
		.amdhsa_group_segment_fixed_size 0
		.amdhsa_private_segment_fixed_size 0
		.amdhsa_kernarg_size 128
		.amdhsa_user_sgpr_count 2
		.amdhsa_user_sgpr_dispatch_ptr 0
		.amdhsa_user_sgpr_queue_ptr 0
		.amdhsa_user_sgpr_kernarg_segment_ptr 1
		.amdhsa_user_sgpr_dispatch_id 0
		.amdhsa_user_sgpr_kernarg_preload_length 0
		.amdhsa_user_sgpr_kernarg_preload_offset 0
		.amdhsa_user_sgpr_private_segment_size 0
		.amdhsa_wavefront_size32 1
		.amdhsa_uses_dynamic_stack 0
		.amdhsa_enable_private_segment 0
		.amdhsa_system_sgpr_workgroup_id_x 1
		.amdhsa_system_sgpr_workgroup_id_y 0
		.amdhsa_system_sgpr_workgroup_id_z 0
		.amdhsa_system_sgpr_workgroup_info 0
		.amdhsa_system_vgpr_workitem_id 0
		.amdhsa_next_free_vgpr 1
		.amdhsa_next_free_sgpr 1
		.amdhsa_named_barrier_count 0
		.amdhsa_reserve_vcc 0
		.amdhsa_float_round_mode_32 0
		.amdhsa_float_round_mode_16_64 0
		.amdhsa_float_denorm_mode_32 3
		.amdhsa_float_denorm_mode_16_64 3
		.amdhsa_fp16_overflow 0
		.amdhsa_memory_ordered 1
		.amdhsa_forward_progress 1
		.amdhsa_inst_pref_size 0
		.amdhsa_round_robin_scheduling 0
		.amdhsa_exception_fp_ieee_invalid_op 0
		.amdhsa_exception_fp_denorm_src 0
		.amdhsa_exception_fp_ieee_div_zero 0
		.amdhsa_exception_fp_ieee_overflow 0
		.amdhsa_exception_fp_ieee_underflow 0
		.amdhsa_exception_fp_ieee_inexact 0
		.amdhsa_exception_int_div_zero 0
	.end_amdhsa_kernel
	.section	.text._ZN7rocprim17ROCPRIM_400000_NS6detail17trampoline_kernelINS0_14default_configENS1_33run_length_encode_config_selectorItjNS0_4plusIjEEEEZZNS1_33reduce_by_key_impl_wrapped_configILNS1_25lookback_scan_determinismE0ES3_S7_PKtNS0_17constant_iteratorIjlEEPtPlSF_S6_NS0_8equal_toItEEEE10hipError_tPvRmT2_T3_mT4_T5_T6_T7_T8_P12ihipStream_tbENKUlT_T0_E_clISt17integral_constantIbLb0EESY_IbLb1EEEEDaSU_SV_EUlSU_E_NS1_11comp_targetILNS1_3genE2ELNS1_11target_archE906ELNS1_3gpuE6ELNS1_3repE0EEENS1_30default_config_static_selectorELNS0_4arch9wavefront6targetE0EEEvT1_,"axG",@progbits,_ZN7rocprim17ROCPRIM_400000_NS6detail17trampoline_kernelINS0_14default_configENS1_33run_length_encode_config_selectorItjNS0_4plusIjEEEEZZNS1_33reduce_by_key_impl_wrapped_configILNS1_25lookback_scan_determinismE0ES3_S7_PKtNS0_17constant_iteratorIjlEEPtPlSF_S6_NS0_8equal_toItEEEE10hipError_tPvRmT2_T3_mT4_T5_T6_T7_T8_P12ihipStream_tbENKUlT_T0_E_clISt17integral_constantIbLb0EESY_IbLb1EEEEDaSU_SV_EUlSU_E_NS1_11comp_targetILNS1_3genE2ELNS1_11target_archE906ELNS1_3gpuE6ELNS1_3repE0EEENS1_30default_config_static_selectorELNS0_4arch9wavefront6targetE0EEEvT1_,comdat
.Lfunc_end818:
	.size	_ZN7rocprim17ROCPRIM_400000_NS6detail17trampoline_kernelINS0_14default_configENS1_33run_length_encode_config_selectorItjNS0_4plusIjEEEEZZNS1_33reduce_by_key_impl_wrapped_configILNS1_25lookback_scan_determinismE0ES3_S7_PKtNS0_17constant_iteratorIjlEEPtPlSF_S6_NS0_8equal_toItEEEE10hipError_tPvRmT2_T3_mT4_T5_T6_T7_T8_P12ihipStream_tbENKUlT_T0_E_clISt17integral_constantIbLb0EESY_IbLb1EEEEDaSU_SV_EUlSU_E_NS1_11comp_targetILNS1_3genE2ELNS1_11target_archE906ELNS1_3gpuE6ELNS1_3repE0EEENS1_30default_config_static_selectorELNS0_4arch9wavefront6targetE0EEEvT1_, .Lfunc_end818-_ZN7rocprim17ROCPRIM_400000_NS6detail17trampoline_kernelINS0_14default_configENS1_33run_length_encode_config_selectorItjNS0_4plusIjEEEEZZNS1_33reduce_by_key_impl_wrapped_configILNS1_25lookback_scan_determinismE0ES3_S7_PKtNS0_17constant_iteratorIjlEEPtPlSF_S6_NS0_8equal_toItEEEE10hipError_tPvRmT2_T3_mT4_T5_T6_T7_T8_P12ihipStream_tbENKUlT_T0_E_clISt17integral_constantIbLb0EESY_IbLb1EEEEDaSU_SV_EUlSU_E_NS1_11comp_targetILNS1_3genE2ELNS1_11target_archE906ELNS1_3gpuE6ELNS1_3repE0EEENS1_30default_config_static_selectorELNS0_4arch9wavefront6targetE0EEEvT1_
                                        ; -- End function
	.set _ZN7rocprim17ROCPRIM_400000_NS6detail17trampoline_kernelINS0_14default_configENS1_33run_length_encode_config_selectorItjNS0_4plusIjEEEEZZNS1_33reduce_by_key_impl_wrapped_configILNS1_25lookback_scan_determinismE0ES3_S7_PKtNS0_17constant_iteratorIjlEEPtPlSF_S6_NS0_8equal_toItEEEE10hipError_tPvRmT2_T3_mT4_T5_T6_T7_T8_P12ihipStream_tbENKUlT_T0_E_clISt17integral_constantIbLb0EESY_IbLb1EEEEDaSU_SV_EUlSU_E_NS1_11comp_targetILNS1_3genE2ELNS1_11target_archE906ELNS1_3gpuE6ELNS1_3repE0EEENS1_30default_config_static_selectorELNS0_4arch9wavefront6targetE0EEEvT1_.num_vgpr, 0
	.set _ZN7rocprim17ROCPRIM_400000_NS6detail17trampoline_kernelINS0_14default_configENS1_33run_length_encode_config_selectorItjNS0_4plusIjEEEEZZNS1_33reduce_by_key_impl_wrapped_configILNS1_25lookback_scan_determinismE0ES3_S7_PKtNS0_17constant_iteratorIjlEEPtPlSF_S6_NS0_8equal_toItEEEE10hipError_tPvRmT2_T3_mT4_T5_T6_T7_T8_P12ihipStream_tbENKUlT_T0_E_clISt17integral_constantIbLb0EESY_IbLb1EEEEDaSU_SV_EUlSU_E_NS1_11comp_targetILNS1_3genE2ELNS1_11target_archE906ELNS1_3gpuE6ELNS1_3repE0EEENS1_30default_config_static_selectorELNS0_4arch9wavefront6targetE0EEEvT1_.num_agpr, 0
	.set _ZN7rocprim17ROCPRIM_400000_NS6detail17trampoline_kernelINS0_14default_configENS1_33run_length_encode_config_selectorItjNS0_4plusIjEEEEZZNS1_33reduce_by_key_impl_wrapped_configILNS1_25lookback_scan_determinismE0ES3_S7_PKtNS0_17constant_iteratorIjlEEPtPlSF_S6_NS0_8equal_toItEEEE10hipError_tPvRmT2_T3_mT4_T5_T6_T7_T8_P12ihipStream_tbENKUlT_T0_E_clISt17integral_constantIbLb0EESY_IbLb1EEEEDaSU_SV_EUlSU_E_NS1_11comp_targetILNS1_3genE2ELNS1_11target_archE906ELNS1_3gpuE6ELNS1_3repE0EEENS1_30default_config_static_selectorELNS0_4arch9wavefront6targetE0EEEvT1_.numbered_sgpr, 0
	.set _ZN7rocprim17ROCPRIM_400000_NS6detail17trampoline_kernelINS0_14default_configENS1_33run_length_encode_config_selectorItjNS0_4plusIjEEEEZZNS1_33reduce_by_key_impl_wrapped_configILNS1_25lookback_scan_determinismE0ES3_S7_PKtNS0_17constant_iteratorIjlEEPtPlSF_S6_NS0_8equal_toItEEEE10hipError_tPvRmT2_T3_mT4_T5_T6_T7_T8_P12ihipStream_tbENKUlT_T0_E_clISt17integral_constantIbLb0EESY_IbLb1EEEEDaSU_SV_EUlSU_E_NS1_11comp_targetILNS1_3genE2ELNS1_11target_archE906ELNS1_3gpuE6ELNS1_3repE0EEENS1_30default_config_static_selectorELNS0_4arch9wavefront6targetE0EEEvT1_.num_named_barrier, 0
	.set _ZN7rocprim17ROCPRIM_400000_NS6detail17trampoline_kernelINS0_14default_configENS1_33run_length_encode_config_selectorItjNS0_4plusIjEEEEZZNS1_33reduce_by_key_impl_wrapped_configILNS1_25lookback_scan_determinismE0ES3_S7_PKtNS0_17constant_iteratorIjlEEPtPlSF_S6_NS0_8equal_toItEEEE10hipError_tPvRmT2_T3_mT4_T5_T6_T7_T8_P12ihipStream_tbENKUlT_T0_E_clISt17integral_constantIbLb0EESY_IbLb1EEEEDaSU_SV_EUlSU_E_NS1_11comp_targetILNS1_3genE2ELNS1_11target_archE906ELNS1_3gpuE6ELNS1_3repE0EEENS1_30default_config_static_selectorELNS0_4arch9wavefront6targetE0EEEvT1_.private_seg_size, 0
	.set _ZN7rocprim17ROCPRIM_400000_NS6detail17trampoline_kernelINS0_14default_configENS1_33run_length_encode_config_selectorItjNS0_4plusIjEEEEZZNS1_33reduce_by_key_impl_wrapped_configILNS1_25lookback_scan_determinismE0ES3_S7_PKtNS0_17constant_iteratorIjlEEPtPlSF_S6_NS0_8equal_toItEEEE10hipError_tPvRmT2_T3_mT4_T5_T6_T7_T8_P12ihipStream_tbENKUlT_T0_E_clISt17integral_constantIbLb0EESY_IbLb1EEEEDaSU_SV_EUlSU_E_NS1_11comp_targetILNS1_3genE2ELNS1_11target_archE906ELNS1_3gpuE6ELNS1_3repE0EEENS1_30default_config_static_selectorELNS0_4arch9wavefront6targetE0EEEvT1_.uses_vcc, 0
	.set _ZN7rocprim17ROCPRIM_400000_NS6detail17trampoline_kernelINS0_14default_configENS1_33run_length_encode_config_selectorItjNS0_4plusIjEEEEZZNS1_33reduce_by_key_impl_wrapped_configILNS1_25lookback_scan_determinismE0ES3_S7_PKtNS0_17constant_iteratorIjlEEPtPlSF_S6_NS0_8equal_toItEEEE10hipError_tPvRmT2_T3_mT4_T5_T6_T7_T8_P12ihipStream_tbENKUlT_T0_E_clISt17integral_constantIbLb0EESY_IbLb1EEEEDaSU_SV_EUlSU_E_NS1_11comp_targetILNS1_3genE2ELNS1_11target_archE906ELNS1_3gpuE6ELNS1_3repE0EEENS1_30default_config_static_selectorELNS0_4arch9wavefront6targetE0EEEvT1_.uses_flat_scratch, 0
	.set _ZN7rocprim17ROCPRIM_400000_NS6detail17trampoline_kernelINS0_14default_configENS1_33run_length_encode_config_selectorItjNS0_4plusIjEEEEZZNS1_33reduce_by_key_impl_wrapped_configILNS1_25lookback_scan_determinismE0ES3_S7_PKtNS0_17constant_iteratorIjlEEPtPlSF_S6_NS0_8equal_toItEEEE10hipError_tPvRmT2_T3_mT4_T5_T6_T7_T8_P12ihipStream_tbENKUlT_T0_E_clISt17integral_constantIbLb0EESY_IbLb1EEEEDaSU_SV_EUlSU_E_NS1_11comp_targetILNS1_3genE2ELNS1_11target_archE906ELNS1_3gpuE6ELNS1_3repE0EEENS1_30default_config_static_selectorELNS0_4arch9wavefront6targetE0EEEvT1_.has_dyn_sized_stack, 0
	.set _ZN7rocprim17ROCPRIM_400000_NS6detail17trampoline_kernelINS0_14default_configENS1_33run_length_encode_config_selectorItjNS0_4plusIjEEEEZZNS1_33reduce_by_key_impl_wrapped_configILNS1_25lookback_scan_determinismE0ES3_S7_PKtNS0_17constant_iteratorIjlEEPtPlSF_S6_NS0_8equal_toItEEEE10hipError_tPvRmT2_T3_mT4_T5_T6_T7_T8_P12ihipStream_tbENKUlT_T0_E_clISt17integral_constantIbLb0EESY_IbLb1EEEEDaSU_SV_EUlSU_E_NS1_11comp_targetILNS1_3genE2ELNS1_11target_archE906ELNS1_3gpuE6ELNS1_3repE0EEENS1_30default_config_static_selectorELNS0_4arch9wavefront6targetE0EEEvT1_.has_recursion, 0
	.set _ZN7rocprim17ROCPRIM_400000_NS6detail17trampoline_kernelINS0_14default_configENS1_33run_length_encode_config_selectorItjNS0_4plusIjEEEEZZNS1_33reduce_by_key_impl_wrapped_configILNS1_25lookback_scan_determinismE0ES3_S7_PKtNS0_17constant_iteratorIjlEEPtPlSF_S6_NS0_8equal_toItEEEE10hipError_tPvRmT2_T3_mT4_T5_T6_T7_T8_P12ihipStream_tbENKUlT_T0_E_clISt17integral_constantIbLb0EESY_IbLb1EEEEDaSU_SV_EUlSU_E_NS1_11comp_targetILNS1_3genE2ELNS1_11target_archE906ELNS1_3gpuE6ELNS1_3repE0EEENS1_30default_config_static_selectorELNS0_4arch9wavefront6targetE0EEEvT1_.has_indirect_call, 0
	.section	.AMDGPU.csdata,"",@progbits
; Kernel info:
; codeLenInByte = 0
; TotalNumSgprs: 0
; NumVgprs: 0
; ScratchSize: 0
; MemoryBound: 0
; FloatMode: 240
; IeeeMode: 1
; LDSByteSize: 0 bytes/workgroup (compile time only)
; SGPRBlocks: 0
; VGPRBlocks: 0
; NumSGPRsForWavesPerEU: 1
; NumVGPRsForWavesPerEU: 1
; NamedBarCnt: 0
; Occupancy: 16
; WaveLimiterHint : 0
; COMPUTE_PGM_RSRC2:SCRATCH_EN: 0
; COMPUTE_PGM_RSRC2:USER_SGPR: 2
; COMPUTE_PGM_RSRC2:TRAP_HANDLER: 0
; COMPUTE_PGM_RSRC2:TGID_X_EN: 1
; COMPUTE_PGM_RSRC2:TGID_Y_EN: 0
; COMPUTE_PGM_RSRC2:TGID_Z_EN: 0
; COMPUTE_PGM_RSRC2:TIDIG_COMP_CNT: 0
	.section	.text._ZN7rocprim17ROCPRIM_400000_NS6detail17trampoline_kernelINS0_14default_configENS1_33run_length_encode_config_selectorItjNS0_4plusIjEEEEZZNS1_33reduce_by_key_impl_wrapped_configILNS1_25lookback_scan_determinismE0ES3_S7_PKtNS0_17constant_iteratorIjlEEPtPlSF_S6_NS0_8equal_toItEEEE10hipError_tPvRmT2_T3_mT4_T5_T6_T7_T8_P12ihipStream_tbENKUlT_T0_E_clISt17integral_constantIbLb0EESY_IbLb1EEEEDaSU_SV_EUlSU_E_NS1_11comp_targetILNS1_3genE10ELNS1_11target_archE1201ELNS1_3gpuE5ELNS1_3repE0EEENS1_30default_config_static_selectorELNS0_4arch9wavefront6targetE0EEEvT1_,"axG",@progbits,_ZN7rocprim17ROCPRIM_400000_NS6detail17trampoline_kernelINS0_14default_configENS1_33run_length_encode_config_selectorItjNS0_4plusIjEEEEZZNS1_33reduce_by_key_impl_wrapped_configILNS1_25lookback_scan_determinismE0ES3_S7_PKtNS0_17constant_iteratorIjlEEPtPlSF_S6_NS0_8equal_toItEEEE10hipError_tPvRmT2_T3_mT4_T5_T6_T7_T8_P12ihipStream_tbENKUlT_T0_E_clISt17integral_constantIbLb0EESY_IbLb1EEEEDaSU_SV_EUlSU_E_NS1_11comp_targetILNS1_3genE10ELNS1_11target_archE1201ELNS1_3gpuE5ELNS1_3repE0EEENS1_30default_config_static_selectorELNS0_4arch9wavefront6targetE0EEEvT1_,comdat
	.protected	_ZN7rocprim17ROCPRIM_400000_NS6detail17trampoline_kernelINS0_14default_configENS1_33run_length_encode_config_selectorItjNS0_4plusIjEEEEZZNS1_33reduce_by_key_impl_wrapped_configILNS1_25lookback_scan_determinismE0ES3_S7_PKtNS0_17constant_iteratorIjlEEPtPlSF_S6_NS0_8equal_toItEEEE10hipError_tPvRmT2_T3_mT4_T5_T6_T7_T8_P12ihipStream_tbENKUlT_T0_E_clISt17integral_constantIbLb0EESY_IbLb1EEEEDaSU_SV_EUlSU_E_NS1_11comp_targetILNS1_3genE10ELNS1_11target_archE1201ELNS1_3gpuE5ELNS1_3repE0EEENS1_30default_config_static_selectorELNS0_4arch9wavefront6targetE0EEEvT1_ ; -- Begin function _ZN7rocprim17ROCPRIM_400000_NS6detail17trampoline_kernelINS0_14default_configENS1_33run_length_encode_config_selectorItjNS0_4plusIjEEEEZZNS1_33reduce_by_key_impl_wrapped_configILNS1_25lookback_scan_determinismE0ES3_S7_PKtNS0_17constant_iteratorIjlEEPtPlSF_S6_NS0_8equal_toItEEEE10hipError_tPvRmT2_T3_mT4_T5_T6_T7_T8_P12ihipStream_tbENKUlT_T0_E_clISt17integral_constantIbLb0EESY_IbLb1EEEEDaSU_SV_EUlSU_E_NS1_11comp_targetILNS1_3genE10ELNS1_11target_archE1201ELNS1_3gpuE5ELNS1_3repE0EEENS1_30default_config_static_selectorELNS0_4arch9wavefront6targetE0EEEvT1_
	.globl	_ZN7rocprim17ROCPRIM_400000_NS6detail17trampoline_kernelINS0_14default_configENS1_33run_length_encode_config_selectorItjNS0_4plusIjEEEEZZNS1_33reduce_by_key_impl_wrapped_configILNS1_25lookback_scan_determinismE0ES3_S7_PKtNS0_17constant_iteratorIjlEEPtPlSF_S6_NS0_8equal_toItEEEE10hipError_tPvRmT2_T3_mT4_T5_T6_T7_T8_P12ihipStream_tbENKUlT_T0_E_clISt17integral_constantIbLb0EESY_IbLb1EEEEDaSU_SV_EUlSU_E_NS1_11comp_targetILNS1_3genE10ELNS1_11target_archE1201ELNS1_3gpuE5ELNS1_3repE0EEENS1_30default_config_static_selectorELNS0_4arch9wavefront6targetE0EEEvT1_
	.p2align	8
	.type	_ZN7rocprim17ROCPRIM_400000_NS6detail17trampoline_kernelINS0_14default_configENS1_33run_length_encode_config_selectorItjNS0_4plusIjEEEEZZNS1_33reduce_by_key_impl_wrapped_configILNS1_25lookback_scan_determinismE0ES3_S7_PKtNS0_17constant_iteratorIjlEEPtPlSF_S6_NS0_8equal_toItEEEE10hipError_tPvRmT2_T3_mT4_T5_T6_T7_T8_P12ihipStream_tbENKUlT_T0_E_clISt17integral_constantIbLb0EESY_IbLb1EEEEDaSU_SV_EUlSU_E_NS1_11comp_targetILNS1_3genE10ELNS1_11target_archE1201ELNS1_3gpuE5ELNS1_3repE0EEENS1_30default_config_static_selectorELNS0_4arch9wavefront6targetE0EEEvT1_,@function
_ZN7rocprim17ROCPRIM_400000_NS6detail17trampoline_kernelINS0_14default_configENS1_33run_length_encode_config_selectorItjNS0_4plusIjEEEEZZNS1_33reduce_by_key_impl_wrapped_configILNS1_25lookback_scan_determinismE0ES3_S7_PKtNS0_17constant_iteratorIjlEEPtPlSF_S6_NS0_8equal_toItEEEE10hipError_tPvRmT2_T3_mT4_T5_T6_T7_T8_P12ihipStream_tbENKUlT_T0_E_clISt17integral_constantIbLb0EESY_IbLb1EEEEDaSU_SV_EUlSU_E_NS1_11comp_targetILNS1_3genE10ELNS1_11target_archE1201ELNS1_3gpuE5ELNS1_3repE0EEENS1_30default_config_static_selectorELNS0_4arch9wavefront6targetE0EEEvT1_: ; @_ZN7rocprim17ROCPRIM_400000_NS6detail17trampoline_kernelINS0_14default_configENS1_33run_length_encode_config_selectorItjNS0_4plusIjEEEEZZNS1_33reduce_by_key_impl_wrapped_configILNS1_25lookback_scan_determinismE0ES3_S7_PKtNS0_17constant_iteratorIjlEEPtPlSF_S6_NS0_8equal_toItEEEE10hipError_tPvRmT2_T3_mT4_T5_T6_T7_T8_P12ihipStream_tbENKUlT_T0_E_clISt17integral_constantIbLb0EESY_IbLb1EEEEDaSU_SV_EUlSU_E_NS1_11comp_targetILNS1_3genE10ELNS1_11target_archE1201ELNS1_3gpuE5ELNS1_3repE0EEENS1_30default_config_static_selectorELNS0_4arch9wavefront6targetE0EEEvT1_
; %bb.0:
	.section	.rodata,"a",@progbits
	.p2align	6, 0x0
	.amdhsa_kernel _ZN7rocprim17ROCPRIM_400000_NS6detail17trampoline_kernelINS0_14default_configENS1_33run_length_encode_config_selectorItjNS0_4plusIjEEEEZZNS1_33reduce_by_key_impl_wrapped_configILNS1_25lookback_scan_determinismE0ES3_S7_PKtNS0_17constant_iteratorIjlEEPtPlSF_S6_NS0_8equal_toItEEEE10hipError_tPvRmT2_T3_mT4_T5_T6_T7_T8_P12ihipStream_tbENKUlT_T0_E_clISt17integral_constantIbLb0EESY_IbLb1EEEEDaSU_SV_EUlSU_E_NS1_11comp_targetILNS1_3genE10ELNS1_11target_archE1201ELNS1_3gpuE5ELNS1_3repE0EEENS1_30default_config_static_selectorELNS0_4arch9wavefront6targetE0EEEvT1_
		.amdhsa_group_segment_fixed_size 0
		.amdhsa_private_segment_fixed_size 0
		.amdhsa_kernarg_size 128
		.amdhsa_user_sgpr_count 2
		.amdhsa_user_sgpr_dispatch_ptr 0
		.amdhsa_user_sgpr_queue_ptr 0
		.amdhsa_user_sgpr_kernarg_segment_ptr 1
		.amdhsa_user_sgpr_dispatch_id 0
		.amdhsa_user_sgpr_kernarg_preload_length 0
		.amdhsa_user_sgpr_kernarg_preload_offset 0
		.amdhsa_user_sgpr_private_segment_size 0
		.amdhsa_wavefront_size32 1
		.amdhsa_uses_dynamic_stack 0
		.amdhsa_enable_private_segment 0
		.amdhsa_system_sgpr_workgroup_id_x 1
		.amdhsa_system_sgpr_workgroup_id_y 0
		.amdhsa_system_sgpr_workgroup_id_z 0
		.amdhsa_system_sgpr_workgroup_info 0
		.amdhsa_system_vgpr_workitem_id 0
		.amdhsa_next_free_vgpr 1
		.amdhsa_next_free_sgpr 1
		.amdhsa_named_barrier_count 0
		.amdhsa_reserve_vcc 0
		.amdhsa_float_round_mode_32 0
		.amdhsa_float_round_mode_16_64 0
		.amdhsa_float_denorm_mode_32 3
		.amdhsa_float_denorm_mode_16_64 3
		.amdhsa_fp16_overflow 0
		.amdhsa_memory_ordered 1
		.amdhsa_forward_progress 1
		.amdhsa_inst_pref_size 0
		.amdhsa_round_robin_scheduling 0
		.amdhsa_exception_fp_ieee_invalid_op 0
		.amdhsa_exception_fp_denorm_src 0
		.amdhsa_exception_fp_ieee_div_zero 0
		.amdhsa_exception_fp_ieee_overflow 0
		.amdhsa_exception_fp_ieee_underflow 0
		.amdhsa_exception_fp_ieee_inexact 0
		.amdhsa_exception_int_div_zero 0
	.end_amdhsa_kernel
	.section	.text._ZN7rocprim17ROCPRIM_400000_NS6detail17trampoline_kernelINS0_14default_configENS1_33run_length_encode_config_selectorItjNS0_4plusIjEEEEZZNS1_33reduce_by_key_impl_wrapped_configILNS1_25lookback_scan_determinismE0ES3_S7_PKtNS0_17constant_iteratorIjlEEPtPlSF_S6_NS0_8equal_toItEEEE10hipError_tPvRmT2_T3_mT4_T5_T6_T7_T8_P12ihipStream_tbENKUlT_T0_E_clISt17integral_constantIbLb0EESY_IbLb1EEEEDaSU_SV_EUlSU_E_NS1_11comp_targetILNS1_3genE10ELNS1_11target_archE1201ELNS1_3gpuE5ELNS1_3repE0EEENS1_30default_config_static_selectorELNS0_4arch9wavefront6targetE0EEEvT1_,"axG",@progbits,_ZN7rocprim17ROCPRIM_400000_NS6detail17trampoline_kernelINS0_14default_configENS1_33run_length_encode_config_selectorItjNS0_4plusIjEEEEZZNS1_33reduce_by_key_impl_wrapped_configILNS1_25lookback_scan_determinismE0ES3_S7_PKtNS0_17constant_iteratorIjlEEPtPlSF_S6_NS0_8equal_toItEEEE10hipError_tPvRmT2_T3_mT4_T5_T6_T7_T8_P12ihipStream_tbENKUlT_T0_E_clISt17integral_constantIbLb0EESY_IbLb1EEEEDaSU_SV_EUlSU_E_NS1_11comp_targetILNS1_3genE10ELNS1_11target_archE1201ELNS1_3gpuE5ELNS1_3repE0EEENS1_30default_config_static_selectorELNS0_4arch9wavefront6targetE0EEEvT1_,comdat
.Lfunc_end819:
	.size	_ZN7rocprim17ROCPRIM_400000_NS6detail17trampoline_kernelINS0_14default_configENS1_33run_length_encode_config_selectorItjNS0_4plusIjEEEEZZNS1_33reduce_by_key_impl_wrapped_configILNS1_25lookback_scan_determinismE0ES3_S7_PKtNS0_17constant_iteratorIjlEEPtPlSF_S6_NS0_8equal_toItEEEE10hipError_tPvRmT2_T3_mT4_T5_T6_T7_T8_P12ihipStream_tbENKUlT_T0_E_clISt17integral_constantIbLb0EESY_IbLb1EEEEDaSU_SV_EUlSU_E_NS1_11comp_targetILNS1_3genE10ELNS1_11target_archE1201ELNS1_3gpuE5ELNS1_3repE0EEENS1_30default_config_static_selectorELNS0_4arch9wavefront6targetE0EEEvT1_, .Lfunc_end819-_ZN7rocprim17ROCPRIM_400000_NS6detail17trampoline_kernelINS0_14default_configENS1_33run_length_encode_config_selectorItjNS0_4plusIjEEEEZZNS1_33reduce_by_key_impl_wrapped_configILNS1_25lookback_scan_determinismE0ES3_S7_PKtNS0_17constant_iteratorIjlEEPtPlSF_S6_NS0_8equal_toItEEEE10hipError_tPvRmT2_T3_mT4_T5_T6_T7_T8_P12ihipStream_tbENKUlT_T0_E_clISt17integral_constantIbLb0EESY_IbLb1EEEEDaSU_SV_EUlSU_E_NS1_11comp_targetILNS1_3genE10ELNS1_11target_archE1201ELNS1_3gpuE5ELNS1_3repE0EEENS1_30default_config_static_selectorELNS0_4arch9wavefront6targetE0EEEvT1_
                                        ; -- End function
	.set _ZN7rocprim17ROCPRIM_400000_NS6detail17trampoline_kernelINS0_14default_configENS1_33run_length_encode_config_selectorItjNS0_4plusIjEEEEZZNS1_33reduce_by_key_impl_wrapped_configILNS1_25lookback_scan_determinismE0ES3_S7_PKtNS0_17constant_iteratorIjlEEPtPlSF_S6_NS0_8equal_toItEEEE10hipError_tPvRmT2_T3_mT4_T5_T6_T7_T8_P12ihipStream_tbENKUlT_T0_E_clISt17integral_constantIbLb0EESY_IbLb1EEEEDaSU_SV_EUlSU_E_NS1_11comp_targetILNS1_3genE10ELNS1_11target_archE1201ELNS1_3gpuE5ELNS1_3repE0EEENS1_30default_config_static_selectorELNS0_4arch9wavefront6targetE0EEEvT1_.num_vgpr, 0
	.set _ZN7rocprim17ROCPRIM_400000_NS6detail17trampoline_kernelINS0_14default_configENS1_33run_length_encode_config_selectorItjNS0_4plusIjEEEEZZNS1_33reduce_by_key_impl_wrapped_configILNS1_25lookback_scan_determinismE0ES3_S7_PKtNS0_17constant_iteratorIjlEEPtPlSF_S6_NS0_8equal_toItEEEE10hipError_tPvRmT2_T3_mT4_T5_T6_T7_T8_P12ihipStream_tbENKUlT_T0_E_clISt17integral_constantIbLb0EESY_IbLb1EEEEDaSU_SV_EUlSU_E_NS1_11comp_targetILNS1_3genE10ELNS1_11target_archE1201ELNS1_3gpuE5ELNS1_3repE0EEENS1_30default_config_static_selectorELNS0_4arch9wavefront6targetE0EEEvT1_.num_agpr, 0
	.set _ZN7rocprim17ROCPRIM_400000_NS6detail17trampoline_kernelINS0_14default_configENS1_33run_length_encode_config_selectorItjNS0_4plusIjEEEEZZNS1_33reduce_by_key_impl_wrapped_configILNS1_25lookback_scan_determinismE0ES3_S7_PKtNS0_17constant_iteratorIjlEEPtPlSF_S6_NS0_8equal_toItEEEE10hipError_tPvRmT2_T3_mT4_T5_T6_T7_T8_P12ihipStream_tbENKUlT_T0_E_clISt17integral_constantIbLb0EESY_IbLb1EEEEDaSU_SV_EUlSU_E_NS1_11comp_targetILNS1_3genE10ELNS1_11target_archE1201ELNS1_3gpuE5ELNS1_3repE0EEENS1_30default_config_static_selectorELNS0_4arch9wavefront6targetE0EEEvT1_.numbered_sgpr, 0
	.set _ZN7rocprim17ROCPRIM_400000_NS6detail17trampoline_kernelINS0_14default_configENS1_33run_length_encode_config_selectorItjNS0_4plusIjEEEEZZNS1_33reduce_by_key_impl_wrapped_configILNS1_25lookback_scan_determinismE0ES3_S7_PKtNS0_17constant_iteratorIjlEEPtPlSF_S6_NS0_8equal_toItEEEE10hipError_tPvRmT2_T3_mT4_T5_T6_T7_T8_P12ihipStream_tbENKUlT_T0_E_clISt17integral_constantIbLb0EESY_IbLb1EEEEDaSU_SV_EUlSU_E_NS1_11comp_targetILNS1_3genE10ELNS1_11target_archE1201ELNS1_3gpuE5ELNS1_3repE0EEENS1_30default_config_static_selectorELNS0_4arch9wavefront6targetE0EEEvT1_.num_named_barrier, 0
	.set _ZN7rocprim17ROCPRIM_400000_NS6detail17trampoline_kernelINS0_14default_configENS1_33run_length_encode_config_selectorItjNS0_4plusIjEEEEZZNS1_33reduce_by_key_impl_wrapped_configILNS1_25lookback_scan_determinismE0ES3_S7_PKtNS0_17constant_iteratorIjlEEPtPlSF_S6_NS0_8equal_toItEEEE10hipError_tPvRmT2_T3_mT4_T5_T6_T7_T8_P12ihipStream_tbENKUlT_T0_E_clISt17integral_constantIbLb0EESY_IbLb1EEEEDaSU_SV_EUlSU_E_NS1_11comp_targetILNS1_3genE10ELNS1_11target_archE1201ELNS1_3gpuE5ELNS1_3repE0EEENS1_30default_config_static_selectorELNS0_4arch9wavefront6targetE0EEEvT1_.private_seg_size, 0
	.set _ZN7rocprim17ROCPRIM_400000_NS6detail17trampoline_kernelINS0_14default_configENS1_33run_length_encode_config_selectorItjNS0_4plusIjEEEEZZNS1_33reduce_by_key_impl_wrapped_configILNS1_25lookback_scan_determinismE0ES3_S7_PKtNS0_17constant_iteratorIjlEEPtPlSF_S6_NS0_8equal_toItEEEE10hipError_tPvRmT2_T3_mT4_T5_T6_T7_T8_P12ihipStream_tbENKUlT_T0_E_clISt17integral_constantIbLb0EESY_IbLb1EEEEDaSU_SV_EUlSU_E_NS1_11comp_targetILNS1_3genE10ELNS1_11target_archE1201ELNS1_3gpuE5ELNS1_3repE0EEENS1_30default_config_static_selectorELNS0_4arch9wavefront6targetE0EEEvT1_.uses_vcc, 0
	.set _ZN7rocprim17ROCPRIM_400000_NS6detail17trampoline_kernelINS0_14default_configENS1_33run_length_encode_config_selectorItjNS0_4plusIjEEEEZZNS1_33reduce_by_key_impl_wrapped_configILNS1_25lookback_scan_determinismE0ES3_S7_PKtNS0_17constant_iteratorIjlEEPtPlSF_S6_NS0_8equal_toItEEEE10hipError_tPvRmT2_T3_mT4_T5_T6_T7_T8_P12ihipStream_tbENKUlT_T0_E_clISt17integral_constantIbLb0EESY_IbLb1EEEEDaSU_SV_EUlSU_E_NS1_11comp_targetILNS1_3genE10ELNS1_11target_archE1201ELNS1_3gpuE5ELNS1_3repE0EEENS1_30default_config_static_selectorELNS0_4arch9wavefront6targetE0EEEvT1_.uses_flat_scratch, 0
	.set _ZN7rocprim17ROCPRIM_400000_NS6detail17trampoline_kernelINS0_14default_configENS1_33run_length_encode_config_selectorItjNS0_4plusIjEEEEZZNS1_33reduce_by_key_impl_wrapped_configILNS1_25lookback_scan_determinismE0ES3_S7_PKtNS0_17constant_iteratorIjlEEPtPlSF_S6_NS0_8equal_toItEEEE10hipError_tPvRmT2_T3_mT4_T5_T6_T7_T8_P12ihipStream_tbENKUlT_T0_E_clISt17integral_constantIbLb0EESY_IbLb1EEEEDaSU_SV_EUlSU_E_NS1_11comp_targetILNS1_3genE10ELNS1_11target_archE1201ELNS1_3gpuE5ELNS1_3repE0EEENS1_30default_config_static_selectorELNS0_4arch9wavefront6targetE0EEEvT1_.has_dyn_sized_stack, 0
	.set _ZN7rocprim17ROCPRIM_400000_NS6detail17trampoline_kernelINS0_14default_configENS1_33run_length_encode_config_selectorItjNS0_4plusIjEEEEZZNS1_33reduce_by_key_impl_wrapped_configILNS1_25lookback_scan_determinismE0ES3_S7_PKtNS0_17constant_iteratorIjlEEPtPlSF_S6_NS0_8equal_toItEEEE10hipError_tPvRmT2_T3_mT4_T5_T6_T7_T8_P12ihipStream_tbENKUlT_T0_E_clISt17integral_constantIbLb0EESY_IbLb1EEEEDaSU_SV_EUlSU_E_NS1_11comp_targetILNS1_3genE10ELNS1_11target_archE1201ELNS1_3gpuE5ELNS1_3repE0EEENS1_30default_config_static_selectorELNS0_4arch9wavefront6targetE0EEEvT1_.has_recursion, 0
	.set _ZN7rocprim17ROCPRIM_400000_NS6detail17trampoline_kernelINS0_14default_configENS1_33run_length_encode_config_selectorItjNS0_4plusIjEEEEZZNS1_33reduce_by_key_impl_wrapped_configILNS1_25lookback_scan_determinismE0ES3_S7_PKtNS0_17constant_iteratorIjlEEPtPlSF_S6_NS0_8equal_toItEEEE10hipError_tPvRmT2_T3_mT4_T5_T6_T7_T8_P12ihipStream_tbENKUlT_T0_E_clISt17integral_constantIbLb0EESY_IbLb1EEEEDaSU_SV_EUlSU_E_NS1_11comp_targetILNS1_3genE10ELNS1_11target_archE1201ELNS1_3gpuE5ELNS1_3repE0EEENS1_30default_config_static_selectorELNS0_4arch9wavefront6targetE0EEEvT1_.has_indirect_call, 0
	.section	.AMDGPU.csdata,"",@progbits
; Kernel info:
; codeLenInByte = 0
; TotalNumSgprs: 0
; NumVgprs: 0
; ScratchSize: 0
; MemoryBound: 0
; FloatMode: 240
; IeeeMode: 1
; LDSByteSize: 0 bytes/workgroup (compile time only)
; SGPRBlocks: 0
; VGPRBlocks: 0
; NumSGPRsForWavesPerEU: 1
; NumVGPRsForWavesPerEU: 1
; NamedBarCnt: 0
; Occupancy: 16
; WaveLimiterHint : 0
; COMPUTE_PGM_RSRC2:SCRATCH_EN: 0
; COMPUTE_PGM_RSRC2:USER_SGPR: 2
; COMPUTE_PGM_RSRC2:TRAP_HANDLER: 0
; COMPUTE_PGM_RSRC2:TGID_X_EN: 1
; COMPUTE_PGM_RSRC2:TGID_Y_EN: 0
; COMPUTE_PGM_RSRC2:TGID_Z_EN: 0
; COMPUTE_PGM_RSRC2:TIDIG_COMP_CNT: 0
	.section	.text._ZN7rocprim17ROCPRIM_400000_NS6detail17trampoline_kernelINS0_14default_configENS1_33run_length_encode_config_selectorItjNS0_4plusIjEEEEZZNS1_33reduce_by_key_impl_wrapped_configILNS1_25lookback_scan_determinismE0ES3_S7_PKtNS0_17constant_iteratorIjlEEPtPlSF_S6_NS0_8equal_toItEEEE10hipError_tPvRmT2_T3_mT4_T5_T6_T7_T8_P12ihipStream_tbENKUlT_T0_E_clISt17integral_constantIbLb0EESY_IbLb1EEEEDaSU_SV_EUlSU_E_NS1_11comp_targetILNS1_3genE10ELNS1_11target_archE1200ELNS1_3gpuE4ELNS1_3repE0EEENS1_30default_config_static_selectorELNS0_4arch9wavefront6targetE0EEEvT1_,"axG",@progbits,_ZN7rocprim17ROCPRIM_400000_NS6detail17trampoline_kernelINS0_14default_configENS1_33run_length_encode_config_selectorItjNS0_4plusIjEEEEZZNS1_33reduce_by_key_impl_wrapped_configILNS1_25lookback_scan_determinismE0ES3_S7_PKtNS0_17constant_iteratorIjlEEPtPlSF_S6_NS0_8equal_toItEEEE10hipError_tPvRmT2_T3_mT4_T5_T6_T7_T8_P12ihipStream_tbENKUlT_T0_E_clISt17integral_constantIbLb0EESY_IbLb1EEEEDaSU_SV_EUlSU_E_NS1_11comp_targetILNS1_3genE10ELNS1_11target_archE1200ELNS1_3gpuE4ELNS1_3repE0EEENS1_30default_config_static_selectorELNS0_4arch9wavefront6targetE0EEEvT1_,comdat
	.protected	_ZN7rocprim17ROCPRIM_400000_NS6detail17trampoline_kernelINS0_14default_configENS1_33run_length_encode_config_selectorItjNS0_4plusIjEEEEZZNS1_33reduce_by_key_impl_wrapped_configILNS1_25lookback_scan_determinismE0ES3_S7_PKtNS0_17constant_iteratorIjlEEPtPlSF_S6_NS0_8equal_toItEEEE10hipError_tPvRmT2_T3_mT4_T5_T6_T7_T8_P12ihipStream_tbENKUlT_T0_E_clISt17integral_constantIbLb0EESY_IbLb1EEEEDaSU_SV_EUlSU_E_NS1_11comp_targetILNS1_3genE10ELNS1_11target_archE1200ELNS1_3gpuE4ELNS1_3repE0EEENS1_30default_config_static_selectorELNS0_4arch9wavefront6targetE0EEEvT1_ ; -- Begin function _ZN7rocprim17ROCPRIM_400000_NS6detail17trampoline_kernelINS0_14default_configENS1_33run_length_encode_config_selectorItjNS0_4plusIjEEEEZZNS1_33reduce_by_key_impl_wrapped_configILNS1_25lookback_scan_determinismE0ES3_S7_PKtNS0_17constant_iteratorIjlEEPtPlSF_S6_NS0_8equal_toItEEEE10hipError_tPvRmT2_T3_mT4_T5_T6_T7_T8_P12ihipStream_tbENKUlT_T0_E_clISt17integral_constantIbLb0EESY_IbLb1EEEEDaSU_SV_EUlSU_E_NS1_11comp_targetILNS1_3genE10ELNS1_11target_archE1200ELNS1_3gpuE4ELNS1_3repE0EEENS1_30default_config_static_selectorELNS0_4arch9wavefront6targetE0EEEvT1_
	.globl	_ZN7rocprim17ROCPRIM_400000_NS6detail17trampoline_kernelINS0_14default_configENS1_33run_length_encode_config_selectorItjNS0_4plusIjEEEEZZNS1_33reduce_by_key_impl_wrapped_configILNS1_25lookback_scan_determinismE0ES3_S7_PKtNS0_17constant_iteratorIjlEEPtPlSF_S6_NS0_8equal_toItEEEE10hipError_tPvRmT2_T3_mT4_T5_T6_T7_T8_P12ihipStream_tbENKUlT_T0_E_clISt17integral_constantIbLb0EESY_IbLb1EEEEDaSU_SV_EUlSU_E_NS1_11comp_targetILNS1_3genE10ELNS1_11target_archE1200ELNS1_3gpuE4ELNS1_3repE0EEENS1_30default_config_static_selectorELNS0_4arch9wavefront6targetE0EEEvT1_
	.p2align	8
	.type	_ZN7rocprim17ROCPRIM_400000_NS6detail17trampoline_kernelINS0_14default_configENS1_33run_length_encode_config_selectorItjNS0_4plusIjEEEEZZNS1_33reduce_by_key_impl_wrapped_configILNS1_25lookback_scan_determinismE0ES3_S7_PKtNS0_17constant_iteratorIjlEEPtPlSF_S6_NS0_8equal_toItEEEE10hipError_tPvRmT2_T3_mT4_T5_T6_T7_T8_P12ihipStream_tbENKUlT_T0_E_clISt17integral_constantIbLb0EESY_IbLb1EEEEDaSU_SV_EUlSU_E_NS1_11comp_targetILNS1_3genE10ELNS1_11target_archE1200ELNS1_3gpuE4ELNS1_3repE0EEENS1_30default_config_static_selectorELNS0_4arch9wavefront6targetE0EEEvT1_,@function
_ZN7rocprim17ROCPRIM_400000_NS6detail17trampoline_kernelINS0_14default_configENS1_33run_length_encode_config_selectorItjNS0_4plusIjEEEEZZNS1_33reduce_by_key_impl_wrapped_configILNS1_25lookback_scan_determinismE0ES3_S7_PKtNS0_17constant_iteratorIjlEEPtPlSF_S6_NS0_8equal_toItEEEE10hipError_tPvRmT2_T3_mT4_T5_T6_T7_T8_P12ihipStream_tbENKUlT_T0_E_clISt17integral_constantIbLb0EESY_IbLb1EEEEDaSU_SV_EUlSU_E_NS1_11comp_targetILNS1_3genE10ELNS1_11target_archE1200ELNS1_3gpuE4ELNS1_3repE0EEENS1_30default_config_static_selectorELNS0_4arch9wavefront6targetE0EEEvT1_: ; @_ZN7rocprim17ROCPRIM_400000_NS6detail17trampoline_kernelINS0_14default_configENS1_33run_length_encode_config_selectorItjNS0_4plusIjEEEEZZNS1_33reduce_by_key_impl_wrapped_configILNS1_25lookback_scan_determinismE0ES3_S7_PKtNS0_17constant_iteratorIjlEEPtPlSF_S6_NS0_8equal_toItEEEE10hipError_tPvRmT2_T3_mT4_T5_T6_T7_T8_P12ihipStream_tbENKUlT_T0_E_clISt17integral_constantIbLb0EESY_IbLb1EEEEDaSU_SV_EUlSU_E_NS1_11comp_targetILNS1_3genE10ELNS1_11target_archE1200ELNS1_3gpuE4ELNS1_3repE0EEENS1_30default_config_static_selectorELNS0_4arch9wavefront6targetE0EEEvT1_
; %bb.0:
	.section	.rodata,"a",@progbits
	.p2align	6, 0x0
	.amdhsa_kernel _ZN7rocprim17ROCPRIM_400000_NS6detail17trampoline_kernelINS0_14default_configENS1_33run_length_encode_config_selectorItjNS0_4plusIjEEEEZZNS1_33reduce_by_key_impl_wrapped_configILNS1_25lookback_scan_determinismE0ES3_S7_PKtNS0_17constant_iteratorIjlEEPtPlSF_S6_NS0_8equal_toItEEEE10hipError_tPvRmT2_T3_mT4_T5_T6_T7_T8_P12ihipStream_tbENKUlT_T0_E_clISt17integral_constantIbLb0EESY_IbLb1EEEEDaSU_SV_EUlSU_E_NS1_11comp_targetILNS1_3genE10ELNS1_11target_archE1200ELNS1_3gpuE4ELNS1_3repE0EEENS1_30default_config_static_selectorELNS0_4arch9wavefront6targetE0EEEvT1_
		.amdhsa_group_segment_fixed_size 0
		.amdhsa_private_segment_fixed_size 0
		.amdhsa_kernarg_size 128
		.amdhsa_user_sgpr_count 2
		.amdhsa_user_sgpr_dispatch_ptr 0
		.amdhsa_user_sgpr_queue_ptr 0
		.amdhsa_user_sgpr_kernarg_segment_ptr 1
		.amdhsa_user_sgpr_dispatch_id 0
		.amdhsa_user_sgpr_kernarg_preload_length 0
		.amdhsa_user_sgpr_kernarg_preload_offset 0
		.amdhsa_user_sgpr_private_segment_size 0
		.amdhsa_wavefront_size32 1
		.amdhsa_uses_dynamic_stack 0
		.amdhsa_enable_private_segment 0
		.amdhsa_system_sgpr_workgroup_id_x 1
		.amdhsa_system_sgpr_workgroup_id_y 0
		.amdhsa_system_sgpr_workgroup_id_z 0
		.amdhsa_system_sgpr_workgroup_info 0
		.amdhsa_system_vgpr_workitem_id 0
		.amdhsa_next_free_vgpr 1
		.amdhsa_next_free_sgpr 1
		.amdhsa_named_barrier_count 0
		.amdhsa_reserve_vcc 0
		.amdhsa_float_round_mode_32 0
		.amdhsa_float_round_mode_16_64 0
		.amdhsa_float_denorm_mode_32 3
		.amdhsa_float_denorm_mode_16_64 3
		.amdhsa_fp16_overflow 0
		.amdhsa_memory_ordered 1
		.amdhsa_forward_progress 1
		.amdhsa_inst_pref_size 0
		.amdhsa_round_robin_scheduling 0
		.amdhsa_exception_fp_ieee_invalid_op 0
		.amdhsa_exception_fp_denorm_src 0
		.amdhsa_exception_fp_ieee_div_zero 0
		.amdhsa_exception_fp_ieee_overflow 0
		.amdhsa_exception_fp_ieee_underflow 0
		.amdhsa_exception_fp_ieee_inexact 0
		.amdhsa_exception_int_div_zero 0
	.end_amdhsa_kernel
	.section	.text._ZN7rocprim17ROCPRIM_400000_NS6detail17trampoline_kernelINS0_14default_configENS1_33run_length_encode_config_selectorItjNS0_4plusIjEEEEZZNS1_33reduce_by_key_impl_wrapped_configILNS1_25lookback_scan_determinismE0ES3_S7_PKtNS0_17constant_iteratorIjlEEPtPlSF_S6_NS0_8equal_toItEEEE10hipError_tPvRmT2_T3_mT4_T5_T6_T7_T8_P12ihipStream_tbENKUlT_T0_E_clISt17integral_constantIbLb0EESY_IbLb1EEEEDaSU_SV_EUlSU_E_NS1_11comp_targetILNS1_3genE10ELNS1_11target_archE1200ELNS1_3gpuE4ELNS1_3repE0EEENS1_30default_config_static_selectorELNS0_4arch9wavefront6targetE0EEEvT1_,"axG",@progbits,_ZN7rocprim17ROCPRIM_400000_NS6detail17trampoline_kernelINS0_14default_configENS1_33run_length_encode_config_selectorItjNS0_4plusIjEEEEZZNS1_33reduce_by_key_impl_wrapped_configILNS1_25lookback_scan_determinismE0ES3_S7_PKtNS0_17constant_iteratorIjlEEPtPlSF_S6_NS0_8equal_toItEEEE10hipError_tPvRmT2_T3_mT4_T5_T6_T7_T8_P12ihipStream_tbENKUlT_T0_E_clISt17integral_constantIbLb0EESY_IbLb1EEEEDaSU_SV_EUlSU_E_NS1_11comp_targetILNS1_3genE10ELNS1_11target_archE1200ELNS1_3gpuE4ELNS1_3repE0EEENS1_30default_config_static_selectorELNS0_4arch9wavefront6targetE0EEEvT1_,comdat
.Lfunc_end820:
	.size	_ZN7rocprim17ROCPRIM_400000_NS6detail17trampoline_kernelINS0_14default_configENS1_33run_length_encode_config_selectorItjNS0_4plusIjEEEEZZNS1_33reduce_by_key_impl_wrapped_configILNS1_25lookback_scan_determinismE0ES3_S7_PKtNS0_17constant_iteratorIjlEEPtPlSF_S6_NS0_8equal_toItEEEE10hipError_tPvRmT2_T3_mT4_T5_T6_T7_T8_P12ihipStream_tbENKUlT_T0_E_clISt17integral_constantIbLb0EESY_IbLb1EEEEDaSU_SV_EUlSU_E_NS1_11comp_targetILNS1_3genE10ELNS1_11target_archE1200ELNS1_3gpuE4ELNS1_3repE0EEENS1_30default_config_static_selectorELNS0_4arch9wavefront6targetE0EEEvT1_, .Lfunc_end820-_ZN7rocprim17ROCPRIM_400000_NS6detail17trampoline_kernelINS0_14default_configENS1_33run_length_encode_config_selectorItjNS0_4plusIjEEEEZZNS1_33reduce_by_key_impl_wrapped_configILNS1_25lookback_scan_determinismE0ES3_S7_PKtNS0_17constant_iteratorIjlEEPtPlSF_S6_NS0_8equal_toItEEEE10hipError_tPvRmT2_T3_mT4_T5_T6_T7_T8_P12ihipStream_tbENKUlT_T0_E_clISt17integral_constantIbLb0EESY_IbLb1EEEEDaSU_SV_EUlSU_E_NS1_11comp_targetILNS1_3genE10ELNS1_11target_archE1200ELNS1_3gpuE4ELNS1_3repE0EEENS1_30default_config_static_selectorELNS0_4arch9wavefront6targetE0EEEvT1_
                                        ; -- End function
	.set _ZN7rocprim17ROCPRIM_400000_NS6detail17trampoline_kernelINS0_14default_configENS1_33run_length_encode_config_selectorItjNS0_4plusIjEEEEZZNS1_33reduce_by_key_impl_wrapped_configILNS1_25lookback_scan_determinismE0ES3_S7_PKtNS0_17constant_iteratorIjlEEPtPlSF_S6_NS0_8equal_toItEEEE10hipError_tPvRmT2_T3_mT4_T5_T6_T7_T8_P12ihipStream_tbENKUlT_T0_E_clISt17integral_constantIbLb0EESY_IbLb1EEEEDaSU_SV_EUlSU_E_NS1_11comp_targetILNS1_3genE10ELNS1_11target_archE1200ELNS1_3gpuE4ELNS1_3repE0EEENS1_30default_config_static_selectorELNS0_4arch9wavefront6targetE0EEEvT1_.num_vgpr, 0
	.set _ZN7rocprim17ROCPRIM_400000_NS6detail17trampoline_kernelINS0_14default_configENS1_33run_length_encode_config_selectorItjNS0_4plusIjEEEEZZNS1_33reduce_by_key_impl_wrapped_configILNS1_25lookback_scan_determinismE0ES3_S7_PKtNS0_17constant_iteratorIjlEEPtPlSF_S6_NS0_8equal_toItEEEE10hipError_tPvRmT2_T3_mT4_T5_T6_T7_T8_P12ihipStream_tbENKUlT_T0_E_clISt17integral_constantIbLb0EESY_IbLb1EEEEDaSU_SV_EUlSU_E_NS1_11comp_targetILNS1_3genE10ELNS1_11target_archE1200ELNS1_3gpuE4ELNS1_3repE0EEENS1_30default_config_static_selectorELNS0_4arch9wavefront6targetE0EEEvT1_.num_agpr, 0
	.set _ZN7rocprim17ROCPRIM_400000_NS6detail17trampoline_kernelINS0_14default_configENS1_33run_length_encode_config_selectorItjNS0_4plusIjEEEEZZNS1_33reduce_by_key_impl_wrapped_configILNS1_25lookback_scan_determinismE0ES3_S7_PKtNS0_17constant_iteratorIjlEEPtPlSF_S6_NS0_8equal_toItEEEE10hipError_tPvRmT2_T3_mT4_T5_T6_T7_T8_P12ihipStream_tbENKUlT_T0_E_clISt17integral_constantIbLb0EESY_IbLb1EEEEDaSU_SV_EUlSU_E_NS1_11comp_targetILNS1_3genE10ELNS1_11target_archE1200ELNS1_3gpuE4ELNS1_3repE0EEENS1_30default_config_static_selectorELNS0_4arch9wavefront6targetE0EEEvT1_.numbered_sgpr, 0
	.set _ZN7rocprim17ROCPRIM_400000_NS6detail17trampoline_kernelINS0_14default_configENS1_33run_length_encode_config_selectorItjNS0_4plusIjEEEEZZNS1_33reduce_by_key_impl_wrapped_configILNS1_25lookback_scan_determinismE0ES3_S7_PKtNS0_17constant_iteratorIjlEEPtPlSF_S6_NS0_8equal_toItEEEE10hipError_tPvRmT2_T3_mT4_T5_T6_T7_T8_P12ihipStream_tbENKUlT_T0_E_clISt17integral_constantIbLb0EESY_IbLb1EEEEDaSU_SV_EUlSU_E_NS1_11comp_targetILNS1_3genE10ELNS1_11target_archE1200ELNS1_3gpuE4ELNS1_3repE0EEENS1_30default_config_static_selectorELNS0_4arch9wavefront6targetE0EEEvT1_.num_named_barrier, 0
	.set _ZN7rocprim17ROCPRIM_400000_NS6detail17trampoline_kernelINS0_14default_configENS1_33run_length_encode_config_selectorItjNS0_4plusIjEEEEZZNS1_33reduce_by_key_impl_wrapped_configILNS1_25lookback_scan_determinismE0ES3_S7_PKtNS0_17constant_iteratorIjlEEPtPlSF_S6_NS0_8equal_toItEEEE10hipError_tPvRmT2_T3_mT4_T5_T6_T7_T8_P12ihipStream_tbENKUlT_T0_E_clISt17integral_constantIbLb0EESY_IbLb1EEEEDaSU_SV_EUlSU_E_NS1_11comp_targetILNS1_3genE10ELNS1_11target_archE1200ELNS1_3gpuE4ELNS1_3repE0EEENS1_30default_config_static_selectorELNS0_4arch9wavefront6targetE0EEEvT1_.private_seg_size, 0
	.set _ZN7rocprim17ROCPRIM_400000_NS6detail17trampoline_kernelINS0_14default_configENS1_33run_length_encode_config_selectorItjNS0_4plusIjEEEEZZNS1_33reduce_by_key_impl_wrapped_configILNS1_25lookback_scan_determinismE0ES3_S7_PKtNS0_17constant_iteratorIjlEEPtPlSF_S6_NS0_8equal_toItEEEE10hipError_tPvRmT2_T3_mT4_T5_T6_T7_T8_P12ihipStream_tbENKUlT_T0_E_clISt17integral_constantIbLb0EESY_IbLb1EEEEDaSU_SV_EUlSU_E_NS1_11comp_targetILNS1_3genE10ELNS1_11target_archE1200ELNS1_3gpuE4ELNS1_3repE0EEENS1_30default_config_static_selectorELNS0_4arch9wavefront6targetE0EEEvT1_.uses_vcc, 0
	.set _ZN7rocprim17ROCPRIM_400000_NS6detail17trampoline_kernelINS0_14default_configENS1_33run_length_encode_config_selectorItjNS0_4plusIjEEEEZZNS1_33reduce_by_key_impl_wrapped_configILNS1_25lookback_scan_determinismE0ES3_S7_PKtNS0_17constant_iteratorIjlEEPtPlSF_S6_NS0_8equal_toItEEEE10hipError_tPvRmT2_T3_mT4_T5_T6_T7_T8_P12ihipStream_tbENKUlT_T0_E_clISt17integral_constantIbLb0EESY_IbLb1EEEEDaSU_SV_EUlSU_E_NS1_11comp_targetILNS1_3genE10ELNS1_11target_archE1200ELNS1_3gpuE4ELNS1_3repE0EEENS1_30default_config_static_selectorELNS0_4arch9wavefront6targetE0EEEvT1_.uses_flat_scratch, 0
	.set _ZN7rocprim17ROCPRIM_400000_NS6detail17trampoline_kernelINS0_14default_configENS1_33run_length_encode_config_selectorItjNS0_4plusIjEEEEZZNS1_33reduce_by_key_impl_wrapped_configILNS1_25lookback_scan_determinismE0ES3_S7_PKtNS0_17constant_iteratorIjlEEPtPlSF_S6_NS0_8equal_toItEEEE10hipError_tPvRmT2_T3_mT4_T5_T6_T7_T8_P12ihipStream_tbENKUlT_T0_E_clISt17integral_constantIbLb0EESY_IbLb1EEEEDaSU_SV_EUlSU_E_NS1_11comp_targetILNS1_3genE10ELNS1_11target_archE1200ELNS1_3gpuE4ELNS1_3repE0EEENS1_30default_config_static_selectorELNS0_4arch9wavefront6targetE0EEEvT1_.has_dyn_sized_stack, 0
	.set _ZN7rocprim17ROCPRIM_400000_NS6detail17trampoline_kernelINS0_14default_configENS1_33run_length_encode_config_selectorItjNS0_4plusIjEEEEZZNS1_33reduce_by_key_impl_wrapped_configILNS1_25lookback_scan_determinismE0ES3_S7_PKtNS0_17constant_iteratorIjlEEPtPlSF_S6_NS0_8equal_toItEEEE10hipError_tPvRmT2_T3_mT4_T5_T6_T7_T8_P12ihipStream_tbENKUlT_T0_E_clISt17integral_constantIbLb0EESY_IbLb1EEEEDaSU_SV_EUlSU_E_NS1_11comp_targetILNS1_3genE10ELNS1_11target_archE1200ELNS1_3gpuE4ELNS1_3repE0EEENS1_30default_config_static_selectorELNS0_4arch9wavefront6targetE0EEEvT1_.has_recursion, 0
	.set _ZN7rocprim17ROCPRIM_400000_NS6detail17trampoline_kernelINS0_14default_configENS1_33run_length_encode_config_selectorItjNS0_4plusIjEEEEZZNS1_33reduce_by_key_impl_wrapped_configILNS1_25lookback_scan_determinismE0ES3_S7_PKtNS0_17constant_iteratorIjlEEPtPlSF_S6_NS0_8equal_toItEEEE10hipError_tPvRmT2_T3_mT4_T5_T6_T7_T8_P12ihipStream_tbENKUlT_T0_E_clISt17integral_constantIbLb0EESY_IbLb1EEEEDaSU_SV_EUlSU_E_NS1_11comp_targetILNS1_3genE10ELNS1_11target_archE1200ELNS1_3gpuE4ELNS1_3repE0EEENS1_30default_config_static_selectorELNS0_4arch9wavefront6targetE0EEEvT1_.has_indirect_call, 0
	.section	.AMDGPU.csdata,"",@progbits
; Kernel info:
; codeLenInByte = 0
; TotalNumSgprs: 0
; NumVgprs: 0
; ScratchSize: 0
; MemoryBound: 0
; FloatMode: 240
; IeeeMode: 1
; LDSByteSize: 0 bytes/workgroup (compile time only)
; SGPRBlocks: 0
; VGPRBlocks: 0
; NumSGPRsForWavesPerEU: 1
; NumVGPRsForWavesPerEU: 1
; NamedBarCnt: 0
; Occupancy: 16
; WaveLimiterHint : 0
; COMPUTE_PGM_RSRC2:SCRATCH_EN: 0
; COMPUTE_PGM_RSRC2:USER_SGPR: 2
; COMPUTE_PGM_RSRC2:TRAP_HANDLER: 0
; COMPUTE_PGM_RSRC2:TGID_X_EN: 1
; COMPUTE_PGM_RSRC2:TGID_Y_EN: 0
; COMPUTE_PGM_RSRC2:TGID_Z_EN: 0
; COMPUTE_PGM_RSRC2:TIDIG_COMP_CNT: 0
	.section	.text._ZN7rocprim17ROCPRIM_400000_NS6detail17trampoline_kernelINS0_14default_configENS1_33run_length_encode_config_selectorItjNS0_4plusIjEEEEZZNS1_33reduce_by_key_impl_wrapped_configILNS1_25lookback_scan_determinismE0ES3_S7_PKtNS0_17constant_iteratorIjlEEPtPlSF_S6_NS0_8equal_toItEEEE10hipError_tPvRmT2_T3_mT4_T5_T6_T7_T8_P12ihipStream_tbENKUlT_T0_E_clISt17integral_constantIbLb0EESY_IbLb1EEEEDaSU_SV_EUlSU_E_NS1_11comp_targetILNS1_3genE9ELNS1_11target_archE1100ELNS1_3gpuE3ELNS1_3repE0EEENS1_30default_config_static_selectorELNS0_4arch9wavefront6targetE0EEEvT1_,"axG",@progbits,_ZN7rocprim17ROCPRIM_400000_NS6detail17trampoline_kernelINS0_14default_configENS1_33run_length_encode_config_selectorItjNS0_4plusIjEEEEZZNS1_33reduce_by_key_impl_wrapped_configILNS1_25lookback_scan_determinismE0ES3_S7_PKtNS0_17constant_iteratorIjlEEPtPlSF_S6_NS0_8equal_toItEEEE10hipError_tPvRmT2_T3_mT4_T5_T6_T7_T8_P12ihipStream_tbENKUlT_T0_E_clISt17integral_constantIbLb0EESY_IbLb1EEEEDaSU_SV_EUlSU_E_NS1_11comp_targetILNS1_3genE9ELNS1_11target_archE1100ELNS1_3gpuE3ELNS1_3repE0EEENS1_30default_config_static_selectorELNS0_4arch9wavefront6targetE0EEEvT1_,comdat
	.protected	_ZN7rocprim17ROCPRIM_400000_NS6detail17trampoline_kernelINS0_14default_configENS1_33run_length_encode_config_selectorItjNS0_4plusIjEEEEZZNS1_33reduce_by_key_impl_wrapped_configILNS1_25lookback_scan_determinismE0ES3_S7_PKtNS0_17constant_iteratorIjlEEPtPlSF_S6_NS0_8equal_toItEEEE10hipError_tPvRmT2_T3_mT4_T5_T6_T7_T8_P12ihipStream_tbENKUlT_T0_E_clISt17integral_constantIbLb0EESY_IbLb1EEEEDaSU_SV_EUlSU_E_NS1_11comp_targetILNS1_3genE9ELNS1_11target_archE1100ELNS1_3gpuE3ELNS1_3repE0EEENS1_30default_config_static_selectorELNS0_4arch9wavefront6targetE0EEEvT1_ ; -- Begin function _ZN7rocprim17ROCPRIM_400000_NS6detail17trampoline_kernelINS0_14default_configENS1_33run_length_encode_config_selectorItjNS0_4plusIjEEEEZZNS1_33reduce_by_key_impl_wrapped_configILNS1_25lookback_scan_determinismE0ES3_S7_PKtNS0_17constant_iteratorIjlEEPtPlSF_S6_NS0_8equal_toItEEEE10hipError_tPvRmT2_T3_mT4_T5_T6_T7_T8_P12ihipStream_tbENKUlT_T0_E_clISt17integral_constantIbLb0EESY_IbLb1EEEEDaSU_SV_EUlSU_E_NS1_11comp_targetILNS1_3genE9ELNS1_11target_archE1100ELNS1_3gpuE3ELNS1_3repE0EEENS1_30default_config_static_selectorELNS0_4arch9wavefront6targetE0EEEvT1_
	.globl	_ZN7rocprim17ROCPRIM_400000_NS6detail17trampoline_kernelINS0_14default_configENS1_33run_length_encode_config_selectorItjNS0_4plusIjEEEEZZNS1_33reduce_by_key_impl_wrapped_configILNS1_25lookback_scan_determinismE0ES3_S7_PKtNS0_17constant_iteratorIjlEEPtPlSF_S6_NS0_8equal_toItEEEE10hipError_tPvRmT2_T3_mT4_T5_T6_T7_T8_P12ihipStream_tbENKUlT_T0_E_clISt17integral_constantIbLb0EESY_IbLb1EEEEDaSU_SV_EUlSU_E_NS1_11comp_targetILNS1_3genE9ELNS1_11target_archE1100ELNS1_3gpuE3ELNS1_3repE0EEENS1_30default_config_static_selectorELNS0_4arch9wavefront6targetE0EEEvT1_
	.p2align	8
	.type	_ZN7rocprim17ROCPRIM_400000_NS6detail17trampoline_kernelINS0_14default_configENS1_33run_length_encode_config_selectorItjNS0_4plusIjEEEEZZNS1_33reduce_by_key_impl_wrapped_configILNS1_25lookback_scan_determinismE0ES3_S7_PKtNS0_17constant_iteratorIjlEEPtPlSF_S6_NS0_8equal_toItEEEE10hipError_tPvRmT2_T3_mT4_T5_T6_T7_T8_P12ihipStream_tbENKUlT_T0_E_clISt17integral_constantIbLb0EESY_IbLb1EEEEDaSU_SV_EUlSU_E_NS1_11comp_targetILNS1_3genE9ELNS1_11target_archE1100ELNS1_3gpuE3ELNS1_3repE0EEENS1_30default_config_static_selectorELNS0_4arch9wavefront6targetE0EEEvT1_,@function
_ZN7rocprim17ROCPRIM_400000_NS6detail17trampoline_kernelINS0_14default_configENS1_33run_length_encode_config_selectorItjNS0_4plusIjEEEEZZNS1_33reduce_by_key_impl_wrapped_configILNS1_25lookback_scan_determinismE0ES3_S7_PKtNS0_17constant_iteratorIjlEEPtPlSF_S6_NS0_8equal_toItEEEE10hipError_tPvRmT2_T3_mT4_T5_T6_T7_T8_P12ihipStream_tbENKUlT_T0_E_clISt17integral_constantIbLb0EESY_IbLb1EEEEDaSU_SV_EUlSU_E_NS1_11comp_targetILNS1_3genE9ELNS1_11target_archE1100ELNS1_3gpuE3ELNS1_3repE0EEENS1_30default_config_static_selectorELNS0_4arch9wavefront6targetE0EEEvT1_: ; @_ZN7rocprim17ROCPRIM_400000_NS6detail17trampoline_kernelINS0_14default_configENS1_33run_length_encode_config_selectorItjNS0_4plusIjEEEEZZNS1_33reduce_by_key_impl_wrapped_configILNS1_25lookback_scan_determinismE0ES3_S7_PKtNS0_17constant_iteratorIjlEEPtPlSF_S6_NS0_8equal_toItEEEE10hipError_tPvRmT2_T3_mT4_T5_T6_T7_T8_P12ihipStream_tbENKUlT_T0_E_clISt17integral_constantIbLb0EESY_IbLb1EEEEDaSU_SV_EUlSU_E_NS1_11comp_targetILNS1_3genE9ELNS1_11target_archE1100ELNS1_3gpuE3ELNS1_3repE0EEENS1_30default_config_static_selectorELNS0_4arch9wavefront6targetE0EEEvT1_
; %bb.0:
	.section	.rodata,"a",@progbits
	.p2align	6, 0x0
	.amdhsa_kernel _ZN7rocprim17ROCPRIM_400000_NS6detail17trampoline_kernelINS0_14default_configENS1_33run_length_encode_config_selectorItjNS0_4plusIjEEEEZZNS1_33reduce_by_key_impl_wrapped_configILNS1_25lookback_scan_determinismE0ES3_S7_PKtNS0_17constant_iteratorIjlEEPtPlSF_S6_NS0_8equal_toItEEEE10hipError_tPvRmT2_T3_mT4_T5_T6_T7_T8_P12ihipStream_tbENKUlT_T0_E_clISt17integral_constantIbLb0EESY_IbLb1EEEEDaSU_SV_EUlSU_E_NS1_11comp_targetILNS1_3genE9ELNS1_11target_archE1100ELNS1_3gpuE3ELNS1_3repE0EEENS1_30default_config_static_selectorELNS0_4arch9wavefront6targetE0EEEvT1_
		.amdhsa_group_segment_fixed_size 0
		.amdhsa_private_segment_fixed_size 0
		.amdhsa_kernarg_size 128
		.amdhsa_user_sgpr_count 2
		.amdhsa_user_sgpr_dispatch_ptr 0
		.amdhsa_user_sgpr_queue_ptr 0
		.amdhsa_user_sgpr_kernarg_segment_ptr 1
		.amdhsa_user_sgpr_dispatch_id 0
		.amdhsa_user_sgpr_kernarg_preload_length 0
		.amdhsa_user_sgpr_kernarg_preload_offset 0
		.amdhsa_user_sgpr_private_segment_size 0
		.amdhsa_wavefront_size32 1
		.amdhsa_uses_dynamic_stack 0
		.amdhsa_enable_private_segment 0
		.amdhsa_system_sgpr_workgroup_id_x 1
		.amdhsa_system_sgpr_workgroup_id_y 0
		.amdhsa_system_sgpr_workgroup_id_z 0
		.amdhsa_system_sgpr_workgroup_info 0
		.amdhsa_system_vgpr_workitem_id 0
		.amdhsa_next_free_vgpr 1
		.amdhsa_next_free_sgpr 1
		.amdhsa_named_barrier_count 0
		.amdhsa_reserve_vcc 0
		.amdhsa_float_round_mode_32 0
		.amdhsa_float_round_mode_16_64 0
		.amdhsa_float_denorm_mode_32 3
		.amdhsa_float_denorm_mode_16_64 3
		.amdhsa_fp16_overflow 0
		.amdhsa_memory_ordered 1
		.amdhsa_forward_progress 1
		.amdhsa_inst_pref_size 0
		.amdhsa_round_robin_scheduling 0
		.amdhsa_exception_fp_ieee_invalid_op 0
		.amdhsa_exception_fp_denorm_src 0
		.amdhsa_exception_fp_ieee_div_zero 0
		.amdhsa_exception_fp_ieee_overflow 0
		.amdhsa_exception_fp_ieee_underflow 0
		.amdhsa_exception_fp_ieee_inexact 0
		.amdhsa_exception_int_div_zero 0
	.end_amdhsa_kernel
	.section	.text._ZN7rocprim17ROCPRIM_400000_NS6detail17trampoline_kernelINS0_14default_configENS1_33run_length_encode_config_selectorItjNS0_4plusIjEEEEZZNS1_33reduce_by_key_impl_wrapped_configILNS1_25lookback_scan_determinismE0ES3_S7_PKtNS0_17constant_iteratorIjlEEPtPlSF_S6_NS0_8equal_toItEEEE10hipError_tPvRmT2_T3_mT4_T5_T6_T7_T8_P12ihipStream_tbENKUlT_T0_E_clISt17integral_constantIbLb0EESY_IbLb1EEEEDaSU_SV_EUlSU_E_NS1_11comp_targetILNS1_3genE9ELNS1_11target_archE1100ELNS1_3gpuE3ELNS1_3repE0EEENS1_30default_config_static_selectorELNS0_4arch9wavefront6targetE0EEEvT1_,"axG",@progbits,_ZN7rocprim17ROCPRIM_400000_NS6detail17trampoline_kernelINS0_14default_configENS1_33run_length_encode_config_selectorItjNS0_4plusIjEEEEZZNS1_33reduce_by_key_impl_wrapped_configILNS1_25lookback_scan_determinismE0ES3_S7_PKtNS0_17constant_iteratorIjlEEPtPlSF_S6_NS0_8equal_toItEEEE10hipError_tPvRmT2_T3_mT4_T5_T6_T7_T8_P12ihipStream_tbENKUlT_T0_E_clISt17integral_constantIbLb0EESY_IbLb1EEEEDaSU_SV_EUlSU_E_NS1_11comp_targetILNS1_3genE9ELNS1_11target_archE1100ELNS1_3gpuE3ELNS1_3repE0EEENS1_30default_config_static_selectorELNS0_4arch9wavefront6targetE0EEEvT1_,comdat
.Lfunc_end821:
	.size	_ZN7rocprim17ROCPRIM_400000_NS6detail17trampoline_kernelINS0_14default_configENS1_33run_length_encode_config_selectorItjNS0_4plusIjEEEEZZNS1_33reduce_by_key_impl_wrapped_configILNS1_25lookback_scan_determinismE0ES3_S7_PKtNS0_17constant_iteratorIjlEEPtPlSF_S6_NS0_8equal_toItEEEE10hipError_tPvRmT2_T3_mT4_T5_T6_T7_T8_P12ihipStream_tbENKUlT_T0_E_clISt17integral_constantIbLb0EESY_IbLb1EEEEDaSU_SV_EUlSU_E_NS1_11comp_targetILNS1_3genE9ELNS1_11target_archE1100ELNS1_3gpuE3ELNS1_3repE0EEENS1_30default_config_static_selectorELNS0_4arch9wavefront6targetE0EEEvT1_, .Lfunc_end821-_ZN7rocprim17ROCPRIM_400000_NS6detail17trampoline_kernelINS0_14default_configENS1_33run_length_encode_config_selectorItjNS0_4plusIjEEEEZZNS1_33reduce_by_key_impl_wrapped_configILNS1_25lookback_scan_determinismE0ES3_S7_PKtNS0_17constant_iteratorIjlEEPtPlSF_S6_NS0_8equal_toItEEEE10hipError_tPvRmT2_T3_mT4_T5_T6_T7_T8_P12ihipStream_tbENKUlT_T0_E_clISt17integral_constantIbLb0EESY_IbLb1EEEEDaSU_SV_EUlSU_E_NS1_11comp_targetILNS1_3genE9ELNS1_11target_archE1100ELNS1_3gpuE3ELNS1_3repE0EEENS1_30default_config_static_selectorELNS0_4arch9wavefront6targetE0EEEvT1_
                                        ; -- End function
	.set _ZN7rocprim17ROCPRIM_400000_NS6detail17trampoline_kernelINS0_14default_configENS1_33run_length_encode_config_selectorItjNS0_4plusIjEEEEZZNS1_33reduce_by_key_impl_wrapped_configILNS1_25lookback_scan_determinismE0ES3_S7_PKtNS0_17constant_iteratorIjlEEPtPlSF_S6_NS0_8equal_toItEEEE10hipError_tPvRmT2_T3_mT4_T5_T6_T7_T8_P12ihipStream_tbENKUlT_T0_E_clISt17integral_constantIbLb0EESY_IbLb1EEEEDaSU_SV_EUlSU_E_NS1_11comp_targetILNS1_3genE9ELNS1_11target_archE1100ELNS1_3gpuE3ELNS1_3repE0EEENS1_30default_config_static_selectorELNS0_4arch9wavefront6targetE0EEEvT1_.num_vgpr, 0
	.set _ZN7rocprim17ROCPRIM_400000_NS6detail17trampoline_kernelINS0_14default_configENS1_33run_length_encode_config_selectorItjNS0_4plusIjEEEEZZNS1_33reduce_by_key_impl_wrapped_configILNS1_25lookback_scan_determinismE0ES3_S7_PKtNS0_17constant_iteratorIjlEEPtPlSF_S6_NS0_8equal_toItEEEE10hipError_tPvRmT2_T3_mT4_T5_T6_T7_T8_P12ihipStream_tbENKUlT_T0_E_clISt17integral_constantIbLb0EESY_IbLb1EEEEDaSU_SV_EUlSU_E_NS1_11comp_targetILNS1_3genE9ELNS1_11target_archE1100ELNS1_3gpuE3ELNS1_3repE0EEENS1_30default_config_static_selectorELNS0_4arch9wavefront6targetE0EEEvT1_.num_agpr, 0
	.set _ZN7rocprim17ROCPRIM_400000_NS6detail17trampoline_kernelINS0_14default_configENS1_33run_length_encode_config_selectorItjNS0_4plusIjEEEEZZNS1_33reduce_by_key_impl_wrapped_configILNS1_25lookback_scan_determinismE0ES3_S7_PKtNS0_17constant_iteratorIjlEEPtPlSF_S6_NS0_8equal_toItEEEE10hipError_tPvRmT2_T3_mT4_T5_T6_T7_T8_P12ihipStream_tbENKUlT_T0_E_clISt17integral_constantIbLb0EESY_IbLb1EEEEDaSU_SV_EUlSU_E_NS1_11comp_targetILNS1_3genE9ELNS1_11target_archE1100ELNS1_3gpuE3ELNS1_3repE0EEENS1_30default_config_static_selectorELNS0_4arch9wavefront6targetE0EEEvT1_.numbered_sgpr, 0
	.set _ZN7rocprim17ROCPRIM_400000_NS6detail17trampoline_kernelINS0_14default_configENS1_33run_length_encode_config_selectorItjNS0_4plusIjEEEEZZNS1_33reduce_by_key_impl_wrapped_configILNS1_25lookback_scan_determinismE0ES3_S7_PKtNS0_17constant_iteratorIjlEEPtPlSF_S6_NS0_8equal_toItEEEE10hipError_tPvRmT2_T3_mT4_T5_T6_T7_T8_P12ihipStream_tbENKUlT_T0_E_clISt17integral_constantIbLb0EESY_IbLb1EEEEDaSU_SV_EUlSU_E_NS1_11comp_targetILNS1_3genE9ELNS1_11target_archE1100ELNS1_3gpuE3ELNS1_3repE0EEENS1_30default_config_static_selectorELNS0_4arch9wavefront6targetE0EEEvT1_.num_named_barrier, 0
	.set _ZN7rocprim17ROCPRIM_400000_NS6detail17trampoline_kernelINS0_14default_configENS1_33run_length_encode_config_selectorItjNS0_4plusIjEEEEZZNS1_33reduce_by_key_impl_wrapped_configILNS1_25lookback_scan_determinismE0ES3_S7_PKtNS0_17constant_iteratorIjlEEPtPlSF_S6_NS0_8equal_toItEEEE10hipError_tPvRmT2_T3_mT4_T5_T6_T7_T8_P12ihipStream_tbENKUlT_T0_E_clISt17integral_constantIbLb0EESY_IbLb1EEEEDaSU_SV_EUlSU_E_NS1_11comp_targetILNS1_3genE9ELNS1_11target_archE1100ELNS1_3gpuE3ELNS1_3repE0EEENS1_30default_config_static_selectorELNS0_4arch9wavefront6targetE0EEEvT1_.private_seg_size, 0
	.set _ZN7rocprim17ROCPRIM_400000_NS6detail17trampoline_kernelINS0_14default_configENS1_33run_length_encode_config_selectorItjNS0_4plusIjEEEEZZNS1_33reduce_by_key_impl_wrapped_configILNS1_25lookback_scan_determinismE0ES3_S7_PKtNS0_17constant_iteratorIjlEEPtPlSF_S6_NS0_8equal_toItEEEE10hipError_tPvRmT2_T3_mT4_T5_T6_T7_T8_P12ihipStream_tbENKUlT_T0_E_clISt17integral_constantIbLb0EESY_IbLb1EEEEDaSU_SV_EUlSU_E_NS1_11comp_targetILNS1_3genE9ELNS1_11target_archE1100ELNS1_3gpuE3ELNS1_3repE0EEENS1_30default_config_static_selectorELNS0_4arch9wavefront6targetE0EEEvT1_.uses_vcc, 0
	.set _ZN7rocprim17ROCPRIM_400000_NS6detail17trampoline_kernelINS0_14default_configENS1_33run_length_encode_config_selectorItjNS0_4plusIjEEEEZZNS1_33reduce_by_key_impl_wrapped_configILNS1_25lookback_scan_determinismE0ES3_S7_PKtNS0_17constant_iteratorIjlEEPtPlSF_S6_NS0_8equal_toItEEEE10hipError_tPvRmT2_T3_mT4_T5_T6_T7_T8_P12ihipStream_tbENKUlT_T0_E_clISt17integral_constantIbLb0EESY_IbLb1EEEEDaSU_SV_EUlSU_E_NS1_11comp_targetILNS1_3genE9ELNS1_11target_archE1100ELNS1_3gpuE3ELNS1_3repE0EEENS1_30default_config_static_selectorELNS0_4arch9wavefront6targetE0EEEvT1_.uses_flat_scratch, 0
	.set _ZN7rocprim17ROCPRIM_400000_NS6detail17trampoline_kernelINS0_14default_configENS1_33run_length_encode_config_selectorItjNS0_4plusIjEEEEZZNS1_33reduce_by_key_impl_wrapped_configILNS1_25lookback_scan_determinismE0ES3_S7_PKtNS0_17constant_iteratorIjlEEPtPlSF_S6_NS0_8equal_toItEEEE10hipError_tPvRmT2_T3_mT4_T5_T6_T7_T8_P12ihipStream_tbENKUlT_T0_E_clISt17integral_constantIbLb0EESY_IbLb1EEEEDaSU_SV_EUlSU_E_NS1_11comp_targetILNS1_3genE9ELNS1_11target_archE1100ELNS1_3gpuE3ELNS1_3repE0EEENS1_30default_config_static_selectorELNS0_4arch9wavefront6targetE0EEEvT1_.has_dyn_sized_stack, 0
	.set _ZN7rocprim17ROCPRIM_400000_NS6detail17trampoline_kernelINS0_14default_configENS1_33run_length_encode_config_selectorItjNS0_4plusIjEEEEZZNS1_33reduce_by_key_impl_wrapped_configILNS1_25lookback_scan_determinismE0ES3_S7_PKtNS0_17constant_iteratorIjlEEPtPlSF_S6_NS0_8equal_toItEEEE10hipError_tPvRmT2_T3_mT4_T5_T6_T7_T8_P12ihipStream_tbENKUlT_T0_E_clISt17integral_constantIbLb0EESY_IbLb1EEEEDaSU_SV_EUlSU_E_NS1_11comp_targetILNS1_3genE9ELNS1_11target_archE1100ELNS1_3gpuE3ELNS1_3repE0EEENS1_30default_config_static_selectorELNS0_4arch9wavefront6targetE0EEEvT1_.has_recursion, 0
	.set _ZN7rocprim17ROCPRIM_400000_NS6detail17trampoline_kernelINS0_14default_configENS1_33run_length_encode_config_selectorItjNS0_4plusIjEEEEZZNS1_33reduce_by_key_impl_wrapped_configILNS1_25lookback_scan_determinismE0ES3_S7_PKtNS0_17constant_iteratorIjlEEPtPlSF_S6_NS0_8equal_toItEEEE10hipError_tPvRmT2_T3_mT4_T5_T6_T7_T8_P12ihipStream_tbENKUlT_T0_E_clISt17integral_constantIbLb0EESY_IbLb1EEEEDaSU_SV_EUlSU_E_NS1_11comp_targetILNS1_3genE9ELNS1_11target_archE1100ELNS1_3gpuE3ELNS1_3repE0EEENS1_30default_config_static_selectorELNS0_4arch9wavefront6targetE0EEEvT1_.has_indirect_call, 0
	.section	.AMDGPU.csdata,"",@progbits
; Kernel info:
; codeLenInByte = 0
; TotalNumSgprs: 0
; NumVgprs: 0
; ScratchSize: 0
; MemoryBound: 0
; FloatMode: 240
; IeeeMode: 1
; LDSByteSize: 0 bytes/workgroup (compile time only)
; SGPRBlocks: 0
; VGPRBlocks: 0
; NumSGPRsForWavesPerEU: 1
; NumVGPRsForWavesPerEU: 1
; NamedBarCnt: 0
; Occupancy: 16
; WaveLimiterHint : 0
; COMPUTE_PGM_RSRC2:SCRATCH_EN: 0
; COMPUTE_PGM_RSRC2:USER_SGPR: 2
; COMPUTE_PGM_RSRC2:TRAP_HANDLER: 0
; COMPUTE_PGM_RSRC2:TGID_X_EN: 1
; COMPUTE_PGM_RSRC2:TGID_Y_EN: 0
; COMPUTE_PGM_RSRC2:TGID_Z_EN: 0
; COMPUTE_PGM_RSRC2:TIDIG_COMP_CNT: 0
	.section	.text._ZN7rocprim17ROCPRIM_400000_NS6detail17trampoline_kernelINS0_14default_configENS1_33run_length_encode_config_selectorItjNS0_4plusIjEEEEZZNS1_33reduce_by_key_impl_wrapped_configILNS1_25lookback_scan_determinismE0ES3_S7_PKtNS0_17constant_iteratorIjlEEPtPlSF_S6_NS0_8equal_toItEEEE10hipError_tPvRmT2_T3_mT4_T5_T6_T7_T8_P12ihipStream_tbENKUlT_T0_E_clISt17integral_constantIbLb0EESY_IbLb1EEEEDaSU_SV_EUlSU_E_NS1_11comp_targetILNS1_3genE8ELNS1_11target_archE1030ELNS1_3gpuE2ELNS1_3repE0EEENS1_30default_config_static_selectorELNS0_4arch9wavefront6targetE0EEEvT1_,"axG",@progbits,_ZN7rocprim17ROCPRIM_400000_NS6detail17trampoline_kernelINS0_14default_configENS1_33run_length_encode_config_selectorItjNS0_4plusIjEEEEZZNS1_33reduce_by_key_impl_wrapped_configILNS1_25lookback_scan_determinismE0ES3_S7_PKtNS0_17constant_iteratorIjlEEPtPlSF_S6_NS0_8equal_toItEEEE10hipError_tPvRmT2_T3_mT4_T5_T6_T7_T8_P12ihipStream_tbENKUlT_T0_E_clISt17integral_constantIbLb0EESY_IbLb1EEEEDaSU_SV_EUlSU_E_NS1_11comp_targetILNS1_3genE8ELNS1_11target_archE1030ELNS1_3gpuE2ELNS1_3repE0EEENS1_30default_config_static_selectorELNS0_4arch9wavefront6targetE0EEEvT1_,comdat
	.protected	_ZN7rocprim17ROCPRIM_400000_NS6detail17trampoline_kernelINS0_14default_configENS1_33run_length_encode_config_selectorItjNS0_4plusIjEEEEZZNS1_33reduce_by_key_impl_wrapped_configILNS1_25lookback_scan_determinismE0ES3_S7_PKtNS0_17constant_iteratorIjlEEPtPlSF_S6_NS0_8equal_toItEEEE10hipError_tPvRmT2_T3_mT4_T5_T6_T7_T8_P12ihipStream_tbENKUlT_T0_E_clISt17integral_constantIbLb0EESY_IbLb1EEEEDaSU_SV_EUlSU_E_NS1_11comp_targetILNS1_3genE8ELNS1_11target_archE1030ELNS1_3gpuE2ELNS1_3repE0EEENS1_30default_config_static_selectorELNS0_4arch9wavefront6targetE0EEEvT1_ ; -- Begin function _ZN7rocprim17ROCPRIM_400000_NS6detail17trampoline_kernelINS0_14default_configENS1_33run_length_encode_config_selectorItjNS0_4plusIjEEEEZZNS1_33reduce_by_key_impl_wrapped_configILNS1_25lookback_scan_determinismE0ES3_S7_PKtNS0_17constant_iteratorIjlEEPtPlSF_S6_NS0_8equal_toItEEEE10hipError_tPvRmT2_T3_mT4_T5_T6_T7_T8_P12ihipStream_tbENKUlT_T0_E_clISt17integral_constantIbLb0EESY_IbLb1EEEEDaSU_SV_EUlSU_E_NS1_11comp_targetILNS1_3genE8ELNS1_11target_archE1030ELNS1_3gpuE2ELNS1_3repE0EEENS1_30default_config_static_selectorELNS0_4arch9wavefront6targetE0EEEvT1_
	.globl	_ZN7rocprim17ROCPRIM_400000_NS6detail17trampoline_kernelINS0_14default_configENS1_33run_length_encode_config_selectorItjNS0_4plusIjEEEEZZNS1_33reduce_by_key_impl_wrapped_configILNS1_25lookback_scan_determinismE0ES3_S7_PKtNS0_17constant_iteratorIjlEEPtPlSF_S6_NS0_8equal_toItEEEE10hipError_tPvRmT2_T3_mT4_T5_T6_T7_T8_P12ihipStream_tbENKUlT_T0_E_clISt17integral_constantIbLb0EESY_IbLb1EEEEDaSU_SV_EUlSU_E_NS1_11comp_targetILNS1_3genE8ELNS1_11target_archE1030ELNS1_3gpuE2ELNS1_3repE0EEENS1_30default_config_static_selectorELNS0_4arch9wavefront6targetE0EEEvT1_
	.p2align	8
	.type	_ZN7rocprim17ROCPRIM_400000_NS6detail17trampoline_kernelINS0_14default_configENS1_33run_length_encode_config_selectorItjNS0_4plusIjEEEEZZNS1_33reduce_by_key_impl_wrapped_configILNS1_25lookback_scan_determinismE0ES3_S7_PKtNS0_17constant_iteratorIjlEEPtPlSF_S6_NS0_8equal_toItEEEE10hipError_tPvRmT2_T3_mT4_T5_T6_T7_T8_P12ihipStream_tbENKUlT_T0_E_clISt17integral_constantIbLb0EESY_IbLb1EEEEDaSU_SV_EUlSU_E_NS1_11comp_targetILNS1_3genE8ELNS1_11target_archE1030ELNS1_3gpuE2ELNS1_3repE0EEENS1_30default_config_static_selectorELNS0_4arch9wavefront6targetE0EEEvT1_,@function
_ZN7rocprim17ROCPRIM_400000_NS6detail17trampoline_kernelINS0_14default_configENS1_33run_length_encode_config_selectorItjNS0_4plusIjEEEEZZNS1_33reduce_by_key_impl_wrapped_configILNS1_25lookback_scan_determinismE0ES3_S7_PKtNS0_17constant_iteratorIjlEEPtPlSF_S6_NS0_8equal_toItEEEE10hipError_tPvRmT2_T3_mT4_T5_T6_T7_T8_P12ihipStream_tbENKUlT_T0_E_clISt17integral_constantIbLb0EESY_IbLb1EEEEDaSU_SV_EUlSU_E_NS1_11comp_targetILNS1_3genE8ELNS1_11target_archE1030ELNS1_3gpuE2ELNS1_3repE0EEENS1_30default_config_static_selectorELNS0_4arch9wavefront6targetE0EEEvT1_: ; @_ZN7rocprim17ROCPRIM_400000_NS6detail17trampoline_kernelINS0_14default_configENS1_33run_length_encode_config_selectorItjNS0_4plusIjEEEEZZNS1_33reduce_by_key_impl_wrapped_configILNS1_25lookback_scan_determinismE0ES3_S7_PKtNS0_17constant_iteratorIjlEEPtPlSF_S6_NS0_8equal_toItEEEE10hipError_tPvRmT2_T3_mT4_T5_T6_T7_T8_P12ihipStream_tbENKUlT_T0_E_clISt17integral_constantIbLb0EESY_IbLb1EEEEDaSU_SV_EUlSU_E_NS1_11comp_targetILNS1_3genE8ELNS1_11target_archE1030ELNS1_3gpuE2ELNS1_3repE0EEENS1_30default_config_static_selectorELNS0_4arch9wavefront6targetE0EEEvT1_
; %bb.0:
	.section	.rodata,"a",@progbits
	.p2align	6, 0x0
	.amdhsa_kernel _ZN7rocprim17ROCPRIM_400000_NS6detail17trampoline_kernelINS0_14default_configENS1_33run_length_encode_config_selectorItjNS0_4plusIjEEEEZZNS1_33reduce_by_key_impl_wrapped_configILNS1_25lookback_scan_determinismE0ES3_S7_PKtNS0_17constant_iteratorIjlEEPtPlSF_S6_NS0_8equal_toItEEEE10hipError_tPvRmT2_T3_mT4_T5_T6_T7_T8_P12ihipStream_tbENKUlT_T0_E_clISt17integral_constantIbLb0EESY_IbLb1EEEEDaSU_SV_EUlSU_E_NS1_11comp_targetILNS1_3genE8ELNS1_11target_archE1030ELNS1_3gpuE2ELNS1_3repE0EEENS1_30default_config_static_selectorELNS0_4arch9wavefront6targetE0EEEvT1_
		.amdhsa_group_segment_fixed_size 0
		.amdhsa_private_segment_fixed_size 0
		.amdhsa_kernarg_size 128
		.amdhsa_user_sgpr_count 2
		.amdhsa_user_sgpr_dispatch_ptr 0
		.amdhsa_user_sgpr_queue_ptr 0
		.amdhsa_user_sgpr_kernarg_segment_ptr 1
		.amdhsa_user_sgpr_dispatch_id 0
		.amdhsa_user_sgpr_kernarg_preload_length 0
		.amdhsa_user_sgpr_kernarg_preload_offset 0
		.amdhsa_user_sgpr_private_segment_size 0
		.amdhsa_wavefront_size32 1
		.amdhsa_uses_dynamic_stack 0
		.amdhsa_enable_private_segment 0
		.amdhsa_system_sgpr_workgroup_id_x 1
		.amdhsa_system_sgpr_workgroup_id_y 0
		.amdhsa_system_sgpr_workgroup_id_z 0
		.amdhsa_system_sgpr_workgroup_info 0
		.amdhsa_system_vgpr_workitem_id 0
		.amdhsa_next_free_vgpr 1
		.amdhsa_next_free_sgpr 1
		.amdhsa_named_barrier_count 0
		.amdhsa_reserve_vcc 0
		.amdhsa_float_round_mode_32 0
		.amdhsa_float_round_mode_16_64 0
		.amdhsa_float_denorm_mode_32 3
		.amdhsa_float_denorm_mode_16_64 3
		.amdhsa_fp16_overflow 0
		.amdhsa_memory_ordered 1
		.amdhsa_forward_progress 1
		.amdhsa_inst_pref_size 0
		.amdhsa_round_robin_scheduling 0
		.amdhsa_exception_fp_ieee_invalid_op 0
		.amdhsa_exception_fp_denorm_src 0
		.amdhsa_exception_fp_ieee_div_zero 0
		.amdhsa_exception_fp_ieee_overflow 0
		.amdhsa_exception_fp_ieee_underflow 0
		.amdhsa_exception_fp_ieee_inexact 0
		.amdhsa_exception_int_div_zero 0
	.end_amdhsa_kernel
	.section	.text._ZN7rocprim17ROCPRIM_400000_NS6detail17trampoline_kernelINS0_14default_configENS1_33run_length_encode_config_selectorItjNS0_4plusIjEEEEZZNS1_33reduce_by_key_impl_wrapped_configILNS1_25lookback_scan_determinismE0ES3_S7_PKtNS0_17constant_iteratorIjlEEPtPlSF_S6_NS0_8equal_toItEEEE10hipError_tPvRmT2_T3_mT4_T5_T6_T7_T8_P12ihipStream_tbENKUlT_T0_E_clISt17integral_constantIbLb0EESY_IbLb1EEEEDaSU_SV_EUlSU_E_NS1_11comp_targetILNS1_3genE8ELNS1_11target_archE1030ELNS1_3gpuE2ELNS1_3repE0EEENS1_30default_config_static_selectorELNS0_4arch9wavefront6targetE0EEEvT1_,"axG",@progbits,_ZN7rocprim17ROCPRIM_400000_NS6detail17trampoline_kernelINS0_14default_configENS1_33run_length_encode_config_selectorItjNS0_4plusIjEEEEZZNS1_33reduce_by_key_impl_wrapped_configILNS1_25lookback_scan_determinismE0ES3_S7_PKtNS0_17constant_iteratorIjlEEPtPlSF_S6_NS0_8equal_toItEEEE10hipError_tPvRmT2_T3_mT4_T5_T6_T7_T8_P12ihipStream_tbENKUlT_T0_E_clISt17integral_constantIbLb0EESY_IbLb1EEEEDaSU_SV_EUlSU_E_NS1_11comp_targetILNS1_3genE8ELNS1_11target_archE1030ELNS1_3gpuE2ELNS1_3repE0EEENS1_30default_config_static_selectorELNS0_4arch9wavefront6targetE0EEEvT1_,comdat
.Lfunc_end822:
	.size	_ZN7rocprim17ROCPRIM_400000_NS6detail17trampoline_kernelINS0_14default_configENS1_33run_length_encode_config_selectorItjNS0_4plusIjEEEEZZNS1_33reduce_by_key_impl_wrapped_configILNS1_25lookback_scan_determinismE0ES3_S7_PKtNS0_17constant_iteratorIjlEEPtPlSF_S6_NS0_8equal_toItEEEE10hipError_tPvRmT2_T3_mT4_T5_T6_T7_T8_P12ihipStream_tbENKUlT_T0_E_clISt17integral_constantIbLb0EESY_IbLb1EEEEDaSU_SV_EUlSU_E_NS1_11comp_targetILNS1_3genE8ELNS1_11target_archE1030ELNS1_3gpuE2ELNS1_3repE0EEENS1_30default_config_static_selectorELNS0_4arch9wavefront6targetE0EEEvT1_, .Lfunc_end822-_ZN7rocprim17ROCPRIM_400000_NS6detail17trampoline_kernelINS0_14default_configENS1_33run_length_encode_config_selectorItjNS0_4plusIjEEEEZZNS1_33reduce_by_key_impl_wrapped_configILNS1_25lookback_scan_determinismE0ES3_S7_PKtNS0_17constant_iteratorIjlEEPtPlSF_S6_NS0_8equal_toItEEEE10hipError_tPvRmT2_T3_mT4_T5_T6_T7_T8_P12ihipStream_tbENKUlT_T0_E_clISt17integral_constantIbLb0EESY_IbLb1EEEEDaSU_SV_EUlSU_E_NS1_11comp_targetILNS1_3genE8ELNS1_11target_archE1030ELNS1_3gpuE2ELNS1_3repE0EEENS1_30default_config_static_selectorELNS0_4arch9wavefront6targetE0EEEvT1_
                                        ; -- End function
	.set _ZN7rocprim17ROCPRIM_400000_NS6detail17trampoline_kernelINS0_14default_configENS1_33run_length_encode_config_selectorItjNS0_4plusIjEEEEZZNS1_33reduce_by_key_impl_wrapped_configILNS1_25lookback_scan_determinismE0ES3_S7_PKtNS0_17constant_iteratorIjlEEPtPlSF_S6_NS0_8equal_toItEEEE10hipError_tPvRmT2_T3_mT4_T5_T6_T7_T8_P12ihipStream_tbENKUlT_T0_E_clISt17integral_constantIbLb0EESY_IbLb1EEEEDaSU_SV_EUlSU_E_NS1_11comp_targetILNS1_3genE8ELNS1_11target_archE1030ELNS1_3gpuE2ELNS1_3repE0EEENS1_30default_config_static_selectorELNS0_4arch9wavefront6targetE0EEEvT1_.num_vgpr, 0
	.set _ZN7rocprim17ROCPRIM_400000_NS6detail17trampoline_kernelINS0_14default_configENS1_33run_length_encode_config_selectorItjNS0_4plusIjEEEEZZNS1_33reduce_by_key_impl_wrapped_configILNS1_25lookback_scan_determinismE0ES3_S7_PKtNS0_17constant_iteratorIjlEEPtPlSF_S6_NS0_8equal_toItEEEE10hipError_tPvRmT2_T3_mT4_T5_T6_T7_T8_P12ihipStream_tbENKUlT_T0_E_clISt17integral_constantIbLb0EESY_IbLb1EEEEDaSU_SV_EUlSU_E_NS1_11comp_targetILNS1_3genE8ELNS1_11target_archE1030ELNS1_3gpuE2ELNS1_3repE0EEENS1_30default_config_static_selectorELNS0_4arch9wavefront6targetE0EEEvT1_.num_agpr, 0
	.set _ZN7rocprim17ROCPRIM_400000_NS6detail17trampoline_kernelINS0_14default_configENS1_33run_length_encode_config_selectorItjNS0_4plusIjEEEEZZNS1_33reduce_by_key_impl_wrapped_configILNS1_25lookback_scan_determinismE0ES3_S7_PKtNS0_17constant_iteratorIjlEEPtPlSF_S6_NS0_8equal_toItEEEE10hipError_tPvRmT2_T3_mT4_T5_T6_T7_T8_P12ihipStream_tbENKUlT_T0_E_clISt17integral_constantIbLb0EESY_IbLb1EEEEDaSU_SV_EUlSU_E_NS1_11comp_targetILNS1_3genE8ELNS1_11target_archE1030ELNS1_3gpuE2ELNS1_3repE0EEENS1_30default_config_static_selectorELNS0_4arch9wavefront6targetE0EEEvT1_.numbered_sgpr, 0
	.set _ZN7rocprim17ROCPRIM_400000_NS6detail17trampoline_kernelINS0_14default_configENS1_33run_length_encode_config_selectorItjNS0_4plusIjEEEEZZNS1_33reduce_by_key_impl_wrapped_configILNS1_25lookback_scan_determinismE0ES3_S7_PKtNS0_17constant_iteratorIjlEEPtPlSF_S6_NS0_8equal_toItEEEE10hipError_tPvRmT2_T3_mT4_T5_T6_T7_T8_P12ihipStream_tbENKUlT_T0_E_clISt17integral_constantIbLb0EESY_IbLb1EEEEDaSU_SV_EUlSU_E_NS1_11comp_targetILNS1_3genE8ELNS1_11target_archE1030ELNS1_3gpuE2ELNS1_3repE0EEENS1_30default_config_static_selectorELNS0_4arch9wavefront6targetE0EEEvT1_.num_named_barrier, 0
	.set _ZN7rocprim17ROCPRIM_400000_NS6detail17trampoline_kernelINS0_14default_configENS1_33run_length_encode_config_selectorItjNS0_4plusIjEEEEZZNS1_33reduce_by_key_impl_wrapped_configILNS1_25lookback_scan_determinismE0ES3_S7_PKtNS0_17constant_iteratorIjlEEPtPlSF_S6_NS0_8equal_toItEEEE10hipError_tPvRmT2_T3_mT4_T5_T6_T7_T8_P12ihipStream_tbENKUlT_T0_E_clISt17integral_constantIbLb0EESY_IbLb1EEEEDaSU_SV_EUlSU_E_NS1_11comp_targetILNS1_3genE8ELNS1_11target_archE1030ELNS1_3gpuE2ELNS1_3repE0EEENS1_30default_config_static_selectorELNS0_4arch9wavefront6targetE0EEEvT1_.private_seg_size, 0
	.set _ZN7rocprim17ROCPRIM_400000_NS6detail17trampoline_kernelINS0_14default_configENS1_33run_length_encode_config_selectorItjNS0_4plusIjEEEEZZNS1_33reduce_by_key_impl_wrapped_configILNS1_25lookback_scan_determinismE0ES3_S7_PKtNS0_17constant_iteratorIjlEEPtPlSF_S6_NS0_8equal_toItEEEE10hipError_tPvRmT2_T3_mT4_T5_T6_T7_T8_P12ihipStream_tbENKUlT_T0_E_clISt17integral_constantIbLb0EESY_IbLb1EEEEDaSU_SV_EUlSU_E_NS1_11comp_targetILNS1_3genE8ELNS1_11target_archE1030ELNS1_3gpuE2ELNS1_3repE0EEENS1_30default_config_static_selectorELNS0_4arch9wavefront6targetE0EEEvT1_.uses_vcc, 0
	.set _ZN7rocprim17ROCPRIM_400000_NS6detail17trampoline_kernelINS0_14default_configENS1_33run_length_encode_config_selectorItjNS0_4plusIjEEEEZZNS1_33reduce_by_key_impl_wrapped_configILNS1_25lookback_scan_determinismE0ES3_S7_PKtNS0_17constant_iteratorIjlEEPtPlSF_S6_NS0_8equal_toItEEEE10hipError_tPvRmT2_T3_mT4_T5_T6_T7_T8_P12ihipStream_tbENKUlT_T0_E_clISt17integral_constantIbLb0EESY_IbLb1EEEEDaSU_SV_EUlSU_E_NS1_11comp_targetILNS1_3genE8ELNS1_11target_archE1030ELNS1_3gpuE2ELNS1_3repE0EEENS1_30default_config_static_selectorELNS0_4arch9wavefront6targetE0EEEvT1_.uses_flat_scratch, 0
	.set _ZN7rocprim17ROCPRIM_400000_NS6detail17trampoline_kernelINS0_14default_configENS1_33run_length_encode_config_selectorItjNS0_4plusIjEEEEZZNS1_33reduce_by_key_impl_wrapped_configILNS1_25lookback_scan_determinismE0ES3_S7_PKtNS0_17constant_iteratorIjlEEPtPlSF_S6_NS0_8equal_toItEEEE10hipError_tPvRmT2_T3_mT4_T5_T6_T7_T8_P12ihipStream_tbENKUlT_T0_E_clISt17integral_constantIbLb0EESY_IbLb1EEEEDaSU_SV_EUlSU_E_NS1_11comp_targetILNS1_3genE8ELNS1_11target_archE1030ELNS1_3gpuE2ELNS1_3repE0EEENS1_30default_config_static_selectorELNS0_4arch9wavefront6targetE0EEEvT1_.has_dyn_sized_stack, 0
	.set _ZN7rocprim17ROCPRIM_400000_NS6detail17trampoline_kernelINS0_14default_configENS1_33run_length_encode_config_selectorItjNS0_4plusIjEEEEZZNS1_33reduce_by_key_impl_wrapped_configILNS1_25lookback_scan_determinismE0ES3_S7_PKtNS0_17constant_iteratorIjlEEPtPlSF_S6_NS0_8equal_toItEEEE10hipError_tPvRmT2_T3_mT4_T5_T6_T7_T8_P12ihipStream_tbENKUlT_T0_E_clISt17integral_constantIbLb0EESY_IbLb1EEEEDaSU_SV_EUlSU_E_NS1_11comp_targetILNS1_3genE8ELNS1_11target_archE1030ELNS1_3gpuE2ELNS1_3repE0EEENS1_30default_config_static_selectorELNS0_4arch9wavefront6targetE0EEEvT1_.has_recursion, 0
	.set _ZN7rocprim17ROCPRIM_400000_NS6detail17trampoline_kernelINS0_14default_configENS1_33run_length_encode_config_selectorItjNS0_4plusIjEEEEZZNS1_33reduce_by_key_impl_wrapped_configILNS1_25lookback_scan_determinismE0ES3_S7_PKtNS0_17constant_iteratorIjlEEPtPlSF_S6_NS0_8equal_toItEEEE10hipError_tPvRmT2_T3_mT4_T5_T6_T7_T8_P12ihipStream_tbENKUlT_T0_E_clISt17integral_constantIbLb0EESY_IbLb1EEEEDaSU_SV_EUlSU_E_NS1_11comp_targetILNS1_3genE8ELNS1_11target_archE1030ELNS1_3gpuE2ELNS1_3repE0EEENS1_30default_config_static_selectorELNS0_4arch9wavefront6targetE0EEEvT1_.has_indirect_call, 0
	.section	.AMDGPU.csdata,"",@progbits
; Kernel info:
; codeLenInByte = 0
; TotalNumSgprs: 0
; NumVgprs: 0
; ScratchSize: 0
; MemoryBound: 0
; FloatMode: 240
; IeeeMode: 1
; LDSByteSize: 0 bytes/workgroup (compile time only)
; SGPRBlocks: 0
; VGPRBlocks: 0
; NumSGPRsForWavesPerEU: 1
; NumVGPRsForWavesPerEU: 1
; NamedBarCnt: 0
; Occupancy: 16
; WaveLimiterHint : 0
; COMPUTE_PGM_RSRC2:SCRATCH_EN: 0
; COMPUTE_PGM_RSRC2:USER_SGPR: 2
; COMPUTE_PGM_RSRC2:TRAP_HANDLER: 0
; COMPUTE_PGM_RSRC2:TGID_X_EN: 1
; COMPUTE_PGM_RSRC2:TGID_Y_EN: 0
; COMPUTE_PGM_RSRC2:TGID_Z_EN: 0
; COMPUTE_PGM_RSRC2:TIDIG_COMP_CNT: 0
	.section	.text._ZN2at6native8internal12_GLOBAL__N_126adjacent_difference_kernelIPKN3c108BFloat16EEEvlT_Pi,"axG",@progbits,_ZN2at6native8internal12_GLOBAL__N_126adjacent_difference_kernelIPKN3c108BFloat16EEEvlT_Pi,comdat
	.globl	_ZN2at6native8internal12_GLOBAL__N_126adjacent_difference_kernelIPKN3c108BFloat16EEEvlT_Pi ; -- Begin function _ZN2at6native8internal12_GLOBAL__N_126adjacent_difference_kernelIPKN3c108BFloat16EEEvlT_Pi
	.p2align	8
	.type	_ZN2at6native8internal12_GLOBAL__N_126adjacent_difference_kernelIPKN3c108BFloat16EEEvlT_Pi,@function
_ZN2at6native8internal12_GLOBAL__N_126adjacent_difference_kernelIPKN3c108BFloat16EEEvlT_Pi: ; @_ZN2at6native8internal12_GLOBAL__N_126adjacent_difference_kernelIPKN3c108BFloat16EEEvlT_Pi
; %bb.0:
	s_clause 0x1
	s_load_b32 s2, s[0:1], 0x24
	s_load_b128 s[4:7], s[0:1], 0x0
	s_bfe_u32 s9, ttmp6, 0x4000c
	s_and_b32 s8, ttmp6, 15
	s_add_co_i32 s9, s9, 1
	s_getreg_b32 s10, hwreg(HW_REG_IB_STS2, 6, 4)
	s_mul_i32 s9, ttmp9, s9
	s_mov_b32 s3, 0
	s_add_co_i32 s8, s8, s9
	s_cmp_eq_u32 s10, 0
	v_mov_b32_e32 v1, 0
	s_mov_b32 s15, s3
	s_cselect_b32 s14, ttmp9, s8
	s_mov_b32 s13, s3
	s_wait_kmcnt 0x0
	s_and_b32 s12, s2, 0xffff
	s_mov_b32 s2, exec_lo
	s_mul_u64 s[8:9], s[12:13], s[14:15]
	s_delay_alu instid0(SALU_CYCLE_1) | instskip(NEXT) | instid1(VALU_DEP_1)
	v_add_nc_u64_e32 v[4:5], s[8:9], v[0:1]
	v_cmpx_gt_i64_e64 s[4:5], v[4:5]
	s_cbranch_execz .LBB823_5
; %bb.1:
	s_add_nc_u64 s[16:17], s[0:1], 24
	v_dual_mov_b32 v2, v1 :: v_dual_mov_b32 v3, v4
	s_load_b32 s2, s[16:17], 0x0
	s_load_b64 s[10:11], s[0:1], 0x10
	s_mul_i32 s13, s14, s12
	s_wait_xcnt 0x0
	s_mov_b32 s0, s3
	s_wait_kmcnt 0x0
	s_mul_i32 s2, s2, s12
	s_mov_b32 s12, s3
	s_mov_b32 s1, s2
	s_branch .LBB823_3
.LBB823_2:                              ;   in Loop: Header=BB823_3 Depth=1
	s_or_b32 exec_lo, exec_lo, s14
	v_add_nc_u64_e32 v[0:1], s[2:3], v[0:1]
	v_ashrrev_i64 v[8:9], 30, v[2:3]
	v_add_nc_u64_e32 v[2:3], s[0:1], v[2:3]
	s_delay_alu instid0(VALU_DEP_3) | instskip(NEXT) | instid1(VALU_DEP_1)
	v_add_nc_u64_e32 v[6:7], s[8:9], v[0:1]
	v_cmp_le_i64_e32 vcc_lo, s[4:5], v[6:7]
	s_delay_alu instid0(VALU_DEP_4)
	v_add_nc_u64_e32 v[6:7], s[10:11], v[8:9]
	s_or_b32 s12, vcc_lo, s12
	global_store_b32 v[6:7], v4, off
	s_wait_xcnt 0x0
	s_and_not1_b32 exec_lo, exec_lo, s12
	s_cbranch_execz .LBB823_5
.LBB823_3:                              ; =>This Inner Loop Header: Depth=1
	v_dual_mov_b32 v4, 0 :: v_dual_add_nc_u32 v5, s13, v0
	s_mov_b32 s14, exec_lo
	s_delay_alu instid0(VALU_DEP_1)
	v_cmpx_lt_i32_e32 0, v5
	s_cbranch_execz .LBB823_2
; %bb.4:                                ;   in Loop: Header=BB823_3 Depth=1
	v_add_nc_u32_e32 v4, s8, v0
	s_delay_alu instid0(VALU_DEP_1)
	v_add_nc_u32_e32 v5, -1, v4
	s_clause 0x1
	global_load_u16 v6, v4, s[6:7] scale_offset
	global_load_u16 v7, v5, s[6:7] scale_offset
	s_wait_loadcnt 0x0
	s_wait_xcnt 0x0
	v_dual_lshlrev_b32 v4, 16, v6 :: v_dual_lshlrev_b32 v5, 16, v7
	s_delay_alu instid0(VALU_DEP_1)
	v_cmp_neq_f32_e32 vcc_lo, v4, v5
	v_cndmask_b32_e64 v4, 0, 1, vcc_lo
	s_branch .LBB823_2
.LBB823_5:
	s_endpgm
	.section	.rodata,"a",@progbits
	.p2align	6, 0x0
	.amdhsa_kernel _ZN2at6native8internal12_GLOBAL__N_126adjacent_difference_kernelIPKN3c108BFloat16EEEvlT_Pi
		.amdhsa_group_segment_fixed_size 0
		.amdhsa_private_segment_fixed_size 0
		.amdhsa_kernarg_size 280
		.amdhsa_user_sgpr_count 2
		.amdhsa_user_sgpr_dispatch_ptr 0
		.amdhsa_user_sgpr_queue_ptr 0
		.amdhsa_user_sgpr_kernarg_segment_ptr 1
		.amdhsa_user_sgpr_dispatch_id 0
		.amdhsa_user_sgpr_kernarg_preload_length 0
		.amdhsa_user_sgpr_kernarg_preload_offset 0
		.amdhsa_user_sgpr_private_segment_size 0
		.amdhsa_wavefront_size32 1
		.amdhsa_uses_dynamic_stack 0
		.amdhsa_enable_private_segment 0
		.amdhsa_system_sgpr_workgroup_id_x 1
		.amdhsa_system_sgpr_workgroup_id_y 0
		.amdhsa_system_sgpr_workgroup_id_z 0
		.amdhsa_system_sgpr_workgroup_info 0
		.amdhsa_system_vgpr_workitem_id 0
		.amdhsa_next_free_vgpr 10
		.amdhsa_next_free_sgpr 18
		.amdhsa_named_barrier_count 0
		.amdhsa_reserve_vcc 1
		.amdhsa_float_round_mode_32 0
		.amdhsa_float_round_mode_16_64 0
		.amdhsa_float_denorm_mode_32 3
		.amdhsa_float_denorm_mode_16_64 3
		.amdhsa_fp16_overflow 0
		.amdhsa_memory_ordered 1
		.amdhsa_forward_progress 1
		.amdhsa_inst_pref_size 3
		.amdhsa_round_robin_scheduling 0
		.amdhsa_exception_fp_ieee_invalid_op 0
		.amdhsa_exception_fp_denorm_src 0
		.amdhsa_exception_fp_ieee_div_zero 0
		.amdhsa_exception_fp_ieee_overflow 0
		.amdhsa_exception_fp_ieee_underflow 0
		.amdhsa_exception_fp_ieee_inexact 0
		.amdhsa_exception_int_div_zero 0
	.end_amdhsa_kernel
	.section	.text._ZN2at6native8internal12_GLOBAL__N_126adjacent_difference_kernelIPKN3c108BFloat16EEEvlT_Pi,"axG",@progbits,_ZN2at6native8internal12_GLOBAL__N_126adjacent_difference_kernelIPKN3c108BFloat16EEEvlT_Pi,comdat
.Lfunc_end823:
	.size	_ZN2at6native8internal12_GLOBAL__N_126adjacent_difference_kernelIPKN3c108BFloat16EEEvlT_Pi, .Lfunc_end823-_ZN2at6native8internal12_GLOBAL__N_126adjacent_difference_kernelIPKN3c108BFloat16EEEvlT_Pi
                                        ; -- End function
	.set _ZN2at6native8internal12_GLOBAL__N_126adjacent_difference_kernelIPKN3c108BFloat16EEEvlT_Pi.num_vgpr, 10
	.set _ZN2at6native8internal12_GLOBAL__N_126adjacent_difference_kernelIPKN3c108BFloat16EEEvlT_Pi.num_agpr, 0
	.set _ZN2at6native8internal12_GLOBAL__N_126adjacent_difference_kernelIPKN3c108BFloat16EEEvlT_Pi.numbered_sgpr, 18
	.set _ZN2at6native8internal12_GLOBAL__N_126adjacent_difference_kernelIPKN3c108BFloat16EEEvlT_Pi.num_named_barrier, 0
	.set _ZN2at6native8internal12_GLOBAL__N_126adjacent_difference_kernelIPKN3c108BFloat16EEEvlT_Pi.private_seg_size, 0
	.set _ZN2at6native8internal12_GLOBAL__N_126adjacent_difference_kernelIPKN3c108BFloat16EEEvlT_Pi.uses_vcc, 1
	.set _ZN2at6native8internal12_GLOBAL__N_126adjacent_difference_kernelIPKN3c108BFloat16EEEvlT_Pi.uses_flat_scratch, 0
	.set _ZN2at6native8internal12_GLOBAL__N_126adjacent_difference_kernelIPKN3c108BFloat16EEEvlT_Pi.has_dyn_sized_stack, 0
	.set _ZN2at6native8internal12_GLOBAL__N_126adjacent_difference_kernelIPKN3c108BFloat16EEEvlT_Pi.has_recursion, 0
	.set _ZN2at6native8internal12_GLOBAL__N_126adjacent_difference_kernelIPKN3c108BFloat16EEEvlT_Pi.has_indirect_call, 0
	.section	.AMDGPU.csdata,"",@progbits
; Kernel info:
; codeLenInByte = 348
; TotalNumSgprs: 20
; NumVgprs: 10
; ScratchSize: 0
; MemoryBound: 0
; FloatMode: 240
; IeeeMode: 1
; LDSByteSize: 0 bytes/workgroup (compile time only)
; SGPRBlocks: 0
; VGPRBlocks: 0
; NumSGPRsForWavesPerEU: 20
; NumVGPRsForWavesPerEU: 10
; NamedBarCnt: 0
; Occupancy: 16
; WaveLimiterHint : 0
; COMPUTE_PGM_RSRC2:SCRATCH_EN: 0
; COMPUTE_PGM_RSRC2:USER_SGPR: 2
; COMPUTE_PGM_RSRC2:TRAP_HANDLER: 0
; COMPUTE_PGM_RSRC2:TGID_X_EN: 1
; COMPUTE_PGM_RSRC2:TGID_Y_EN: 0
; COMPUTE_PGM_RSRC2:TGID_Z_EN: 0
; COMPUTE_PGM_RSRC2:TIDIG_COMP_CNT: 0
	.section	.text._ZN7rocprim17ROCPRIM_400000_NS6detail17trampoline_kernelINS0_14default_configENS1_25partition_config_selectorILNS1_17partition_subalgoE8EN3c108BFloat16ENS0_10empty_typeEbEEZZNS1_14partition_implILS5_8ELb0ES3_jPKS7_PS8_PKS8_NS0_5tupleIJPS7_S8_EEENSG_IJSD_SD_EEENS0_18inequality_wrapperIN6hipcub16HIPCUB_304000_NS8EqualityEEEPlJS8_EEE10hipError_tPvRmT3_T4_T5_T6_T7_T9_mT8_P12ihipStream_tbDpT10_ENKUlT_T0_E_clISt17integral_constantIbLb0EES19_EEDaS14_S15_EUlS14_E_NS1_11comp_targetILNS1_3genE0ELNS1_11target_archE4294967295ELNS1_3gpuE0ELNS1_3repE0EEENS1_30default_config_static_selectorELNS0_4arch9wavefront6targetE0EEEvT1_,"axG",@progbits,_ZN7rocprim17ROCPRIM_400000_NS6detail17trampoline_kernelINS0_14default_configENS1_25partition_config_selectorILNS1_17partition_subalgoE8EN3c108BFloat16ENS0_10empty_typeEbEEZZNS1_14partition_implILS5_8ELb0ES3_jPKS7_PS8_PKS8_NS0_5tupleIJPS7_S8_EEENSG_IJSD_SD_EEENS0_18inequality_wrapperIN6hipcub16HIPCUB_304000_NS8EqualityEEEPlJS8_EEE10hipError_tPvRmT3_T4_T5_T6_T7_T9_mT8_P12ihipStream_tbDpT10_ENKUlT_T0_E_clISt17integral_constantIbLb0EES19_EEDaS14_S15_EUlS14_E_NS1_11comp_targetILNS1_3genE0ELNS1_11target_archE4294967295ELNS1_3gpuE0ELNS1_3repE0EEENS1_30default_config_static_selectorELNS0_4arch9wavefront6targetE0EEEvT1_,comdat
	.protected	_ZN7rocprim17ROCPRIM_400000_NS6detail17trampoline_kernelINS0_14default_configENS1_25partition_config_selectorILNS1_17partition_subalgoE8EN3c108BFloat16ENS0_10empty_typeEbEEZZNS1_14partition_implILS5_8ELb0ES3_jPKS7_PS8_PKS8_NS0_5tupleIJPS7_S8_EEENSG_IJSD_SD_EEENS0_18inequality_wrapperIN6hipcub16HIPCUB_304000_NS8EqualityEEEPlJS8_EEE10hipError_tPvRmT3_T4_T5_T6_T7_T9_mT8_P12ihipStream_tbDpT10_ENKUlT_T0_E_clISt17integral_constantIbLb0EES19_EEDaS14_S15_EUlS14_E_NS1_11comp_targetILNS1_3genE0ELNS1_11target_archE4294967295ELNS1_3gpuE0ELNS1_3repE0EEENS1_30default_config_static_selectorELNS0_4arch9wavefront6targetE0EEEvT1_ ; -- Begin function _ZN7rocprim17ROCPRIM_400000_NS6detail17trampoline_kernelINS0_14default_configENS1_25partition_config_selectorILNS1_17partition_subalgoE8EN3c108BFloat16ENS0_10empty_typeEbEEZZNS1_14partition_implILS5_8ELb0ES3_jPKS7_PS8_PKS8_NS0_5tupleIJPS7_S8_EEENSG_IJSD_SD_EEENS0_18inequality_wrapperIN6hipcub16HIPCUB_304000_NS8EqualityEEEPlJS8_EEE10hipError_tPvRmT3_T4_T5_T6_T7_T9_mT8_P12ihipStream_tbDpT10_ENKUlT_T0_E_clISt17integral_constantIbLb0EES19_EEDaS14_S15_EUlS14_E_NS1_11comp_targetILNS1_3genE0ELNS1_11target_archE4294967295ELNS1_3gpuE0ELNS1_3repE0EEENS1_30default_config_static_selectorELNS0_4arch9wavefront6targetE0EEEvT1_
	.globl	_ZN7rocprim17ROCPRIM_400000_NS6detail17trampoline_kernelINS0_14default_configENS1_25partition_config_selectorILNS1_17partition_subalgoE8EN3c108BFloat16ENS0_10empty_typeEbEEZZNS1_14partition_implILS5_8ELb0ES3_jPKS7_PS8_PKS8_NS0_5tupleIJPS7_S8_EEENSG_IJSD_SD_EEENS0_18inequality_wrapperIN6hipcub16HIPCUB_304000_NS8EqualityEEEPlJS8_EEE10hipError_tPvRmT3_T4_T5_T6_T7_T9_mT8_P12ihipStream_tbDpT10_ENKUlT_T0_E_clISt17integral_constantIbLb0EES19_EEDaS14_S15_EUlS14_E_NS1_11comp_targetILNS1_3genE0ELNS1_11target_archE4294967295ELNS1_3gpuE0ELNS1_3repE0EEENS1_30default_config_static_selectorELNS0_4arch9wavefront6targetE0EEEvT1_
	.p2align	8
	.type	_ZN7rocprim17ROCPRIM_400000_NS6detail17trampoline_kernelINS0_14default_configENS1_25partition_config_selectorILNS1_17partition_subalgoE8EN3c108BFloat16ENS0_10empty_typeEbEEZZNS1_14partition_implILS5_8ELb0ES3_jPKS7_PS8_PKS8_NS0_5tupleIJPS7_S8_EEENSG_IJSD_SD_EEENS0_18inequality_wrapperIN6hipcub16HIPCUB_304000_NS8EqualityEEEPlJS8_EEE10hipError_tPvRmT3_T4_T5_T6_T7_T9_mT8_P12ihipStream_tbDpT10_ENKUlT_T0_E_clISt17integral_constantIbLb0EES19_EEDaS14_S15_EUlS14_E_NS1_11comp_targetILNS1_3genE0ELNS1_11target_archE4294967295ELNS1_3gpuE0ELNS1_3repE0EEENS1_30default_config_static_selectorELNS0_4arch9wavefront6targetE0EEEvT1_,@function
_ZN7rocprim17ROCPRIM_400000_NS6detail17trampoline_kernelINS0_14default_configENS1_25partition_config_selectorILNS1_17partition_subalgoE8EN3c108BFloat16ENS0_10empty_typeEbEEZZNS1_14partition_implILS5_8ELb0ES3_jPKS7_PS8_PKS8_NS0_5tupleIJPS7_S8_EEENSG_IJSD_SD_EEENS0_18inequality_wrapperIN6hipcub16HIPCUB_304000_NS8EqualityEEEPlJS8_EEE10hipError_tPvRmT3_T4_T5_T6_T7_T9_mT8_P12ihipStream_tbDpT10_ENKUlT_T0_E_clISt17integral_constantIbLb0EES19_EEDaS14_S15_EUlS14_E_NS1_11comp_targetILNS1_3genE0ELNS1_11target_archE4294967295ELNS1_3gpuE0ELNS1_3repE0EEENS1_30default_config_static_selectorELNS0_4arch9wavefront6targetE0EEEvT1_: ; @_ZN7rocprim17ROCPRIM_400000_NS6detail17trampoline_kernelINS0_14default_configENS1_25partition_config_selectorILNS1_17partition_subalgoE8EN3c108BFloat16ENS0_10empty_typeEbEEZZNS1_14partition_implILS5_8ELb0ES3_jPKS7_PS8_PKS8_NS0_5tupleIJPS7_S8_EEENSG_IJSD_SD_EEENS0_18inequality_wrapperIN6hipcub16HIPCUB_304000_NS8EqualityEEEPlJS8_EEE10hipError_tPvRmT3_T4_T5_T6_T7_T9_mT8_P12ihipStream_tbDpT10_ENKUlT_T0_E_clISt17integral_constantIbLb0EES19_EEDaS14_S15_EUlS14_E_NS1_11comp_targetILNS1_3genE0ELNS1_11target_archE4294967295ELNS1_3gpuE0ELNS1_3repE0EEENS1_30default_config_static_selectorELNS0_4arch9wavefront6targetE0EEEvT1_
; %bb.0:
	s_clause 0x3
	s_load_b128 s[4:7], s[0:1], 0x8
	s_load_b128 s[36:39], s[0:1], 0x40
	s_load_b32 s12, s[0:1], 0x68
	s_load_b64 s[2:3], s[0:1], 0x50
	s_bfe_u32 s10, ttmp6, 0x4000c
	s_and_b32 s8, ttmp6, 15
	s_add_co_i32 s10, s10, 1
	s_mov_b32 s9, 0
	s_mul_i32 s10, ttmp9, s10
	s_getreg_b32 s13, hwreg(HW_REG_IB_STS2, 6, 4)
	s_add_co_i32 s14, s8, s10
	v_mov_b32_e32 v52, v0
	s_wait_kmcnt 0x0
	s_lshl_b64 s[10:11], s[6:7], 1
	s_load_b64 s[34:35], s[38:39], 0x0
	s_mul_i32 s8, s12, 0x1e00
	s_cmp_eq_u32 s13, 0
	s_add_nc_u64 s[10:11], s[4:5], s[10:11]
	s_add_nc_u64 s[4:5], s[6:7], s[8:9]
	s_wait_xcnt 0x0
	s_cselect_b32 s38, ttmp9, s14
	s_add_co_i32 s8, s8, s6
	v_cmp_le_u64_e64 s3, s[2:3], s[4:5]
	s_add_co_i32 s12, s12, -1
	s_sub_co_i32 s39, s2, s8
	s_cmp_eq_u32 s38, s12
	s_mul_i32 s8, s38, 0x1e00
	s_cselect_b32 s31, -1, 0
	s_mov_b32 s4, -1
	s_and_b32 s40, s31, s3
	s_lshl_b64 s[2:3], s[8:9], 1
	s_xor_b32 s33, s40, -1
	s_add_nc_u64 s[2:3], s[10:11], s[2:3]
	s_and_b32 vcc_lo, exec_lo, s33
	s_cbranch_vccz .LBB824_2
; %bb.1:
	s_clause 0x1d
	global_load_u16 v1, v0, s[2:3] scale_offset
	global_load_u16 v2, v0, s[2:3] offset:512 scale_offset
	global_load_u16 v3, v0, s[2:3] offset:1024 scale_offset
	;; [unrolled: 1-line block ×29, first 2 shown]
	v_lshlrev_b32_e32 v31, 1, v0
	s_mov_b32 s4, 0
	s_wait_loadcnt 0x1d
	ds_store_b16 v31, v1
	s_wait_loadcnt 0x1c
	ds_store_b16 v31, v2 offset:512
	s_wait_loadcnt 0x1b
	ds_store_b16 v31, v3 offset:1024
	;; [unrolled: 2-line block ×29, first 2 shown]
	s_wait_dscnt 0x0
	s_barrier_signal -1
	s_barrier_wait -1
.LBB824_2:
	s_and_not1_b32 vcc_lo, exec_lo, s4
	s_addk_co_i32 s39, 0x1e00
	s_cbranch_vccnz .LBB824_64
; %bb.3:
	s_mov_b32 s4, exec_lo
                                        ; implicit-def: $vgpr1
	v_cmpx_gt_u32_e64 s39, v0
	s_cbranch_execz .LBB824_5
; %bb.4:
	global_load_u16 v1, v0, s[2:3] scale_offset
.LBB824_5:
	s_wait_xcnt 0x0
	s_or_b32 exec_lo, exec_lo, s4
	v_or_b32_e32 v2, 0x100, v0
	s_delay_alu instid0(VALU_DEP_1)
	v_cmp_gt_u32_e32 vcc_lo, s39, v2
                                        ; implicit-def: $vgpr2
	s_and_saveexec_b32 s4, vcc_lo
	s_cbranch_execz .LBB824_7
; %bb.6:
	global_load_u16 v2, v0, s[2:3] offset:512 scale_offset
.LBB824_7:
	s_wait_xcnt 0x0
	s_or_b32 exec_lo, exec_lo, s4
	v_or_b32_e32 v3, 0x200, v0
	s_delay_alu instid0(VALU_DEP_1)
	v_cmp_gt_u32_e32 vcc_lo, s39, v3
                                        ; implicit-def: $vgpr3
	s_and_saveexec_b32 s4, vcc_lo
	s_cbranch_execz .LBB824_9
; %bb.8:
	global_load_u16 v3, v0, s[2:3] offset:1024 scale_offset
.LBB824_9:
	s_wait_xcnt 0x0
	s_or_b32 exec_lo, exec_lo, s4
	v_or_b32_e32 v4, 0x300, v0
	s_delay_alu instid0(VALU_DEP_1)
	v_cmp_gt_u32_e32 vcc_lo, s39, v4
                                        ; implicit-def: $vgpr4
	s_and_saveexec_b32 s4, vcc_lo
	s_cbranch_execz .LBB824_11
; %bb.10:
	global_load_u16 v4, v0, s[2:3] offset:1536 scale_offset
.LBB824_11:
	s_wait_xcnt 0x0
	s_or_b32 exec_lo, exec_lo, s4
	v_or_b32_e32 v5, 0x400, v0
	s_delay_alu instid0(VALU_DEP_1)
	v_cmp_gt_u32_e32 vcc_lo, s39, v5
                                        ; implicit-def: $vgpr5
	s_and_saveexec_b32 s4, vcc_lo
	s_cbranch_execz .LBB824_13
; %bb.12:
	global_load_u16 v5, v0, s[2:3] offset:2048 scale_offset
.LBB824_13:
	s_wait_xcnt 0x0
	s_or_b32 exec_lo, exec_lo, s4
	v_or_b32_e32 v6, 0x500, v0
	s_delay_alu instid0(VALU_DEP_1)
	v_cmp_gt_u32_e32 vcc_lo, s39, v6
                                        ; implicit-def: $vgpr6
	s_and_saveexec_b32 s4, vcc_lo
	s_cbranch_execz .LBB824_15
; %bb.14:
	global_load_u16 v6, v0, s[2:3] offset:2560 scale_offset
.LBB824_15:
	s_wait_xcnt 0x0
	s_or_b32 exec_lo, exec_lo, s4
	v_or_b32_e32 v7, 0x600, v0
	s_delay_alu instid0(VALU_DEP_1)
	v_cmp_gt_u32_e32 vcc_lo, s39, v7
                                        ; implicit-def: $vgpr7
	s_and_saveexec_b32 s4, vcc_lo
	s_cbranch_execz .LBB824_17
; %bb.16:
	global_load_u16 v7, v0, s[2:3] offset:3072 scale_offset
.LBB824_17:
	s_wait_xcnt 0x0
	s_or_b32 exec_lo, exec_lo, s4
	v_or_b32_e32 v8, 0x700, v0
	s_delay_alu instid0(VALU_DEP_1)
	v_cmp_gt_u32_e32 vcc_lo, s39, v8
                                        ; implicit-def: $vgpr8
	s_and_saveexec_b32 s4, vcc_lo
	s_cbranch_execz .LBB824_19
; %bb.18:
	global_load_u16 v8, v0, s[2:3] offset:3584 scale_offset
.LBB824_19:
	s_wait_xcnt 0x0
	s_or_b32 exec_lo, exec_lo, s4
	v_or_b32_e32 v9, 0x800, v0
	s_delay_alu instid0(VALU_DEP_1)
	v_cmp_gt_u32_e32 vcc_lo, s39, v9
                                        ; implicit-def: $vgpr9
	s_and_saveexec_b32 s4, vcc_lo
	s_cbranch_execz .LBB824_21
; %bb.20:
	global_load_u16 v9, v0, s[2:3] offset:4096 scale_offset
.LBB824_21:
	s_wait_xcnt 0x0
	s_or_b32 exec_lo, exec_lo, s4
	v_or_b32_e32 v10, 0x900, v0
	s_delay_alu instid0(VALU_DEP_1)
	v_cmp_gt_u32_e32 vcc_lo, s39, v10
                                        ; implicit-def: $vgpr10
	s_and_saveexec_b32 s4, vcc_lo
	s_cbranch_execz .LBB824_23
; %bb.22:
	global_load_u16 v10, v0, s[2:3] offset:4608 scale_offset
.LBB824_23:
	s_wait_xcnt 0x0
	s_or_b32 exec_lo, exec_lo, s4
	v_or_b32_e32 v11, 0xa00, v0
	s_delay_alu instid0(VALU_DEP_1)
	v_cmp_gt_u32_e32 vcc_lo, s39, v11
                                        ; implicit-def: $vgpr11
	s_and_saveexec_b32 s4, vcc_lo
	s_cbranch_execz .LBB824_25
; %bb.24:
	global_load_u16 v11, v0, s[2:3] offset:5120 scale_offset
.LBB824_25:
	s_wait_xcnt 0x0
	s_or_b32 exec_lo, exec_lo, s4
	v_or_b32_e32 v12, 0xb00, v0
	s_delay_alu instid0(VALU_DEP_1)
	v_cmp_gt_u32_e32 vcc_lo, s39, v12
                                        ; implicit-def: $vgpr12
	s_and_saveexec_b32 s4, vcc_lo
	s_cbranch_execz .LBB824_27
; %bb.26:
	global_load_u16 v12, v0, s[2:3] offset:5632 scale_offset
.LBB824_27:
	s_wait_xcnt 0x0
	s_or_b32 exec_lo, exec_lo, s4
	v_or_b32_e32 v13, 0xc00, v0
	s_delay_alu instid0(VALU_DEP_1)
	v_cmp_gt_u32_e32 vcc_lo, s39, v13
                                        ; implicit-def: $vgpr13
	s_and_saveexec_b32 s4, vcc_lo
	s_cbranch_execz .LBB824_29
; %bb.28:
	global_load_u16 v13, v0, s[2:3] offset:6144 scale_offset
.LBB824_29:
	s_wait_xcnt 0x0
	s_or_b32 exec_lo, exec_lo, s4
	v_or_b32_e32 v14, 0xd00, v0
	s_delay_alu instid0(VALU_DEP_1)
	v_cmp_gt_u32_e32 vcc_lo, s39, v14
                                        ; implicit-def: $vgpr14
	s_and_saveexec_b32 s4, vcc_lo
	s_cbranch_execz .LBB824_31
; %bb.30:
	global_load_u16 v14, v0, s[2:3] offset:6656 scale_offset
.LBB824_31:
	s_wait_xcnt 0x0
	s_or_b32 exec_lo, exec_lo, s4
	v_or_b32_e32 v15, 0xe00, v0
	s_delay_alu instid0(VALU_DEP_1)
	v_cmp_gt_u32_e32 vcc_lo, s39, v15
                                        ; implicit-def: $vgpr15
	s_and_saveexec_b32 s4, vcc_lo
	s_cbranch_execz .LBB824_33
; %bb.32:
	global_load_u16 v15, v0, s[2:3] offset:7168 scale_offset
.LBB824_33:
	s_wait_xcnt 0x0
	s_or_b32 exec_lo, exec_lo, s4
	v_or_b32_e32 v16, 0xf00, v0
	s_delay_alu instid0(VALU_DEP_1)
	v_cmp_gt_u32_e32 vcc_lo, s39, v16
                                        ; implicit-def: $vgpr16
	s_and_saveexec_b32 s4, vcc_lo
	s_cbranch_execz .LBB824_35
; %bb.34:
	global_load_u16 v16, v0, s[2:3] offset:7680 scale_offset
.LBB824_35:
	s_wait_xcnt 0x0
	s_or_b32 exec_lo, exec_lo, s4
	v_or_b32_e32 v17, 0x1000, v0
	s_delay_alu instid0(VALU_DEP_1)
	v_cmp_gt_u32_e32 vcc_lo, s39, v17
                                        ; implicit-def: $vgpr17
	s_and_saveexec_b32 s4, vcc_lo
	s_cbranch_execz .LBB824_37
; %bb.36:
	global_load_u16 v17, v0, s[2:3] offset:8192 scale_offset
.LBB824_37:
	s_wait_xcnt 0x0
	s_or_b32 exec_lo, exec_lo, s4
	v_or_b32_e32 v18, 0x1100, v0
	s_delay_alu instid0(VALU_DEP_1)
	v_cmp_gt_u32_e32 vcc_lo, s39, v18
                                        ; implicit-def: $vgpr18
	s_and_saveexec_b32 s4, vcc_lo
	s_cbranch_execz .LBB824_39
; %bb.38:
	global_load_u16 v18, v0, s[2:3] offset:8704 scale_offset
.LBB824_39:
	s_wait_xcnt 0x0
	s_or_b32 exec_lo, exec_lo, s4
	v_or_b32_e32 v19, 0x1200, v0
	s_delay_alu instid0(VALU_DEP_1)
	v_cmp_gt_u32_e32 vcc_lo, s39, v19
                                        ; implicit-def: $vgpr19
	s_and_saveexec_b32 s4, vcc_lo
	s_cbranch_execz .LBB824_41
; %bb.40:
	global_load_u16 v19, v0, s[2:3] offset:9216 scale_offset
.LBB824_41:
	s_wait_xcnt 0x0
	s_or_b32 exec_lo, exec_lo, s4
	v_or_b32_e32 v20, 0x1300, v0
	s_delay_alu instid0(VALU_DEP_1)
	v_cmp_gt_u32_e32 vcc_lo, s39, v20
                                        ; implicit-def: $vgpr20
	s_and_saveexec_b32 s4, vcc_lo
	s_cbranch_execz .LBB824_43
; %bb.42:
	global_load_u16 v20, v0, s[2:3] offset:9728 scale_offset
.LBB824_43:
	s_wait_xcnt 0x0
	s_or_b32 exec_lo, exec_lo, s4
	v_or_b32_e32 v21, 0x1400, v0
	s_delay_alu instid0(VALU_DEP_1)
	v_cmp_gt_u32_e32 vcc_lo, s39, v21
                                        ; implicit-def: $vgpr21
	s_and_saveexec_b32 s4, vcc_lo
	s_cbranch_execz .LBB824_45
; %bb.44:
	global_load_u16 v21, v0, s[2:3] offset:10240 scale_offset
.LBB824_45:
	s_wait_xcnt 0x0
	s_or_b32 exec_lo, exec_lo, s4
	v_or_b32_e32 v22, 0x1500, v0
	s_delay_alu instid0(VALU_DEP_1)
	v_cmp_gt_u32_e32 vcc_lo, s39, v22
                                        ; implicit-def: $vgpr22
	s_and_saveexec_b32 s4, vcc_lo
	s_cbranch_execz .LBB824_47
; %bb.46:
	global_load_u16 v22, v0, s[2:3] offset:10752 scale_offset
.LBB824_47:
	s_wait_xcnt 0x0
	s_or_b32 exec_lo, exec_lo, s4
	v_or_b32_e32 v23, 0x1600, v0
	s_delay_alu instid0(VALU_DEP_1)
	v_cmp_gt_u32_e32 vcc_lo, s39, v23
                                        ; implicit-def: $vgpr23
	s_and_saveexec_b32 s4, vcc_lo
	s_cbranch_execz .LBB824_49
; %bb.48:
	global_load_u16 v23, v0, s[2:3] offset:11264 scale_offset
.LBB824_49:
	s_wait_xcnt 0x0
	s_or_b32 exec_lo, exec_lo, s4
	v_or_b32_e32 v24, 0x1700, v0
	s_delay_alu instid0(VALU_DEP_1)
	v_cmp_gt_u32_e32 vcc_lo, s39, v24
                                        ; implicit-def: $vgpr24
	s_and_saveexec_b32 s4, vcc_lo
	s_cbranch_execz .LBB824_51
; %bb.50:
	global_load_u16 v24, v0, s[2:3] offset:11776 scale_offset
.LBB824_51:
	s_wait_xcnt 0x0
	s_or_b32 exec_lo, exec_lo, s4
	v_or_b32_e32 v25, 0x1800, v0
	s_delay_alu instid0(VALU_DEP_1)
	v_cmp_gt_u32_e32 vcc_lo, s39, v25
                                        ; implicit-def: $vgpr25
	s_and_saveexec_b32 s4, vcc_lo
	s_cbranch_execz .LBB824_53
; %bb.52:
	global_load_u16 v25, v0, s[2:3] offset:12288 scale_offset
.LBB824_53:
	s_wait_xcnt 0x0
	s_or_b32 exec_lo, exec_lo, s4
	v_or_b32_e32 v26, 0x1900, v0
	s_delay_alu instid0(VALU_DEP_1)
	v_cmp_gt_u32_e32 vcc_lo, s39, v26
                                        ; implicit-def: $vgpr26
	s_and_saveexec_b32 s4, vcc_lo
	s_cbranch_execz .LBB824_55
; %bb.54:
	global_load_u16 v26, v0, s[2:3] offset:12800 scale_offset
.LBB824_55:
	s_wait_xcnt 0x0
	s_or_b32 exec_lo, exec_lo, s4
	v_or_b32_e32 v27, 0x1a00, v0
	s_delay_alu instid0(VALU_DEP_1)
	v_cmp_gt_u32_e32 vcc_lo, s39, v27
                                        ; implicit-def: $vgpr27
	s_and_saveexec_b32 s4, vcc_lo
	s_cbranch_execz .LBB824_57
; %bb.56:
	global_load_u16 v27, v0, s[2:3] offset:13312 scale_offset
.LBB824_57:
	s_wait_xcnt 0x0
	s_or_b32 exec_lo, exec_lo, s4
	v_or_b32_e32 v28, 0x1b00, v0
	s_delay_alu instid0(VALU_DEP_1)
	v_cmp_gt_u32_e32 vcc_lo, s39, v28
                                        ; implicit-def: $vgpr28
	s_and_saveexec_b32 s4, vcc_lo
	s_cbranch_execz .LBB824_59
; %bb.58:
	global_load_u16 v28, v0, s[2:3] offset:13824 scale_offset
.LBB824_59:
	s_wait_xcnt 0x0
	s_or_b32 exec_lo, exec_lo, s4
	v_or_b32_e32 v29, 0x1c00, v0
	s_delay_alu instid0(VALU_DEP_1)
	v_cmp_gt_u32_e32 vcc_lo, s39, v29
                                        ; implicit-def: $vgpr29
	s_and_saveexec_b32 s4, vcc_lo
	s_cbranch_execz .LBB824_61
; %bb.60:
	global_load_u16 v29, v0, s[2:3] offset:14336 scale_offset
.LBB824_61:
	s_wait_xcnt 0x0
	s_or_b32 exec_lo, exec_lo, s4
	v_or_b32_e32 v30, 0x1d00, v0
	s_delay_alu instid0(VALU_DEP_1)
	v_cmp_gt_u32_e32 vcc_lo, s39, v30
                                        ; implicit-def: $vgpr30
	s_and_saveexec_b32 s4, vcc_lo
	s_cbranch_execz .LBB824_63
; %bb.62:
	global_load_u16 v30, v0, s[2:3] offset:14848 scale_offset
.LBB824_63:
	s_wait_xcnt 0x0
	s_or_b32 exec_lo, exec_lo, s4
	v_lshlrev_b32_e32 v31, 1, v0
	s_wait_loadcnt 0x0
	ds_store_b16 v31, v1
	ds_store_b16 v31, v2 offset:512
	ds_store_b16 v31, v3 offset:1024
	ds_store_b16 v31, v4 offset:1536
	ds_store_b16 v31, v5 offset:2048
	ds_store_b16 v31, v6 offset:2560
	ds_store_b16 v31, v7 offset:3072
	ds_store_b16 v31, v8 offset:3584
	ds_store_b16 v31, v9 offset:4096
	ds_store_b16 v31, v10 offset:4608
	ds_store_b16 v31, v11 offset:5120
	ds_store_b16 v31, v12 offset:5632
	ds_store_b16 v31, v13 offset:6144
	ds_store_b16 v31, v14 offset:6656
	ds_store_b16 v31, v15 offset:7168
	ds_store_b16 v31, v16 offset:7680
	ds_store_b16 v31, v17 offset:8192
	ds_store_b16 v31, v18 offset:8704
	ds_store_b16 v31, v19 offset:9216
	ds_store_b16 v31, v20 offset:9728
	ds_store_b16 v31, v21 offset:10240
	ds_store_b16 v31, v22 offset:10752
	ds_store_b16 v31, v23 offset:11264
	ds_store_b16 v31, v24 offset:11776
	ds_store_b16 v31, v25 offset:12288
	ds_store_b16 v31, v26 offset:12800
	ds_store_b16 v31, v27 offset:13312
	ds_store_b16 v31, v28 offset:13824
	ds_store_b16 v31, v29 offset:14336
	ds_store_b16 v31, v30 offset:14848
	s_wait_dscnt 0x0
	s_barrier_signal -1
	s_barrier_wait -1
.LBB824_64:
	v_mul_u32_u24_e32 v2, 30, v0
	s_cmp_lg_u32 s38, 0
	s_mov_b32 s42, 0
	s_cselect_b32 s41, -1, 0
	s_delay_alu instid0(VALU_DEP_1)
	v_lshlrev_b32_e32 v3, 1, v2
	s_cmp_lg_u64 s[6:7], 0
	ds_load_2addr_b32 v[46:47], v3 offset1:1
	ds_load_2addr_b32 v[44:45], v3 offset0:2 offset1:3
	ds_load_2addr_b32 v[42:43], v3 offset0:4 offset1:5
	;; [unrolled: 1-line block ×3, first 2 shown]
	ds_load_b32 v1, v3 offset:56
	ds_load_2addr_b32 v[34:35], v3 offset0:12 offset1:13
	ds_load_2addr_b32 v[36:37], v3 offset0:10 offset1:11
	;; [unrolled: 1-line block ×3, first 2 shown]
	s_cselect_b32 s4, -1, 0
	s_wait_dscnt 0x0
	s_or_b32 s4, s41, s4
	s_barrier_signal -1
	s_and_b32 vcc_lo, exec_lo, s4
	s_barrier_wait -1
	s_cbranch_vccz .LBB824_69
; %bb.65:
	v_dual_mov_b32 v4, 0 :: v_dual_lshlrev_b32 v5, 1, v0
	s_and_b32 vcc_lo, exec_lo, s33
	global_load_u16 v4, v4, s[2:3] offset:-2
	ds_store_b16_d16_hi v5, v1
	s_cbranch_vccz .LBB824_70
; %bb.66:
	s_wait_loadcnt 0x0
	v_mov_b32_e32 v6, v4
	s_mov_b32 s2, 0
	s_mov_b32 s3, exec_lo
	s_wait_dscnt 0x0
	s_barrier_signal -1
	s_barrier_wait -1
	v_cmpx_ne_u32_e32 0, v0
; %bb.67:
	v_add_nc_u32_e32 v6, -2, v5
	ds_load_u16 v6, v6
; %bb.68:
	s_or_b32 exec_lo, exec_lo, s3
	v_and_b32_e32 v7, 0xffff0000, v1
	v_dual_lshlrev_b32 v8, 16, v1 :: v_dual_lshlrev_b32 v10, 16, v35
	v_and_b32_e32 v9, 0xffff0000, v35
	s_wait_dscnt 0x0
	v_lshlrev_b32_e32 v6, 16, v6
	s_delay_alu instid0(VALU_DEP_3)
	v_cmp_neq_f32_e32 vcc_lo, v8, v7
	v_and_b32_e32 v7, 0xffff0000, v34
	v_cndmask_b32_e64 v51, 0, 1, vcc_lo
	v_cmp_neq_f32_e32 vcc_lo, v9, v8
	v_lshlrev_b32_e32 v8, 16, v34
	v_cndmask_b32_e64 v53, 0, 1, vcc_lo
	v_cmp_neq_f32_e32 vcc_lo, v10, v9
	v_and_b32_e32 v9, 0xffff0000, v37
	v_cndmask_b32_e64 v54, 0, 1, vcc_lo
	v_cmp_neq_f32_e32 vcc_lo, v7, v10
	v_lshlrev_b32_e32 v10, 16, v36
	v_cndmask_b32_e64 v55, 0, 1, vcc_lo
	v_cmp_neq_f32_e32 vcc_lo, v8, v7
	v_lshlrev_b32_e32 v7, 16, v37
	v_cndmask_b32_e64 v56, 0, 1, vcc_lo
	v_cmp_neq_f32_e32 vcc_lo, v9, v8
	v_and_b32_e32 v8, 0xffff0000, v36
	v_cndmask_b32_e64 v57, 0, 1, vcc_lo
	v_cmp_neq_f32_e32 vcc_lo, v7, v9
	v_and_b32_e32 v9, 0xffff0000, v39
	v_cndmask_b32_e64 v58, 0, 1, vcc_lo
	v_cmp_neq_f32_e32 vcc_lo, v8, v7
	v_lshlrev_b32_e32 v7, 16, v39
	v_cndmask_b32_e64 v59, 0, 1, vcc_lo
	v_cmp_neq_f32_e32 vcc_lo, v10, v8
	v_and_b32_e32 v8, 0xffff0000, v38
	v_cndmask_b32_e64 v60, 0, 1, vcc_lo
	v_cmp_neq_f32_e32 vcc_lo, v9, v10
	v_lshlrev_b32_e32 v10, 16, v38
	;; [unrolled: 6-line block ×10, first 2 shown]
	v_cndmask_b32_e64 v77, 0, 1, vcc_lo
	v_cmp_neq_f32_e32 vcc_lo, v7, v9
	s_delay_alu instid0(VALU_DEP_3)
	v_cmp_neq_f32_e64 s43, v10, v6
	v_cndmask_b32_e64 v78, 0, 1, vcc_lo
	v_cmp_neq_f32_e32 vcc_lo, v8, v7
	v_cndmask_b32_e64 v79, 0, 1, vcc_lo
	v_cmp_neq_f32_e32 vcc_lo, v10, v8
	v_cndmask_b32_e64 v80, 0, 1, vcc_lo
	s_and_b32 vcc_lo, exec_lo, s2
	s_cbranch_vccnz .LBB824_71
	s_branch .LBB824_74
.LBB824_69:
                                        ; implicit-def: $sgpr43
                                        ; implicit-def: $vgpr80
                                        ; implicit-def: $vgpr79
                                        ; implicit-def: $vgpr78
                                        ; implicit-def: $vgpr77
                                        ; implicit-def: $vgpr76
                                        ; implicit-def: $vgpr75
                                        ; implicit-def: $vgpr74
                                        ; implicit-def: $vgpr73
                                        ; implicit-def: $vgpr72
                                        ; implicit-def: $vgpr71
                                        ; implicit-def: $vgpr70
                                        ; implicit-def: $vgpr69
                                        ; implicit-def: $vgpr68
                                        ; implicit-def: $vgpr67
                                        ; implicit-def: $vgpr66
                                        ; implicit-def: $vgpr65
                                        ; implicit-def: $vgpr64
                                        ; implicit-def: $vgpr63
                                        ; implicit-def: $vgpr62
                                        ; implicit-def: $vgpr61
                                        ; implicit-def: $vgpr60
                                        ; implicit-def: $vgpr59
                                        ; implicit-def: $vgpr58
                                        ; implicit-def: $vgpr57
                                        ; implicit-def: $vgpr56
                                        ; implicit-def: $vgpr55
                                        ; implicit-def: $vgpr54
                                        ; implicit-def: $vgpr53
                                        ; implicit-def: $vgpr51
	s_branch .LBB824_75
.LBB824_70:
	s_wait_xcnt 0x0
                                        ; implicit-def: $sgpr43
                                        ; implicit-def: $vgpr80
                                        ; implicit-def: $vgpr79
                                        ; implicit-def: $vgpr78
                                        ; implicit-def: $vgpr77
                                        ; implicit-def: $vgpr76
                                        ; implicit-def: $vgpr75
                                        ; implicit-def: $vgpr74
                                        ; implicit-def: $vgpr73
                                        ; implicit-def: $vgpr72
                                        ; implicit-def: $vgpr71
                                        ; implicit-def: $vgpr70
                                        ; implicit-def: $vgpr69
                                        ; implicit-def: $vgpr68
                                        ; implicit-def: $vgpr67
                                        ; implicit-def: $vgpr66
                                        ; implicit-def: $vgpr65
                                        ; implicit-def: $vgpr64
                                        ; implicit-def: $vgpr63
                                        ; implicit-def: $vgpr62
                                        ; implicit-def: $vgpr61
                                        ; implicit-def: $vgpr60
                                        ; implicit-def: $vgpr59
                                        ; implicit-def: $vgpr58
                                        ; implicit-def: $vgpr57
                                        ; implicit-def: $vgpr56
                                        ; implicit-def: $vgpr55
                                        ; implicit-def: $vgpr54
                                        ; implicit-def: $vgpr53
                                        ; implicit-def: $vgpr51
	s_cbranch_execz .LBB824_74
.LBB824_71:
	s_mov_b32 s2, exec_lo
	s_wait_loadcnt_dscnt 0x0
	s_barrier_signal -1
	s_barrier_wait -1
	v_cmpx_ne_u32_e32 0, v0
; %bb.72:
	v_add_nc_u32_e32 v4, -2, v5
	ds_load_u16 v4, v4
; %bb.73:
	s_or_b32 exec_lo, exec_lo, s2
	v_dual_add_nc_u32 v5, 29, v2 :: v_dual_lshlrev_b32 v7, 16, v1
	v_and_b32_e32 v6, 0xffff0000, v1
	v_add_nc_u32_e32 v8, 28, v2
	v_and_b32_e32 v9, 0xffff0000, v35
	s_delay_alu instid0(VALU_DEP_4)
	v_cmp_gt_u32_e32 vcc_lo, s39, v5
	v_add_nc_u32_e32 v5, 27, v2
	v_cmp_neq_f32_e64 s2, v7, v6
	v_cmp_gt_u32_e64 s3, s39, v8
	v_cmp_neq_f32_e64 s4, v9, v7
	v_lshlrev_b32_e32 v6, 16, v35
	v_and_b32_e32 v8, 0xffff0000, v34
	s_and_b32 s2, vcc_lo, s2
	v_cmp_gt_u32_e32 vcc_lo, s39, v5
	v_cndmask_b32_e64 v51, 0, 1, s2
	s_and_b32 s2, s3, s4
	v_add_nc_u32_e32 v5, 26, v2
	v_cndmask_b32_e64 v53, 0, 1, s2
	v_cmp_neq_f32_e64 s2, v6, v9
	v_add_nc_u32_e32 v7, 25, v2
	s_wait_dscnt 0x0
	v_dual_lshlrev_b32 v9, 16, v34 :: v_dual_lshlrev_b32 v4, 16, v4
	s_and_b32 s2, vcc_lo, s2
	v_cmp_gt_u32_e32 vcc_lo, s39, v5
	v_cndmask_b32_e64 v54, 0, 1, s2
	v_cmp_neq_f32_e64 s2, v8, v6
	v_add_nc_u32_e32 v5, 24, v2
	v_and_b32_e32 v6, 0xffff0000, v37
	v_cmp_gt_u32_e64 s3, s39, v7
	v_add_nc_u32_e32 v7, 23, v2
	s_and_b32 s2, vcc_lo, s2
	v_cmp_gt_u32_e32 vcc_lo, s39, v5
	v_lshlrev_b32_e32 v5, 16, v37
	v_cmp_neq_f32_e64 s4, v9, v8
	v_cndmask_b32_e64 v55, 0, 1, s2
	v_cmp_neq_f32_e64 s2, v6, v9
	v_and_b32_e32 v8, 0xffff0000, v36
	v_lshlrev_b32_e32 v9, 16, v41
	s_and_b32 s3, s3, s4
	s_delay_alu instid0(SALU_CYCLE_1)
	v_cndmask_b32_e64 v56, 0, 1, s3
	s_and_b32 s2, vcc_lo, s2
	v_cmp_neq_f32_e32 vcc_lo, v5, v6
	v_add_nc_u32_e32 v6, 21, v2
	v_cmp_gt_u32_e64 s3, s39, v7
	v_add_nc_u32_e32 v7, 22, v2
	v_cndmask_b32_e64 v57, 0, 1, s2
	v_cmp_neq_f32_e64 s4, v8, v5
	v_add_nc_u32_e32 v5, 20, v2
	s_and_b32 s3, s3, vcc_lo
	v_cmp_gt_u32_e64 s2, s39, v7
	v_lshlrev_b32_e32 v7, 16, v36
	v_cndmask_b32_e64 v58, 0, 1, s3
	v_cmp_gt_u32_e32 vcc_lo, s39, v6
	v_and_b32_e32 v6, 0xffff0000, v39
	s_and_b32 s2, s2, s4
	v_cmp_neq_f32_e64 s3, v7, v8
	v_add_nc_u32_e32 v8, 19, v2
	v_cndmask_b32_e64 v59, 0, 1, s2
	s_and_b32 s2, vcc_lo, s3
	v_cmp_gt_u32_e32 vcc_lo, s39, v5
	v_cndmask_b32_e64 v60, 0, 1, s2
	v_cmp_neq_f32_e64 s2, v6, v7
	v_cmp_gt_u32_e64 s3, s39, v8
	v_dual_lshlrev_b32 v5, 16, v39 :: v_dual_add_nc_u32 v7, 18, v2
	v_and_b32_e32 v8, 0xffff0000, v38
	s_and_b32 s2, vcc_lo, s2
	s_delay_alu instid0(SALU_CYCLE_1) | instskip(NEXT) | instid1(VALU_DEP_3)
	v_cndmask_b32_e64 v61, 0, 1, s2
	v_cmp_gt_u32_e64 s2, s39, v7
	s_delay_alu instid0(VALU_DEP_3)
	v_cmp_neq_f32_e64 s4, v8, v5
	v_cmp_neq_f32_e32 vcc_lo, v5, v6
	v_dual_add_nc_u32 v6, 17, v2 :: v_dual_add_nc_u32 v7, 15, v2
	v_lshlrev_b32_e32 v5, 16, v38
	s_and_b32 s2, s2, s4
	s_and_b32 s3, s3, vcc_lo
	s_delay_alu instid0(VALU_DEP_2)
	v_cmp_gt_u32_e32 vcc_lo, s39, v6
	v_cndmask_b32_e64 v63, 0, 1, s2
	v_cmp_neq_f32_e64 s2, v5, v8
	v_add_nc_u32_e32 v6, 16, v2
	v_and_b32_e32 v8, 0xffff0000, v41
	v_cndmask_b32_e64 v62, 0, 1, s3
	v_cmp_gt_u32_e64 s3, s39, v7
	s_and_b32 s2, vcc_lo, s2
	v_add_nc_u32_e32 v7, 13, v2
	v_cndmask_b32_e64 v64, 0, 1, s2
	v_cmp_neq_f32_e64 s2, v8, v5
	v_add_nc_u32_e32 v5, 14, v2
	v_cmp_gt_u32_e32 vcc_lo, s39, v6
	v_cmp_neq_f32_e64 s4, v9, v8
	v_and_b32_e32 v6, 0xffff0000, v40
	v_and_b32_e32 v8, 0xffff0000, v43
	s_and_b32 s2, vcc_lo, s2
	v_cmp_gt_u32_e32 vcc_lo, s39, v5
	v_cndmask_b32_e64 v65, 0, 1, s2
	v_cmp_neq_f32_e64 s2, v6, v9
	s_and_b32 s3, s3, s4
	v_lshlrev_b32_e32 v5, 16, v40
	v_cndmask_b32_e64 v66, 0, 1, s3
	v_cmp_gt_u32_e64 s3, s39, v7
	v_add_nc_u32_e32 v7, 12, v2
	s_and_b32 s2, vcc_lo, s2
	v_cmp_neq_f32_e32 vcc_lo, v5, v6
	v_cndmask_b32_e64 v67, 0, 1, s2
	v_add_nc_u32_e32 v6, 11, v2
	v_cmp_gt_u32_e64 s2, s39, v7
	v_lshlrev_b32_e32 v7, 16, v43
	v_cmp_neq_f32_e64 s4, v8, v5
	s_and_b32 s3, s3, vcc_lo
	v_cmp_gt_u32_e32 vcc_lo, s39, v6
	v_cndmask_b32_e64 v68, 0, 1, s3
	v_add_nc_u32_e32 v5, 10, v2
	v_cmp_neq_f32_e64 s3, v7, v8
	v_and_b32_e32 v6, 0xffff0000, v42
	s_and_b32 s2, s2, s4
	v_add_nc_u32_e32 v8, 9, v2
	v_cndmask_b32_e64 v69, 0, 1, s2
	s_and_b32 s2, vcc_lo, s3
	v_cmp_gt_u32_e32 vcc_lo, s39, v5
	v_cndmask_b32_e64 v70, 0, 1, s2
	v_cmp_neq_f32_e64 s2, v6, v7
	v_dual_lshlrev_b32 v5, 16, v42 :: v_dual_lshlrev_b32 v9, 16, v44
	v_add_nc_u32_e32 v7, 8, v2
	v_cmp_gt_u32_e64 s3, s39, v8
	v_and_b32_e32 v8, 0xffff0000, v45
	s_and_b32 s2, vcc_lo, s2
	v_cmp_neq_f32_e32 vcc_lo, v5, v6
	v_cndmask_b32_e64 v71, 0, 1, s2
	v_cmp_gt_u32_e64 s2, s39, v7
	v_cmp_neq_f32_e64 s4, v8, v5
	v_dual_add_nc_u32 v6, 7, v2 :: v_dual_lshlrev_b32 v5, 16, v45
	s_and_b32 s3, s3, vcc_lo
	v_add_nc_u32_e32 v7, 5, v2
	s_and_b32 s2, s2, s4
	s_delay_alu instid0(VALU_DEP_2)
	v_cmp_gt_u32_e32 vcc_lo, s39, v6
	v_cndmask_b32_e64 v73, 0, 1, s2
	v_cmp_neq_f32_e64 s2, v5, v8
	v_add_nc_u32_e32 v6, 6, v2
	v_and_b32_e32 v8, 0xffff0000, v44
	v_cndmask_b32_e64 v72, 0, 1, s3
	v_cmp_gt_u32_e64 s3, s39, v7
	s_and_b32 s2, vcc_lo, s2
	v_cmp_gt_u32_e32 vcc_lo, s39, v6
	v_cndmask_b32_e64 v74, 0, 1, s2
	v_cmp_neq_f32_e64 s2, v8, v5
	v_cmp_neq_f32_e64 s4, v9, v8
	v_dual_add_nc_u32 v5, 4, v2 :: v_dual_add_nc_u32 v7, 3, v2
	v_and_b32_e32 v6, 0xffff0000, v47
	s_and_b32 s2, vcc_lo, s2
	s_and_b32 s3, s3, s4
	v_cndmask_b32_e64 v75, 0, 1, s2
	v_cmp_gt_u32_e32 vcc_lo, s39, v5
	v_cmp_neq_f32_e64 s2, v6, v9
	v_lshlrev_b32_e32 v5, 16, v47
	v_cndmask_b32_e64 v76, 0, 1, s3
	v_cmp_gt_u32_e64 s3, s39, v7
	v_add_nc_u32_e32 v7, 2, v2
	s_and_b32 s2, vcc_lo, s2
	v_and_b32_e32 v8, 0xffff0000, v46
	v_cmp_neq_f32_e32 vcc_lo, v5, v6
	v_cndmask_b32_e64 v77, 0, 1, s2
	v_cmp_gt_u32_e64 s2, s39, v7
	v_or_b32_e32 v6, 1, v2
	v_lshlrev_b32_e32 v7, 16, v46
	v_cmp_neq_f32_e64 s4, v8, v5
	s_and_b32 s3, s3, vcc_lo
	s_delay_alu instid0(SALU_CYCLE_1)
	v_cndmask_b32_e64 v78, 0, 1, s3
	v_cmp_gt_u32_e32 vcc_lo, s39, v6
	v_cmp_neq_f32_e64 s3, v7, v8
	s_and_b32 s2, s2, s4
	v_cmp_neq_f32_e64 s4, v7, v4
	v_cndmask_b32_e64 v79, 0, 1, s2
	v_cmp_gt_u32_e64 s2, s39, v2
	s_and_b32 s3, vcc_lo, s3
	s_delay_alu instid0(SALU_CYCLE_1)
	v_cndmask_b32_e64 v80, 0, 1, s3
	s_and_b32 s43, s2, s4
.LBB824_74:
	s_mov_b32 s42, -1
	s_cbranch_execnz .LBB824_83
.LBB824_75:
	v_mad_i32_i24 v3, 0xffffffc6, v0, v3
	v_and_b32_e32 v33, 0xffff0000, v1
	v_dual_lshlrev_b32 v32, 16, v1 :: v_dual_lshlrev_b32 v30, 16, v35
	v_and_b32_e32 v31, 0xffff0000, v35
	v_and_b32_e32 v29, 0xffff0000, v34
	v_dual_lshlrev_b32 v28, 16, v34 :: v_dual_lshlrev_b32 v26, 16, v37
	v_and_b32_e32 v27, 0xffff0000, v37
	;; [unrolled: 3-line block ×7, first 2 shown]
	v_and_b32_e32 v5, 0xffff0000, v46
	s_wait_loadcnt 0x0
	v_lshlrev_b32_e32 v4, 16, v46
	s_and_b32 vcc_lo, exec_lo, s33
	ds_store_b16_d16_hi v3, v1
	s_cbranch_vccz .LBB824_79
; %bb.76:
	v_cmp_neq_f32_e64 s2, v31, v32
	v_cmp_neq_f32_e64 s3, v30, v31
	;; [unrolled: 1-line block ×28, first 2 shown]
	v_cmp_ne_u32_e64 s30, 0, v0
	s_mov_b32 s44, 0
	v_cmp_neq_f32_e32 vcc_lo, v32, v33
	s_wait_dscnt 0x0
	s_barrier_signal -1
	s_barrier_wait -1
                                        ; implicit-def: $sgpr43
	s_and_saveexec_b32 s45, s30
	s_delay_alu instid0(SALU_CYCLE_1)
	s_xor_b32 s30, exec_lo, s45
	s_cbranch_execz .LBB824_78
; %bb.77:
	v_add_nc_u32_e32 v48, -2, v3
	s_or_b32 s42, s42, exec_lo
	ds_load_u16 v48, v48
	s_wait_dscnt 0x0
	v_lshlrev_b32_e32 v48, 16, v48
	s_delay_alu instid0(VALU_DEP_1)
	v_cmp_neq_f32_e64 s43, v4, v48
.LBB824_78:
	s_or_b32 exec_lo, exec_lo, s30
	v_cndmask_b32_e64 v51, 0, 1, vcc_lo
	v_cndmask_b32_e64 v53, 0, 1, s2
	v_cndmask_b32_e64 v54, 0, 1, s3
	;; [unrolled: 1-line block ×28, first 2 shown]
	s_and_b32 vcc_lo, exec_lo, s44
	s_cbranch_vccnz .LBB824_80
	s_branch .LBB824_83
.LBB824_79:
                                        ; implicit-def: $sgpr43
                                        ; implicit-def: $vgpr80
                                        ; implicit-def: $vgpr79
                                        ; implicit-def: $vgpr78
                                        ; implicit-def: $vgpr77
                                        ; implicit-def: $vgpr76
                                        ; implicit-def: $vgpr75
                                        ; implicit-def: $vgpr74
                                        ; implicit-def: $vgpr73
                                        ; implicit-def: $vgpr72
                                        ; implicit-def: $vgpr71
                                        ; implicit-def: $vgpr70
                                        ; implicit-def: $vgpr69
                                        ; implicit-def: $vgpr68
                                        ; implicit-def: $vgpr67
                                        ; implicit-def: $vgpr66
                                        ; implicit-def: $vgpr65
                                        ; implicit-def: $vgpr64
                                        ; implicit-def: $vgpr63
                                        ; implicit-def: $vgpr62
                                        ; implicit-def: $vgpr61
                                        ; implicit-def: $vgpr60
                                        ; implicit-def: $vgpr59
                                        ; implicit-def: $vgpr58
                                        ; implicit-def: $vgpr57
                                        ; implicit-def: $vgpr56
                                        ; implicit-def: $vgpr55
                                        ; implicit-def: $vgpr54
                                        ; implicit-def: $vgpr53
                                        ; implicit-def: $vgpr51
	s_cbranch_execz .LBB824_83
.LBB824_80:
	v_add_nc_u32_e32 v48, 29, v2
	v_cmp_neq_f32_e32 vcc_lo, v32, v33
	v_dual_add_nc_u32 v33, 28, v2 :: v_dual_add_nc_u32 v49, 27, v2
	v_cmp_neq_f32_e64 s2, v31, v32
	s_delay_alu instid0(VALU_DEP_4)
	v_cmp_gt_u32_e64 s3, s39, v48
	v_add_nc_u32_e32 v32, 26, v2
	v_cmp_neq_f32_e64 s4, v30, v31
	v_cmp_gt_u32_e64 s5, s39, v33
	v_cmp_gt_u32_e64 s6, s39, v49
	s_and_b32 s11, s3, vcc_lo
	v_cmp_gt_u32_e32 vcc_lo, s39, v32
	v_add_nc_u32_e32 v31, 25, v2
	v_cmp_neq_f32_e64 s3, v29, v30
	v_add_nc_u32_e32 v30, 24, v2
	s_and_b32 s12, s5, s2
	s_and_b32 s13, s6, s4
	v_cmp_gt_u32_e64 s2, s39, v31
	s_and_b32 s14, vcc_lo, s3
	v_cmp_neq_f32_e32 vcc_lo, v28, v29
	v_add_nc_u32_e32 v29, 23, v2
	v_cmp_gt_u32_e64 s3, s39, v30
	v_cmp_neq_f32_e64 s4, v27, v28
	v_add_nc_u32_e32 v28, 22, v2
	s_and_b32 s15, s2, vcc_lo
	v_cmp_gt_u32_e32 vcc_lo, s39, v29
	v_cmp_neq_f32_e64 s2, v26, v27
	s_and_b32 s16, s3, s4
	v_cmp_gt_u32_e64 s3, s39, v28
	v_add_nc_u32_e32 v27, 21, v2
	v_cmp_neq_f32_e64 s4, v25, v26
	v_dual_add_nc_u32 v26, 20, v2 :: v_dual_add_nc_u32 v28, 19, v2
	s_and_b32 s17, vcc_lo, s2
	v_cmp_gt_u32_e32 vcc_lo, s39, v27
	s_and_b32 s18, s3, s4
	v_cmp_neq_f32_e64 s2, v24, v25
	v_cmp_gt_u32_e64 s3, s39, v26
	v_cmp_neq_f32_e64 s5, v23, v24
	v_cmp_neq_f32_e64 s6, v21, v23
	v_add_nc_u32_e32 v23, 18, v2
	v_cmp_gt_u32_e64 s4, s39, v28
	v_dual_add_nc_u32 v24, 17, v2 :: v_dual_add_nc_u32 v25, 16, v2
	s_and_b32 s19, vcc_lo, s2
	s_and_b32 s20, s3, s5
	s_and_b32 s21, s4, s6
	v_cmp_gt_u32_e32 vcc_lo, s39, v23
	v_cmp_gt_u32_e64 s2, s39, v24
	v_cmp_neq_f32_e64 s3, v22, v21
	v_cmp_neq_f32_e64 s4, v20, v22
	v_add_nc_u32_e32 v21, 15, v2
	v_cmp_neq_f32_e64 s6, v19, v20
	v_add_nc_u32_e32 v20, 14, v2
	s_and_b32 s22, vcc_lo, s3
	s_and_b32 s23, s2, s4
	v_cmp_gt_u32_e32 vcc_lo, s39, v21
	v_cmp_neq_f32_e64 s2, v18, v19
	v_add_nc_u32_e32 v19, 13, v2
	v_cmp_gt_u32_e64 s3, s39, v20
	v_cmp_neq_f32_e64 s4, v17, v18
	v_add_nc_u32_e32 v18, 12, v2
	v_cmp_gt_u32_e64 s5, s39, v25
	s_and_b32 s25, vcc_lo, s2
	v_cmp_gt_u32_e32 vcc_lo, s39, v19
	v_cmp_neq_f32_e64 s2, v16, v17
	s_and_b32 s26, s3, s4
	v_cmp_gt_u32_e64 s3, s39, v18
	v_add_nc_u32_e32 v17, 11, v2
	v_cmp_neq_f32_e64 s4, v15, v16
	v_dual_add_nc_u32 v16, 10, v2 :: v_dual_add_nc_u32 v18, 9, v2
	s_and_b32 s24, s5, s6
	s_and_b32 s27, vcc_lo, s2
	v_cmp_gt_u32_e32 vcc_lo, s39, v17
	s_and_b32 s28, s3, s4
	v_cmp_neq_f32_e64 s2, v14, v15
	v_cmp_gt_u32_e64 s3, s39, v16
	v_cmp_neq_f32_e64 s5, v13, v14
	v_cmp_neq_f32_e64 s6, v11, v13
	v_add_nc_u32_e32 v13, 8, v2
	v_cmp_gt_u32_e64 s4, s39, v18
	v_dual_add_nc_u32 v14, 7, v2 :: v_dual_add_nc_u32 v15, 6, v2
	s_and_b32 s29, vcc_lo, s2
	s_and_b32 s30, s3, s5
	s_and_b32 s44, s4, s6
	v_cmp_gt_u32_e32 vcc_lo, s39, v13
	v_cmp_gt_u32_e64 s2, s39, v14
	v_cmp_neq_f32_e64 s3, v12, v11
	v_cmp_neq_f32_e64 s4, v10, v12
	v_add_nc_u32_e32 v11, 5, v2
	v_cmp_neq_f32_e64 s6, v9, v10
	v_add_nc_u32_e32 v10, 4, v2
	v_cmp_gt_u32_e64 s5, s39, v15
	s_and_b32 s45, vcc_lo, s3
	s_and_b32 s46, s2, s4
	v_cmp_gt_u32_e32 vcc_lo, s39, v11
	v_add_nc_u32_e32 v11, 3, v2
	v_cmp_neq_f32_e64 s2, v7, v9
	v_cmp_gt_u32_e64 s3, s39, v10
	v_dual_add_nc_u32 v9, 2, v2 :: v_dual_bitop2_b32 v10, 1, v2 bitop3:0x54
	s_and_b32 s47, s5, s6
	v_cmp_gt_u32_e64 s4, s39, v11
	v_cmp_neq_f32_e64 s5, v8, v7
	v_cmp_neq_f32_e64 s6, v6, v8
	v_cmp_gt_u32_e64 s7, s39, v9
	v_cmp_gt_u32_e64 s8, s39, v10
	v_cmp_neq_f32_e64 s9, v5, v6
	v_cmp_neq_f32_e64 s10, v4, v5
	s_and_b32 s48, vcc_lo, s2
	s_and_b32 s3, s3, s5
	s_and_b32 s4, s4, s6
	;; [unrolled: 1-line block ×4, first 2 shown]
	s_mov_b32 s7, exec_lo
	s_wait_dscnt 0x0
	s_barrier_signal -1
	s_barrier_wait -1
                                        ; implicit-def: $sgpr43
	v_cmpx_ne_u32_e32 0, v0
	s_cbranch_execz .LBB824_82
; %bb.81:
	v_add_nc_u32_e32 v3, -2, v3
	v_cmp_gt_u32_e32 vcc_lo, s39, v2
	s_or_b32 s42, s42, exec_lo
	ds_load_u16 v3, v3
	s_wait_dscnt 0x0
	v_lshlrev_b32_e32 v3, 16, v3
	s_delay_alu instid0(VALU_DEP_1)
	v_cmp_neq_f32_e64 s2, v4, v3
	s_and_b32 s43, vcc_lo, s2
.LBB824_82:
	s_or_b32 exec_lo, exec_lo, s7
	v_cndmask_b32_e64 v51, 0, 1, s11
	v_cndmask_b32_e64 v53, 0, 1, s12
	;; [unrolled: 1-line block ×29, first 2 shown]
.LBB824_83:
	v_mov_b32_e32 v81, 1
	s_and_saveexec_b32 s2, s42
; %bb.84:
	v_cndmask_b32_e64 v81, 0, 1, s43
; %bb.85:
	s_or_b32 exec_lo, exec_lo, s2
	s_load_b64 s[10:11], s[0:1], 0x60
	s_and_not1_b32 vcc_lo, exec_lo, s40
	s_cbranch_vccnz .LBB824_87
; %bb.86:
	v_cmp_gt_u32_e32 vcc_lo, s39, v2
	v_dual_add_nc_u32 v5, 4, v2 :: v_dual_bitop2_b32 v3, 1, v2 bitop3:0x54
	v_cndmask_b32_e32 v81, 0, v81, vcc_lo
	s_delay_alu instid0(VALU_DEP_2) | instskip(SKIP_3) | instid1(VALU_DEP_2)
	v_cmp_gt_u32_e32 vcc_lo, s39, v3
	s_wait_loadcnt 0x0
	v_dual_add_nc_u32 v4, 2, v2 :: v_dual_add_nc_u32 v3, 3, v2
	v_cndmask_b32_e32 v80, 0, v80, vcc_lo
	v_cmp_gt_u32_e32 vcc_lo, s39, v4
	v_dual_cndmask_b32 v79, 0, v79 :: v_dual_add_nc_u32 v4, 5, v2
	s_delay_alu instid0(VALU_DEP_4)
	v_cmp_gt_u32_e32 vcc_lo, s39, v3
	v_cndmask_b32_e32 v78, 0, v78, vcc_lo
	v_cmp_gt_u32_e32 vcc_lo, s39, v5
	v_dual_add_nc_u32 v5, 8, v2 :: v_dual_cndmask_b32 v77, 0, v77, vcc_lo
	v_cmp_gt_u32_e32 vcc_lo, s39, v4
	v_dual_add_nc_u32 v3, 6, v2 :: v_dual_add_nc_u32 v4, 7, v2
	v_cndmask_b32_e32 v76, 0, v76, vcc_lo
	s_delay_alu instid0(VALU_DEP_2) | instskip(SKIP_1) | instid1(VALU_DEP_4)
	v_cmp_gt_u32_e32 vcc_lo, s39, v3
	v_dual_add_nc_u32 v3, 9, v2 :: v_dual_cndmask_b32 v75, 0, v75, vcc_lo
	v_cmp_gt_u32_e32 vcc_lo, s39, v4
	v_cndmask_b32_e32 v74, 0, v74, vcc_lo
	v_cmp_gt_u32_e32 vcc_lo, s39, v5
	v_dual_add_nc_u32 v5, 12, v2 :: v_dual_cndmask_b32 v73, 0, v73, vcc_lo
	v_cmp_gt_u32_e32 vcc_lo, s39, v3
	v_dual_add_nc_u32 v4, 10, v2 :: v_dual_add_nc_u32 v3, 11, v2
	v_cndmask_b32_e32 v72, 0, v72, vcc_lo
	s_delay_alu instid0(VALU_DEP_2) | instskip(SKIP_1) | instid1(VALU_DEP_4)
	v_cmp_gt_u32_e32 vcc_lo, s39, v4
	v_dual_cndmask_b32 v71, 0, v71 :: v_dual_add_nc_u32 v4, 13, v2
	v_cmp_gt_u32_e32 vcc_lo, s39, v3
	v_cndmask_b32_e32 v70, 0, v70, vcc_lo
	v_cmp_gt_u32_e32 vcc_lo, s39, v5
	v_dual_add_nc_u32 v5, 16, v2 :: v_dual_cndmask_b32 v69, 0, v69, vcc_lo
	v_cmp_gt_u32_e32 vcc_lo, s39, v4
	v_dual_add_nc_u32 v3, 14, v2 :: v_dual_add_nc_u32 v4, 15, v2
	v_cndmask_b32_e32 v68, 0, v68, vcc_lo
	s_delay_alu instid0(VALU_DEP_2) | instskip(SKIP_1) | instid1(VALU_DEP_4)
	v_cmp_gt_u32_e32 vcc_lo, s39, v3
	v_dual_add_nc_u32 v3, 17, v2 :: v_dual_cndmask_b32 v67, 0, v67, vcc_lo
	v_cmp_gt_u32_e32 vcc_lo, s39, v4
	v_cndmask_b32_e32 v66, 0, v66, vcc_lo
	v_cmp_gt_u32_e32 vcc_lo, s39, v5
	v_dual_add_nc_u32 v5, 20, v2 :: v_dual_cndmask_b32 v65, 0, v65, vcc_lo
	v_cmp_gt_u32_e32 vcc_lo, s39, v3
	v_dual_add_nc_u32 v4, 18, v2 :: v_dual_add_nc_u32 v3, 19, v2
	v_cndmask_b32_e32 v64, 0, v64, vcc_lo
	s_delay_alu instid0(VALU_DEP_2) | instskip(SKIP_1) | instid1(VALU_DEP_4)
	v_cmp_gt_u32_e32 vcc_lo, s39, v4
	v_dual_cndmask_b32 v63, 0, v63 :: v_dual_add_nc_u32 v4, 21, v2
	v_cmp_gt_u32_e32 vcc_lo, s39, v3
	v_cndmask_b32_e32 v62, 0, v62, vcc_lo
	v_cmp_gt_u32_e32 vcc_lo, s39, v5
	v_dual_add_nc_u32 v5, 24, v2 :: v_dual_cndmask_b32 v61, 0, v61, vcc_lo
	v_cmp_gt_u32_e32 vcc_lo, s39, v4
	v_dual_add_nc_u32 v3, 22, v2 :: v_dual_add_nc_u32 v4, 23, v2
	v_cndmask_b32_e32 v60, 0, v60, vcc_lo
	s_delay_alu instid0(VALU_DEP_2) | instskip(SKIP_1) | instid1(VALU_DEP_4)
	v_cmp_gt_u32_e32 vcc_lo, s39, v3
	v_dual_add_nc_u32 v3, 25, v2 :: v_dual_cndmask_b32 v59, 0, v59, vcc_lo
	v_cmp_gt_u32_e32 vcc_lo, s39, v4
	v_cndmask_b32_e32 v58, 0, v58, vcc_lo
	v_cmp_gt_u32_e32 vcc_lo, s39, v5
	v_dual_add_nc_u32 v5, 28, v2 :: v_dual_cndmask_b32 v57, 0, v57, vcc_lo
	v_cmp_gt_u32_e32 vcc_lo, s39, v3
	v_dual_add_nc_u32 v4, 26, v2 :: v_dual_add_nc_u32 v3, 27, v2
	v_dual_add_nc_u32 v2, 29, v2 :: v_dual_cndmask_b32 v56, 0, v56, vcc_lo
	s_delay_alu instid0(VALU_DEP_2) | instskip(SKIP_1) | instid1(VALU_DEP_4)
	v_cmp_gt_u32_e32 vcc_lo, s39, v4
	v_cndmask_b32_e32 v55, 0, v55, vcc_lo
	v_cmp_gt_u32_e32 vcc_lo, s39, v3
	v_cndmask_b32_e32 v54, 0, v54, vcc_lo
	;; [unrolled: 2-line block ×4, first 2 shown]
.LBB824_87:
	s_delay_alu instid0(VALU_DEP_3) | instskip(NEXT) | instid1(VALU_DEP_2)
	v_and_b32_e32 v82, 0xff, v53
	v_and_b32_e32 v2, 0xff, v51
	v_and_b32_e32 v83, 0xff, v55
	v_and_b32_e32 v84, 0xff, v54
	v_and_b32_e32 v85, 0xff, v57
	v_and_b32_e32 v86, 0xff, v56
	v_dual_add_nc_u32 v2, v82, v2 :: v_dual_bitop2_b32 v3, 31, v0 bitop3:0x54
	v_and_b32_e32 v87, 0xff, v59
	v_and_b32_e32 v88, 0xff, v58
	;; [unrolled: 1-line block ×3, first 2 shown]
	s_delay_alu instid0(VALU_DEP_4)
	v_add3_u32 v2, v2, v84, v83
	v_and_b32_e32 v90, 0xff, v60
	v_and_b32_e32 v91, 0xff, v63
	v_and_b32_e32 v92, 0xff, v62
	v_and_b32_e32 v93, 0xff, v65
	v_add3_u32 v2, v2, v86, v85
	v_and_b32_e32 v94, 0xff, v64
	v_and_b32_e32 v95, 0xff, v67
	v_and_b32_e32 v96, 0xff, v66
	v_and_b32_e32 v97, 0xff, v69
	v_add3_u32 v2, v2, v88, v87
	v_and_b32_e32 v98, 0xff, v68
	v_and_b32_e32 v99, 0xff, v71
	v_and_b32_e32 v100, 0xff, v70
	v_and_b32_e32 v101, 0xff, v73
	v_add3_u32 v2, v2, v90, v89
	v_and_b32_e32 v102, 0xff, v72
	v_and_b32_e32 v103, 0xff, v75
	v_and_b32_e32 v104, 0xff, v74
	v_and_b32_e32 v106, 0xff, v77
	v_add3_u32 v2, v2, v92, v91
	v_and_b32_e32 v107, 0xff, v76
	v_mbcnt_lo_u32_b32 v111, -1, 0
	v_and_b32_e32 v109, 0xff, v79
	v_and_b32_e32 v110, 0xff, v78
	v_add3_u32 v2, v2, v94, v93
	v_and_b32_e32 v105, 0xffff, v81
	v_and_b32_e32 v108, 0xff, v80
	s_wait_loadcnt 0x0
	v_dual_lshrrev_b32 v112, 5, v0 :: v_dual_bitop2_b32 v4, 15, v111 bitop3:0x40
	v_add3_u32 v2, v2, v96, v95
	v_and_b32_e32 v5, 16, v111
	v_cmp_eq_u32_e64 s2, v0, v3
	s_delay_alu instid0(VALU_DEP_4)
	v_cmp_eq_u32_e64 s7, 0, v4
	v_cmp_lt_u32_e64 s6, 1, v4
	v_add3_u32 v2, v2, v98, v97
	v_cmp_lt_u32_e64 s5, 3, v4
	v_cmp_lt_u32_e64 s4, 7, v4
	v_cmp_eq_u32_e64 s3, 0, v5
	s_and_b32 vcc_lo, exec_lo, s41
	v_add3_u32 v2, v2, v100, v99
	s_mov_b32 s8, -1
	s_wait_dscnt 0x0
	s_barrier_signal -1
	s_barrier_wait -1
	v_add3_u32 v2, v2, v102, v101
	s_delay_alu instid0(VALU_DEP_1) | instskip(NEXT) | instid1(VALU_DEP_1)
	v_add3_u32 v2, v2, v104, v103
	v_add3_u32 v2, v2, v107, v106
	s_delay_alu instid0(VALU_DEP_1) | instskip(NEXT) | instid1(VALU_DEP_1)
	v_add3_u32 v2, v2, v110, v109
	v_add3_u32 v113, v2, v108, v105
	s_cbranch_vccz .LBB824_109
; %bb.88:
	s_delay_alu instid0(VALU_DEP_1) | instskip(NEXT) | instid1(VALU_DEP_1)
	v_mov_b32_dpp v2, v113 row_shr:1 row_mask:0xf bank_mask:0xf
	v_cndmask_b32_e64 v2, v2, 0, s7
	s_delay_alu instid0(VALU_DEP_1) | instskip(NEXT) | instid1(VALU_DEP_1)
	v_add_nc_u32_e32 v2, v2, v113
	v_mov_b32_dpp v3, v2 row_shr:2 row_mask:0xf bank_mask:0xf
	s_delay_alu instid0(VALU_DEP_1) | instskip(NEXT) | instid1(VALU_DEP_1)
	v_cndmask_b32_e64 v3, 0, v3, s6
	v_add_nc_u32_e32 v2, v2, v3
	s_delay_alu instid0(VALU_DEP_1) | instskip(NEXT) | instid1(VALU_DEP_1)
	v_mov_b32_dpp v3, v2 row_shr:4 row_mask:0xf bank_mask:0xf
	v_cndmask_b32_e64 v3, 0, v3, s5
	s_delay_alu instid0(VALU_DEP_1) | instskip(NEXT) | instid1(VALU_DEP_1)
	v_add_nc_u32_e32 v2, v2, v3
	v_mov_b32_dpp v3, v2 row_shr:8 row_mask:0xf bank_mask:0xf
	s_delay_alu instid0(VALU_DEP_1) | instskip(NEXT) | instid1(VALU_DEP_1)
	v_cndmask_b32_e64 v3, 0, v3, s4
	v_add_nc_u32_e32 v2, v2, v3
	ds_swizzle_b32 v3, v2 offset:swizzle(BROADCAST,32,15)
	s_wait_dscnt 0x0
	v_cndmask_b32_e64 v3, v3, 0, s3
	s_delay_alu instid0(VALU_DEP_1)
	v_add_nc_u32_e32 v2, v2, v3
	s_and_saveexec_b32 s8, s2
; %bb.89:
	v_lshlrev_b32_e32 v3, 2, v112
	ds_store_b32 v3, v2
; %bb.90:
	s_or_b32 exec_lo, exec_lo, s8
	s_delay_alu instid0(SALU_CYCLE_1)
	s_mov_b32 s8, exec_lo
	s_wait_dscnt 0x0
	s_barrier_signal -1
	s_barrier_wait -1
	v_cmpx_gt_u32_e32 8, v0
	s_cbranch_execz .LBB824_92
; %bb.91:
	v_dual_lshlrev_b32 v3, 2, v0 :: v_dual_bitop2_b32 v5, 7, v111 bitop3:0x40
	ds_load_b32 v4, v3
	v_cmp_ne_u32_e32 vcc_lo, 0, v5
	s_wait_dscnt 0x0
	v_mov_b32_dpp v6, v4 row_shr:1 row_mask:0xf bank_mask:0xf
	s_delay_alu instid0(VALU_DEP_1) | instskip(SKIP_1) | instid1(VALU_DEP_2)
	v_cndmask_b32_e32 v6, 0, v6, vcc_lo
	v_cmp_lt_u32_e32 vcc_lo, 1, v5
	v_add_nc_u32_e32 v4, v6, v4
	s_delay_alu instid0(VALU_DEP_1) | instskip(NEXT) | instid1(VALU_DEP_1)
	v_mov_b32_dpp v6, v4 row_shr:2 row_mask:0xf bank_mask:0xf
	v_cndmask_b32_e32 v6, 0, v6, vcc_lo
	v_cmp_lt_u32_e32 vcc_lo, 3, v5
	s_delay_alu instid0(VALU_DEP_2) | instskip(NEXT) | instid1(VALU_DEP_1)
	v_add_nc_u32_e32 v4, v4, v6
	v_mov_b32_dpp v6, v4 row_shr:4 row_mask:0xf bank_mask:0xf
	s_delay_alu instid0(VALU_DEP_1) | instskip(NEXT) | instid1(VALU_DEP_1)
	v_cndmask_b32_e32 v5, 0, v6, vcc_lo
	v_add_nc_u32_e32 v4, v4, v5
	ds_store_b32 v3, v4
.LBB824_92:
	s_or_b32 exec_lo, exec_lo, s8
	s_delay_alu instid0(SALU_CYCLE_1)
	s_mov_b32 s9, exec_lo
	v_cmp_gt_u32_e32 vcc_lo, 32, v0
	s_wait_dscnt 0x0
	s_barrier_signal -1
	s_barrier_wait -1
                                        ; implicit-def: $vgpr10
	v_cmpx_lt_u32_e32 31, v0
	s_cbranch_execz .LBB824_94
; %bb.93:
	v_lshl_add_u32 v3, v112, 2, -4
	ds_load_b32 v10, v3
	s_wait_dscnt 0x0
	v_add_nc_u32_e32 v2, v10, v2
.LBB824_94:
	s_or_b32 exec_lo, exec_lo, s9
	v_sub_co_u32 v3, s8, v111, 1
	s_delay_alu instid0(VALU_DEP_1) | instskip(NEXT) | instid1(VALU_DEP_1)
	v_cmp_gt_i32_e64 s9, 0, v3
	v_cndmask_b32_e64 v3, v3, v111, s9
	s_delay_alu instid0(VALU_DEP_1)
	v_lshlrev_b32_e32 v3, 2, v3
	ds_bpermute_b32 v11, v3, v2
	s_and_saveexec_b32 s9, vcc_lo
	s_cbranch_execz .LBB824_114
; %bb.95:
	v_mov_b32_e32 v9, 0
	ds_load_b32 v2, v9 offset:28
	s_and_saveexec_b32 s12, s8
	s_cbranch_execz .LBB824_97
; %bb.96:
	s_add_co_i32 s13, s38, 32
	s_delay_alu instid0(SALU_CYCLE_1)
	v_dual_mov_b32 v3, 1 :: v_dual_mov_b32 v4, s13
	s_wait_xcnt 0x0
	s_wait_dscnt 0x0
	s_wait_kmcnt 0x0
	global_store_b64 v4, v[2:3], s[10:11] scale_offset scope:SCOPE_DEV
.LBB824_97:
	s_wait_xcnt 0x0
	s_or_b32 exec_lo, exec_lo, s12
	v_xad_u32 v4, v111, -1, s38
	s_mov_b32 s13, 0
	s_mov_b32 s12, exec_lo
	s_delay_alu instid0(VALU_DEP_1)
	v_add_nc_u32_e32 v8, 32, v4
	s_wait_kmcnt 0x0
	global_load_b64 v[6:7], v8, s[10:11] scale_offset scope:SCOPE_DEV
	s_wait_loadcnt 0x0
	v_and_b32_e32 v3, 0xff, v7
	s_wait_xcnt 0x0
	s_delay_alu instid0(VALU_DEP_1)
	v_cmpx_eq_u16_e32 0, v3
	s_cbranch_execz .LBB824_101
; %bb.98:
	v_lshl_add_u64 v[8:9], v[8:9], 3, s[10:11]
.LBB824_99:                             ; =>This Inner Loop Header: Depth=1
	global_load_b64 v[6:7], v[8:9], off scope:SCOPE_DEV
	s_wait_loadcnt 0x0
	v_and_b32_e32 v3, 0xff, v7
	s_delay_alu instid0(VALU_DEP_1)
	v_cmp_ne_u16_e32 vcc_lo, 0, v3
	s_or_b32 s13, vcc_lo, s13
	s_wait_xcnt 0x0
	s_and_not1_b32 exec_lo, exec_lo, s13
	s_cbranch_execnz .LBB824_99
; %bb.100:
	s_or_b32 exec_lo, exec_lo, s13
.LBB824_101:
	s_delay_alu instid0(SALU_CYCLE_1)
	s_or_b32 exec_lo, exec_lo, s12
	v_cmp_ne_u32_e32 vcc_lo, 31, v111
	v_lshlrev_b32_e64 v13, v111, -1
	v_lshl_or_b32 v20, v111, 2, 64
	v_dual_add_nc_u32 v15, 2, v111 :: v_dual_add_nc_u32 v17, 4, v111
	v_add_co_ci_u32_e64 v3, null, 0, v111, vcc_lo
	v_dual_add_nc_u32 v19, 8, v111 :: v_dual_add_nc_u32 v21, 16, v111
	s_delay_alu instid0(VALU_DEP_2)
	v_lshlrev_b32_e32 v12, 2, v3
	v_and_b32_e32 v3, 0xff, v7
	ds_bpermute_b32 v5, v12, v6
	v_cmp_eq_u16_e32 vcc_lo, 2, v3
	v_and_or_b32 v3, vcc_lo, v13, 0x80000000
	v_cmp_gt_u32_e32 vcc_lo, 30, v111
	s_delay_alu instid0(VALU_DEP_2) | instskip(SKIP_1) | instid1(VALU_DEP_2)
	v_ctz_i32_b32_e32 v3, v3
	v_cndmask_b32_e64 v8, 0, 2, vcc_lo
	v_cmp_lt_u32_e32 vcc_lo, v111, v3
	s_delay_alu instid0(VALU_DEP_2) | instskip(SKIP_3) | instid1(VALU_DEP_2)
	v_add_lshl_u32 v14, v8, v111, 2
	s_wait_dscnt 0x0
	v_cndmask_b32_e32 v5, 0, v5, vcc_lo
	v_cmp_gt_u32_e32 vcc_lo, 28, v111
	v_add_nc_u32_e32 v5, v5, v6
	v_cndmask_b32_e64 v8, 0, 4, vcc_lo
	v_cmp_le_u32_e32 vcc_lo, v15, v3
	ds_bpermute_b32 v6, v14, v5
	v_add_lshl_u32 v16, v8, v111, 2
	s_wait_dscnt 0x0
	v_cndmask_b32_e32 v6, 0, v6, vcc_lo
	v_cmp_gt_u32_e32 vcc_lo, 24, v111
	v_cndmask_b32_e64 v8, 0, 8, vcc_lo
	v_cmp_le_u32_e32 vcc_lo, v17, v3
	s_delay_alu instid0(VALU_DEP_4) | instskip(NEXT) | instid1(VALU_DEP_3)
	v_add_nc_u32_e32 v5, v5, v6
	v_add_lshl_u32 v18, v8, v111, 2
	ds_bpermute_b32 v6, v16, v5
	s_wait_dscnt 0x0
	v_cndmask_b32_e32 v6, 0, v6, vcc_lo
	v_cmp_le_u32_e32 vcc_lo, v19, v3
	s_delay_alu instid0(VALU_DEP_2) | instskip(SKIP_4) | instid1(VALU_DEP_2)
	v_add_nc_u32_e32 v5, v5, v6
	ds_bpermute_b32 v6, v18, v5
	s_wait_dscnt 0x0
	v_cndmask_b32_e32 v6, 0, v6, vcc_lo
	v_cmp_le_u32_e32 vcc_lo, v21, v3
	v_add_nc_u32_e32 v5, v5, v6
	ds_bpermute_b32 v6, v20, v5
	s_wait_dscnt 0x0
	v_cndmask_b32_e32 v3, 0, v6, vcc_lo
	s_delay_alu instid0(VALU_DEP_1)
	v_dual_mov_b32 v5, 0 :: v_dual_add_nc_u32 v6, v5, v3
	s_branch .LBB824_104
.LBB824_102:                            ;   in Loop: Header=BB824_104 Depth=1
	s_or_b32 exec_lo, exec_lo, s12
	v_and_b32_e32 v8, 0xff, v7
	ds_bpermute_b32 v9, v12, v6
	v_subrev_nc_u32_e32 v4, 32, v4
	s_mov_b32 s12, 0
	v_cmp_eq_u16_e32 vcc_lo, 2, v8
	v_and_or_b32 v8, vcc_lo, v13, 0x80000000
	s_delay_alu instid0(VALU_DEP_1) | instskip(NEXT) | instid1(VALU_DEP_1)
	v_ctz_i32_b32_e32 v8, v8
	v_cmp_lt_u32_e32 vcc_lo, v111, v8
	s_wait_dscnt 0x0
	v_cndmask_b32_e32 v9, 0, v9, vcc_lo
	v_cmp_le_u32_e32 vcc_lo, v15, v8
	s_delay_alu instid0(VALU_DEP_2) | instskip(SKIP_4) | instid1(VALU_DEP_2)
	v_add_nc_u32_e32 v6, v9, v6
	ds_bpermute_b32 v9, v14, v6
	s_wait_dscnt 0x0
	v_cndmask_b32_e32 v9, 0, v9, vcc_lo
	v_cmp_le_u32_e32 vcc_lo, v17, v8
	v_add_nc_u32_e32 v6, v6, v9
	ds_bpermute_b32 v9, v16, v6
	s_wait_dscnt 0x0
	v_cndmask_b32_e32 v9, 0, v9, vcc_lo
	v_cmp_le_u32_e32 vcc_lo, v19, v8
	s_delay_alu instid0(VALU_DEP_2) | instskip(SKIP_4) | instid1(VALU_DEP_2)
	v_add_nc_u32_e32 v6, v6, v9
	ds_bpermute_b32 v9, v18, v6
	s_wait_dscnt 0x0
	v_cndmask_b32_e32 v9, 0, v9, vcc_lo
	v_cmp_le_u32_e32 vcc_lo, v21, v8
	v_add_nc_u32_e32 v6, v6, v9
	ds_bpermute_b32 v9, v20, v6
	s_wait_dscnt 0x0
	v_cndmask_b32_e32 v8, 0, v9, vcc_lo
	s_delay_alu instid0(VALU_DEP_1)
	v_add3_u32 v6, v8, v3, v6
.LBB824_103:                            ;   in Loop: Header=BB824_104 Depth=1
	s_and_b32 vcc_lo, exec_lo, s12
	s_cbranch_vccnz .LBB824_110
.LBB824_104:                            ; =>This Loop Header: Depth=1
                                        ;     Child Loop BB824_107 Depth 2
	v_and_b32_e32 v3, 0xff, v7
	s_mov_b32 s12, -1
                                        ; implicit-def: $vgpr7
	s_delay_alu instid0(VALU_DEP_1)
	v_cmp_ne_u16_e32 vcc_lo, 2, v3
	v_mov_b32_e32 v3, v6
                                        ; implicit-def: $vgpr6
	s_cmp_lg_u32 vcc_lo, exec_lo
	s_cbranch_scc1 .LBB824_103
; %bb.105:                              ;   in Loop: Header=BB824_104 Depth=1
	global_load_b64 v[6:7], v4, s[10:11] scale_offset scope:SCOPE_DEV
	s_mov_b32 s12, exec_lo
	s_wait_loadcnt 0x0
	v_and_b32_e32 v8, 0xff, v7
	s_wait_xcnt 0x0
	s_delay_alu instid0(VALU_DEP_1)
	v_cmpx_eq_u16_e32 0, v8
	s_cbranch_execz .LBB824_102
; %bb.106:                              ;   in Loop: Header=BB824_104 Depth=1
	v_lshl_add_u64 v[8:9], v[4:5], 3, s[10:11]
	s_mov_b32 s13, 0
.LBB824_107:                            ;   Parent Loop BB824_104 Depth=1
                                        ; =>  This Inner Loop Header: Depth=2
	global_load_b64 v[6:7], v[8:9], off scope:SCOPE_DEV
	s_wait_loadcnt 0x0
	v_and_b32_e32 v22, 0xff, v7
	s_delay_alu instid0(VALU_DEP_1)
	v_cmp_ne_u16_e32 vcc_lo, 0, v22
	s_or_b32 s13, vcc_lo, s13
	s_wait_xcnt 0x0
	s_and_not1_b32 exec_lo, exec_lo, s13
	s_cbranch_execnz .LBB824_107
; %bb.108:                              ;   in Loop: Header=BB824_104 Depth=1
	s_or_b32 exec_lo, exec_lo, s13
	s_branch .LBB824_102
.LBB824_109:
                                        ; implicit-def: $vgpr50
                                        ; implicit-def: $vgpr48
                                        ; implicit-def: $vgpr2_vgpr3_vgpr4_vgpr5_vgpr6_vgpr7_vgpr8_vgpr9_vgpr10_vgpr11_vgpr12_vgpr13_vgpr14_vgpr15_vgpr16_vgpr17_vgpr18_vgpr19_vgpr20_vgpr21_vgpr22_vgpr23_vgpr24_vgpr25_vgpr26_vgpr27_vgpr28_vgpr29_vgpr30_vgpr31_vgpr32_vgpr33
	s_and_b32 vcc_lo, exec_lo, s8
	s_cbranch_vccnz .LBB824_115
	s_branch .LBB824_124
.LBB824_110:
	s_and_saveexec_b32 s12, s8
	s_cbranch_execz .LBB824_112
; %bb.111:
	s_add_co_i32 s13, s38, 32
	v_dual_mov_b32 v5, 2 :: v_dual_add_nc_u32 v4, v3, v2
	v_dual_mov_b32 v6, s13 :: v_dual_mov_b32 v7, 0
	global_store_b64 v6, v[4:5], s[10:11] scale_offset scope:SCOPE_DEV
	ds_store_b64 v7, v[2:3] offset:15360
.LBB824_112:
	s_wait_xcnt 0x0
	s_or_b32 exec_lo, exec_lo, s12
	v_cmp_eq_u32_e32 vcc_lo, 0, v0
	s_and_b32 exec_lo, exec_lo, vcc_lo
; %bb.113:
	v_mov_b32_e32 v2, 0
	ds_store_b32 v2, v3 offset:28
.LBB824_114:
	s_or_b32 exec_lo, exec_lo, s9
	s_wait_dscnt 0x0
	v_dual_mov_b32 v28, 0 :: v_dual_cndmask_b32 v3, v11, v10, s8
	s_wait_storecnt 0x0
	s_barrier_signal -1
	s_barrier_wait -1
	ds_load_b32 v2, v28 offset:28
	v_cmp_ne_u32_e32 vcc_lo, 0, v0
	s_wait_dscnt 0x0
	s_barrier_signal -1
	s_barrier_wait -1
	v_cndmask_b32_e32 v3, 0, v3, vcc_lo
	ds_load_b64 v[48:49], v28 offset:15360
	v_add_nc_u32_e32 v2, v2, v3
	s_wait_dscnt 0x0
	s_delay_alu instid0(VALU_DEP_1) | instskip(NEXT) | instid1(VALU_DEP_1)
	v_dual_mov_b32 v50, v49 :: v_dual_add_nc_u32 v3, v2, v105
	v_add_nc_u32_e32 v4, v3, v108
	s_delay_alu instid0(VALU_DEP_1) | instskip(NEXT) | instid1(VALU_DEP_1)
	v_add_nc_u32_e32 v5, v4, v109
	v_add_nc_u32_e32 v6, v5, v110
	s_delay_alu instid0(VALU_DEP_1) | instskip(NEXT) | instid1(VALU_DEP_1)
	v_add_nc_u32_e32 v7, v6, v106
	;; [unrolled: 3-line block ×13, first 2 shown]
	v_add_nc_u32_e32 v30, v29, v84
	s_delay_alu instid0(VALU_DEP_1)
	v_add_nc_u32_e32 v31, v30, v82
	s_branch .LBB824_124
.LBB824_115:
	v_mov_b32_dpp v2, v113 row_shr:1 row_mask:0xf bank_mask:0xf
	s_delay_alu instid0(VALU_DEP_1) | instskip(NEXT) | instid1(VALU_DEP_1)
	v_cndmask_b32_e64 v2, v2, 0, s7
	v_add_nc_u32_e32 v2, v2, v113
	s_delay_alu instid0(VALU_DEP_1) | instskip(NEXT) | instid1(VALU_DEP_1)
	v_mov_b32_dpp v3, v2 row_shr:2 row_mask:0xf bank_mask:0xf
	v_cndmask_b32_e64 v3, 0, v3, s6
	s_delay_alu instid0(VALU_DEP_1) | instskip(NEXT) | instid1(VALU_DEP_1)
	v_add_nc_u32_e32 v2, v2, v3
	v_mov_b32_dpp v3, v2 row_shr:4 row_mask:0xf bank_mask:0xf
	s_delay_alu instid0(VALU_DEP_1) | instskip(NEXT) | instid1(VALU_DEP_1)
	v_cndmask_b32_e64 v3, 0, v3, s5
	v_add_nc_u32_e32 v2, v2, v3
	s_delay_alu instid0(VALU_DEP_1) | instskip(NEXT) | instid1(VALU_DEP_1)
	v_mov_b32_dpp v3, v2 row_shr:8 row_mask:0xf bank_mask:0xf
	v_cndmask_b32_e64 v3, 0, v3, s4
	s_delay_alu instid0(VALU_DEP_1) | instskip(SKIP_3) | instid1(VALU_DEP_1)
	v_add_nc_u32_e32 v2, v2, v3
	ds_swizzle_b32 v3, v2 offset:swizzle(BROADCAST,32,15)
	s_wait_dscnt 0x0
	v_cndmask_b32_e64 v3, v3, 0, s3
	v_add_nc_u32_e32 v2, v2, v3
	s_and_saveexec_b32 s3, s2
; %bb.116:
	v_lshlrev_b32_e32 v3, 2, v112
	ds_store_b32 v3, v2
; %bb.117:
	s_or_b32 exec_lo, exec_lo, s3
	s_delay_alu instid0(SALU_CYCLE_1)
	s_mov_b32 s2, exec_lo
	s_wait_dscnt 0x0
	s_barrier_signal -1
	s_barrier_wait -1
	v_cmpx_gt_u32_e32 8, v0
	s_cbranch_execz .LBB824_119
; %bb.118:
	v_dual_lshlrev_b32 v3, 2, v0 :: v_dual_bitop2_b32 v5, 7, v111 bitop3:0x40
	ds_load_b32 v4, v3
	v_cmp_ne_u32_e32 vcc_lo, 0, v5
	s_wait_dscnt 0x0
	v_mov_b32_dpp v6, v4 row_shr:1 row_mask:0xf bank_mask:0xf
	s_delay_alu instid0(VALU_DEP_1) | instskip(SKIP_1) | instid1(VALU_DEP_2)
	v_cndmask_b32_e32 v6, 0, v6, vcc_lo
	v_cmp_lt_u32_e32 vcc_lo, 1, v5
	v_add_nc_u32_e32 v4, v6, v4
	s_delay_alu instid0(VALU_DEP_1) | instskip(NEXT) | instid1(VALU_DEP_1)
	v_mov_b32_dpp v6, v4 row_shr:2 row_mask:0xf bank_mask:0xf
	v_cndmask_b32_e32 v6, 0, v6, vcc_lo
	v_cmp_lt_u32_e32 vcc_lo, 3, v5
	s_delay_alu instid0(VALU_DEP_2) | instskip(NEXT) | instid1(VALU_DEP_1)
	v_add_nc_u32_e32 v4, v4, v6
	v_mov_b32_dpp v6, v4 row_shr:4 row_mask:0xf bank_mask:0xf
	s_delay_alu instid0(VALU_DEP_1) | instskip(NEXT) | instid1(VALU_DEP_1)
	v_cndmask_b32_e32 v5, 0, v6, vcc_lo
	v_add_nc_u32_e32 v4, v4, v5
	ds_store_b32 v3, v4
.LBB824_119:
	s_or_b32 exec_lo, exec_lo, s2
	v_dual_mov_b32 v4, 0 :: v_dual_mov_b32 v3, 0
	s_mov_b32 s2, exec_lo
	s_wait_dscnt 0x0
	s_barrier_signal -1
	s_barrier_wait -1
	v_cmpx_lt_u32_e32 31, v0
; %bb.120:
	v_lshl_add_u32 v3, v112, 2, -4
	ds_load_b32 v3, v3
; %bb.121:
	s_or_b32 exec_lo, exec_lo, s2
	v_sub_co_u32 v5, vcc_lo, v111, 1
	ds_load_b32 v48, v4 offset:28
	s_wait_dscnt 0x1
	v_add_nc_u32_e32 v2, v3, v2
	v_cmp_gt_i32_e64 s2, 0, v5
	s_delay_alu instid0(VALU_DEP_1) | instskip(SKIP_1) | instid1(VALU_DEP_2)
	v_cndmask_b32_e64 v5, v5, v111, s2
	v_cmp_eq_u32_e64 s2, 0, v0
	v_lshlrev_b32_e32 v5, 2, v5
	ds_bpermute_b32 v2, v5, v2
	s_and_saveexec_b32 s3, s2
	s_cbranch_execz .LBB824_123
; %bb.122:
	v_dual_mov_b32 v4, 0 :: v_dual_mov_b32 v49, 2
	s_wait_xcnt 0x0
	s_wait_dscnt 0x1
	s_wait_kmcnt 0x0
	global_store_b64 v4, v[48:49], s[10:11] offset:256 scope:SCOPE_DEV
.LBB824_123:
	s_wait_xcnt 0x0
	s_or_b32 exec_lo, exec_lo, s3
	s_wait_dscnt 0x0
	v_dual_cndmask_b32 v2, v2, v3, vcc_lo :: v_dual_mov_b32 v50, 0
	s_wait_storecnt 0x0
	s_barrier_signal -1
	s_barrier_wait -1
	s_delay_alu instid0(VALU_DEP_1) | instskip(NEXT) | instid1(VALU_DEP_1)
	v_cndmask_b32_e64 v2, v2, 0, s2
	v_add_nc_u32_e32 v3, v2, v105
	s_delay_alu instid0(VALU_DEP_1) | instskip(NEXT) | instid1(VALU_DEP_1)
	v_add_nc_u32_e32 v4, v3, v108
	v_add_nc_u32_e32 v5, v4, v109
	s_delay_alu instid0(VALU_DEP_1) | instskip(NEXT) | instid1(VALU_DEP_1)
	v_add_nc_u32_e32 v6, v5, v110
	;; [unrolled: 3-line block ×14, first 2 shown]
	v_add_nc_u32_e32 v31, v30, v82
.LBB824_124:
	s_load_b64 s[2:3], s[0:1], 0x28
	v_cmp_gt_u32_e32 vcc_lo, 0x101, v48
	v_and_b32_e32 v32, 1, v81
	s_wait_xcnt 0x0
	s_mov_b32 s0, -1
	s_cbranch_vccnz .LBB824_128
; %bb.125:
	s_and_b32 vcc_lo, exec_lo, s0
	s_cbranch_vccnz .LBB824_189
.LBB824_126:
	v_cmp_eq_u32_e32 vcc_lo, 0, v0
	s_and_b32 s0, vcc_lo, s31
	s_delay_alu instid0(SALU_CYCLE_1)
	s_and_saveexec_b32 s1, s0
	s_cbranch_execnz .LBB824_264
.LBB824_127:
	s_sendmsg sendmsg(MSG_DEALLOC_VGPRS)
	s_endpgm
.LBB824_128:
	v_add_nc_u32_e32 v33, v50, v48
	v_cmp_eq_u32_e64 s0, 1, v32
	s_wait_kmcnt 0x0
	s_lshl_b64 s[4:5], s[34:35], 1
	s_delay_alu instid0(SALU_CYCLE_1) | instskip(SKIP_2) | instid1(SALU_CYCLE_1)
	s_add_nc_u64 s[4:5], s[2:3], s[4:5]
	v_cmp_lt_u32_e32 vcc_lo, v2, v33
	s_or_b32 s1, s33, vcc_lo
	s_and_b32 s1, s1, s0
	s_delay_alu instid0(SALU_CYCLE_1)
	s_and_saveexec_b32 s0, s1
	s_cbranch_execz .LBB824_130
; %bb.129:
	global_store_b16 v2, v46, s[4:5] scale_offset
.LBB824_130:
	s_wait_xcnt 0x0
	s_or_b32 exec_lo, exec_lo, s0
	v_and_b32_e32 v49, 1, v80
	v_cmp_lt_u32_e32 vcc_lo, v3, v33
	s_delay_alu instid0(VALU_DEP_2) | instskip(SKIP_1) | instid1(SALU_CYCLE_1)
	v_cmp_eq_u32_e64 s0, 1, v49
	s_or_b32 s1, s33, vcc_lo
	s_and_b32 s1, s1, s0
	s_delay_alu instid0(SALU_CYCLE_1)
	s_and_saveexec_b32 s0, s1
	s_cbranch_execz .LBB824_132
; %bb.131:
	global_store_d16_hi_b16 v3, v46, s[4:5] scale_offset
.LBB824_132:
	s_wait_xcnt 0x0
	s_or_b32 exec_lo, exec_lo, s0
	v_and_b32_e32 v49, 1, v79
	v_cmp_lt_u32_e32 vcc_lo, v4, v33
	s_delay_alu instid0(VALU_DEP_2) | instskip(SKIP_1) | instid1(SALU_CYCLE_1)
	v_cmp_eq_u32_e64 s0, 1, v49
	s_or_b32 s1, s33, vcc_lo
	s_and_b32 s1, s1, s0
	s_delay_alu instid0(SALU_CYCLE_1)
	s_and_saveexec_b32 s0, s1
	s_cbranch_execz .LBB824_134
; %bb.133:
	global_store_b16 v4, v47, s[4:5] scale_offset
.LBB824_134:
	s_wait_xcnt 0x0
	s_or_b32 exec_lo, exec_lo, s0
	v_and_b32_e32 v49, 1, v78
	v_cmp_lt_u32_e32 vcc_lo, v5, v33
	s_delay_alu instid0(VALU_DEP_2) | instskip(SKIP_1) | instid1(SALU_CYCLE_1)
	v_cmp_eq_u32_e64 s0, 1, v49
	s_or_b32 s1, s33, vcc_lo
	s_and_b32 s1, s1, s0
	s_delay_alu instid0(SALU_CYCLE_1)
	s_and_saveexec_b32 s0, s1
	s_cbranch_execz .LBB824_136
; %bb.135:
	global_store_d16_hi_b16 v5, v47, s[4:5] scale_offset
.LBB824_136:
	s_wait_xcnt 0x0
	s_or_b32 exec_lo, exec_lo, s0
	v_and_b32_e32 v49, 1, v77
	v_cmp_lt_u32_e32 vcc_lo, v6, v33
	s_delay_alu instid0(VALU_DEP_2) | instskip(SKIP_1) | instid1(SALU_CYCLE_1)
	v_cmp_eq_u32_e64 s0, 1, v49
	;; [unrolled: 28-line block ×14, first 2 shown]
	s_or_b32 s1, s33, vcc_lo
	s_and_b32 s1, s1, s0
	s_delay_alu instid0(SALU_CYCLE_1)
	s_and_saveexec_b32 s0, s1
	s_cbranch_execz .LBB824_186
; %bb.185:
	global_store_b16 v30, v1, s[4:5] scale_offset
.LBB824_186:
	s_wait_xcnt 0x0
	s_or_b32 exec_lo, exec_lo, s0
	v_and_b32_e32 v49, 1, v51
	v_cmp_lt_u32_e32 vcc_lo, v31, v33
	s_delay_alu instid0(VALU_DEP_2) | instskip(SKIP_1) | instid1(SALU_CYCLE_1)
	v_cmp_eq_u32_e64 s0, 1, v49
	s_or_b32 s1, s33, vcc_lo
	s_and_b32 s1, s1, s0
	s_delay_alu instid0(SALU_CYCLE_1)
	s_and_saveexec_b32 s0, s1
	s_cbranch_execz .LBB824_188
; %bb.187:
	global_store_d16_hi_b16 v31, v1, s[4:5] scale_offset
.LBB824_188:
	s_wait_xcnt 0x0
	s_or_b32 exec_lo, exec_lo, s0
	s_branch .LBB824_126
.LBB824_189:
	s_mov_b32 s0, exec_lo
	v_cmpx_eq_u32_e32 1, v32
; %bb.190:
	v_sub_nc_u32_e32 v2, v2, v50
	s_delay_alu instid0(VALU_DEP_1)
	v_lshlrev_b32_e32 v2, 1, v2
	ds_store_b16 v2, v46
; %bb.191:
	s_or_b32 exec_lo, exec_lo, s0
	v_and_b32_e32 v2, 1, v80
	s_mov_b32 s0, exec_lo
	s_delay_alu instid0(VALU_DEP_1)
	v_cmpx_eq_u32_e32 1, v2
; %bb.192:
	v_sub_nc_u32_e32 v2, v3, v50
	s_delay_alu instid0(VALU_DEP_1)
	v_lshlrev_b32_e32 v2, 1, v2
	ds_store_b16_d16_hi v2, v46
; %bb.193:
	s_or_b32 exec_lo, exec_lo, s0
	v_and_b32_e32 v2, 1, v79
	s_mov_b32 s0, exec_lo
	s_delay_alu instid0(VALU_DEP_1)
	v_cmpx_eq_u32_e32 1, v2
; %bb.194:
	v_sub_nc_u32_e32 v2, v4, v50
	s_delay_alu instid0(VALU_DEP_1)
	v_lshlrev_b32_e32 v2, 1, v2
	ds_store_b16 v2, v47
; %bb.195:
	s_or_b32 exec_lo, exec_lo, s0
	v_and_b32_e32 v2, 1, v78
	s_mov_b32 s0, exec_lo
	s_delay_alu instid0(VALU_DEP_1)
	v_cmpx_eq_u32_e32 1, v2
; %bb.196:
	v_sub_nc_u32_e32 v2, v5, v50
	s_delay_alu instid0(VALU_DEP_1)
	v_lshlrev_b32_e32 v2, 1, v2
	ds_store_b16_d16_hi v2, v47
; %bb.197:
	s_or_b32 exec_lo, exec_lo, s0
	v_and_b32_e32 v2, 1, v77
	s_mov_b32 s0, exec_lo
	s_delay_alu instid0(VALU_DEP_1)
	;; [unrolled: 22-line block ×14, first 2 shown]
	v_cmpx_eq_u32_e32 1, v2
; %bb.246:
	v_sub_nc_u32_e32 v2, v30, v50
	s_delay_alu instid0(VALU_DEP_1)
	v_lshlrev_b32_e32 v2, 1, v2
	ds_store_b16 v2, v1
; %bb.247:
	s_or_b32 exec_lo, exec_lo, s0
	v_and_b32_e32 v2, 1, v51
	s_mov_b32 s0, exec_lo
	s_delay_alu instid0(VALU_DEP_1)
	v_cmpx_eq_u32_e32 1, v2
; %bb.248:
	v_sub_nc_u32_e32 v2, v31, v50
	s_delay_alu instid0(VALU_DEP_1)
	v_lshlrev_b32_e32 v2, 1, v2
	ds_store_b16_d16_hi v2, v1
; %bb.249:
	s_or_b32 exec_lo, exec_lo, s0
	v_or_b32_e32 v1, 0x100, v0
	v_mov_b32_e32 v51, 0
	s_wait_kmcnt 0x0
	s_lshl_b64 s[0:1], s[34:35], 1
	s_wait_storecnt_dscnt 0x0
	s_add_nc_u64 s[0:1], s[2:3], s[0:1]
	v_max_u32_e32 v3, v48, v1
	v_lshlrev_b64_e32 v[4:5], 1, v[50:51]
	s_mov_b32 s3, -1
	s_barrier_signal -1
	s_barrier_wait -1
	v_xad_u32 v2, v0, -1, v3
	s_delay_alu instid0(VALU_DEP_2) | instskip(SKIP_1) | instid1(VALU_DEP_2)
	v_add_nc_u64_e32 v[8:9], s[0:1], v[4:5]
	s_mov_b32 s1, exec_lo
	v_cmp_gt_u32_e64 s0, 0x1b00, v2
	v_cmpx_lt_u32_e32 0x1aff, v2
	s_cbranch_execz .LBB824_260
; %bb.250:
	v_sub_nc_u32_e32 v3, v0, v3
	s_mov_b32 s2, exec_lo
	s_delay_alu instid0(VALU_DEP_1) | instskip(NEXT) | instid1(VALU_DEP_1)
	v_or_b32_e32 v3, 0xff, v3
	v_cmpx_ge_u32_e64 v3, v0
	s_cbranch_execz .LBB824_259
; %bb.251:
	v_lshrrev_b32_e32 v12, 8, v2
	v_or_b32_e32 v3, 0x300, v0
	v_or_b32_e32 v2, 0x200, v0
	s_delay_alu instid0(VALU_DEP_3) | instskip(NEXT) | instid1(VALU_DEP_1)
	v_dual_mov_b32 v17, 0 :: v_dual_add_nc_u32 v4, -3, v12
	v_lshrrev_b32_e32 v5, 2, v4
	v_lshlrev_b32_e32 v13, 1, v0
	v_cmp_lt_u32_e32 vcc_lo, 11, v4
	s_delay_alu instid0(VALU_DEP_3)
	v_add_nc_u32_e32 v14, 1, v5
	v_mov_b64_e32 v[6:7], v[2:3]
	v_mov_b64_e32 v[4:5], v[0:1]
	s_and_saveexec_b32 s3, vcc_lo
	s_cbranch_execz .LBB824_255
; %bb.252:
	v_mov_b64_e32 v[6:7], v[2:3]
	v_mov_b64_e32 v[4:5], v[0:1]
	v_and_b32_e32 v15, 0x7ffffffc, v14
	v_dual_mov_b32 v11, 0 :: v_dual_mov_b32 v16, v13
	s_mov_b32 s4, 0
	s_mov_b32 s5, 0
.LBB824_253:                            ; =>This Inner Loop Header: Depth=1
	s_delay_alu instid0(VALU_DEP_1) | instskip(SKIP_2) | instid1(VALU_DEP_3)
	v_dual_mov_b32 v10, v4 :: v_dual_mov_b32 v21, v11
	v_add_nc_u32_e32 v15, -4, v15
	v_dual_mov_b32 v27, v11 :: v_dual_add_nc_u32 v20, 0x400, v5
	v_lshl_add_u64 v[34:35], v[10:11], 1, v[8:9]
	v_mov_b32_e32 v10, v5
	ds_load_u16 v1, v16
	ds_load_u16 v42, v16 offset:512
	ds_load_u16 v43, v16 offset:1024
	;; [unrolled: 1-line block ×7, first 2 shown]
	v_dual_mov_b32 v33, v11 :: v_dual_add_nc_u32 v26, 0x800, v5
	s_add_co_i32 s5, s5, 16
	s_delay_alu instid0(SALU_CYCLE_1)
	v_dual_mov_b32 v17, s5 :: v_dual_add_nc_u32 v32, 0xc00, v5
	v_add_nc_u32_e32 v5, 0x1000, v5
	v_lshl_add_u64 v[36:37], v[10:11], 1, v[8:9]
	v_mov_b32_e32 v10, v6
	ds_load_u16 v51, v16 offset:4096
	ds_load_u16 v52, v16 offset:4608
	;; [unrolled: 1-line block ×8, first 2 shown]
	v_dual_mov_b32 v19, v11 :: v_dual_add_nc_u32 v2, 0x400, v7
	v_dual_mov_b32 v25, v11 :: v_dual_add_nc_u32 v22, 0x800, v7
	v_lshl_add_u64 v[38:39], v[10:11], 1, v[8:9]
	v_mov_b32_e32 v10, v7
	v_dual_mov_b32 v31, v11 :: v_dual_add_nc_u32 v28, 0xc00, v7
	v_add_nc_u32_e32 v7, 0x1000, v7
	s_wait_dscnt 0xf
	global_store_b16 v[34:35], v1, off
	s_wait_dscnt 0xe
	global_store_b16 v[36:37], v42, off
	;; [unrolled: 2-line block ×3, first 2 shown]
	v_lshl_add_u64 v[40:41], v[10:11], 1, v[8:9]
	v_add_nc_u32_e32 v10, 0x400, v4
	v_dual_mov_b32 v3, v11 :: v_dual_add_nc_u32 v18, 0x400, v6
	v_dual_mov_b32 v23, v11 :: v_dual_add_nc_u32 v24, 0x800, v6
	s_wait_xcnt 0x2
	s_delay_alu instid0(VALU_DEP_3)
	v_lshl_add_u64 v[34:35], v[10:11], 1, v[8:9]
	v_add_nc_u32_e32 v10, 0x800, v4
	v_cmp_eq_u32_e32 vcc_lo, 0, v15
	v_lshl_add_u64 v[20:21], v[20:21], 1, v[8:9]
	s_wait_dscnt 0xc
	global_store_b16 v[40:41], v44, off
	s_wait_dscnt 0xb
	global_store_b16 v[34:35], v45, off
	v_dual_mov_b32 v29, v11 :: v_dual_add_nc_u32 v30, 0xc00, v6
	s_wait_xcnt 0x0
	v_lshl_add_u64 v[34:35], v[10:11], 1, v[8:9]
	v_add_nc_u32_e32 v10, 0xc00, v4
	v_add_nc_u32_e32 v16, 0x2000, v16
	v_lshl_add_u64 v[18:19], v[18:19], 1, v[8:9]
	v_add_nc_u32_e32 v6, 0x1000, v6
	v_add_nc_u32_e32 v4, 0x1000, v4
	v_lshl_add_u64 v[2:3], v[2:3], 1, v[8:9]
	v_lshl_add_u64 v[26:27], v[26:27], 1, v[8:9]
	;; [unrolled: 1-line block ×4, first 2 shown]
	s_or_b32 s4, vcc_lo, s4
	s_wait_dscnt 0xa
	global_store_b16 v[20:21], v46, off
	s_wait_dscnt 0x9
	global_store_b16 v[18:19], v47, off
	;; [unrolled: 2-line block ×3, first 2 shown]
	s_wait_xcnt 0x0
	v_lshl_add_u64 v[2:3], v[10:11], 1, v[8:9]
	v_lshl_add_u64 v[32:33], v[32:33], 1, v[8:9]
	;; [unrolled: 1-line block ×4, first 2 shown]
	s_wait_dscnt 0x7
	global_store_b16 v[34:35], v51, off
	s_wait_dscnt 0x6
	global_store_b16 v[26:27], v52, off
	;; [unrolled: 2-line block ×8, first 2 shown]
	s_wait_xcnt 0x0
	s_and_not1_b32 exec_lo, exec_lo, s4
	s_cbranch_execnz .LBB824_253
; %bb.254:
	s_or_b32 exec_lo, exec_lo, s4
.LBB824_255:
	s_delay_alu instid0(SALU_CYCLE_1) | instskip(SKIP_3) | instid1(VALU_DEP_1)
	s_or_b32 exec_lo, exec_lo, s3
	v_and_b32_e32 v1, 3, v14
	s_mov_b32 s4, 0
	s_mov_b32 s3, exec_lo
	v_cmpx_ne_u32_e32 0, v1
	s_cbranch_execz .LBB824_258
; %bb.256:
	v_lshl_or_b32 v10, v17, 9, v13
	v_mov_b32_e32 v3, 0
.LBB824_257:                            ; =>This Inner Loop Header: Depth=1
	v_dual_mov_b32 v2, v4 :: v_dual_add_nc_u32 v1, -1, v1
	ds_load_u16 v11, v10
	ds_load_u16 v13, v10 offset:512
	ds_load_u16 v22, v10 offset:1024
	;; [unrolled: 1-line block ×3, first 2 shown]
	v_add_nc_u32_e32 v4, 0x400, v4
	v_add_nc_u32_e32 v10, 0x800, v10
	v_lshl_add_u64 v[14:15], v[2:3], 1, v[8:9]
	v_dual_mov_b32 v2, v5 :: v_dual_add_nc_u32 v5, 0x400, v5
	v_cmp_eq_u32_e32 vcc_lo, 0, v1
	s_delay_alu instid0(VALU_DEP_2) | instskip(SKIP_3) | instid1(VALU_DEP_2)
	v_lshl_add_u64 v[16:17], v[2:3], 1, v[8:9]
	v_mov_b32_e32 v2, v6
	v_add_nc_u32_e32 v6, 0x400, v6
	s_or_b32 s4, vcc_lo, s4
	v_lshl_add_u64 v[18:19], v[2:3], 1, v[8:9]
	v_dual_mov_b32 v2, v7 :: v_dual_add_nc_u32 v7, 0x400, v7
	s_delay_alu instid0(VALU_DEP_1)
	v_lshl_add_u64 v[20:21], v[2:3], 1, v[8:9]
	s_wait_dscnt 0x3
	global_store_b16 v[14:15], v11, off
	s_wait_dscnt 0x2
	global_store_b16 v[16:17], v13, off
	;; [unrolled: 2-line block ×4, first 2 shown]
	s_wait_xcnt 0x0
	s_and_not1_b32 exec_lo, exec_lo, s4
	s_cbranch_execnz .LBB824_257
.LBB824_258:
	s_or_b32 exec_lo, exec_lo, s3
	v_add_nc_u32_e32 v1, 1, v12
	s_delay_alu instid0(VALU_DEP_1) | instskip(NEXT) | instid1(VALU_DEP_1)
	v_and_b32_e32 v2, 0x1fffffc, v1
	v_cmp_ne_u32_e32 vcc_lo, v1, v2
	v_lshl_or_b32 v52, v2, 8, v0
	s_or_not1_b32 s3, vcc_lo, exec_lo
.LBB824_259:
	s_or_b32 exec_lo, exec_lo, s2
	s_delay_alu instid0(SALU_CYCLE_1) | instskip(SKIP_1) | instid1(SALU_CYCLE_1)
	s_and_not1_b32 s0, s0, exec_lo
	s_and_b32 s2, s3, exec_lo
	s_or_b32 s0, s0, s2
.LBB824_260:
	s_or_b32 exec_lo, exec_lo, s1
	s_and_saveexec_b32 s1, s0
	s_cbranch_execz .LBB824_263
; %bb.261:
	v_lshlrev_b32_e32 v1, 1, v52
	s_mov_b32 s0, 0
.LBB824_262:                            ; =>This Inner Loop Header: Depth=1
	ds_load_u16 v2, v1
	v_readfirstlane_b32 s2, v8
	v_readfirstlane_b32 s3, v9
	v_add_nc_u32_e32 v1, 0x200, v1
	s_wait_dscnt 0x0
	global_store_b16 v52, v2, s[2:3] scale_offset
	s_wait_xcnt 0x0
	v_add_nc_u32_e32 v52, 0x100, v52
	s_delay_alu instid0(VALU_DEP_1) | instskip(SKIP_1) | instid1(SALU_CYCLE_1)
	v_cmp_ge_u32_e32 vcc_lo, v52, v48
	s_or_b32 s0, vcc_lo, s0
	s_and_not1_b32 exec_lo, exec_lo, s0
	s_cbranch_execnz .LBB824_262
.LBB824_263:
	s_or_b32 exec_lo, exec_lo, s1
	v_cmp_eq_u32_e32 vcc_lo, 0, v0
	s_and_b32 s0, vcc_lo, s31
	s_delay_alu instid0(SALU_CYCLE_1)
	s_and_saveexec_b32 s1, s0
	s_cbranch_execz .LBB824_127
.LBB824_264:
	v_mov_b32_e32 v49, 0
	s_wait_kmcnt 0x0
	s_delay_alu instid0(VALU_DEP_1) | instskip(SKIP_1) | instid1(VALU_DEP_1)
	v_add_nc_u64_e32 v[0:1], s[34:35], v[48:49]
	v_mov_b32_e32 v51, v49
	v_add_nc_u64_e32 v[0:1], v[0:1], v[50:51]
	global_store_b64 v49, v[0:1], s[36:37]
	s_sendmsg sendmsg(MSG_DEALLOC_VGPRS)
	s_endpgm
	.section	.rodata,"a",@progbits
	.p2align	6, 0x0
	.amdhsa_kernel _ZN7rocprim17ROCPRIM_400000_NS6detail17trampoline_kernelINS0_14default_configENS1_25partition_config_selectorILNS1_17partition_subalgoE8EN3c108BFloat16ENS0_10empty_typeEbEEZZNS1_14partition_implILS5_8ELb0ES3_jPKS7_PS8_PKS8_NS0_5tupleIJPS7_S8_EEENSG_IJSD_SD_EEENS0_18inequality_wrapperIN6hipcub16HIPCUB_304000_NS8EqualityEEEPlJS8_EEE10hipError_tPvRmT3_T4_T5_T6_T7_T9_mT8_P12ihipStream_tbDpT10_ENKUlT_T0_E_clISt17integral_constantIbLb0EES19_EEDaS14_S15_EUlS14_E_NS1_11comp_targetILNS1_3genE0ELNS1_11target_archE4294967295ELNS1_3gpuE0ELNS1_3repE0EEENS1_30default_config_static_selectorELNS0_4arch9wavefront6targetE0EEEvT1_
		.amdhsa_group_segment_fixed_size 15368
		.amdhsa_private_segment_fixed_size 0
		.amdhsa_kernarg_size 112
		.amdhsa_user_sgpr_count 2
		.amdhsa_user_sgpr_dispatch_ptr 0
		.amdhsa_user_sgpr_queue_ptr 0
		.amdhsa_user_sgpr_kernarg_segment_ptr 1
		.amdhsa_user_sgpr_dispatch_id 0
		.amdhsa_user_sgpr_kernarg_preload_length 0
		.amdhsa_user_sgpr_kernarg_preload_offset 0
		.amdhsa_user_sgpr_private_segment_size 0
		.amdhsa_wavefront_size32 1
		.amdhsa_uses_dynamic_stack 0
		.amdhsa_enable_private_segment 0
		.amdhsa_system_sgpr_workgroup_id_x 1
		.amdhsa_system_sgpr_workgroup_id_y 0
		.amdhsa_system_sgpr_workgroup_id_z 0
		.amdhsa_system_sgpr_workgroup_info 0
		.amdhsa_system_vgpr_workitem_id 0
		.amdhsa_next_free_vgpr 114
		.amdhsa_next_free_sgpr 49
		.amdhsa_named_barrier_count 0
		.amdhsa_reserve_vcc 1
		.amdhsa_float_round_mode_32 0
		.amdhsa_float_round_mode_16_64 0
		.amdhsa_float_denorm_mode_32 3
		.amdhsa_float_denorm_mode_16_64 3
		.amdhsa_fp16_overflow 0
		.amdhsa_memory_ordered 1
		.amdhsa_forward_progress 1
		.amdhsa_inst_pref_size 110
		.amdhsa_round_robin_scheduling 0
		.amdhsa_exception_fp_ieee_invalid_op 0
		.amdhsa_exception_fp_denorm_src 0
		.amdhsa_exception_fp_ieee_div_zero 0
		.amdhsa_exception_fp_ieee_overflow 0
		.amdhsa_exception_fp_ieee_underflow 0
		.amdhsa_exception_fp_ieee_inexact 0
		.amdhsa_exception_int_div_zero 0
	.end_amdhsa_kernel
	.section	.text._ZN7rocprim17ROCPRIM_400000_NS6detail17trampoline_kernelINS0_14default_configENS1_25partition_config_selectorILNS1_17partition_subalgoE8EN3c108BFloat16ENS0_10empty_typeEbEEZZNS1_14partition_implILS5_8ELb0ES3_jPKS7_PS8_PKS8_NS0_5tupleIJPS7_S8_EEENSG_IJSD_SD_EEENS0_18inequality_wrapperIN6hipcub16HIPCUB_304000_NS8EqualityEEEPlJS8_EEE10hipError_tPvRmT3_T4_T5_T6_T7_T9_mT8_P12ihipStream_tbDpT10_ENKUlT_T0_E_clISt17integral_constantIbLb0EES19_EEDaS14_S15_EUlS14_E_NS1_11comp_targetILNS1_3genE0ELNS1_11target_archE4294967295ELNS1_3gpuE0ELNS1_3repE0EEENS1_30default_config_static_selectorELNS0_4arch9wavefront6targetE0EEEvT1_,"axG",@progbits,_ZN7rocprim17ROCPRIM_400000_NS6detail17trampoline_kernelINS0_14default_configENS1_25partition_config_selectorILNS1_17partition_subalgoE8EN3c108BFloat16ENS0_10empty_typeEbEEZZNS1_14partition_implILS5_8ELb0ES3_jPKS7_PS8_PKS8_NS0_5tupleIJPS7_S8_EEENSG_IJSD_SD_EEENS0_18inequality_wrapperIN6hipcub16HIPCUB_304000_NS8EqualityEEEPlJS8_EEE10hipError_tPvRmT3_T4_T5_T6_T7_T9_mT8_P12ihipStream_tbDpT10_ENKUlT_T0_E_clISt17integral_constantIbLb0EES19_EEDaS14_S15_EUlS14_E_NS1_11comp_targetILNS1_3genE0ELNS1_11target_archE4294967295ELNS1_3gpuE0ELNS1_3repE0EEENS1_30default_config_static_selectorELNS0_4arch9wavefront6targetE0EEEvT1_,comdat
.Lfunc_end824:
	.size	_ZN7rocprim17ROCPRIM_400000_NS6detail17trampoline_kernelINS0_14default_configENS1_25partition_config_selectorILNS1_17partition_subalgoE8EN3c108BFloat16ENS0_10empty_typeEbEEZZNS1_14partition_implILS5_8ELb0ES3_jPKS7_PS8_PKS8_NS0_5tupleIJPS7_S8_EEENSG_IJSD_SD_EEENS0_18inequality_wrapperIN6hipcub16HIPCUB_304000_NS8EqualityEEEPlJS8_EEE10hipError_tPvRmT3_T4_T5_T6_T7_T9_mT8_P12ihipStream_tbDpT10_ENKUlT_T0_E_clISt17integral_constantIbLb0EES19_EEDaS14_S15_EUlS14_E_NS1_11comp_targetILNS1_3genE0ELNS1_11target_archE4294967295ELNS1_3gpuE0ELNS1_3repE0EEENS1_30default_config_static_selectorELNS0_4arch9wavefront6targetE0EEEvT1_, .Lfunc_end824-_ZN7rocprim17ROCPRIM_400000_NS6detail17trampoline_kernelINS0_14default_configENS1_25partition_config_selectorILNS1_17partition_subalgoE8EN3c108BFloat16ENS0_10empty_typeEbEEZZNS1_14partition_implILS5_8ELb0ES3_jPKS7_PS8_PKS8_NS0_5tupleIJPS7_S8_EEENSG_IJSD_SD_EEENS0_18inequality_wrapperIN6hipcub16HIPCUB_304000_NS8EqualityEEEPlJS8_EEE10hipError_tPvRmT3_T4_T5_T6_T7_T9_mT8_P12ihipStream_tbDpT10_ENKUlT_T0_E_clISt17integral_constantIbLb0EES19_EEDaS14_S15_EUlS14_E_NS1_11comp_targetILNS1_3genE0ELNS1_11target_archE4294967295ELNS1_3gpuE0ELNS1_3repE0EEENS1_30default_config_static_selectorELNS0_4arch9wavefront6targetE0EEEvT1_
                                        ; -- End function
	.set _ZN7rocprim17ROCPRIM_400000_NS6detail17trampoline_kernelINS0_14default_configENS1_25partition_config_selectorILNS1_17partition_subalgoE8EN3c108BFloat16ENS0_10empty_typeEbEEZZNS1_14partition_implILS5_8ELb0ES3_jPKS7_PS8_PKS8_NS0_5tupleIJPS7_S8_EEENSG_IJSD_SD_EEENS0_18inequality_wrapperIN6hipcub16HIPCUB_304000_NS8EqualityEEEPlJS8_EEE10hipError_tPvRmT3_T4_T5_T6_T7_T9_mT8_P12ihipStream_tbDpT10_ENKUlT_T0_E_clISt17integral_constantIbLb0EES19_EEDaS14_S15_EUlS14_E_NS1_11comp_targetILNS1_3genE0ELNS1_11target_archE4294967295ELNS1_3gpuE0ELNS1_3repE0EEENS1_30default_config_static_selectorELNS0_4arch9wavefront6targetE0EEEvT1_.num_vgpr, 114
	.set _ZN7rocprim17ROCPRIM_400000_NS6detail17trampoline_kernelINS0_14default_configENS1_25partition_config_selectorILNS1_17partition_subalgoE8EN3c108BFloat16ENS0_10empty_typeEbEEZZNS1_14partition_implILS5_8ELb0ES3_jPKS7_PS8_PKS8_NS0_5tupleIJPS7_S8_EEENSG_IJSD_SD_EEENS0_18inequality_wrapperIN6hipcub16HIPCUB_304000_NS8EqualityEEEPlJS8_EEE10hipError_tPvRmT3_T4_T5_T6_T7_T9_mT8_P12ihipStream_tbDpT10_ENKUlT_T0_E_clISt17integral_constantIbLb0EES19_EEDaS14_S15_EUlS14_E_NS1_11comp_targetILNS1_3genE0ELNS1_11target_archE4294967295ELNS1_3gpuE0ELNS1_3repE0EEENS1_30default_config_static_selectorELNS0_4arch9wavefront6targetE0EEEvT1_.num_agpr, 0
	.set _ZN7rocprim17ROCPRIM_400000_NS6detail17trampoline_kernelINS0_14default_configENS1_25partition_config_selectorILNS1_17partition_subalgoE8EN3c108BFloat16ENS0_10empty_typeEbEEZZNS1_14partition_implILS5_8ELb0ES3_jPKS7_PS8_PKS8_NS0_5tupleIJPS7_S8_EEENSG_IJSD_SD_EEENS0_18inequality_wrapperIN6hipcub16HIPCUB_304000_NS8EqualityEEEPlJS8_EEE10hipError_tPvRmT3_T4_T5_T6_T7_T9_mT8_P12ihipStream_tbDpT10_ENKUlT_T0_E_clISt17integral_constantIbLb0EES19_EEDaS14_S15_EUlS14_E_NS1_11comp_targetILNS1_3genE0ELNS1_11target_archE4294967295ELNS1_3gpuE0ELNS1_3repE0EEENS1_30default_config_static_selectorELNS0_4arch9wavefront6targetE0EEEvT1_.numbered_sgpr, 49
	.set _ZN7rocprim17ROCPRIM_400000_NS6detail17trampoline_kernelINS0_14default_configENS1_25partition_config_selectorILNS1_17partition_subalgoE8EN3c108BFloat16ENS0_10empty_typeEbEEZZNS1_14partition_implILS5_8ELb0ES3_jPKS7_PS8_PKS8_NS0_5tupleIJPS7_S8_EEENSG_IJSD_SD_EEENS0_18inequality_wrapperIN6hipcub16HIPCUB_304000_NS8EqualityEEEPlJS8_EEE10hipError_tPvRmT3_T4_T5_T6_T7_T9_mT8_P12ihipStream_tbDpT10_ENKUlT_T0_E_clISt17integral_constantIbLb0EES19_EEDaS14_S15_EUlS14_E_NS1_11comp_targetILNS1_3genE0ELNS1_11target_archE4294967295ELNS1_3gpuE0ELNS1_3repE0EEENS1_30default_config_static_selectorELNS0_4arch9wavefront6targetE0EEEvT1_.num_named_barrier, 0
	.set _ZN7rocprim17ROCPRIM_400000_NS6detail17trampoline_kernelINS0_14default_configENS1_25partition_config_selectorILNS1_17partition_subalgoE8EN3c108BFloat16ENS0_10empty_typeEbEEZZNS1_14partition_implILS5_8ELb0ES3_jPKS7_PS8_PKS8_NS0_5tupleIJPS7_S8_EEENSG_IJSD_SD_EEENS0_18inequality_wrapperIN6hipcub16HIPCUB_304000_NS8EqualityEEEPlJS8_EEE10hipError_tPvRmT3_T4_T5_T6_T7_T9_mT8_P12ihipStream_tbDpT10_ENKUlT_T0_E_clISt17integral_constantIbLb0EES19_EEDaS14_S15_EUlS14_E_NS1_11comp_targetILNS1_3genE0ELNS1_11target_archE4294967295ELNS1_3gpuE0ELNS1_3repE0EEENS1_30default_config_static_selectorELNS0_4arch9wavefront6targetE0EEEvT1_.private_seg_size, 0
	.set _ZN7rocprim17ROCPRIM_400000_NS6detail17trampoline_kernelINS0_14default_configENS1_25partition_config_selectorILNS1_17partition_subalgoE8EN3c108BFloat16ENS0_10empty_typeEbEEZZNS1_14partition_implILS5_8ELb0ES3_jPKS7_PS8_PKS8_NS0_5tupleIJPS7_S8_EEENSG_IJSD_SD_EEENS0_18inequality_wrapperIN6hipcub16HIPCUB_304000_NS8EqualityEEEPlJS8_EEE10hipError_tPvRmT3_T4_T5_T6_T7_T9_mT8_P12ihipStream_tbDpT10_ENKUlT_T0_E_clISt17integral_constantIbLb0EES19_EEDaS14_S15_EUlS14_E_NS1_11comp_targetILNS1_3genE0ELNS1_11target_archE4294967295ELNS1_3gpuE0ELNS1_3repE0EEENS1_30default_config_static_selectorELNS0_4arch9wavefront6targetE0EEEvT1_.uses_vcc, 1
	.set _ZN7rocprim17ROCPRIM_400000_NS6detail17trampoline_kernelINS0_14default_configENS1_25partition_config_selectorILNS1_17partition_subalgoE8EN3c108BFloat16ENS0_10empty_typeEbEEZZNS1_14partition_implILS5_8ELb0ES3_jPKS7_PS8_PKS8_NS0_5tupleIJPS7_S8_EEENSG_IJSD_SD_EEENS0_18inequality_wrapperIN6hipcub16HIPCUB_304000_NS8EqualityEEEPlJS8_EEE10hipError_tPvRmT3_T4_T5_T6_T7_T9_mT8_P12ihipStream_tbDpT10_ENKUlT_T0_E_clISt17integral_constantIbLb0EES19_EEDaS14_S15_EUlS14_E_NS1_11comp_targetILNS1_3genE0ELNS1_11target_archE4294967295ELNS1_3gpuE0ELNS1_3repE0EEENS1_30default_config_static_selectorELNS0_4arch9wavefront6targetE0EEEvT1_.uses_flat_scratch, 0
	.set _ZN7rocprim17ROCPRIM_400000_NS6detail17trampoline_kernelINS0_14default_configENS1_25partition_config_selectorILNS1_17partition_subalgoE8EN3c108BFloat16ENS0_10empty_typeEbEEZZNS1_14partition_implILS5_8ELb0ES3_jPKS7_PS8_PKS8_NS0_5tupleIJPS7_S8_EEENSG_IJSD_SD_EEENS0_18inequality_wrapperIN6hipcub16HIPCUB_304000_NS8EqualityEEEPlJS8_EEE10hipError_tPvRmT3_T4_T5_T6_T7_T9_mT8_P12ihipStream_tbDpT10_ENKUlT_T0_E_clISt17integral_constantIbLb0EES19_EEDaS14_S15_EUlS14_E_NS1_11comp_targetILNS1_3genE0ELNS1_11target_archE4294967295ELNS1_3gpuE0ELNS1_3repE0EEENS1_30default_config_static_selectorELNS0_4arch9wavefront6targetE0EEEvT1_.has_dyn_sized_stack, 0
	.set _ZN7rocprim17ROCPRIM_400000_NS6detail17trampoline_kernelINS0_14default_configENS1_25partition_config_selectorILNS1_17partition_subalgoE8EN3c108BFloat16ENS0_10empty_typeEbEEZZNS1_14partition_implILS5_8ELb0ES3_jPKS7_PS8_PKS8_NS0_5tupleIJPS7_S8_EEENSG_IJSD_SD_EEENS0_18inequality_wrapperIN6hipcub16HIPCUB_304000_NS8EqualityEEEPlJS8_EEE10hipError_tPvRmT3_T4_T5_T6_T7_T9_mT8_P12ihipStream_tbDpT10_ENKUlT_T0_E_clISt17integral_constantIbLb0EES19_EEDaS14_S15_EUlS14_E_NS1_11comp_targetILNS1_3genE0ELNS1_11target_archE4294967295ELNS1_3gpuE0ELNS1_3repE0EEENS1_30default_config_static_selectorELNS0_4arch9wavefront6targetE0EEEvT1_.has_recursion, 0
	.set _ZN7rocprim17ROCPRIM_400000_NS6detail17trampoline_kernelINS0_14default_configENS1_25partition_config_selectorILNS1_17partition_subalgoE8EN3c108BFloat16ENS0_10empty_typeEbEEZZNS1_14partition_implILS5_8ELb0ES3_jPKS7_PS8_PKS8_NS0_5tupleIJPS7_S8_EEENSG_IJSD_SD_EEENS0_18inequality_wrapperIN6hipcub16HIPCUB_304000_NS8EqualityEEEPlJS8_EEE10hipError_tPvRmT3_T4_T5_T6_T7_T9_mT8_P12ihipStream_tbDpT10_ENKUlT_T0_E_clISt17integral_constantIbLb0EES19_EEDaS14_S15_EUlS14_E_NS1_11comp_targetILNS1_3genE0ELNS1_11target_archE4294967295ELNS1_3gpuE0ELNS1_3repE0EEENS1_30default_config_static_selectorELNS0_4arch9wavefront6targetE0EEEvT1_.has_indirect_call, 0
	.section	.AMDGPU.csdata,"",@progbits
; Kernel info:
; codeLenInByte = 13992
; TotalNumSgprs: 51
; NumVgprs: 114
; ScratchSize: 0
; MemoryBound: 0
; FloatMode: 240
; IeeeMode: 1
; LDSByteSize: 15368 bytes/workgroup (compile time only)
; SGPRBlocks: 0
; VGPRBlocks: 7
; NumSGPRsForWavesPerEU: 51
; NumVGPRsForWavesPerEU: 114
; NamedBarCnt: 0
; Occupancy: 8
; WaveLimiterHint : 1
; COMPUTE_PGM_RSRC2:SCRATCH_EN: 0
; COMPUTE_PGM_RSRC2:USER_SGPR: 2
; COMPUTE_PGM_RSRC2:TRAP_HANDLER: 0
; COMPUTE_PGM_RSRC2:TGID_X_EN: 1
; COMPUTE_PGM_RSRC2:TGID_Y_EN: 0
; COMPUTE_PGM_RSRC2:TGID_Z_EN: 0
; COMPUTE_PGM_RSRC2:TIDIG_COMP_CNT: 0
	.section	.text._ZN7rocprim17ROCPRIM_400000_NS6detail17trampoline_kernelINS0_14default_configENS1_25partition_config_selectorILNS1_17partition_subalgoE8EN3c108BFloat16ENS0_10empty_typeEbEEZZNS1_14partition_implILS5_8ELb0ES3_jPKS7_PS8_PKS8_NS0_5tupleIJPS7_S8_EEENSG_IJSD_SD_EEENS0_18inequality_wrapperIN6hipcub16HIPCUB_304000_NS8EqualityEEEPlJS8_EEE10hipError_tPvRmT3_T4_T5_T6_T7_T9_mT8_P12ihipStream_tbDpT10_ENKUlT_T0_E_clISt17integral_constantIbLb0EES19_EEDaS14_S15_EUlS14_E_NS1_11comp_targetILNS1_3genE5ELNS1_11target_archE942ELNS1_3gpuE9ELNS1_3repE0EEENS1_30default_config_static_selectorELNS0_4arch9wavefront6targetE0EEEvT1_,"axG",@progbits,_ZN7rocprim17ROCPRIM_400000_NS6detail17trampoline_kernelINS0_14default_configENS1_25partition_config_selectorILNS1_17partition_subalgoE8EN3c108BFloat16ENS0_10empty_typeEbEEZZNS1_14partition_implILS5_8ELb0ES3_jPKS7_PS8_PKS8_NS0_5tupleIJPS7_S8_EEENSG_IJSD_SD_EEENS0_18inequality_wrapperIN6hipcub16HIPCUB_304000_NS8EqualityEEEPlJS8_EEE10hipError_tPvRmT3_T4_T5_T6_T7_T9_mT8_P12ihipStream_tbDpT10_ENKUlT_T0_E_clISt17integral_constantIbLb0EES19_EEDaS14_S15_EUlS14_E_NS1_11comp_targetILNS1_3genE5ELNS1_11target_archE942ELNS1_3gpuE9ELNS1_3repE0EEENS1_30default_config_static_selectorELNS0_4arch9wavefront6targetE0EEEvT1_,comdat
	.protected	_ZN7rocprim17ROCPRIM_400000_NS6detail17trampoline_kernelINS0_14default_configENS1_25partition_config_selectorILNS1_17partition_subalgoE8EN3c108BFloat16ENS0_10empty_typeEbEEZZNS1_14partition_implILS5_8ELb0ES3_jPKS7_PS8_PKS8_NS0_5tupleIJPS7_S8_EEENSG_IJSD_SD_EEENS0_18inequality_wrapperIN6hipcub16HIPCUB_304000_NS8EqualityEEEPlJS8_EEE10hipError_tPvRmT3_T4_T5_T6_T7_T9_mT8_P12ihipStream_tbDpT10_ENKUlT_T0_E_clISt17integral_constantIbLb0EES19_EEDaS14_S15_EUlS14_E_NS1_11comp_targetILNS1_3genE5ELNS1_11target_archE942ELNS1_3gpuE9ELNS1_3repE0EEENS1_30default_config_static_selectorELNS0_4arch9wavefront6targetE0EEEvT1_ ; -- Begin function _ZN7rocprim17ROCPRIM_400000_NS6detail17trampoline_kernelINS0_14default_configENS1_25partition_config_selectorILNS1_17partition_subalgoE8EN3c108BFloat16ENS0_10empty_typeEbEEZZNS1_14partition_implILS5_8ELb0ES3_jPKS7_PS8_PKS8_NS0_5tupleIJPS7_S8_EEENSG_IJSD_SD_EEENS0_18inequality_wrapperIN6hipcub16HIPCUB_304000_NS8EqualityEEEPlJS8_EEE10hipError_tPvRmT3_T4_T5_T6_T7_T9_mT8_P12ihipStream_tbDpT10_ENKUlT_T0_E_clISt17integral_constantIbLb0EES19_EEDaS14_S15_EUlS14_E_NS1_11comp_targetILNS1_3genE5ELNS1_11target_archE942ELNS1_3gpuE9ELNS1_3repE0EEENS1_30default_config_static_selectorELNS0_4arch9wavefront6targetE0EEEvT1_
	.globl	_ZN7rocprim17ROCPRIM_400000_NS6detail17trampoline_kernelINS0_14default_configENS1_25partition_config_selectorILNS1_17partition_subalgoE8EN3c108BFloat16ENS0_10empty_typeEbEEZZNS1_14partition_implILS5_8ELb0ES3_jPKS7_PS8_PKS8_NS0_5tupleIJPS7_S8_EEENSG_IJSD_SD_EEENS0_18inequality_wrapperIN6hipcub16HIPCUB_304000_NS8EqualityEEEPlJS8_EEE10hipError_tPvRmT3_T4_T5_T6_T7_T9_mT8_P12ihipStream_tbDpT10_ENKUlT_T0_E_clISt17integral_constantIbLb0EES19_EEDaS14_S15_EUlS14_E_NS1_11comp_targetILNS1_3genE5ELNS1_11target_archE942ELNS1_3gpuE9ELNS1_3repE0EEENS1_30default_config_static_selectorELNS0_4arch9wavefront6targetE0EEEvT1_
	.p2align	8
	.type	_ZN7rocprim17ROCPRIM_400000_NS6detail17trampoline_kernelINS0_14default_configENS1_25partition_config_selectorILNS1_17partition_subalgoE8EN3c108BFloat16ENS0_10empty_typeEbEEZZNS1_14partition_implILS5_8ELb0ES3_jPKS7_PS8_PKS8_NS0_5tupleIJPS7_S8_EEENSG_IJSD_SD_EEENS0_18inequality_wrapperIN6hipcub16HIPCUB_304000_NS8EqualityEEEPlJS8_EEE10hipError_tPvRmT3_T4_T5_T6_T7_T9_mT8_P12ihipStream_tbDpT10_ENKUlT_T0_E_clISt17integral_constantIbLb0EES19_EEDaS14_S15_EUlS14_E_NS1_11comp_targetILNS1_3genE5ELNS1_11target_archE942ELNS1_3gpuE9ELNS1_3repE0EEENS1_30default_config_static_selectorELNS0_4arch9wavefront6targetE0EEEvT1_,@function
_ZN7rocprim17ROCPRIM_400000_NS6detail17trampoline_kernelINS0_14default_configENS1_25partition_config_selectorILNS1_17partition_subalgoE8EN3c108BFloat16ENS0_10empty_typeEbEEZZNS1_14partition_implILS5_8ELb0ES3_jPKS7_PS8_PKS8_NS0_5tupleIJPS7_S8_EEENSG_IJSD_SD_EEENS0_18inequality_wrapperIN6hipcub16HIPCUB_304000_NS8EqualityEEEPlJS8_EEE10hipError_tPvRmT3_T4_T5_T6_T7_T9_mT8_P12ihipStream_tbDpT10_ENKUlT_T0_E_clISt17integral_constantIbLb0EES19_EEDaS14_S15_EUlS14_E_NS1_11comp_targetILNS1_3genE5ELNS1_11target_archE942ELNS1_3gpuE9ELNS1_3repE0EEENS1_30default_config_static_selectorELNS0_4arch9wavefront6targetE0EEEvT1_: ; @_ZN7rocprim17ROCPRIM_400000_NS6detail17trampoline_kernelINS0_14default_configENS1_25partition_config_selectorILNS1_17partition_subalgoE8EN3c108BFloat16ENS0_10empty_typeEbEEZZNS1_14partition_implILS5_8ELb0ES3_jPKS7_PS8_PKS8_NS0_5tupleIJPS7_S8_EEENSG_IJSD_SD_EEENS0_18inequality_wrapperIN6hipcub16HIPCUB_304000_NS8EqualityEEEPlJS8_EEE10hipError_tPvRmT3_T4_T5_T6_T7_T9_mT8_P12ihipStream_tbDpT10_ENKUlT_T0_E_clISt17integral_constantIbLb0EES19_EEDaS14_S15_EUlS14_E_NS1_11comp_targetILNS1_3genE5ELNS1_11target_archE942ELNS1_3gpuE9ELNS1_3repE0EEENS1_30default_config_static_selectorELNS0_4arch9wavefront6targetE0EEEvT1_
; %bb.0:
	.section	.rodata,"a",@progbits
	.p2align	6, 0x0
	.amdhsa_kernel _ZN7rocprim17ROCPRIM_400000_NS6detail17trampoline_kernelINS0_14default_configENS1_25partition_config_selectorILNS1_17partition_subalgoE8EN3c108BFloat16ENS0_10empty_typeEbEEZZNS1_14partition_implILS5_8ELb0ES3_jPKS7_PS8_PKS8_NS0_5tupleIJPS7_S8_EEENSG_IJSD_SD_EEENS0_18inequality_wrapperIN6hipcub16HIPCUB_304000_NS8EqualityEEEPlJS8_EEE10hipError_tPvRmT3_T4_T5_T6_T7_T9_mT8_P12ihipStream_tbDpT10_ENKUlT_T0_E_clISt17integral_constantIbLb0EES19_EEDaS14_S15_EUlS14_E_NS1_11comp_targetILNS1_3genE5ELNS1_11target_archE942ELNS1_3gpuE9ELNS1_3repE0EEENS1_30default_config_static_selectorELNS0_4arch9wavefront6targetE0EEEvT1_
		.amdhsa_group_segment_fixed_size 0
		.amdhsa_private_segment_fixed_size 0
		.amdhsa_kernarg_size 112
		.amdhsa_user_sgpr_count 2
		.amdhsa_user_sgpr_dispatch_ptr 0
		.amdhsa_user_sgpr_queue_ptr 0
		.amdhsa_user_sgpr_kernarg_segment_ptr 1
		.amdhsa_user_sgpr_dispatch_id 0
		.amdhsa_user_sgpr_kernarg_preload_length 0
		.amdhsa_user_sgpr_kernarg_preload_offset 0
		.amdhsa_user_sgpr_private_segment_size 0
		.amdhsa_wavefront_size32 1
		.amdhsa_uses_dynamic_stack 0
		.amdhsa_enable_private_segment 0
		.amdhsa_system_sgpr_workgroup_id_x 1
		.amdhsa_system_sgpr_workgroup_id_y 0
		.amdhsa_system_sgpr_workgroup_id_z 0
		.amdhsa_system_sgpr_workgroup_info 0
		.amdhsa_system_vgpr_workitem_id 0
		.amdhsa_next_free_vgpr 1
		.amdhsa_next_free_sgpr 1
		.amdhsa_named_barrier_count 0
		.amdhsa_reserve_vcc 0
		.amdhsa_float_round_mode_32 0
		.amdhsa_float_round_mode_16_64 0
		.amdhsa_float_denorm_mode_32 3
		.amdhsa_float_denorm_mode_16_64 3
		.amdhsa_fp16_overflow 0
		.amdhsa_memory_ordered 1
		.amdhsa_forward_progress 1
		.amdhsa_inst_pref_size 0
		.amdhsa_round_robin_scheduling 0
		.amdhsa_exception_fp_ieee_invalid_op 0
		.amdhsa_exception_fp_denorm_src 0
		.amdhsa_exception_fp_ieee_div_zero 0
		.amdhsa_exception_fp_ieee_overflow 0
		.amdhsa_exception_fp_ieee_underflow 0
		.amdhsa_exception_fp_ieee_inexact 0
		.amdhsa_exception_int_div_zero 0
	.end_amdhsa_kernel
	.section	.text._ZN7rocprim17ROCPRIM_400000_NS6detail17trampoline_kernelINS0_14default_configENS1_25partition_config_selectorILNS1_17partition_subalgoE8EN3c108BFloat16ENS0_10empty_typeEbEEZZNS1_14partition_implILS5_8ELb0ES3_jPKS7_PS8_PKS8_NS0_5tupleIJPS7_S8_EEENSG_IJSD_SD_EEENS0_18inequality_wrapperIN6hipcub16HIPCUB_304000_NS8EqualityEEEPlJS8_EEE10hipError_tPvRmT3_T4_T5_T6_T7_T9_mT8_P12ihipStream_tbDpT10_ENKUlT_T0_E_clISt17integral_constantIbLb0EES19_EEDaS14_S15_EUlS14_E_NS1_11comp_targetILNS1_3genE5ELNS1_11target_archE942ELNS1_3gpuE9ELNS1_3repE0EEENS1_30default_config_static_selectorELNS0_4arch9wavefront6targetE0EEEvT1_,"axG",@progbits,_ZN7rocprim17ROCPRIM_400000_NS6detail17trampoline_kernelINS0_14default_configENS1_25partition_config_selectorILNS1_17partition_subalgoE8EN3c108BFloat16ENS0_10empty_typeEbEEZZNS1_14partition_implILS5_8ELb0ES3_jPKS7_PS8_PKS8_NS0_5tupleIJPS7_S8_EEENSG_IJSD_SD_EEENS0_18inequality_wrapperIN6hipcub16HIPCUB_304000_NS8EqualityEEEPlJS8_EEE10hipError_tPvRmT3_T4_T5_T6_T7_T9_mT8_P12ihipStream_tbDpT10_ENKUlT_T0_E_clISt17integral_constantIbLb0EES19_EEDaS14_S15_EUlS14_E_NS1_11comp_targetILNS1_3genE5ELNS1_11target_archE942ELNS1_3gpuE9ELNS1_3repE0EEENS1_30default_config_static_selectorELNS0_4arch9wavefront6targetE0EEEvT1_,comdat
.Lfunc_end825:
	.size	_ZN7rocprim17ROCPRIM_400000_NS6detail17trampoline_kernelINS0_14default_configENS1_25partition_config_selectorILNS1_17partition_subalgoE8EN3c108BFloat16ENS0_10empty_typeEbEEZZNS1_14partition_implILS5_8ELb0ES3_jPKS7_PS8_PKS8_NS0_5tupleIJPS7_S8_EEENSG_IJSD_SD_EEENS0_18inequality_wrapperIN6hipcub16HIPCUB_304000_NS8EqualityEEEPlJS8_EEE10hipError_tPvRmT3_T4_T5_T6_T7_T9_mT8_P12ihipStream_tbDpT10_ENKUlT_T0_E_clISt17integral_constantIbLb0EES19_EEDaS14_S15_EUlS14_E_NS1_11comp_targetILNS1_3genE5ELNS1_11target_archE942ELNS1_3gpuE9ELNS1_3repE0EEENS1_30default_config_static_selectorELNS0_4arch9wavefront6targetE0EEEvT1_, .Lfunc_end825-_ZN7rocprim17ROCPRIM_400000_NS6detail17trampoline_kernelINS0_14default_configENS1_25partition_config_selectorILNS1_17partition_subalgoE8EN3c108BFloat16ENS0_10empty_typeEbEEZZNS1_14partition_implILS5_8ELb0ES3_jPKS7_PS8_PKS8_NS0_5tupleIJPS7_S8_EEENSG_IJSD_SD_EEENS0_18inequality_wrapperIN6hipcub16HIPCUB_304000_NS8EqualityEEEPlJS8_EEE10hipError_tPvRmT3_T4_T5_T6_T7_T9_mT8_P12ihipStream_tbDpT10_ENKUlT_T0_E_clISt17integral_constantIbLb0EES19_EEDaS14_S15_EUlS14_E_NS1_11comp_targetILNS1_3genE5ELNS1_11target_archE942ELNS1_3gpuE9ELNS1_3repE0EEENS1_30default_config_static_selectorELNS0_4arch9wavefront6targetE0EEEvT1_
                                        ; -- End function
	.set _ZN7rocprim17ROCPRIM_400000_NS6detail17trampoline_kernelINS0_14default_configENS1_25partition_config_selectorILNS1_17partition_subalgoE8EN3c108BFloat16ENS0_10empty_typeEbEEZZNS1_14partition_implILS5_8ELb0ES3_jPKS7_PS8_PKS8_NS0_5tupleIJPS7_S8_EEENSG_IJSD_SD_EEENS0_18inequality_wrapperIN6hipcub16HIPCUB_304000_NS8EqualityEEEPlJS8_EEE10hipError_tPvRmT3_T4_T5_T6_T7_T9_mT8_P12ihipStream_tbDpT10_ENKUlT_T0_E_clISt17integral_constantIbLb0EES19_EEDaS14_S15_EUlS14_E_NS1_11comp_targetILNS1_3genE5ELNS1_11target_archE942ELNS1_3gpuE9ELNS1_3repE0EEENS1_30default_config_static_selectorELNS0_4arch9wavefront6targetE0EEEvT1_.num_vgpr, 0
	.set _ZN7rocprim17ROCPRIM_400000_NS6detail17trampoline_kernelINS0_14default_configENS1_25partition_config_selectorILNS1_17partition_subalgoE8EN3c108BFloat16ENS0_10empty_typeEbEEZZNS1_14partition_implILS5_8ELb0ES3_jPKS7_PS8_PKS8_NS0_5tupleIJPS7_S8_EEENSG_IJSD_SD_EEENS0_18inequality_wrapperIN6hipcub16HIPCUB_304000_NS8EqualityEEEPlJS8_EEE10hipError_tPvRmT3_T4_T5_T6_T7_T9_mT8_P12ihipStream_tbDpT10_ENKUlT_T0_E_clISt17integral_constantIbLb0EES19_EEDaS14_S15_EUlS14_E_NS1_11comp_targetILNS1_3genE5ELNS1_11target_archE942ELNS1_3gpuE9ELNS1_3repE0EEENS1_30default_config_static_selectorELNS0_4arch9wavefront6targetE0EEEvT1_.num_agpr, 0
	.set _ZN7rocprim17ROCPRIM_400000_NS6detail17trampoline_kernelINS0_14default_configENS1_25partition_config_selectorILNS1_17partition_subalgoE8EN3c108BFloat16ENS0_10empty_typeEbEEZZNS1_14partition_implILS5_8ELb0ES3_jPKS7_PS8_PKS8_NS0_5tupleIJPS7_S8_EEENSG_IJSD_SD_EEENS0_18inequality_wrapperIN6hipcub16HIPCUB_304000_NS8EqualityEEEPlJS8_EEE10hipError_tPvRmT3_T4_T5_T6_T7_T9_mT8_P12ihipStream_tbDpT10_ENKUlT_T0_E_clISt17integral_constantIbLb0EES19_EEDaS14_S15_EUlS14_E_NS1_11comp_targetILNS1_3genE5ELNS1_11target_archE942ELNS1_3gpuE9ELNS1_3repE0EEENS1_30default_config_static_selectorELNS0_4arch9wavefront6targetE0EEEvT1_.numbered_sgpr, 0
	.set _ZN7rocprim17ROCPRIM_400000_NS6detail17trampoline_kernelINS0_14default_configENS1_25partition_config_selectorILNS1_17partition_subalgoE8EN3c108BFloat16ENS0_10empty_typeEbEEZZNS1_14partition_implILS5_8ELb0ES3_jPKS7_PS8_PKS8_NS0_5tupleIJPS7_S8_EEENSG_IJSD_SD_EEENS0_18inequality_wrapperIN6hipcub16HIPCUB_304000_NS8EqualityEEEPlJS8_EEE10hipError_tPvRmT3_T4_T5_T6_T7_T9_mT8_P12ihipStream_tbDpT10_ENKUlT_T0_E_clISt17integral_constantIbLb0EES19_EEDaS14_S15_EUlS14_E_NS1_11comp_targetILNS1_3genE5ELNS1_11target_archE942ELNS1_3gpuE9ELNS1_3repE0EEENS1_30default_config_static_selectorELNS0_4arch9wavefront6targetE0EEEvT1_.num_named_barrier, 0
	.set _ZN7rocprim17ROCPRIM_400000_NS6detail17trampoline_kernelINS0_14default_configENS1_25partition_config_selectorILNS1_17partition_subalgoE8EN3c108BFloat16ENS0_10empty_typeEbEEZZNS1_14partition_implILS5_8ELb0ES3_jPKS7_PS8_PKS8_NS0_5tupleIJPS7_S8_EEENSG_IJSD_SD_EEENS0_18inequality_wrapperIN6hipcub16HIPCUB_304000_NS8EqualityEEEPlJS8_EEE10hipError_tPvRmT3_T4_T5_T6_T7_T9_mT8_P12ihipStream_tbDpT10_ENKUlT_T0_E_clISt17integral_constantIbLb0EES19_EEDaS14_S15_EUlS14_E_NS1_11comp_targetILNS1_3genE5ELNS1_11target_archE942ELNS1_3gpuE9ELNS1_3repE0EEENS1_30default_config_static_selectorELNS0_4arch9wavefront6targetE0EEEvT1_.private_seg_size, 0
	.set _ZN7rocprim17ROCPRIM_400000_NS6detail17trampoline_kernelINS0_14default_configENS1_25partition_config_selectorILNS1_17partition_subalgoE8EN3c108BFloat16ENS0_10empty_typeEbEEZZNS1_14partition_implILS5_8ELb0ES3_jPKS7_PS8_PKS8_NS0_5tupleIJPS7_S8_EEENSG_IJSD_SD_EEENS0_18inequality_wrapperIN6hipcub16HIPCUB_304000_NS8EqualityEEEPlJS8_EEE10hipError_tPvRmT3_T4_T5_T6_T7_T9_mT8_P12ihipStream_tbDpT10_ENKUlT_T0_E_clISt17integral_constantIbLb0EES19_EEDaS14_S15_EUlS14_E_NS1_11comp_targetILNS1_3genE5ELNS1_11target_archE942ELNS1_3gpuE9ELNS1_3repE0EEENS1_30default_config_static_selectorELNS0_4arch9wavefront6targetE0EEEvT1_.uses_vcc, 0
	.set _ZN7rocprim17ROCPRIM_400000_NS6detail17trampoline_kernelINS0_14default_configENS1_25partition_config_selectorILNS1_17partition_subalgoE8EN3c108BFloat16ENS0_10empty_typeEbEEZZNS1_14partition_implILS5_8ELb0ES3_jPKS7_PS8_PKS8_NS0_5tupleIJPS7_S8_EEENSG_IJSD_SD_EEENS0_18inequality_wrapperIN6hipcub16HIPCUB_304000_NS8EqualityEEEPlJS8_EEE10hipError_tPvRmT3_T4_T5_T6_T7_T9_mT8_P12ihipStream_tbDpT10_ENKUlT_T0_E_clISt17integral_constantIbLb0EES19_EEDaS14_S15_EUlS14_E_NS1_11comp_targetILNS1_3genE5ELNS1_11target_archE942ELNS1_3gpuE9ELNS1_3repE0EEENS1_30default_config_static_selectorELNS0_4arch9wavefront6targetE0EEEvT1_.uses_flat_scratch, 0
	.set _ZN7rocprim17ROCPRIM_400000_NS6detail17trampoline_kernelINS0_14default_configENS1_25partition_config_selectorILNS1_17partition_subalgoE8EN3c108BFloat16ENS0_10empty_typeEbEEZZNS1_14partition_implILS5_8ELb0ES3_jPKS7_PS8_PKS8_NS0_5tupleIJPS7_S8_EEENSG_IJSD_SD_EEENS0_18inequality_wrapperIN6hipcub16HIPCUB_304000_NS8EqualityEEEPlJS8_EEE10hipError_tPvRmT3_T4_T5_T6_T7_T9_mT8_P12ihipStream_tbDpT10_ENKUlT_T0_E_clISt17integral_constantIbLb0EES19_EEDaS14_S15_EUlS14_E_NS1_11comp_targetILNS1_3genE5ELNS1_11target_archE942ELNS1_3gpuE9ELNS1_3repE0EEENS1_30default_config_static_selectorELNS0_4arch9wavefront6targetE0EEEvT1_.has_dyn_sized_stack, 0
	.set _ZN7rocprim17ROCPRIM_400000_NS6detail17trampoline_kernelINS0_14default_configENS1_25partition_config_selectorILNS1_17partition_subalgoE8EN3c108BFloat16ENS0_10empty_typeEbEEZZNS1_14partition_implILS5_8ELb0ES3_jPKS7_PS8_PKS8_NS0_5tupleIJPS7_S8_EEENSG_IJSD_SD_EEENS0_18inequality_wrapperIN6hipcub16HIPCUB_304000_NS8EqualityEEEPlJS8_EEE10hipError_tPvRmT3_T4_T5_T6_T7_T9_mT8_P12ihipStream_tbDpT10_ENKUlT_T0_E_clISt17integral_constantIbLb0EES19_EEDaS14_S15_EUlS14_E_NS1_11comp_targetILNS1_3genE5ELNS1_11target_archE942ELNS1_3gpuE9ELNS1_3repE0EEENS1_30default_config_static_selectorELNS0_4arch9wavefront6targetE0EEEvT1_.has_recursion, 0
	.set _ZN7rocprim17ROCPRIM_400000_NS6detail17trampoline_kernelINS0_14default_configENS1_25partition_config_selectorILNS1_17partition_subalgoE8EN3c108BFloat16ENS0_10empty_typeEbEEZZNS1_14partition_implILS5_8ELb0ES3_jPKS7_PS8_PKS8_NS0_5tupleIJPS7_S8_EEENSG_IJSD_SD_EEENS0_18inequality_wrapperIN6hipcub16HIPCUB_304000_NS8EqualityEEEPlJS8_EEE10hipError_tPvRmT3_T4_T5_T6_T7_T9_mT8_P12ihipStream_tbDpT10_ENKUlT_T0_E_clISt17integral_constantIbLb0EES19_EEDaS14_S15_EUlS14_E_NS1_11comp_targetILNS1_3genE5ELNS1_11target_archE942ELNS1_3gpuE9ELNS1_3repE0EEENS1_30default_config_static_selectorELNS0_4arch9wavefront6targetE0EEEvT1_.has_indirect_call, 0
	.section	.AMDGPU.csdata,"",@progbits
; Kernel info:
; codeLenInByte = 0
; TotalNumSgprs: 0
; NumVgprs: 0
; ScratchSize: 0
; MemoryBound: 0
; FloatMode: 240
; IeeeMode: 1
; LDSByteSize: 0 bytes/workgroup (compile time only)
; SGPRBlocks: 0
; VGPRBlocks: 0
; NumSGPRsForWavesPerEU: 1
; NumVGPRsForWavesPerEU: 1
; NamedBarCnt: 0
; Occupancy: 16
; WaveLimiterHint : 0
; COMPUTE_PGM_RSRC2:SCRATCH_EN: 0
; COMPUTE_PGM_RSRC2:USER_SGPR: 2
; COMPUTE_PGM_RSRC2:TRAP_HANDLER: 0
; COMPUTE_PGM_RSRC2:TGID_X_EN: 1
; COMPUTE_PGM_RSRC2:TGID_Y_EN: 0
; COMPUTE_PGM_RSRC2:TGID_Z_EN: 0
; COMPUTE_PGM_RSRC2:TIDIG_COMP_CNT: 0
	.section	.text._ZN7rocprim17ROCPRIM_400000_NS6detail17trampoline_kernelINS0_14default_configENS1_25partition_config_selectorILNS1_17partition_subalgoE8EN3c108BFloat16ENS0_10empty_typeEbEEZZNS1_14partition_implILS5_8ELb0ES3_jPKS7_PS8_PKS8_NS0_5tupleIJPS7_S8_EEENSG_IJSD_SD_EEENS0_18inequality_wrapperIN6hipcub16HIPCUB_304000_NS8EqualityEEEPlJS8_EEE10hipError_tPvRmT3_T4_T5_T6_T7_T9_mT8_P12ihipStream_tbDpT10_ENKUlT_T0_E_clISt17integral_constantIbLb0EES19_EEDaS14_S15_EUlS14_E_NS1_11comp_targetILNS1_3genE4ELNS1_11target_archE910ELNS1_3gpuE8ELNS1_3repE0EEENS1_30default_config_static_selectorELNS0_4arch9wavefront6targetE0EEEvT1_,"axG",@progbits,_ZN7rocprim17ROCPRIM_400000_NS6detail17trampoline_kernelINS0_14default_configENS1_25partition_config_selectorILNS1_17partition_subalgoE8EN3c108BFloat16ENS0_10empty_typeEbEEZZNS1_14partition_implILS5_8ELb0ES3_jPKS7_PS8_PKS8_NS0_5tupleIJPS7_S8_EEENSG_IJSD_SD_EEENS0_18inequality_wrapperIN6hipcub16HIPCUB_304000_NS8EqualityEEEPlJS8_EEE10hipError_tPvRmT3_T4_T5_T6_T7_T9_mT8_P12ihipStream_tbDpT10_ENKUlT_T0_E_clISt17integral_constantIbLb0EES19_EEDaS14_S15_EUlS14_E_NS1_11comp_targetILNS1_3genE4ELNS1_11target_archE910ELNS1_3gpuE8ELNS1_3repE0EEENS1_30default_config_static_selectorELNS0_4arch9wavefront6targetE0EEEvT1_,comdat
	.protected	_ZN7rocprim17ROCPRIM_400000_NS6detail17trampoline_kernelINS0_14default_configENS1_25partition_config_selectorILNS1_17partition_subalgoE8EN3c108BFloat16ENS0_10empty_typeEbEEZZNS1_14partition_implILS5_8ELb0ES3_jPKS7_PS8_PKS8_NS0_5tupleIJPS7_S8_EEENSG_IJSD_SD_EEENS0_18inequality_wrapperIN6hipcub16HIPCUB_304000_NS8EqualityEEEPlJS8_EEE10hipError_tPvRmT3_T4_T5_T6_T7_T9_mT8_P12ihipStream_tbDpT10_ENKUlT_T0_E_clISt17integral_constantIbLb0EES19_EEDaS14_S15_EUlS14_E_NS1_11comp_targetILNS1_3genE4ELNS1_11target_archE910ELNS1_3gpuE8ELNS1_3repE0EEENS1_30default_config_static_selectorELNS0_4arch9wavefront6targetE0EEEvT1_ ; -- Begin function _ZN7rocprim17ROCPRIM_400000_NS6detail17trampoline_kernelINS0_14default_configENS1_25partition_config_selectorILNS1_17partition_subalgoE8EN3c108BFloat16ENS0_10empty_typeEbEEZZNS1_14partition_implILS5_8ELb0ES3_jPKS7_PS8_PKS8_NS0_5tupleIJPS7_S8_EEENSG_IJSD_SD_EEENS0_18inequality_wrapperIN6hipcub16HIPCUB_304000_NS8EqualityEEEPlJS8_EEE10hipError_tPvRmT3_T4_T5_T6_T7_T9_mT8_P12ihipStream_tbDpT10_ENKUlT_T0_E_clISt17integral_constantIbLb0EES19_EEDaS14_S15_EUlS14_E_NS1_11comp_targetILNS1_3genE4ELNS1_11target_archE910ELNS1_3gpuE8ELNS1_3repE0EEENS1_30default_config_static_selectorELNS0_4arch9wavefront6targetE0EEEvT1_
	.globl	_ZN7rocprim17ROCPRIM_400000_NS6detail17trampoline_kernelINS0_14default_configENS1_25partition_config_selectorILNS1_17partition_subalgoE8EN3c108BFloat16ENS0_10empty_typeEbEEZZNS1_14partition_implILS5_8ELb0ES3_jPKS7_PS8_PKS8_NS0_5tupleIJPS7_S8_EEENSG_IJSD_SD_EEENS0_18inequality_wrapperIN6hipcub16HIPCUB_304000_NS8EqualityEEEPlJS8_EEE10hipError_tPvRmT3_T4_T5_T6_T7_T9_mT8_P12ihipStream_tbDpT10_ENKUlT_T0_E_clISt17integral_constantIbLb0EES19_EEDaS14_S15_EUlS14_E_NS1_11comp_targetILNS1_3genE4ELNS1_11target_archE910ELNS1_3gpuE8ELNS1_3repE0EEENS1_30default_config_static_selectorELNS0_4arch9wavefront6targetE0EEEvT1_
	.p2align	8
	.type	_ZN7rocprim17ROCPRIM_400000_NS6detail17trampoline_kernelINS0_14default_configENS1_25partition_config_selectorILNS1_17partition_subalgoE8EN3c108BFloat16ENS0_10empty_typeEbEEZZNS1_14partition_implILS5_8ELb0ES3_jPKS7_PS8_PKS8_NS0_5tupleIJPS7_S8_EEENSG_IJSD_SD_EEENS0_18inequality_wrapperIN6hipcub16HIPCUB_304000_NS8EqualityEEEPlJS8_EEE10hipError_tPvRmT3_T4_T5_T6_T7_T9_mT8_P12ihipStream_tbDpT10_ENKUlT_T0_E_clISt17integral_constantIbLb0EES19_EEDaS14_S15_EUlS14_E_NS1_11comp_targetILNS1_3genE4ELNS1_11target_archE910ELNS1_3gpuE8ELNS1_3repE0EEENS1_30default_config_static_selectorELNS0_4arch9wavefront6targetE0EEEvT1_,@function
_ZN7rocprim17ROCPRIM_400000_NS6detail17trampoline_kernelINS0_14default_configENS1_25partition_config_selectorILNS1_17partition_subalgoE8EN3c108BFloat16ENS0_10empty_typeEbEEZZNS1_14partition_implILS5_8ELb0ES3_jPKS7_PS8_PKS8_NS0_5tupleIJPS7_S8_EEENSG_IJSD_SD_EEENS0_18inequality_wrapperIN6hipcub16HIPCUB_304000_NS8EqualityEEEPlJS8_EEE10hipError_tPvRmT3_T4_T5_T6_T7_T9_mT8_P12ihipStream_tbDpT10_ENKUlT_T0_E_clISt17integral_constantIbLb0EES19_EEDaS14_S15_EUlS14_E_NS1_11comp_targetILNS1_3genE4ELNS1_11target_archE910ELNS1_3gpuE8ELNS1_3repE0EEENS1_30default_config_static_selectorELNS0_4arch9wavefront6targetE0EEEvT1_: ; @_ZN7rocprim17ROCPRIM_400000_NS6detail17trampoline_kernelINS0_14default_configENS1_25partition_config_selectorILNS1_17partition_subalgoE8EN3c108BFloat16ENS0_10empty_typeEbEEZZNS1_14partition_implILS5_8ELb0ES3_jPKS7_PS8_PKS8_NS0_5tupleIJPS7_S8_EEENSG_IJSD_SD_EEENS0_18inequality_wrapperIN6hipcub16HIPCUB_304000_NS8EqualityEEEPlJS8_EEE10hipError_tPvRmT3_T4_T5_T6_T7_T9_mT8_P12ihipStream_tbDpT10_ENKUlT_T0_E_clISt17integral_constantIbLb0EES19_EEDaS14_S15_EUlS14_E_NS1_11comp_targetILNS1_3genE4ELNS1_11target_archE910ELNS1_3gpuE8ELNS1_3repE0EEENS1_30default_config_static_selectorELNS0_4arch9wavefront6targetE0EEEvT1_
; %bb.0:
	.section	.rodata,"a",@progbits
	.p2align	6, 0x0
	.amdhsa_kernel _ZN7rocprim17ROCPRIM_400000_NS6detail17trampoline_kernelINS0_14default_configENS1_25partition_config_selectorILNS1_17partition_subalgoE8EN3c108BFloat16ENS0_10empty_typeEbEEZZNS1_14partition_implILS5_8ELb0ES3_jPKS7_PS8_PKS8_NS0_5tupleIJPS7_S8_EEENSG_IJSD_SD_EEENS0_18inequality_wrapperIN6hipcub16HIPCUB_304000_NS8EqualityEEEPlJS8_EEE10hipError_tPvRmT3_T4_T5_T6_T7_T9_mT8_P12ihipStream_tbDpT10_ENKUlT_T0_E_clISt17integral_constantIbLb0EES19_EEDaS14_S15_EUlS14_E_NS1_11comp_targetILNS1_3genE4ELNS1_11target_archE910ELNS1_3gpuE8ELNS1_3repE0EEENS1_30default_config_static_selectorELNS0_4arch9wavefront6targetE0EEEvT1_
		.amdhsa_group_segment_fixed_size 0
		.amdhsa_private_segment_fixed_size 0
		.amdhsa_kernarg_size 112
		.amdhsa_user_sgpr_count 2
		.amdhsa_user_sgpr_dispatch_ptr 0
		.amdhsa_user_sgpr_queue_ptr 0
		.amdhsa_user_sgpr_kernarg_segment_ptr 1
		.amdhsa_user_sgpr_dispatch_id 0
		.amdhsa_user_sgpr_kernarg_preload_length 0
		.amdhsa_user_sgpr_kernarg_preload_offset 0
		.amdhsa_user_sgpr_private_segment_size 0
		.amdhsa_wavefront_size32 1
		.amdhsa_uses_dynamic_stack 0
		.amdhsa_enable_private_segment 0
		.amdhsa_system_sgpr_workgroup_id_x 1
		.amdhsa_system_sgpr_workgroup_id_y 0
		.amdhsa_system_sgpr_workgroup_id_z 0
		.amdhsa_system_sgpr_workgroup_info 0
		.amdhsa_system_vgpr_workitem_id 0
		.amdhsa_next_free_vgpr 1
		.amdhsa_next_free_sgpr 1
		.amdhsa_named_barrier_count 0
		.amdhsa_reserve_vcc 0
		.amdhsa_float_round_mode_32 0
		.amdhsa_float_round_mode_16_64 0
		.amdhsa_float_denorm_mode_32 3
		.amdhsa_float_denorm_mode_16_64 3
		.amdhsa_fp16_overflow 0
		.amdhsa_memory_ordered 1
		.amdhsa_forward_progress 1
		.amdhsa_inst_pref_size 0
		.amdhsa_round_robin_scheduling 0
		.amdhsa_exception_fp_ieee_invalid_op 0
		.amdhsa_exception_fp_denorm_src 0
		.amdhsa_exception_fp_ieee_div_zero 0
		.amdhsa_exception_fp_ieee_overflow 0
		.amdhsa_exception_fp_ieee_underflow 0
		.amdhsa_exception_fp_ieee_inexact 0
		.amdhsa_exception_int_div_zero 0
	.end_amdhsa_kernel
	.section	.text._ZN7rocprim17ROCPRIM_400000_NS6detail17trampoline_kernelINS0_14default_configENS1_25partition_config_selectorILNS1_17partition_subalgoE8EN3c108BFloat16ENS0_10empty_typeEbEEZZNS1_14partition_implILS5_8ELb0ES3_jPKS7_PS8_PKS8_NS0_5tupleIJPS7_S8_EEENSG_IJSD_SD_EEENS0_18inequality_wrapperIN6hipcub16HIPCUB_304000_NS8EqualityEEEPlJS8_EEE10hipError_tPvRmT3_T4_T5_T6_T7_T9_mT8_P12ihipStream_tbDpT10_ENKUlT_T0_E_clISt17integral_constantIbLb0EES19_EEDaS14_S15_EUlS14_E_NS1_11comp_targetILNS1_3genE4ELNS1_11target_archE910ELNS1_3gpuE8ELNS1_3repE0EEENS1_30default_config_static_selectorELNS0_4arch9wavefront6targetE0EEEvT1_,"axG",@progbits,_ZN7rocprim17ROCPRIM_400000_NS6detail17trampoline_kernelINS0_14default_configENS1_25partition_config_selectorILNS1_17partition_subalgoE8EN3c108BFloat16ENS0_10empty_typeEbEEZZNS1_14partition_implILS5_8ELb0ES3_jPKS7_PS8_PKS8_NS0_5tupleIJPS7_S8_EEENSG_IJSD_SD_EEENS0_18inequality_wrapperIN6hipcub16HIPCUB_304000_NS8EqualityEEEPlJS8_EEE10hipError_tPvRmT3_T4_T5_T6_T7_T9_mT8_P12ihipStream_tbDpT10_ENKUlT_T0_E_clISt17integral_constantIbLb0EES19_EEDaS14_S15_EUlS14_E_NS1_11comp_targetILNS1_3genE4ELNS1_11target_archE910ELNS1_3gpuE8ELNS1_3repE0EEENS1_30default_config_static_selectorELNS0_4arch9wavefront6targetE0EEEvT1_,comdat
.Lfunc_end826:
	.size	_ZN7rocprim17ROCPRIM_400000_NS6detail17trampoline_kernelINS0_14default_configENS1_25partition_config_selectorILNS1_17partition_subalgoE8EN3c108BFloat16ENS0_10empty_typeEbEEZZNS1_14partition_implILS5_8ELb0ES3_jPKS7_PS8_PKS8_NS0_5tupleIJPS7_S8_EEENSG_IJSD_SD_EEENS0_18inequality_wrapperIN6hipcub16HIPCUB_304000_NS8EqualityEEEPlJS8_EEE10hipError_tPvRmT3_T4_T5_T6_T7_T9_mT8_P12ihipStream_tbDpT10_ENKUlT_T0_E_clISt17integral_constantIbLb0EES19_EEDaS14_S15_EUlS14_E_NS1_11comp_targetILNS1_3genE4ELNS1_11target_archE910ELNS1_3gpuE8ELNS1_3repE0EEENS1_30default_config_static_selectorELNS0_4arch9wavefront6targetE0EEEvT1_, .Lfunc_end826-_ZN7rocprim17ROCPRIM_400000_NS6detail17trampoline_kernelINS0_14default_configENS1_25partition_config_selectorILNS1_17partition_subalgoE8EN3c108BFloat16ENS0_10empty_typeEbEEZZNS1_14partition_implILS5_8ELb0ES3_jPKS7_PS8_PKS8_NS0_5tupleIJPS7_S8_EEENSG_IJSD_SD_EEENS0_18inequality_wrapperIN6hipcub16HIPCUB_304000_NS8EqualityEEEPlJS8_EEE10hipError_tPvRmT3_T4_T5_T6_T7_T9_mT8_P12ihipStream_tbDpT10_ENKUlT_T0_E_clISt17integral_constantIbLb0EES19_EEDaS14_S15_EUlS14_E_NS1_11comp_targetILNS1_3genE4ELNS1_11target_archE910ELNS1_3gpuE8ELNS1_3repE0EEENS1_30default_config_static_selectorELNS0_4arch9wavefront6targetE0EEEvT1_
                                        ; -- End function
	.set _ZN7rocprim17ROCPRIM_400000_NS6detail17trampoline_kernelINS0_14default_configENS1_25partition_config_selectorILNS1_17partition_subalgoE8EN3c108BFloat16ENS0_10empty_typeEbEEZZNS1_14partition_implILS5_8ELb0ES3_jPKS7_PS8_PKS8_NS0_5tupleIJPS7_S8_EEENSG_IJSD_SD_EEENS0_18inequality_wrapperIN6hipcub16HIPCUB_304000_NS8EqualityEEEPlJS8_EEE10hipError_tPvRmT3_T4_T5_T6_T7_T9_mT8_P12ihipStream_tbDpT10_ENKUlT_T0_E_clISt17integral_constantIbLb0EES19_EEDaS14_S15_EUlS14_E_NS1_11comp_targetILNS1_3genE4ELNS1_11target_archE910ELNS1_3gpuE8ELNS1_3repE0EEENS1_30default_config_static_selectorELNS0_4arch9wavefront6targetE0EEEvT1_.num_vgpr, 0
	.set _ZN7rocprim17ROCPRIM_400000_NS6detail17trampoline_kernelINS0_14default_configENS1_25partition_config_selectorILNS1_17partition_subalgoE8EN3c108BFloat16ENS0_10empty_typeEbEEZZNS1_14partition_implILS5_8ELb0ES3_jPKS7_PS8_PKS8_NS0_5tupleIJPS7_S8_EEENSG_IJSD_SD_EEENS0_18inequality_wrapperIN6hipcub16HIPCUB_304000_NS8EqualityEEEPlJS8_EEE10hipError_tPvRmT3_T4_T5_T6_T7_T9_mT8_P12ihipStream_tbDpT10_ENKUlT_T0_E_clISt17integral_constantIbLb0EES19_EEDaS14_S15_EUlS14_E_NS1_11comp_targetILNS1_3genE4ELNS1_11target_archE910ELNS1_3gpuE8ELNS1_3repE0EEENS1_30default_config_static_selectorELNS0_4arch9wavefront6targetE0EEEvT1_.num_agpr, 0
	.set _ZN7rocprim17ROCPRIM_400000_NS6detail17trampoline_kernelINS0_14default_configENS1_25partition_config_selectorILNS1_17partition_subalgoE8EN3c108BFloat16ENS0_10empty_typeEbEEZZNS1_14partition_implILS5_8ELb0ES3_jPKS7_PS8_PKS8_NS0_5tupleIJPS7_S8_EEENSG_IJSD_SD_EEENS0_18inequality_wrapperIN6hipcub16HIPCUB_304000_NS8EqualityEEEPlJS8_EEE10hipError_tPvRmT3_T4_T5_T6_T7_T9_mT8_P12ihipStream_tbDpT10_ENKUlT_T0_E_clISt17integral_constantIbLb0EES19_EEDaS14_S15_EUlS14_E_NS1_11comp_targetILNS1_3genE4ELNS1_11target_archE910ELNS1_3gpuE8ELNS1_3repE0EEENS1_30default_config_static_selectorELNS0_4arch9wavefront6targetE0EEEvT1_.numbered_sgpr, 0
	.set _ZN7rocprim17ROCPRIM_400000_NS6detail17trampoline_kernelINS0_14default_configENS1_25partition_config_selectorILNS1_17partition_subalgoE8EN3c108BFloat16ENS0_10empty_typeEbEEZZNS1_14partition_implILS5_8ELb0ES3_jPKS7_PS8_PKS8_NS0_5tupleIJPS7_S8_EEENSG_IJSD_SD_EEENS0_18inequality_wrapperIN6hipcub16HIPCUB_304000_NS8EqualityEEEPlJS8_EEE10hipError_tPvRmT3_T4_T5_T6_T7_T9_mT8_P12ihipStream_tbDpT10_ENKUlT_T0_E_clISt17integral_constantIbLb0EES19_EEDaS14_S15_EUlS14_E_NS1_11comp_targetILNS1_3genE4ELNS1_11target_archE910ELNS1_3gpuE8ELNS1_3repE0EEENS1_30default_config_static_selectorELNS0_4arch9wavefront6targetE0EEEvT1_.num_named_barrier, 0
	.set _ZN7rocprim17ROCPRIM_400000_NS6detail17trampoline_kernelINS0_14default_configENS1_25partition_config_selectorILNS1_17partition_subalgoE8EN3c108BFloat16ENS0_10empty_typeEbEEZZNS1_14partition_implILS5_8ELb0ES3_jPKS7_PS8_PKS8_NS0_5tupleIJPS7_S8_EEENSG_IJSD_SD_EEENS0_18inequality_wrapperIN6hipcub16HIPCUB_304000_NS8EqualityEEEPlJS8_EEE10hipError_tPvRmT3_T4_T5_T6_T7_T9_mT8_P12ihipStream_tbDpT10_ENKUlT_T0_E_clISt17integral_constantIbLb0EES19_EEDaS14_S15_EUlS14_E_NS1_11comp_targetILNS1_3genE4ELNS1_11target_archE910ELNS1_3gpuE8ELNS1_3repE0EEENS1_30default_config_static_selectorELNS0_4arch9wavefront6targetE0EEEvT1_.private_seg_size, 0
	.set _ZN7rocprim17ROCPRIM_400000_NS6detail17trampoline_kernelINS0_14default_configENS1_25partition_config_selectorILNS1_17partition_subalgoE8EN3c108BFloat16ENS0_10empty_typeEbEEZZNS1_14partition_implILS5_8ELb0ES3_jPKS7_PS8_PKS8_NS0_5tupleIJPS7_S8_EEENSG_IJSD_SD_EEENS0_18inequality_wrapperIN6hipcub16HIPCUB_304000_NS8EqualityEEEPlJS8_EEE10hipError_tPvRmT3_T4_T5_T6_T7_T9_mT8_P12ihipStream_tbDpT10_ENKUlT_T0_E_clISt17integral_constantIbLb0EES19_EEDaS14_S15_EUlS14_E_NS1_11comp_targetILNS1_3genE4ELNS1_11target_archE910ELNS1_3gpuE8ELNS1_3repE0EEENS1_30default_config_static_selectorELNS0_4arch9wavefront6targetE0EEEvT1_.uses_vcc, 0
	.set _ZN7rocprim17ROCPRIM_400000_NS6detail17trampoline_kernelINS0_14default_configENS1_25partition_config_selectorILNS1_17partition_subalgoE8EN3c108BFloat16ENS0_10empty_typeEbEEZZNS1_14partition_implILS5_8ELb0ES3_jPKS7_PS8_PKS8_NS0_5tupleIJPS7_S8_EEENSG_IJSD_SD_EEENS0_18inequality_wrapperIN6hipcub16HIPCUB_304000_NS8EqualityEEEPlJS8_EEE10hipError_tPvRmT3_T4_T5_T6_T7_T9_mT8_P12ihipStream_tbDpT10_ENKUlT_T0_E_clISt17integral_constantIbLb0EES19_EEDaS14_S15_EUlS14_E_NS1_11comp_targetILNS1_3genE4ELNS1_11target_archE910ELNS1_3gpuE8ELNS1_3repE0EEENS1_30default_config_static_selectorELNS0_4arch9wavefront6targetE0EEEvT1_.uses_flat_scratch, 0
	.set _ZN7rocprim17ROCPRIM_400000_NS6detail17trampoline_kernelINS0_14default_configENS1_25partition_config_selectorILNS1_17partition_subalgoE8EN3c108BFloat16ENS0_10empty_typeEbEEZZNS1_14partition_implILS5_8ELb0ES3_jPKS7_PS8_PKS8_NS0_5tupleIJPS7_S8_EEENSG_IJSD_SD_EEENS0_18inequality_wrapperIN6hipcub16HIPCUB_304000_NS8EqualityEEEPlJS8_EEE10hipError_tPvRmT3_T4_T5_T6_T7_T9_mT8_P12ihipStream_tbDpT10_ENKUlT_T0_E_clISt17integral_constantIbLb0EES19_EEDaS14_S15_EUlS14_E_NS1_11comp_targetILNS1_3genE4ELNS1_11target_archE910ELNS1_3gpuE8ELNS1_3repE0EEENS1_30default_config_static_selectorELNS0_4arch9wavefront6targetE0EEEvT1_.has_dyn_sized_stack, 0
	.set _ZN7rocprim17ROCPRIM_400000_NS6detail17trampoline_kernelINS0_14default_configENS1_25partition_config_selectorILNS1_17partition_subalgoE8EN3c108BFloat16ENS0_10empty_typeEbEEZZNS1_14partition_implILS5_8ELb0ES3_jPKS7_PS8_PKS8_NS0_5tupleIJPS7_S8_EEENSG_IJSD_SD_EEENS0_18inequality_wrapperIN6hipcub16HIPCUB_304000_NS8EqualityEEEPlJS8_EEE10hipError_tPvRmT3_T4_T5_T6_T7_T9_mT8_P12ihipStream_tbDpT10_ENKUlT_T0_E_clISt17integral_constantIbLb0EES19_EEDaS14_S15_EUlS14_E_NS1_11comp_targetILNS1_3genE4ELNS1_11target_archE910ELNS1_3gpuE8ELNS1_3repE0EEENS1_30default_config_static_selectorELNS0_4arch9wavefront6targetE0EEEvT1_.has_recursion, 0
	.set _ZN7rocprim17ROCPRIM_400000_NS6detail17trampoline_kernelINS0_14default_configENS1_25partition_config_selectorILNS1_17partition_subalgoE8EN3c108BFloat16ENS0_10empty_typeEbEEZZNS1_14partition_implILS5_8ELb0ES3_jPKS7_PS8_PKS8_NS0_5tupleIJPS7_S8_EEENSG_IJSD_SD_EEENS0_18inequality_wrapperIN6hipcub16HIPCUB_304000_NS8EqualityEEEPlJS8_EEE10hipError_tPvRmT3_T4_T5_T6_T7_T9_mT8_P12ihipStream_tbDpT10_ENKUlT_T0_E_clISt17integral_constantIbLb0EES19_EEDaS14_S15_EUlS14_E_NS1_11comp_targetILNS1_3genE4ELNS1_11target_archE910ELNS1_3gpuE8ELNS1_3repE0EEENS1_30default_config_static_selectorELNS0_4arch9wavefront6targetE0EEEvT1_.has_indirect_call, 0
	.section	.AMDGPU.csdata,"",@progbits
; Kernel info:
; codeLenInByte = 0
; TotalNumSgprs: 0
; NumVgprs: 0
; ScratchSize: 0
; MemoryBound: 0
; FloatMode: 240
; IeeeMode: 1
; LDSByteSize: 0 bytes/workgroup (compile time only)
; SGPRBlocks: 0
; VGPRBlocks: 0
; NumSGPRsForWavesPerEU: 1
; NumVGPRsForWavesPerEU: 1
; NamedBarCnt: 0
; Occupancy: 16
; WaveLimiterHint : 0
; COMPUTE_PGM_RSRC2:SCRATCH_EN: 0
; COMPUTE_PGM_RSRC2:USER_SGPR: 2
; COMPUTE_PGM_RSRC2:TRAP_HANDLER: 0
; COMPUTE_PGM_RSRC2:TGID_X_EN: 1
; COMPUTE_PGM_RSRC2:TGID_Y_EN: 0
; COMPUTE_PGM_RSRC2:TGID_Z_EN: 0
; COMPUTE_PGM_RSRC2:TIDIG_COMP_CNT: 0
	.section	.text._ZN7rocprim17ROCPRIM_400000_NS6detail17trampoline_kernelINS0_14default_configENS1_25partition_config_selectorILNS1_17partition_subalgoE8EN3c108BFloat16ENS0_10empty_typeEbEEZZNS1_14partition_implILS5_8ELb0ES3_jPKS7_PS8_PKS8_NS0_5tupleIJPS7_S8_EEENSG_IJSD_SD_EEENS0_18inequality_wrapperIN6hipcub16HIPCUB_304000_NS8EqualityEEEPlJS8_EEE10hipError_tPvRmT3_T4_T5_T6_T7_T9_mT8_P12ihipStream_tbDpT10_ENKUlT_T0_E_clISt17integral_constantIbLb0EES19_EEDaS14_S15_EUlS14_E_NS1_11comp_targetILNS1_3genE3ELNS1_11target_archE908ELNS1_3gpuE7ELNS1_3repE0EEENS1_30default_config_static_selectorELNS0_4arch9wavefront6targetE0EEEvT1_,"axG",@progbits,_ZN7rocprim17ROCPRIM_400000_NS6detail17trampoline_kernelINS0_14default_configENS1_25partition_config_selectorILNS1_17partition_subalgoE8EN3c108BFloat16ENS0_10empty_typeEbEEZZNS1_14partition_implILS5_8ELb0ES3_jPKS7_PS8_PKS8_NS0_5tupleIJPS7_S8_EEENSG_IJSD_SD_EEENS0_18inequality_wrapperIN6hipcub16HIPCUB_304000_NS8EqualityEEEPlJS8_EEE10hipError_tPvRmT3_T4_T5_T6_T7_T9_mT8_P12ihipStream_tbDpT10_ENKUlT_T0_E_clISt17integral_constantIbLb0EES19_EEDaS14_S15_EUlS14_E_NS1_11comp_targetILNS1_3genE3ELNS1_11target_archE908ELNS1_3gpuE7ELNS1_3repE0EEENS1_30default_config_static_selectorELNS0_4arch9wavefront6targetE0EEEvT1_,comdat
	.protected	_ZN7rocprim17ROCPRIM_400000_NS6detail17trampoline_kernelINS0_14default_configENS1_25partition_config_selectorILNS1_17partition_subalgoE8EN3c108BFloat16ENS0_10empty_typeEbEEZZNS1_14partition_implILS5_8ELb0ES3_jPKS7_PS8_PKS8_NS0_5tupleIJPS7_S8_EEENSG_IJSD_SD_EEENS0_18inequality_wrapperIN6hipcub16HIPCUB_304000_NS8EqualityEEEPlJS8_EEE10hipError_tPvRmT3_T4_T5_T6_T7_T9_mT8_P12ihipStream_tbDpT10_ENKUlT_T0_E_clISt17integral_constantIbLb0EES19_EEDaS14_S15_EUlS14_E_NS1_11comp_targetILNS1_3genE3ELNS1_11target_archE908ELNS1_3gpuE7ELNS1_3repE0EEENS1_30default_config_static_selectorELNS0_4arch9wavefront6targetE0EEEvT1_ ; -- Begin function _ZN7rocprim17ROCPRIM_400000_NS6detail17trampoline_kernelINS0_14default_configENS1_25partition_config_selectorILNS1_17partition_subalgoE8EN3c108BFloat16ENS0_10empty_typeEbEEZZNS1_14partition_implILS5_8ELb0ES3_jPKS7_PS8_PKS8_NS0_5tupleIJPS7_S8_EEENSG_IJSD_SD_EEENS0_18inequality_wrapperIN6hipcub16HIPCUB_304000_NS8EqualityEEEPlJS8_EEE10hipError_tPvRmT3_T4_T5_T6_T7_T9_mT8_P12ihipStream_tbDpT10_ENKUlT_T0_E_clISt17integral_constantIbLb0EES19_EEDaS14_S15_EUlS14_E_NS1_11comp_targetILNS1_3genE3ELNS1_11target_archE908ELNS1_3gpuE7ELNS1_3repE0EEENS1_30default_config_static_selectorELNS0_4arch9wavefront6targetE0EEEvT1_
	.globl	_ZN7rocprim17ROCPRIM_400000_NS6detail17trampoline_kernelINS0_14default_configENS1_25partition_config_selectorILNS1_17partition_subalgoE8EN3c108BFloat16ENS0_10empty_typeEbEEZZNS1_14partition_implILS5_8ELb0ES3_jPKS7_PS8_PKS8_NS0_5tupleIJPS7_S8_EEENSG_IJSD_SD_EEENS0_18inequality_wrapperIN6hipcub16HIPCUB_304000_NS8EqualityEEEPlJS8_EEE10hipError_tPvRmT3_T4_T5_T6_T7_T9_mT8_P12ihipStream_tbDpT10_ENKUlT_T0_E_clISt17integral_constantIbLb0EES19_EEDaS14_S15_EUlS14_E_NS1_11comp_targetILNS1_3genE3ELNS1_11target_archE908ELNS1_3gpuE7ELNS1_3repE0EEENS1_30default_config_static_selectorELNS0_4arch9wavefront6targetE0EEEvT1_
	.p2align	8
	.type	_ZN7rocprim17ROCPRIM_400000_NS6detail17trampoline_kernelINS0_14default_configENS1_25partition_config_selectorILNS1_17partition_subalgoE8EN3c108BFloat16ENS0_10empty_typeEbEEZZNS1_14partition_implILS5_8ELb0ES3_jPKS7_PS8_PKS8_NS0_5tupleIJPS7_S8_EEENSG_IJSD_SD_EEENS0_18inequality_wrapperIN6hipcub16HIPCUB_304000_NS8EqualityEEEPlJS8_EEE10hipError_tPvRmT3_T4_T5_T6_T7_T9_mT8_P12ihipStream_tbDpT10_ENKUlT_T0_E_clISt17integral_constantIbLb0EES19_EEDaS14_S15_EUlS14_E_NS1_11comp_targetILNS1_3genE3ELNS1_11target_archE908ELNS1_3gpuE7ELNS1_3repE0EEENS1_30default_config_static_selectorELNS0_4arch9wavefront6targetE0EEEvT1_,@function
_ZN7rocprim17ROCPRIM_400000_NS6detail17trampoline_kernelINS0_14default_configENS1_25partition_config_selectorILNS1_17partition_subalgoE8EN3c108BFloat16ENS0_10empty_typeEbEEZZNS1_14partition_implILS5_8ELb0ES3_jPKS7_PS8_PKS8_NS0_5tupleIJPS7_S8_EEENSG_IJSD_SD_EEENS0_18inequality_wrapperIN6hipcub16HIPCUB_304000_NS8EqualityEEEPlJS8_EEE10hipError_tPvRmT3_T4_T5_T6_T7_T9_mT8_P12ihipStream_tbDpT10_ENKUlT_T0_E_clISt17integral_constantIbLb0EES19_EEDaS14_S15_EUlS14_E_NS1_11comp_targetILNS1_3genE3ELNS1_11target_archE908ELNS1_3gpuE7ELNS1_3repE0EEENS1_30default_config_static_selectorELNS0_4arch9wavefront6targetE0EEEvT1_: ; @_ZN7rocprim17ROCPRIM_400000_NS6detail17trampoline_kernelINS0_14default_configENS1_25partition_config_selectorILNS1_17partition_subalgoE8EN3c108BFloat16ENS0_10empty_typeEbEEZZNS1_14partition_implILS5_8ELb0ES3_jPKS7_PS8_PKS8_NS0_5tupleIJPS7_S8_EEENSG_IJSD_SD_EEENS0_18inequality_wrapperIN6hipcub16HIPCUB_304000_NS8EqualityEEEPlJS8_EEE10hipError_tPvRmT3_T4_T5_T6_T7_T9_mT8_P12ihipStream_tbDpT10_ENKUlT_T0_E_clISt17integral_constantIbLb0EES19_EEDaS14_S15_EUlS14_E_NS1_11comp_targetILNS1_3genE3ELNS1_11target_archE908ELNS1_3gpuE7ELNS1_3repE0EEENS1_30default_config_static_selectorELNS0_4arch9wavefront6targetE0EEEvT1_
; %bb.0:
	.section	.rodata,"a",@progbits
	.p2align	6, 0x0
	.amdhsa_kernel _ZN7rocprim17ROCPRIM_400000_NS6detail17trampoline_kernelINS0_14default_configENS1_25partition_config_selectorILNS1_17partition_subalgoE8EN3c108BFloat16ENS0_10empty_typeEbEEZZNS1_14partition_implILS5_8ELb0ES3_jPKS7_PS8_PKS8_NS0_5tupleIJPS7_S8_EEENSG_IJSD_SD_EEENS0_18inequality_wrapperIN6hipcub16HIPCUB_304000_NS8EqualityEEEPlJS8_EEE10hipError_tPvRmT3_T4_T5_T6_T7_T9_mT8_P12ihipStream_tbDpT10_ENKUlT_T0_E_clISt17integral_constantIbLb0EES19_EEDaS14_S15_EUlS14_E_NS1_11comp_targetILNS1_3genE3ELNS1_11target_archE908ELNS1_3gpuE7ELNS1_3repE0EEENS1_30default_config_static_selectorELNS0_4arch9wavefront6targetE0EEEvT1_
		.amdhsa_group_segment_fixed_size 0
		.amdhsa_private_segment_fixed_size 0
		.amdhsa_kernarg_size 112
		.amdhsa_user_sgpr_count 2
		.amdhsa_user_sgpr_dispatch_ptr 0
		.amdhsa_user_sgpr_queue_ptr 0
		.amdhsa_user_sgpr_kernarg_segment_ptr 1
		.amdhsa_user_sgpr_dispatch_id 0
		.amdhsa_user_sgpr_kernarg_preload_length 0
		.amdhsa_user_sgpr_kernarg_preload_offset 0
		.amdhsa_user_sgpr_private_segment_size 0
		.amdhsa_wavefront_size32 1
		.amdhsa_uses_dynamic_stack 0
		.amdhsa_enable_private_segment 0
		.amdhsa_system_sgpr_workgroup_id_x 1
		.amdhsa_system_sgpr_workgroup_id_y 0
		.amdhsa_system_sgpr_workgroup_id_z 0
		.amdhsa_system_sgpr_workgroup_info 0
		.amdhsa_system_vgpr_workitem_id 0
		.amdhsa_next_free_vgpr 1
		.amdhsa_next_free_sgpr 1
		.amdhsa_named_barrier_count 0
		.amdhsa_reserve_vcc 0
		.amdhsa_float_round_mode_32 0
		.amdhsa_float_round_mode_16_64 0
		.amdhsa_float_denorm_mode_32 3
		.amdhsa_float_denorm_mode_16_64 3
		.amdhsa_fp16_overflow 0
		.amdhsa_memory_ordered 1
		.amdhsa_forward_progress 1
		.amdhsa_inst_pref_size 0
		.amdhsa_round_robin_scheduling 0
		.amdhsa_exception_fp_ieee_invalid_op 0
		.amdhsa_exception_fp_denorm_src 0
		.amdhsa_exception_fp_ieee_div_zero 0
		.amdhsa_exception_fp_ieee_overflow 0
		.amdhsa_exception_fp_ieee_underflow 0
		.amdhsa_exception_fp_ieee_inexact 0
		.amdhsa_exception_int_div_zero 0
	.end_amdhsa_kernel
	.section	.text._ZN7rocprim17ROCPRIM_400000_NS6detail17trampoline_kernelINS0_14default_configENS1_25partition_config_selectorILNS1_17partition_subalgoE8EN3c108BFloat16ENS0_10empty_typeEbEEZZNS1_14partition_implILS5_8ELb0ES3_jPKS7_PS8_PKS8_NS0_5tupleIJPS7_S8_EEENSG_IJSD_SD_EEENS0_18inequality_wrapperIN6hipcub16HIPCUB_304000_NS8EqualityEEEPlJS8_EEE10hipError_tPvRmT3_T4_T5_T6_T7_T9_mT8_P12ihipStream_tbDpT10_ENKUlT_T0_E_clISt17integral_constantIbLb0EES19_EEDaS14_S15_EUlS14_E_NS1_11comp_targetILNS1_3genE3ELNS1_11target_archE908ELNS1_3gpuE7ELNS1_3repE0EEENS1_30default_config_static_selectorELNS0_4arch9wavefront6targetE0EEEvT1_,"axG",@progbits,_ZN7rocprim17ROCPRIM_400000_NS6detail17trampoline_kernelINS0_14default_configENS1_25partition_config_selectorILNS1_17partition_subalgoE8EN3c108BFloat16ENS0_10empty_typeEbEEZZNS1_14partition_implILS5_8ELb0ES3_jPKS7_PS8_PKS8_NS0_5tupleIJPS7_S8_EEENSG_IJSD_SD_EEENS0_18inequality_wrapperIN6hipcub16HIPCUB_304000_NS8EqualityEEEPlJS8_EEE10hipError_tPvRmT3_T4_T5_T6_T7_T9_mT8_P12ihipStream_tbDpT10_ENKUlT_T0_E_clISt17integral_constantIbLb0EES19_EEDaS14_S15_EUlS14_E_NS1_11comp_targetILNS1_3genE3ELNS1_11target_archE908ELNS1_3gpuE7ELNS1_3repE0EEENS1_30default_config_static_selectorELNS0_4arch9wavefront6targetE0EEEvT1_,comdat
.Lfunc_end827:
	.size	_ZN7rocprim17ROCPRIM_400000_NS6detail17trampoline_kernelINS0_14default_configENS1_25partition_config_selectorILNS1_17partition_subalgoE8EN3c108BFloat16ENS0_10empty_typeEbEEZZNS1_14partition_implILS5_8ELb0ES3_jPKS7_PS8_PKS8_NS0_5tupleIJPS7_S8_EEENSG_IJSD_SD_EEENS0_18inequality_wrapperIN6hipcub16HIPCUB_304000_NS8EqualityEEEPlJS8_EEE10hipError_tPvRmT3_T4_T5_T6_T7_T9_mT8_P12ihipStream_tbDpT10_ENKUlT_T0_E_clISt17integral_constantIbLb0EES19_EEDaS14_S15_EUlS14_E_NS1_11comp_targetILNS1_3genE3ELNS1_11target_archE908ELNS1_3gpuE7ELNS1_3repE0EEENS1_30default_config_static_selectorELNS0_4arch9wavefront6targetE0EEEvT1_, .Lfunc_end827-_ZN7rocprim17ROCPRIM_400000_NS6detail17trampoline_kernelINS0_14default_configENS1_25partition_config_selectorILNS1_17partition_subalgoE8EN3c108BFloat16ENS0_10empty_typeEbEEZZNS1_14partition_implILS5_8ELb0ES3_jPKS7_PS8_PKS8_NS0_5tupleIJPS7_S8_EEENSG_IJSD_SD_EEENS0_18inequality_wrapperIN6hipcub16HIPCUB_304000_NS8EqualityEEEPlJS8_EEE10hipError_tPvRmT3_T4_T5_T6_T7_T9_mT8_P12ihipStream_tbDpT10_ENKUlT_T0_E_clISt17integral_constantIbLb0EES19_EEDaS14_S15_EUlS14_E_NS1_11comp_targetILNS1_3genE3ELNS1_11target_archE908ELNS1_3gpuE7ELNS1_3repE0EEENS1_30default_config_static_selectorELNS0_4arch9wavefront6targetE0EEEvT1_
                                        ; -- End function
	.set _ZN7rocprim17ROCPRIM_400000_NS6detail17trampoline_kernelINS0_14default_configENS1_25partition_config_selectorILNS1_17partition_subalgoE8EN3c108BFloat16ENS0_10empty_typeEbEEZZNS1_14partition_implILS5_8ELb0ES3_jPKS7_PS8_PKS8_NS0_5tupleIJPS7_S8_EEENSG_IJSD_SD_EEENS0_18inequality_wrapperIN6hipcub16HIPCUB_304000_NS8EqualityEEEPlJS8_EEE10hipError_tPvRmT3_T4_T5_T6_T7_T9_mT8_P12ihipStream_tbDpT10_ENKUlT_T0_E_clISt17integral_constantIbLb0EES19_EEDaS14_S15_EUlS14_E_NS1_11comp_targetILNS1_3genE3ELNS1_11target_archE908ELNS1_3gpuE7ELNS1_3repE0EEENS1_30default_config_static_selectorELNS0_4arch9wavefront6targetE0EEEvT1_.num_vgpr, 0
	.set _ZN7rocprim17ROCPRIM_400000_NS6detail17trampoline_kernelINS0_14default_configENS1_25partition_config_selectorILNS1_17partition_subalgoE8EN3c108BFloat16ENS0_10empty_typeEbEEZZNS1_14partition_implILS5_8ELb0ES3_jPKS7_PS8_PKS8_NS0_5tupleIJPS7_S8_EEENSG_IJSD_SD_EEENS0_18inequality_wrapperIN6hipcub16HIPCUB_304000_NS8EqualityEEEPlJS8_EEE10hipError_tPvRmT3_T4_T5_T6_T7_T9_mT8_P12ihipStream_tbDpT10_ENKUlT_T0_E_clISt17integral_constantIbLb0EES19_EEDaS14_S15_EUlS14_E_NS1_11comp_targetILNS1_3genE3ELNS1_11target_archE908ELNS1_3gpuE7ELNS1_3repE0EEENS1_30default_config_static_selectorELNS0_4arch9wavefront6targetE0EEEvT1_.num_agpr, 0
	.set _ZN7rocprim17ROCPRIM_400000_NS6detail17trampoline_kernelINS0_14default_configENS1_25partition_config_selectorILNS1_17partition_subalgoE8EN3c108BFloat16ENS0_10empty_typeEbEEZZNS1_14partition_implILS5_8ELb0ES3_jPKS7_PS8_PKS8_NS0_5tupleIJPS7_S8_EEENSG_IJSD_SD_EEENS0_18inequality_wrapperIN6hipcub16HIPCUB_304000_NS8EqualityEEEPlJS8_EEE10hipError_tPvRmT3_T4_T5_T6_T7_T9_mT8_P12ihipStream_tbDpT10_ENKUlT_T0_E_clISt17integral_constantIbLb0EES19_EEDaS14_S15_EUlS14_E_NS1_11comp_targetILNS1_3genE3ELNS1_11target_archE908ELNS1_3gpuE7ELNS1_3repE0EEENS1_30default_config_static_selectorELNS0_4arch9wavefront6targetE0EEEvT1_.numbered_sgpr, 0
	.set _ZN7rocprim17ROCPRIM_400000_NS6detail17trampoline_kernelINS0_14default_configENS1_25partition_config_selectorILNS1_17partition_subalgoE8EN3c108BFloat16ENS0_10empty_typeEbEEZZNS1_14partition_implILS5_8ELb0ES3_jPKS7_PS8_PKS8_NS0_5tupleIJPS7_S8_EEENSG_IJSD_SD_EEENS0_18inequality_wrapperIN6hipcub16HIPCUB_304000_NS8EqualityEEEPlJS8_EEE10hipError_tPvRmT3_T4_T5_T6_T7_T9_mT8_P12ihipStream_tbDpT10_ENKUlT_T0_E_clISt17integral_constantIbLb0EES19_EEDaS14_S15_EUlS14_E_NS1_11comp_targetILNS1_3genE3ELNS1_11target_archE908ELNS1_3gpuE7ELNS1_3repE0EEENS1_30default_config_static_selectorELNS0_4arch9wavefront6targetE0EEEvT1_.num_named_barrier, 0
	.set _ZN7rocprim17ROCPRIM_400000_NS6detail17trampoline_kernelINS0_14default_configENS1_25partition_config_selectorILNS1_17partition_subalgoE8EN3c108BFloat16ENS0_10empty_typeEbEEZZNS1_14partition_implILS5_8ELb0ES3_jPKS7_PS8_PKS8_NS0_5tupleIJPS7_S8_EEENSG_IJSD_SD_EEENS0_18inequality_wrapperIN6hipcub16HIPCUB_304000_NS8EqualityEEEPlJS8_EEE10hipError_tPvRmT3_T4_T5_T6_T7_T9_mT8_P12ihipStream_tbDpT10_ENKUlT_T0_E_clISt17integral_constantIbLb0EES19_EEDaS14_S15_EUlS14_E_NS1_11comp_targetILNS1_3genE3ELNS1_11target_archE908ELNS1_3gpuE7ELNS1_3repE0EEENS1_30default_config_static_selectorELNS0_4arch9wavefront6targetE0EEEvT1_.private_seg_size, 0
	.set _ZN7rocprim17ROCPRIM_400000_NS6detail17trampoline_kernelINS0_14default_configENS1_25partition_config_selectorILNS1_17partition_subalgoE8EN3c108BFloat16ENS0_10empty_typeEbEEZZNS1_14partition_implILS5_8ELb0ES3_jPKS7_PS8_PKS8_NS0_5tupleIJPS7_S8_EEENSG_IJSD_SD_EEENS0_18inequality_wrapperIN6hipcub16HIPCUB_304000_NS8EqualityEEEPlJS8_EEE10hipError_tPvRmT3_T4_T5_T6_T7_T9_mT8_P12ihipStream_tbDpT10_ENKUlT_T0_E_clISt17integral_constantIbLb0EES19_EEDaS14_S15_EUlS14_E_NS1_11comp_targetILNS1_3genE3ELNS1_11target_archE908ELNS1_3gpuE7ELNS1_3repE0EEENS1_30default_config_static_selectorELNS0_4arch9wavefront6targetE0EEEvT1_.uses_vcc, 0
	.set _ZN7rocprim17ROCPRIM_400000_NS6detail17trampoline_kernelINS0_14default_configENS1_25partition_config_selectorILNS1_17partition_subalgoE8EN3c108BFloat16ENS0_10empty_typeEbEEZZNS1_14partition_implILS5_8ELb0ES3_jPKS7_PS8_PKS8_NS0_5tupleIJPS7_S8_EEENSG_IJSD_SD_EEENS0_18inequality_wrapperIN6hipcub16HIPCUB_304000_NS8EqualityEEEPlJS8_EEE10hipError_tPvRmT3_T4_T5_T6_T7_T9_mT8_P12ihipStream_tbDpT10_ENKUlT_T0_E_clISt17integral_constantIbLb0EES19_EEDaS14_S15_EUlS14_E_NS1_11comp_targetILNS1_3genE3ELNS1_11target_archE908ELNS1_3gpuE7ELNS1_3repE0EEENS1_30default_config_static_selectorELNS0_4arch9wavefront6targetE0EEEvT1_.uses_flat_scratch, 0
	.set _ZN7rocprim17ROCPRIM_400000_NS6detail17trampoline_kernelINS0_14default_configENS1_25partition_config_selectorILNS1_17partition_subalgoE8EN3c108BFloat16ENS0_10empty_typeEbEEZZNS1_14partition_implILS5_8ELb0ES3_jPKS7_PS8_PKS8_NS0_5tupleIJPS7_S8_EEENSG_IJSD_SD_EEENS0_18inequality_wrapperIN6hipcub16HIPCUB_304000_NS8EqualityEEEPlJS8_EEE10hipError_tPvRmT3_T4_T5_T6_T7_T9_mT8_P12ihipStream_tbDpT10_ENKUlT_T0_E_clISt17integral_constantIbLb0EES19_EEDaS14_S15_EUlS14_E_NS1_11comp_targetILNS1_3genE3ELNS1_11target_archE908ELNS1_3gpuE7ELNS1_3repE0EEENS1_30default_config_static_selectorELNS0_4arch9wavefront6targetE0EEEvT1_.has_dyn_sized_stack, 0
	.set _ZN7rocprim17ROCPRIM_400000_NS6detail17trampoline_kernelINS0_14default_configENS1_25partition_config_selectorILNS1_17partition_subalgoE8EN3c108BFloat16ENS0_10empty_typeEbEEZZNS1_14partition_implILS5_8ELb0ES3_jPKS7_PS8_PKS8_NS0_5tupleIJPS7_S8_EEENSG_IJSD_SD_EEENS0_18inequality_wrapperIN6hipcub16HIPCUB_304000_NS8EqualityEEEPlJS8_EEE10hipError_tPvRmT3_T4_T5_T6_T7_T9_mT8_P12ihipStream_tbDpT10_ENKUlT_T0_E_clISt17integral_constantIbLb0EES19_EEDaS14_S15_EUlS14_E_NS1_11comp_targetILNS1_3genE3ELNS1_11target_archE908ELNS1_3gpuE7ELNS1_3repE0EEENS1_30default_config_static_selectorELNS0_4arch9wavefront6targetE0EEEvT1_.has_recursion, 0
	.set _ZN7rocprim17ROCPRIM_400000_NS6detail17trampoline_kernelINS0_14default_configENS1_25partition_config_selectorILNS1_17partition_subalgoE8EN3c108BFloat16ENS0_10empty_typeEbEEZZNS1_14partition_implILS5_8ELb0ES3_jPKS7_PS8_PKS8_NS0_5tupleIJPS7_S8_EEENSG_IJSD_SD_EEENS0_18inequality_wrapperIN6hipcub16HIPCUB_304000_NS8EqualityEEEPlJS8_EEE10hipError_tPvRmT3_T4_T5_T6_T7_T9_mT8_P12ihipStream_tbDpT10_ENKUlT_T0_E_clISt17integral_constantIbLb0EES19_EEDaS14_S15_EUlS14_E_NS1_11comp_targetILNS1_3genE3ELNS1_11target_archE908ELNS1_3gpuE7ELNS1_3repE0EEENS1_30default_config_static_selectorELNS0_4arch9wavefront6targetE0EEEvT1_.has_indirect_call, 0
	.section	.AMDGPU.csdata,"",@progbits
; Kernel info:
; codeLenInByte = 0
; TotalNumSgprs: 0
; NumVgprs: 0
; ScratchSize: 0
; MemoryBound: 0
; FloatMode: 240
; IeeeMode: 1
; LDSByteSize: 0 bytes/workgroup (compile time only)
; SGPRBlocks: 0
; VGPRBlocks: 0
; NumSGPRsForWavesPerEU: 1
; NumVGPRsForWavesPerEU: 1
; NamedBarCnt: 0
; Occupancy: 16
; WaveLimiterHint : 0
; COMPUTE_PGM_RSRC2:SCRATCH_EN: 0
; COMPUTE_PGM_RSRC2:USER_SGPR: 2
; COMPUTE_PGM_RSRC2:TRAP_HANDLER: 0
; COMPUTE_PGM_RSRC2:TGID_X_EN: 1
; COMPUTE_PGM_RSRC2:TGID_Y_EN: 0
; COMPUTE_PGM_RSRC2:TGID_Z_EN: 0
; COMPUTE_PGM_RSRC2:TIDIG_COMP_CNT: 0
	.section	.text._ZN7rocprim17ROCPRIM_400000_NS6detail17trampoline_kernelINS0_14default_configENS1_25partition_config_selectorILNS1_17partition_subalgoE8EN3c108BFloat16ENS0_10empty_typeEbEEZZNS1_14partition_implILS5_8ELb0ES3_jPKS7_PS8_PKS8_NS0_5tupleIJPS7_S8_EEENSG_IJSD_SD_EEENS0_18inequality_wrapperIN6hipcub16HIPCUB_304000_NS8EqualityEEEPlJS8_EEE10hipError_tPvRmT3_T4_T5_T6_T7_T9_mT8_P12ihipStream_tbDpT10_ENKUlT_T0_E_clISt17integral_constantIbLb0EES19_EEDaS14_S15_EUlS14_E_NS1_11comp_targetILNS1_3genE2ELNS1_11target_archE906ELNS1_3gpuE6ELNS1_3repE0EEENS1_30default_config_static_selectorELNS0_4arch9wavefront6targetE0EEEvT1_,"axG",@progbits,_ZN7rocprim17ROCPRIM_400000_NS6detail17trampoline_kernelINS0_14default_configENS1_25partition_config_selectorILNS1_17partition_subalgoE8EN3c108BFloat16ENS0_10empty_typeEbEEZZNS1_14partition_implILS5_8ELb0ES3_jPKS7_PS8_PKS8_NS0_5tupleIJPS7_S8_EEENSG_IJSD_SD_EEENS0_18inequality_wrapperIN6hipcub16HIPCUB_304000_NS8EqualityEEEPlJS8_EEE10hipError_tPvRmT3_T4_T5_T6_T7_T9_mT8_P12ihipStream_tbDpT10_ENKUlT_T0_E_clISt17integral_constantIbLb0EES19_EEDaS14_S15_EUlS14_E_NS1_11comp_targetILNS1_3genE2ELNS1_11target_archE906ELNS1_3gpuE6ELNS1_3repE0EEENS1_30default_config_static_selectorELNS0_4arch9wavefront6targetE0EEEvT1_,comdat
	.protected	_ZN7rocprim17ROCPRIM_400000_NS6detail17trampoline_kernelINS0_14default_configENS1_25partition_config_selectorILNS1_17partition_subalgoE8EN3c108BFloat16ENS0_10empty_typeEbEEZZNS1_14partition_implILS5_8ELb0ES3_jPKS7_PS8_PKS8_NS0_5tupleIJPS7_S8_EEENSG_IJSD_SD_EEENS0_18inequality_wrapperIN6hipcub16HIPCUB_304000_NS8EqualityEEEPlJS8_EEE10hipError_tPvRmT3_T4_T5_T6_T7_T9_mT8_P12ihipStream_tbDpT10_ENKUlT_T0_E_clISt17integral_constantIbLb0EES19_EEDaS14_S15_EUlS14_E_NS1_11comp_targetILNS1_3genE2ELNS1_11target_archE906ELNS1_3gpuE6ELNS1_3repE0EEENS1_30default_config_static_selectorELNS0_4arch9wavefront6targetE0EEEvT1_ ; -- Begin function _ZN7rocprim17ROCPRIM_400000_NS6detail17trampoline_kernelINS0_14default_configENS1_25partition_config_selectorILNS1_17partition_subalgoE8EN3c108BFloat16ENS0_10empty_typeEbEEZZNS1_14partition_implILS5_8ELb0ES3_jPKS7_PS8_PKS8_NS0_5tupleIJPS7_S8_EEENSG_IJSD_SD_EEENS0_18inequality_wrapperIN6hipcub16HIPCUB_304000_NS8EqualityEEEPlJS8_EEE10hipError_tPvRmT3_T4_T5_T6_T7_T9_mT8_P12ihipStream_tbDpT10_ENKUlT_T0_E_clISt17integral_constantIbLb0EES19_EEDaS14_S15_EUlS14_E_NS1_11comp_targetILNS1_3genE2ELNS1_11target_archE906ELNS1_3gpuE6ELNS1_3repE0EEENS1_30default_config_static_selectorELNS0_4arch9wavefront6targetE0EEEvT1_
	.globl	_ZN7rocprim17ROCPRIM_400000_NS6detail17trampoline_kernelINS0_14default_configENS1_25partition_config_selectorILNS1_17partition_subalgoE8EN3c108BFloat16ENS0_10empty_typeEbEEZZNS1_14partition_implILS5_8ELb0ES3_jPKS7_PS8_PKS8_NS0_5tupleIJPS7_S8_EEENSG_IJSD_SD_EEENS0_18inequality_wrapperIN6hipcub16HIPCUB_304000_NS8EqualityEEEPlJS8_EEE10hipError_tPvRmT3_T4_T5_T6_T7_T9_mT8_P12ihipStream_tbDpT10_ENKUlT_T0_E_clISt17integral_constantIbLb0EES19_EEDaS14_S15_EUlS14_E_NS1_11comp_targetILNS1_3genE2ELNS1_11target_archE906ELNS1_3gpuE6ELNS1_3repE0EEENS1_30default_config_static_selectorELNS0_4arch9wavefront6targetE0EEEvT1_
	.p2align	8
	.type	_ZN7rocprim17ROCPRIM_400000_NS6detail17trampoline_kernelINS0_14default_configENS1_25partition_config_selectorILNS1_17partition_subalgoE8EN3c108BFloat16ENS0_10empty_typeEbEEZZNS1_14partition_implILS5_8ELb0ES3_jPKS7_PS8_PKS8_NS0_5tupleIJPS7_S8_EEENSG_IJSD_SD_EEENS0_18inequality_wrapperIN6hipcub16HIPCUB_304000_NS8EqualityEEEPlJS8_EEE10hipError_tPvRmT3_T4_T5_T6_T7_T9_mT8_P12ihipStream_tbDpT10_ENKUlT_T0_E_clISt17integral_constantIbLb0EES19_EEDaS14_S15_EUlS14_E_NS1_11comp_targetILNS1_3genE2ELNS1_11target_archE906ELNS1_3gpuE6ELNS1_3repE0EEENS1_30default_config_static_selectorELNS0_4arch9wavefront6targetE0EEEvT1_,@function
_ZN7rocprim17ROCPRIM_400000_NS6detail17trampoline_kernelINS0_14default_configENS1_25partition_config_selectorILNS1_17partition_subalgoE8EN3c108BFloat16ENS0_10empty_typeEbEEZZNS1_14partition_implILS5_8ELb0ES3_jPKS7_PS8_PKS8_NS0_5tupleIJPS7_S8_EEENSG_IJSD_SD_EEENS0_18inequality_wrapperIN6hipcub16HIPCUB_304000_NS8EqualityEEEPlJS8_EEE10hipError_tPvRmT3_T4_T5_T6_T7_T9_mT8_P12ihipStream_tbDpT10_ENKUlT_T0_E_clISt17integral_constantIbLb0EES19_EEDaS14_S15_EUlS14_E_NS1_11comp_targetILNS1_3genE2ELNS1_11target_archE906ELNS1_3gpuE6ELNS1_3repE0EEENS1_30default_config_static_selectorELNS0_4arch9wavefront6targetE0EEEvT1_: ; @_ZN7rocprim17ROCPRIM_400000_NS6detail17trampoline_kernelINS0_14default_configENS1_25partition_config_selectorILNS1_17partition_subalgoE8EN3c108BFloat16ENS0_10empty_typeEbEEZZNS1_14partition_implILS5_8ELb0ES3_jPKS7_PS8_PKS8_NS0_5tupleIJPS7_S8_EEENSG_IJSD_SD_EEENS0_18inequality_wrapperIN6hipcub16HIPCUB_304000_NS8EqualityEEEPlJS8_EEE10hipError_tPvRmT3_T4_T5_T6_T7_T9_mT8_P12ihipStream_tbDpT10_ENKUlT_T0_E_clISt17integral_constantIbLb0EES19_EEDaS14_S15_EUlS14_E_NS1_11comp_targetILNS1_3genE2ELNS1_11target_archE906ELNS1_3gpuE6ELNS1_3repE0EEENS1_30default_config_static_selectorELNS0_4arch9wavefront6targetE0EEEvT1_
; %bb.0:
	.section	.rodata,"a",@progbits
	.p2align	6, 0x0
	.amdhsa_kernel _ZN7rocprim17ROCPRIM_400000_NS6detail17trampoline_kernelINS0_14default_configENS1_25partition_config_selectorILNS1_17partition_subalgoE8EN3c108BFloat16ENS0_10empty_typeEbEEZZNS1_14partition_implILS5_8ELb0ES3_jPKS7_PS8_PKS8_NS0_5tupleIJPS7_S8_EEENSG_IJSD_SD_EEENS0_18inequality_wrapperIN6hipcub16HIPCUB_304000_NS8EqualityEEEPlJS8_EEE10hipError_tPvRmT3_T4_T5_T6_T7_T9_mT8_P12ihipStream_tbDpT10_ENKUlT_T0_E_clISt17integral_constantIbLb0EES19_EEDaS14_S15_EUlS14_E_NS1_11comp_targetILNS1_3genE2ELNS1_11target_archE906ELNS1_3gpuE6ELNS1_3repE0EEENS1_30default_config_static_selectorELNS0_4arch9wavefront6targetE0EEEvT1_
		.amdhsa_group_segment_fixed_size 0
		.amdhsa_private_segment_fixed_size 0
		.amdhsa_kernarg_size 112
		.amdhsa_user_sgpr_count 2
		.amdhsa_user_sgpr_dispatch_ptr 0
		.amdhsa_user_sgpr_queue_ptr 0
		.amdhsa_user_sgpr_kernarg_segment_ptr 1
		.amdhsa_user_sgpr_dispatch_id 0
		.amdhsa_user_sgpr_kernarg_preload_length 0
		.amdhsa_user_sgpr_kernarg_preload_offset 0
		.amdhsa_user_sgpr_private_segment_size 0
		.amdhsa_wavefront_size32 1
		.amdhsa_uses_dynamic_stack 0
		.amdhsa_enable_private_segment 0
		.amdhsa_system_sgpr_workgroup_id_x 1
		.amdhsa_system_sgpr_workgroup_id_y 0
		.amdhsa_system_sgpr_workgroup_id_z 0
		.amdhsa_system_sgpr_workgroup_info 0
		.amdhsa_system_vgpr_workitem_id 0
		.amdhsa_next_free_vgpr 1
		.amdhsa_next_free_sgpr 1
		.amdhsa_named_barrier_count 0
		.amdhsa_reserve_vcc 0
		.amdhsa_float_round_mode_32 0
		.amdhsa_float_round_mode_16_64 0
		.amdhsa_float_denorm_mode_32 3
		.amdhsa_float_denorm_mode_16_64 3
		.amdhsa_fp16_overflow 0
		.amdhsa_memory_ordered 1
		.amdhsa_forward_progress 1
		.amdhsa_inst_pref_size 0
		.amdhsa_round_robin_scheduling 0
		.amdhsa_exception_fp_ieee_invalid_op 0
		.amdhsa_exception_fp_denorm_src 0
		.amdhsa_exception_fp_ieee_div_zero 0
		.amdhsa_exception_fp_ieee_overflow 0
		.amdhsa_exception_fp_ieee_underflow 0
		.amdhsa_exception_fp_ieee_inexact 0
		.amdhsa_exception_int_div_zero 0
	.end_amdhsa_kernel
	.section	.text._ZN7rocprim17ROCPRIM_400000_NS6detail17trampoline_kernelINS0_14default_configENS1_25partition_config_selectorILNS1_17partition_subalgoE8EN3c108BFloat16ENS0_10empty_typeEbEEZZNS1_14partition_implILS5_8ELb0ES3_jPKS7_PS8_PKS8_NS0_5tupleIJPS7_S8_EEENSG_IJSD_SD_EEENS0_18inequality_wrapperIN6hipcub16HIPCUB_304000_NS8EqualityEEEPlJS8_EEE10hipError_tPvRmT3_T4_T5_T6_T7_T9_mT8_P12ihipStream_tbDpT10_ENKUlT_T0_E_clISt17integral_constantIbLb0EES19_EEDaS14_S15_EUlS14_E_NS1_11comp_targetILNS1_3genE2ELNS1_11target_archE906ELNS1_3gpuE6ELNS1_3repE0EEENS1_30default_config_static_selectorELNS0_4arch9wavefront6targetE0EEEvT1_,"axG",@progbits,_ZN7rocprim17ROCPRIM_400000_NS6detail17trampoline_kernelINS0_14default_configENS1_25partition_config_selectorILNS1_17partition_subalgoE8EN3c108BFloat16ENS0_10empty_typeEbEEZZNS1_14partition_implILS5_8ELb0ES3_jPKS7_PS8_PKS8_NS0_5tupleIJPS7_S8_EEENSG_IJSD_SD_EEENS0_18inequality_wrapperIN6hipcub16HIPCUB_304000_NS8EqualityEEEPlJS8_EEE10hipError_tPvRmT3_T4_T5_T6_T7_T9_mT8_P12ihipStream_tbDpT10_ENKUlT_T0_E_clISt17integral_constantIbLb0EES19_EEDaS14_S15_EUlS14_E_NS1_11comp_targetILNS1_3genE2ELNS1_11target_archE906ELNS1_3gpuE6ELNS1_3repE0EEENS1_30default_config_static_selectorELNS0_4arch9wavefront6targetE0EEEvT1_,comdat
.Lfunc_end828:
	.size	_ZN7rocprim17ROCPRIM_400000_NS6detail17trampoline_kernelINS0_14default_configENS1_25partition_config_selectorILNS1_17partition_subalgoE8EN3c108BFloat16ENS0_10empty_typeEbEEZZNS1_14partition_implILS5_8ELb0ES3_jPKS7_PS8_PKS8_NS0_5tupleIJPS7_S8_EEENSG_IJSD_SD_EEENS0_18inequality_wrapperIN6hipcub16HIPCUB_304000_NS8EqualityEEEPlJS8_EEE10hipError_tPvRmT3_T4_T5_T6_T7_T9_mT8_P12ihipStream_tbDpT10_ENKUlT_T0_E_clISt17integral_constantIbLb0EES19_EEDaS14_S15_EUlS14_E_NS1_11comp_targetILNS1_3genE2ELNS1_11target_archE906ELNS1_3gpuE6ELNS1_3repE0EEENS1_30default_config_static_selectorELNS0_4arch9wavefront6targetE0EEEvT1_, .Lfunc_end828-_ZN7rocprim17ROCPRIM_400000_NS6detail17trampoline_kernelINS0_14default_configENS1_25partition_config_selectorILNS1_17partition_subalgoE8EN3c108BFloat16ENS0_10empty_typeEbEEZZNS1_14partition_implILS5_8ELb0ES3_jPKS7_PS8_PKS8_NS0_5tupleIJPS7_S8_EEENSG_IJSD_SD_EEENS0_18inequality_wrapperIN6hipcub16HIPCUB_304000_NS8EqualityEEEPlJS8_EEE10hipError_tPvRmT3_T4_T5_T6_T7_T9_mT8_P12ihipStream_tbDpT10_ENKUlT_T0_E_clISt17integral_constantIbLb0EES19_EEDaS14_S15_EUlS14_E_NS1_11comp_targetILNS1_3genE2ELNS1_11target_archE906ELNS1_3gpuE6ELNS1_3repE0EEENS1_30default_config_static_selectorELNS0_4arch9wavefront6targetE0EEEvT1_
                                        ; -- End function
	.set _ZN7rocprim17ROCPRIM_400000_NS6detail17trampoline_kernelINS0_14default_configENS1_25partition_config_selectorILNS1_17partition_subalgoE8EN3c108BFloat16ENS0_10empty_typeEbEEZZNS1_14partition_implILS5_8ELb0ES3_jPKS7_PS8_PKS8_NS0_5tupleIJPS7_S8_EEENSG_IJSD_SD_EEENS0_18inequality_wrapperIN6hipcub16HIPCUB_304000_NS8EqualityEEEPlJS8_EEE10hipError_tPvRmT3_T4_T5_T6_T7_T9_mT8_P12ihipStream_tbDpT10_ENKUlT_T0_E_clISt17integral_constantIbLb0EES19_EEDaS14_S15_EUlS14_E_NS1_11comp_targetILNS1_3genE2ELNS1_11target_archE906ELNS1_3gpuE6ELNS1_3repE0EEENS1_30default_config_static_selectorELNS0_4arch9wavefront6targetE0EEEvT1_.num_vgpr, 0
	.set _ZN7rocprim17ROCPRIM_400000_NS6detail17trampoline_kernelINS0_14default_configENS1_25partition_config_selectorILNS1_17partition_subalgoE8EN3c108BFloat16ENS0_10empty_typeEbEEZZNS1_14partition_implILS5_8ELb0ES3_jPKS7_PS8_PKS8_NS0_5tupleIJPS7_S8_EEENSG_IJSD_SD_EEENS0_18inequality_wrapperIN6hipcub16HIPCUB_304000_NS8EqualityEEEPlJS8_EEE10hipError_tPvRmT3_T4_T5_T6_T7_T9_mT8_P12ihipStream_tbDpT10_ENKUlT_T0_E_clISt17integral_constantIbLb0EES19_EEDaS14_S15_EUlS14_E_NS1_11comp_targetILNS1_3genE2ELNS1_11target_archE906ELNS1_3gpuE6ELNS1_3repE0EEENS1_30default_config_static_selectorELNS0_4arch9wavefront6targetE0EEEvT1_.num_agpr, 0
	.set _ZN7rocprim17ROCPRIM_400000_NS6detail17trampoline_kernelINS0_14default_configENS1_25partition_config_selectorILNS1_17partition_subalgoE8EN3c108BFloat16ENS0_10empty_typeEbEEZZNS1_14partition_implILS5_8ELb0ES3_jPKS7_PS8_PKS8_NS0_5tupleIJPS7_S8_EEENSG_IJSD_SD_EEENS0_18inequality_wrapperIN6hipcub16HIPCUB_304000_NS8EqualityEEEPlJS8_EEE10hipError_tPvRmT3_T4_T5_T6_T7_T9_mT8_P12ihipStream_tbDpT10_ENKUlT_T0_E_clISt17integral_constantIbLb0EES19_EEDaS14_S15_EUlS14_E_NS1_11comp_targetILNS1_3genE2ELNS1_11target_archE906ELNS1_3gpuE6ELNS1_3repE0EEENS1_30default_config_static_selectorELNS0_4arch9wavefront6targetE0EEEvT1_.numbered_sgpr, 0
	.set _ZN7rocprim17ROCPRIM_400000_NS6detail17trampoline_kernelINS0_14default_configENS1_25partition_config_selectorILNS1_17partition_subalgoE8EN3c108BFloat16ENS0_10empty_typeEbEEZZNS1_14partition_implILS5_8ELb0ES3_jPKS7_PS8_PKS8_NS0_5tupleIJPS7_S8_EEENSG_IJSD_SD_EEENS0_18inequality_wrapperIN6hipcub16HIPCUB_304000_NS8EqualityEEEPlJS8_EEE10hipError_tPvRmT3_T4_T5_T6_T7_T9_mT8_P12ihipStream_tbDpT10_ENKUlT_T0_E_clISt17integral_constantIbLb0EES19_EEDaS14_S15_EUlS14_E_NS1_11comp_targetILNS1_3genE2ELNS1_11target_archE906ELNS1_3gpuE6ELNS1_3repE0EEENS1_30default_config_static_selectorELNS0_4arch9wavefront6targetE0EEEvT1_.num_named_barrier, 0
	.set _ZN7rocprim17ROCPRIM_400000_NS6detail17trampoline_kernelINS0_14default_configENS1_25partition_config_selectorILNS1_17partition_subalgoE8EN3c108BFloat16ENS0_10empty_typeEbEEZZNS1_14partition_implILS5_8ELb0ES3_jPKS7_PS8_PKS8_NS0_5tupleIJPS7_S8_EEENSG_IJSD_SD_EEENS0_18inequality_wrapperIN6hipcub16HIPCUB_304000_NS8EqualityEEEPlJS8_EEE10hipError_tPvRmT3_T4_T5_T6_T7_T9_mT8_P12ihipStream_tbDpT10_ENKUlT_T0_E_clISt17integral_constantIbLb0EES19_EEDaS14_S15_EUlS14_E_NS1_11comp_targetILNS1_3genE2ELNS1_11target_archE906ELNS1_3gpuE6ELNS1_3repE0EEENS1_30default_config_static_selectorELNS0_4arch9wavefront6targetE0EEEvT1_.private_seg_size, 0
	.set _ZN7rocprim17ROCPRIM_400000_NS6detail17trampoline_kernelINS0_14default_configENS1_25partition_config_selectorILNS1_17partition_subalgoE8EN3c108BFloat16ENS0_10empty_typeEbEEZZNS1_14partition_implILS5_8ELb0ES3_jPKS7_PS8_PKS8_NS0_5tupleIJPS7_S8_EEENSG_IJSD_SD_EEENS0_18inequality_wrapperIN6hipcub16HIPCUB_304000_NS8EqualityEEEPlJS8_EEE10hipError_tPvRmT3_T4_T5_T6_T7_T9_mT8_P12ihipStream_tbDpT10_ENKUlT_T0_E_clISt17integral_constantIbLb0EES19_EEDaS14_S15_EUlS14_E_NS1_11comp_targetILNS1_3genE2ELNS1_11target_archE906ELNS1_3gpuE6ELNS1_3repE0EEENS1_30default_config_static_selectorELNS0_4arch9wavefront6targetE0EEEvT1_.uses_vcc, 0
	.set _ZN7rocprim17ROCPRIM_400000_NS6detail17trampoline_kernelINS0_14default_configENS1_25partition_config_selectorILNS1_17partition_subalgoE8EN3c108BFloat16ENS0_10empty_typeEbEEZZNS1_14partition_implILS5_8ELb0ES3_jPKS7_PS8_PKS8_NS0_5tupleIJPS7_S8_EEENSG_IJSD_SD_EEENS0_18inequality_wrapperIN6hipcub16HIPCUB_304000_NS8EqualityEEEPlJS8_EEE10hipError_tPvRmT3_T4_T5_T6_T7_T9_mT8_P12ihipStream_tbDpT10_ENKUlT_T0_E_clISt17integral_constantIbLb0EES19_EEDaS14_S15_EUlS14_E_NS1_11comp_targetILNS1_3genE2ELNS1_11target_archE906ELNS1_3gpuE6ELNS1_3repE0EEENS1_30default_config_static_selectorELNS0_4arch9wavefront6targetE0EEEvT1_.uses_flat_scratch, 0
	.set _ZN7rocprim17ROCPRIM_400000_NS6detail17trampoline_kernelINS0_14default_configENS1_25partition_config_selectorILNS1_17partition_subalgoE8EN3c108BFloat16ENS0_10empty_typeEbEEZZNS1_14partition_implILS5_8ELb0ES3_jPKS7_PS8_PKS8_NS0_5tupleIJPS7_S8_EEENSG_IJSD_SD_EEENS0_18inequality_wrapperIN6hipcub16HIPCUB_304000_NS8EqualityEEEPlJS8_EEE10hipError_tPvRmT3_T4_T5_T6_T7_T9_mT8_P12ihipStream_tbDpT10_ENKUlT_T0_E_clISt17integral_constantIbLb0EES19_EEDaS14_S15_EUlS14_E_NS1_11comp_targetILNS1_3genE2ELNS1_11target_archE906ELNS1_3gpuE6ELNS1_3repE0EEENS1_30default_config_static_selectorELNS0_4arch9wavefront6targetE0EEEvT1_.has_dyn_sized_stack, 0
	.set _ZN7rocprim17ROCPRIM_400000_NS6detail17trampoline_kernelINS0_14default_configENS1_25partition_config_selectorILNS1_17partition_subalgoE8EN3c108BFloat16ENS0_10empty_typeEbEEZZNS1_14partition_implILS5_8ELb0ES3_jPKS7_PS8_PKS8_NS0_5tupleIJPS7_S8_EEENSG_IJSD_SD_EEENS0_18inequality_wrapperIN6hipcub16HIPCUB_304000_NS8EqualityEEEPlJS8_EEE10hipError_tPvRmT3_T4_T5_T6_T7_T9_mT8_P12ihipStream_tbDpT10_ENKUlT_T0_E_clISt17integral_constantIbLb0EES19_EEDaS14_S15_EUlS14_E_NS1_11comp_targetILNS1_3genE2ELNS1_11target_archE906ELNS1_3gpuE6ELNS1_3repE0EEENS1_30default_config_static_selectorELNS0_4arch9wavefront6targetE0EEEvT1_.has_recursion, 0
	.set _ZN7rocprim17ROCPRIM_400000_NS6detail17trampoline_kernelINS0_14default_configENS1_25partition_config_selectorILNS1_17partition_subalgoE8EN3c108BFloat16ENS0_10empty_typeEbEEZZNS1_14partition_implILS5_8ELb0ES3_jPKS7_PS8_PKS8_NS0_5tupleIJPS7_S8_EEENSG_IJSD_SD_EEENS0_18inequality_wrapperIN6hipcub16HIPCUB_304000_NS8EqualityEEEPlJS8_EEE10hipError_tPvRmT3_T4_T5_T6_T7_T9_mT8_P12ihipStream_tbDpT10_ENKUlT_T0_E_clISt17integral_constantIbLb0EES19_EEDaS14_S15_EUlS14_E_NS1_11comp_targetILNS1_3genE2ELNS1_11target_archE906ELNS1_3gpuE6ELNS1_3repE0EEENS1_30default_config_static_selectorELNS0_4arch9wavefront6targetE0EEEvT1_.has_indirect_call, 0
	.section	.AMDGPU.csdata,"",@progbits
; Kernel info:
; codeLenInByte = 0
; TotalNumSgprs: 0
; NumVgprs: 0
; ScratchSize: 0
; MemoryBound: 0
; FloatMode: 240
; IeeeMode: 1
; LDSByteSize: 0 bytes/workgroup (compile time only)
; SGPRBlocks: 0
; VGPRBlocks: 0
; NumSGPRsForWavesPerEU: 1
; NumVGPRsForWavesPerEU: 1
; NamedBarCnt: 0
; Occupancy: 16
; WaveLimiterHint : 0
; COMPUTE_PGM_RSRC2:SCRATCH_EN: 0
; COMPUTE_PGM_RSRC2:USER_SGPR: 2
; COMPUTE_PGM_RSRC2:TRAP_HANDLER: 0
; COMPUTE_PGM_RSRC2:TGID_X_EN: 1
; COMPUTE_PGM_RSRC2:TGID_Y_EN: 0
; COMPUTE_PGM_RSRC2:TGID_Z_EN: 0
; COMPUTE_PGM_RSRC2:TIDIG_COMP_CNT: 0
	.section	.text._ZN7rocprim17ROCPRIM_400000_NS6detail17trampoline_kernelINS0_14default_configENS1_25partition_config_selectorILNS1_17partition_subalgoE8EN3c108BFloat16ENS0_10empty_typeEbEEZZNS1_14partition_implILS5_8ELb0ES3_jPKS7_PS8_PKS8_NS0_5tupleIJPS7_S8_EEENSG_IJSD_SD_EEENS0_18inequality_wrapperIN6hipcub16HIPCUB_304000_NS8EqualityEEEPlJS8_EEE10hipError_tPvRmT3_T4_T5_T6_T7_T9_mT8_P12ihipStream_tbDpT10_ENKUlT_T0_E_clISt17integral_constantIbLb0EES19_EEDaS14_S15_EUlS14_E_NS1_11comp_targetILNS1_3genE10ELNS1_11target_archE1200ELNS1_3gpuE4ELNS1_3repE0EEENS1_30default_config_static_selectorELNS0_4arch9wavefront6targetE0EEEvT1_,"axG",@progbits,_ZN7rocprim17ROCPRIM_400000_NS6detail17trampoline_kernelINS0_14default_configENS1_25partition_config_selectorILNS1_17partition_subalgoE8EN3c108BFloat16ENS0_10empty_typeEbEEZZNS1_14partition_implILS5_8ELb0ES3_jPKS7_PS8_PKS8_NS0_5tupleIJPS7_S8_EEENSG_IJSD_SD_EEENS0_18inequality_wrapperIN6hipcub16HIPCUB_304000_NS8EqualityEEEPlJS8_EEE10hipError_tPvRmT3_T4_T5_T6_T7_T9_mT8_P12ihipStream_tbDpT10_ENKUlT_T0_E_clISt17integral_constantIbLb0EES19_EEDaS14_S15_EUlS14_E_NS1_11comp_targetILNS1_3genE10ELNS1_11target_archE1200ELNS1_3gpuE4ELNS1_3repE0EEENS1_30default_config_static_selectorELNS0_4arch9wavefront6targetE0EEEvT1_,comdat
	.protected	_ZN7rocprim17ROCPRIM_400000_NS6detail17trampoline_kernelINS0_14default_configENS1_25partition_config_selectorILNS1_17partition_subalgoE8EN3c108BFloat16ENS0_10empty_typeEbEEZZNS1_14partition_implILS5_8ELb0ES3_jPKS7_PS8_PKS8_NS0_5tupleIJPS7_S8_EEENSG_IJSD_SD_EEENS0_18inequality_wrapperIN6hipcub16HIPCUB_304000_NS8EqualityEEEPlJS8_EEE10hipError_tPvRmT3_T4_T5_T6_T7_T9_mT8_P12ihipStream_tbDpT10_ENKUlT_T0_E_clISt17integral_constantIbLb0EES19_EEDaS14_S15_EUlS14_E_NS1_11comp_targetILNS1_3genE10ELNS1_11target_archE1200ELNS1_3gpuE4ELNS1_3repE0EEENS1_30default_config_static_selectorELNS0_4arch9wavefront6targetE0EEEvT1_ ; -- Begin function _ZN7rocprim17ROCPRIM_400000_NS6detail17trampoline_kernelINS0_14default_configENS1_25partition_config_selectorILNS1_17partition_subalgoE8EN3c108BFloat16ENS0_10empty_typeEbEEZZNS1_14partition_implILS5_8ELb0ES3_jPKS7_PS8_PKS8_NS0_5tupleIJPS7_S8_EEENSG_IJSD_SD_EEENS0_18inequality_wrapperIN6hipcub16HIPCUB_304000_NS8EqualityEEEPlJS8_EEE10hipError_tPvRmT3_T4_T5_T6_T7_T9_mT8_P12ihipStream_tbDpT10_ENKUlT_T0_E_clISt17integral_constantIbLb0EES19_EEDaS14_S15_EUlS14_E_NS1_11comp_targetILNS1_3genE10ELNS1_11target_archE1200ELNS1_3gpuE4ELNS1_3repE0EEENS1_30default_config_static_selectorELNS0_4arch9wavefront6targetE0EEEvT1_
	.globl	_ZN7rocprim17ROCPRIM_400000_NS6detail17trampoline_kernelINS0_14default_configENS1_25partition_config_selectorILNS1_17partition_subalgoE8EN3c108BFloat16ENS0_10empty_typeEbEEZZNS1_14partition_implILS5_8ELb0ES3_jPKS7_PS8_PKS8_NS0_5tupleIJPS7_S8_EEENSG_IJSD_SD_EEENS0_18inequality_wrapperIN6hipcub16HIPCUB_304000_NS8EqualityEEEPlJS8_EEE10hipError_tPvRmT3_T4_T5_T6_T7_T9_mT8_P12ihipStream_tbDpT10_ENKUlT_T0_E_clISt17integral_constantIbLb0EES19_EEDaS14_S15_EUlS14_E_NS1_11comp_targetILNS1_3genE10ELNS1_11target_archE1200ELNS1_3gpuE4ELNS1_3repE0EEENS1_30default_config_static_selectorELNS0_4arch9wavefront6targetE0EEEvT1_
	.p2align	8
	.type	_ZN7rocprim17ROCPRIM_400000_NS6detail17trampoline_kernelINS0_14default_configENS1_25partition_config_selectorILNS1_17partition_subalgoE8EN3c108BFloat16ENS0_10empty_typeEbEEZZNS1_14partition_implILS5_8ELb0ES3_jPKS7_PS8_PKS8_NS0_5tupleIJPS7_S8_EEENSG_IJSD_SD_EEENS0_18inequality_wrapperIN6hipcub16HIPCUB_304000_NS8EqualityEEEPlJS8_EEE10hipError_tPvRmT3_T4_T5_T6_T7_T9_mT8_P12ihipStream_tbDpT10_ENKUlT_T0_E_clISt17integral_constantIbLb0EES19_EEDaS14_S15_EUlS14_E_NS1_11comp_targetILNS1_3genE10ELNS1_11target_archE1200ELNS1_3gpuE4ELNS1_3repE0EEENS1_30default_config_static_selectorELNS0_4arch9wavefront6targetE0EEEvT1_,@function
_ZN7rocprim17ROCPRIM_400000_NS6detail17trampoline_kernelINS0_14default_configENS1_25partition_config_selectorILNS1_17partition_subalgoE8EN3c108BFloat16ENS0_10empty_typeEbEEZZNS1_14partition_implILS5_8ELb0ES3_jPKS7_PS8_PKS8_NS0_5tupleIJPS7_S8_EEENSG_IJSD_SD_EEENS0_18inequality_wrapperIN6hipcub16HIPCUB_304000_NS8EqualityEEEPlJS8_EEE10hipError_tPvRmT3_T4_T5_T6_T7_T9_mT8_P12ihipStream_tbDpT10_ENKUlT_T0_E_clISt17integral_constantIbLb0EES19_EEDaS14_S15_EUlS14_E_NS1_11comp_targetILNS1_3genE10ELNS1_11target_archE1200ELNS1_3gpuE4ELNS1_3repE0EEENS1_30default_config_static_selectorELNS0_4arch9wavefront6targetE0EEEvT1_: ; @_ZN7rocprim17ROCPRIM_400000_NS6detail17trampoline_kernelINS0_14default_configENS1_25partition_config_selectorILNS1_17partition_subalgoE8EN3c108BFloat16ENS0_10empty_typeEbEEZZNS1_14partition_implILS5_8ELb0ES3_jPKS7_PS8_PKS8_NS0_5tupleIJPS7_S8_EEENSG_IJSD_SD_EEENS0_18inequality_wrapperIN6hipcub16HIPCUB_304000_NS8EqualityEEEPlJS8_EEE10hipError_tPvRmT3_T4_T5_T6_T7_T9_mT8_P12ihipStream_tbDpT10_ENKUlT_T0_E_clISt17integral_constantIbLb0EES19_EEDaS14_S15_EUlS14_E_NS1_11comp_targetILNS1_3genE10ELNS1_11target_archE1200ELNS1_3gpuE4ELNS1_3repE0EEENS1_30default_config_static_selectorELNS0_4arch9wavefront6targetE0EEEvT1_
; %bb.0:
	.section	.rodata,"a",@progbits
	.p2align	6, 0x0
	.amdhsa_kernel _ZN7rocprim17ROCPRIM_400000_NS6detail17trampoline_kernelINS0_14default_configENS1_25partition_config_selectorILNS1_17partition_subalgoE8EN3c108BFloat16ENS0_10empty_typeEbEEZZNS1_14partition_implILS5_8ELb0ES3_jPKS7_PS8_PKS8_NS0_5tupleIJPS7_S8_EEENSG_IJSD_SD_EEENS0_18inequality_wrapperIN6hipcub16HIPCUB_304000_NS8EqualityEEEPlJS8_EEE10hipError_tPvRmT3_T4_T5_T6_T7_T9_mT8_P12ihipStream_tbDpT10_ENKUlT_T0_E_clISt17integral_constantIbLb0EES19_EEDaS14_S15_EUlS14_E_NS1_11comp_targetILNS1_3genE10ELNS1_11target_archE1200ELNS1_3gpuE4ELNS1_3repE0EEENS1_30default_config_static_selectorELNS0_4arch9wavefront6targetE0EEEvT1_
		.amdhsa_group_segment_fixed_size 0
		.amdhsa_private_segment_fixed_size 0
		.amdhsa_kernarg_size 112
		.amdhsa_user_sgpr_count 2
		.amdhsa_user_sgpr_dispatch_ptr 0
		.amdhsa_user_sgpr_queue_ptr 0
		.amdhsa_user_sgpr_kernarg_segment_ptr 1
		.amdhsa_user_sgpr_dispatch_id 0
		.amdhsa_user_sgpr_kernarg_preload_length 0
		.amdhsa_user_sgpr_kernarg_preload_offset 0
		.amdhsa_user_sgpr_private_segment_size 0
		.amdhsa_wavefront_size32 1
		.amdhsa_uses_dynamic_stack 0
		.amdhsa_enable_private_segment 0
		.amdhsa_system_sgpr_workgroup_id_x 1
		.amdhsa_system_sgpr_workgroup_id_y 0
		.amdhsa_system_sgpr_workgroup_id_z 0
		.amdhsa_system_sgpr_workgroup_info 0
		.amdhsa_system_vgpr_workitem_id 0
		.amdhsa_next_free_vgpr 1
		.amdhsa_next_free_sgpr 1
		.amdhsa_named_barrier_count 0
		.amdhsa_reserve_vcc 0
		.amdhsa_float_round_mode_32 0
		.amdhsa_float_round_mode_16_64 0
		.amdhsa_float_denorm_mode_32 3
		.amdhsa_float_denorm_mode_16_64 3
		.amdhsa_fp16_overflow 0
		.amdhsa_memory_ordered 1
		.amdhsa_forward_progress 1
		.amdhsa_inst_pref_size 0
		.amdhsa_round_robin_scheduling 0
		.amdhsa_exception_fp_ieee_invalid_op 0
		.amdhsa_exception_fp_denorm_src 0
		.amdhsa_exception_fp_ieee_div_zero 0
		.amdhsa_exception_fp_ieee_overflow 0
		.amdhsa_exception_fp_ieee_underflow 0
		.amdhsa_exception_fp_ieee_inexact 0
		.amdhsa_exception_int_div_zero 0
	.end_amdhsa_kernel
	.section	.text._ZN7rocprim17ROCPRIM_400000_NS6detail17trampoline_kernelINS0_14default_configENS1_25partition_config_selectorILNS1_17partition_subalgoE8EN3c108BFloat16ENS0_10empty_typeEbEEZZNS1_14partition_implILS5_8ELb0ES3_jPKS7_PS8_PKS8_NS0_5tupleIJPS7_S8_EEENSG_IJSD_SD_EEENS0_18inequality_wrapperIN6hipcub16HIPCUB_304000_NS8EqualityEEEPlJS8_EEE10hipError_tPvRmT3_T4_T5_T6_T7_T9_mT8_P12ihipStream_tbDpT10_ENKUlT_T0_E_clISt17integral_constantIbLb0EES19_EEDaS14_S15_EUlS14_E_NS1_11comp_targetILNS1_3genE10ELNS1_11target_archE1200ELNS1_3gpuE4ELNS1_3repE0EEENS1_30default_config_static_selectorELNS0_4arch9wavefront6targetE0EEEvT1_,"axG",@progbits,_ZN7rocprim17ROCPRIM_400000_NS6detail17trampoline_kernelINS0_14default_configENS1_25partition_config_selectorILNS1_17partition_subalgoE8EN3c108BFloat16ENS0_10empty_typeEbEEZZNS1_14partition_implILS5_8ELb0ES3_jPKS7_PS8_PKS8_NS0_5tupleIJPS7_S8_EEENSG_IJSD_SD_EEENS0_18inequality_wrapperIN6hipcub16HIPCUB_304000_NS8EqualityEEEPlJS8_EEE10hipError_tPvRmT3_T4_T5_T6_T7_T9_mT8_P12ihipStream_tbDpT10_ENKUlT_T0_E_clISt17integral_constantIbLb0EES19_EEDaS14_S15_EUlS14_E_NS1_11comp_targetILNS1_3genE10ELNS1_11target_archE1200ELNS1_3gpuE4ELNS1_3repE0EEENS1_30default_config_static_selectorELNS0_4arch9wavefront6targetE0EEEvT1_,comdat
.Lfunc_end829:
	.size	_ZN7rocprim17ROCPRIM_400000_NS6detail17trampoline_kernelINS0_14default_configENS1_25partition_config_selectorILNS1_17partition_subalgoE8EN3c108BFloat16ENS0_10empty_typeEbEEZZNS1_14partition_implILS5_8ELb0ES3_jPKS7_PS8_PKS8_NS0_5tupleIJPS7_S8_EEENSG_IJSD_SD_EEENS0_18inequality_wrapperIN6hipcub16HIPCUB_304000_NS8EqualityEEEPlJS8_EEE10hipError_tPvRmT3_T4_T5_T6_T7_T9_mT8_P12ihipStream_tbDpT10_ENKUlT_T0_E_clISt17integral_constantIbLb0EES19_EEDaS14_S15_EUlS14_E_NS1_11comp_targetILNS1_3genE10ELNS1_11target_archE1200ELNS1_3gpuE4ELNS1_3repE0EEENS1_30default_config_static_selectorELNS0_4arch9wavefront6targetE0EEEvT1_, .Lfunc_end829-_ZN7rocprim17ROCPRIM_400000_NS6detail17trampoline_kernelINS0_14default_configENS1_25partition_config_selectorILNS1_17partition_subalgoE8EN3c108BFloat16ENS0_10empty_typeEbEEZZNS1_14partition_implILS5_8ELb0ES3_jPKS7_PS8_PKS8_NS0_5tupleIJPS7_S8_EEENSG_IJSD_SD_EEENS0_18inequality_wrapperIN6hipcub16HIPCUB_304000_NS8EqualityEEEPlJS8_EEE10hipError_tPvRmT3_T4_T5_T6_T7_T9_mT8_P12ihipStream_tbDpT10_ENKUlT_T0_E_clISt17integral_constantIbLb0EES19_EEDaS14_S15_EUlS14_E_NS1_11comp_targetILNS1_3genE10ELNS1_11target_archE1200ELNS1_3gpuE4ELNS1_3repE0EEENS1_30default_config_static_selectorELNS0_4arch9wavefront6targetE0EEEvT1_
                                        ; -- End function
	.set _ZN7rocprim17ROCPRIM_400000_NS6detail17trampoline_kernelINS0_14default_configENS1_25partition_config_selectorILNS1_17partition_subalgoE8EN3c108BFloat16ENS0_10empty_typeEbEEZZNS1_14partition_implILS5_8ELb0ES3_jPKS7_PS8_PKS8_NS0_5tupleIJPS7_S8_EEENSG_IJSD_SD_EEENS0_18inequality_wrapperIN6hipcub16HIPCUB_304000_NS8EqualityEEEPlJS8_EEE10hipError_tPvRmT3_T4_T5_T6_T7_T9_mT8_P12ihipStream_tbDpT10_ENKUlT_T0_E_clISt17integral_constantIbLb0EES19_EEDaS14_S15_EUlS14_E_NS1_11comp_targetILNS1_3genE10ELNS1_11target_archE1200ELNS1_3gpuE4ELNS1_3repE0EEENS1_30default_config_static_selectorELNS0_4arch9wavefront6targetE0EEEvT1_.num_vgpr, 0
	.set _ZN7rocprim17ROCPRIM_400000_NS6detail17trampoline_kernelINS0_14default_configENS1_25partition_config_selectorILNS1_17partition_subalgoE8EN3c108BFloat16ENS0_10empty_typeEbEEZZNS1_14partition_implILS5_8ELb0ES3_jPKS7_PS8_PKS8_NS0_5tupleIJPS7_S8_EEENSG_IJSD_SD_EEENS0_18inequality_wrapperIN6hipcub16HIPCUB_304000_NS8EqualityEEEPlJS8_EEE10hipError_tPvRmT3_T4_T5_T6_T7_T9_mT8_P12ihipStream_tbDpT10_ENKUlT_T0_E_clISt17integral_constantIbLb0EES19_EEDaS14_S15_EUlS14_E_NS1_11comp_targetILNS1_3genE10ELNS1_11target_archE1200ELNS1_3gpuE4ELNS1_3repE0EEENS1_30default_config_static_selectorELNS0_4arch9wavefront6targetE0EEEvT1_.num_agpr, 0
	.set _ZN7rocprim17ROCPRIM_400000_NS6detail17trampoline_kernelINS0_14default_configENS1_25partition_config_selectorILNS1_17partition_subalgoE8EN3c108BFloat16ENS0_10empty_typeEbEEZZNS1_14partition_implILS5_8ELb0ES3_jPKS7_PS8_PKS8_NS0_5tupleIJPS7_S8_EEENSG_IJSD_SD_EEENS0_18inequality_wrapperIN6hipcub16HIPCUB_304000_NS8EqualityEEEPlJS8_EEE10hipError_tPvRmT3_T4_T5_T6_T7_T9_mT8_P12ihipStream_tbDpT10_ENKUlT_T0_E_clISt17integral_constantIbLb0EES19_EEDaS14_S15_EUlS14_E_NS1_11comp_targetILNS1_3genE10ELNS1_11target_archE1200ELNS1_3gpuE4ELNS1_3repE0EEENS1_30default_config_static_selectorELNS0_4arch9wavefront6targetE0EEEvT1_.numbered_sgpr, 0
	.set _ZN7rocprim17ROCPRIM_400000_NS6detail17trampoline_kernelINS0_14default_configENS1_25partition_config_selectorILNS1_17partition_subalgoE8EN3c108BFloat16ENS0_10empty_typeEbEEZZNS1_14partition_implILS5_8ELb0ES3_jPKS7_PS8_PKS8_NS0_5tupleIJPS7_S8_EEENSG_IJSD_SD_EEENS0_18inequality_wrapperIN6hipcub16HIPCUB_304000_NS8EqualityEEEPlJS8_EEE10hipError_tPvRmT3_T4_T5_T6_T7_T9_mT8_P12ihipStream_tbDpT10_ENKUlT_T0_E_clISt17integral_constantIbLb0EES19_EEDaS14_S15_EUlS14_E_NS1_11comp_targetILNS1_3genE10ELNS1_11target_archE1200ELNS1_3gpuE4ELNS1_3repE0EEENS1_30default_config_static_selectorELNS0_4arch9wavefront6targetE0EEEvT1_.num_named_barrier, 0
	.set _ZN7rocprim17ROCPRIM_400000_NS6detail17trampoline_kernelINS0_14default_configENS1_25partition_config_selectorILNS1_17partition_subalgoE8EN3c108BFloat16ENS0_10empty_typeEbEEZZNS1_14partition_implILS5_8ELb0ES3_jPKS7_PS8_PKS8_NS0_5tupleIJPS7_S8_EEENSG_IJSD_SD_EEENS0_18inequality_wrapperIN6hipcub16HIPCUB_304000_NS8EqualityEEEPlJS8_EEE10hipError_tPvRmT3_T4_T5_T6_T7_T9_mT8_P12ihipStream_tbDpT10_ENKUlT_T0_E_clISt17integral_constantIbLb0EES19_EEDaS14_S15_EUlS14_E_NS1_11comp_targetILNS1_3genE10ELNS1_11target_archE1200ELNS1_3gpuE4ELNS1_3repE0EEENS1_30default_config_static_selectorELNS0_4arch9wavefront6targetE0EEEvT1_.private_seg_size, 0
	.set _ZN7rocprim17ROCPRIM_400000_NS6detail17trampoline_kernelINS0_14default_configENS1_25partition_config_selectorILNS1_17partition_subalgoE8EN3c108BFloat16ENS0_10empty_typeEbEEZZNS1_14partition_implILS5_8ELb0ES3_jPKS7_PS8_PKS8_NS0_5tupleIJPS7_S8_EEENSG_IJSD_SD_EEENS0_18inequality_wrapperIN6hipcub16HIPCUB_304000_NS8EqualityEEEPlJS8_EEE10hipError_tPvRmT3_T4_T5_T6_T7_T9_mT8_P12ihipStream_tbDpT10_ENKUlT_T0_E_clISt17integral_constantIbLb0EES19_EEDaS14_S15_EUlS14_E_NS1_11comp_targetILNS1_3genE10ELNS1_11target_archE1200ELNS1_3gpuE4ELNS1_3repE0EEENS1_30default_config_static_selectorELNS0_4arch9wavefront6targetE0EEEvT1_.uses_vcc, 0
	.set _ZN7rocprim17ROCPRIM_400000_NS6detail17trampoline_kernelINS0_14default_configENS1_25partition_config_selectorILNS1_17partition_subalgoE8EN3c108BFloat16ENS0_10empty_typeEbEEZZNS1_14partition_implILS5_8ELb0ES3_jPKS7_PS8_PKS8_NS0_5tupleIJPS7_S8_EEENSG_IJSD_SD_EEENS0_18inequality_wrapperIN6hipcub16HIPCUB_304000_NS8EqualityEEEPlJS8_EEE10hipError_tPvRmT3_T4_T5_T6_T7_T9_mT8_P12ihipStream_tbDpT10_ENKUlT_T0_E_clISt17integral_constantIbLb0EES19_EEDaS14_S15_EUlS14_E_NS1_11comp_targetILNS1_3genE10ELNS1_11target_archE1200ELNS1_3gpuE4ELNS1_3repE0EEENS1_30default_config_static_selectorELNS0_4arch9wavefront6targetE0EEEvT1_.uses_flat_scratch, 0
	.set _ZN7rocprim17ROCPRIM_400000_NS6detail17trampoline_kernelINS0_14default_configENS1_25partition_config_selectorILNS1_17partition_subalgoE8EN3c108BFloat16ENS0_10empty_typeEbEEZZNS1_14partition_implILS5_8ELb0ES3_jPKS7_PS8_PKS8_NS0_5tupleIJPS7_S8_EEENSG_IJSD_SD_EEENS0_18inequality_wrapperIN6hipcub16HIPCUB_304000_NS8EqualityEEEPlJS8_EEE10hipError_tPvRmT3_T4_T5_T6_T7_T9_mT8_P12ihipStream_tbDpT10_ENKUlT_T0_E_clISt17integral_constantIbLb0EES19_EEDaS14_S15_EUlS14_E_NS1_11comp_targetILNS1_3genE10ELNS1_11target_archE1200ELNS1_3gpuE4ELNS1_3repE0EEENS1_30default_config_static_selectorELNS0_4arch9wavefront6targetE0EEEvT1_.has_dyn_sized_stack, 0
	.set _ZN7rocprim17ROCPRIM_400000_NS6detail17trampoline_kernelINS0_14default_configENS1_25partition_config_selectorILNS1_17partition_subalgoE8EN3c108BFloat16ENS0_10empty_typeEbEEZZNS1_14partition_implILS5_8ELb0ES3_jPKS7_PS8_PKS8_NS0_5tupleIJPS7_S8_EEENSG_IJSD_SD_EEENS0_18inequality_wrapperIN6hipcub16HIPCUB_304000_NS8EqualityEEEPlJS8_EEE10hipError_tPvRmT3_T4_T5_T6_T7_T9_mT8_P12ihipStream_tbDpT10_ENKUlT_T0_E_clISt17integral_constantIbLb0EES19_EEDaS14_S15_EUlS14_E_NS1_11comp_targetILNS1_3genE10ELNS1_11target_archE1200ELNS1_3gpuE4ELNS1_3repE0EEENS1_30default_config_static_selectorELNS0_4arch9wavefront6targetE0EEEvT1_.has_recursion, 0
	.set _ZN7rocprim17ROCPRIM_400000_NS6detail17trampoline_kernelINS0_14default_configENS1_25partition_config_selectorILNS1_17partition_subalgoE8EN3c108BFloat16ENS0_10empty_typeEbEEZZNS1_14partition_implILS5_8ELb0ES3_jPKS7_PS8_PKS8_NS0_5tupleIJPS7_S8_EEENSG_IJSD_SD_EEENS0_18inequality_wrapperIN6hipcub16HIPCUB_304000_NS8EqualityEEEPlJS8_EEE10hipError_tPvRmT3_T4_T5_T6_T7_T9_mT8_P12ihipStream_tbDpT10_ENKUlT_T0_E_clISt17integral_constantIbLb0EES19_EEDaS14_S15_EUlS14_E_NS1_11comp_targetILNS1_3genE10ELNS1_11target_archE1200ELNS1_3gpuE4ELNS1_3repE0EEENS1_30default_config_static_selectorELNS0_4arch9wavefront6targetE0EEEvT1_.has_indirect_call, 0
	.section	.AMDGPU.csdata,"",@progbits
; Kernel info:
; codeLenInByte = 0
; TotalNumSgprs: 0
; NumVgprs: 0
; ScratchSize: 0
; MemoryBound: 0
; FloatMode: 240
; IeeeMode: 1
; LDSByteSize: 0 bytes/workgroup (compile time only)
; SGPRBlocks: 0
; VGPRBlocks: 0
; NumSGPRsForWavesPerEU: 1
; NumVGPRsForWavesPerEU: 1
; NamedBarCnt: 0
; Occupancy: 16
; WaveLimiterHint : 0
; COMPUTE_PGM_RSRC2:SCRATCH_EN: 0
; COMPUTE_PGM_RSRC2:USER_SGPR: 2
; COMPUTE_PGM_RSRC2:TRAP_HANDLER: 0
; COMPUTE_PGM_RSRC2:TGID_X_EN: 1
; COMPUTE_PGM_RSRC2:TGID_Y_EN: 0
; COMPUTE_PGM_RSRC2:TGID_Z_EN: 0
; COMPUTE_PGM_RSRC2:TIDIG_COMP_CNT: 0
	.section	.text._ZN7rocprim17ROCPRIM_400000_NS6detail17trampoline_kernelINS0_14default_configENS1_25partition_config_selectorILNS1_17partition_subalgoE8EN3c108BFloat16ENS0_10empty_typeEbEEZZNS1_14partition_implILS5_8ELb0ES3_jPKS7_PS8_PKS8_NS0_5tupleIJPS7_S8_EEENSG_IJSD_SD_EEENS0_18inequality_wrapperIN6hipcub16HIPCUB_304000_NS8EqualityEEEPlJS8_EEE10hipError_tPvRmT3_T4_T5_T6_T7_T9_mT8_P12ihipStream_tbDpT10_ENKUlT_T0_E_clISt17integral_constantIbLb0EES19_EEDaS14_S15_EUlS14_E_NS1_11comp_targetILNS1_3genE9ELNS1_11target_archE1100ELNS1_3gpuE3ELNS1_3repE0EEENS1_30default_config_static_selectorELNS0_4arch9wavefront6targetE0EEEvT1_,"axG",@progbits,_ZN7rocprim17ROCPRIM_400000_NS6detail17trampoline_kernelINS0_14default_configENS1_25partition_config_selectorILNS1_17partition_subalgoE8EN3c108BFloat16ENS0_10empty_typeEbEEZZNS1_14partition_implILS5_8ELb0ES3_jPKS7_PS8_PKS8_NS0_5tupleIJPS7_S8_EEENSG_IJSD_SD_EEENS0_18inequality_wrapperIN6hipcub16HIPCUB_304000_NS8EqualityEEEPlJS8_EEE10hipError_tPvRmT3_T4_T5_T6_T7_T9_mT8_P12ihipStream_tbDpT10_ENKUlT_T0_E_clISt17integral_constantIbLb0EES19_EEDaS14_S15_EUlS14_E_NS1_11comp_targetILNS1_3genE9ELNS1_11target_archE1100ELNS1_3gpuE3ELNS1_3repE0EEENS1_30default_config_static_selectorELNS0_4arch9wavefront6targetE0EEEvT1_,comdat
	.protected	_ZN7rocprim17ROCPRIM_400000_NS6detail17trampoline_kernelINS0_14default_configENS1_25partition_config_selectorILNS1_17partition_subalgoE8EN3c108BFloat16ENS0_10empty_typeEbEEZZNS1_14partition_implILS5_8ELb0ES3_jPKS7_PS8_PKS8_NS0_5tupleIJPS7_S8_EEENSG_IJSD_SD_EEENS0_18inequality_wrapperIN6hipcub16HIPCUB_304000_NS8EqualityEEEPlJS8_EEE10hipError_tPvRmT3_T4_T5_T6_T7_T9_mT8_P12ihipStream_tbDpT10_ENKUlT_T0_E_clISt17integral_constantIbLb0EES19_EEDaS14_S15_EUlS14_E_NS1_11comp_targetILNS1_3genE9ELNS1_11target_archE1100ELNS1_3gpuE3ELNS1_3repE0EEENS1_30default_config_static_selectorELNS0_4arch9wavefront6targetE0EEEvT1_ ; -- Begin function _ZN7rocprim17ROCPRIM_400000_NS6detail17trampoline_kernelINS0_14default_configENS1_25partition_config_selectorILNS1_17partition_subalgoE8EN3c108BFloat16ENS0_10empty_typeEbEEZZNS1_14partition_implILS5_8ELb0ES3_jPKS7_PS8_PKS8_NS0_5tupleIJPS7_S8_EEENSG_IJSD_SD_EEENS0_18inequality_wrapperIN6hipcub16HIPCUB_304000_NS8EqualityEEEPlJS8_EEE10hipError_tPvRmT3_T4_T5_T6_T7_T9_mT8_P12ihipStream_tbDpT10_ENKUlT_T0_E_clISt17integral_constantIbLb0EES19_EEDaS14_S15_EUlS14_E_NS1_11comp_targetILNS1_3genE9ELNS1_11target_archE1100ELNS1_3gpuE3ELNS1_3repE0EEENS1_30default_config_static_selectorELNS0_4arch9wavefront6targetE0EEEvT1_
	.globl	_ZN7rocprim17ROCPRIM_400000_NS6detail17trampoline_kernelINS0_14default_configENS1_25partition_config_selectorILNS1_17partition_subalgoE8EN3c108BFloat16ENS0_10empty_typeEbEEZZNS1_14partition_implILS5_8ELb0ES3_jPKS7_PS8_PKS8_NS0_5tupleIJPS7_S8_EEENSG_IJSD_SD_EEENS0_18inequality_wrapperIN6hipcub16HIPCUB_304000_NS8EqualityEEEPlJS8_EEE10hipError_tPvRmT3_T4_T5_T6_T7_T9_mT8_P12ihipStream_tbDpT10_ENKUlT_T0_E_clISt17integral_constantIbLb0EES19_EEDaS14_S15_EUlS14_E_NS1_11comp_targetILNS1_3genE9ELNS1_11target_archE1100ELNS1_3gpuE3ELNS1_3repE0EEENS1_30default_config_static_selectorELNS0_4arch9wavefront6targetE0EEEvT1_
	.p2align	8
	.type	_ZN7rocprim17ROCPRIM_400000_NS6detail17trampoline_kernelINS0_14default_configENS1_25partition_config_selectorILNS1_17partition_subalgoE8EN3c108BFloat16ENS0_10empty_typeEbEEZZNS1_14partition_implILS5_8ELb0ES3_jPKS7_PS8_PKS8_NS0_5tupleIJPS7_S8_EEENSG_IJSD_SD_EEENS0_18inequality_wrapperIN6hipcub16HIPCUB_304000_NS8EqualityEEEPlJS8_EEE10hipError_tPvRmT3_T4_T5_T6_T7_T9_mT8_P12ihipStream_tbDpT10_ENKUlT_T0_E_clISt17integral_constantIbLb0EES19_EEDaS14_S15_EUlS14_E_NS1_11comp_targetILNS1_3genE9ELNS1_11target_archE1100ELNS1_3gpuE3ELNS1_3repE0EEENS1_30default_config_static_selectorELNS0_4arch9wavefront6targetE0EEEvT1_,@function
_ZN7rocprim17ROCPRIM_400000_NS6detail17trampoline_kernelINS0_14default_configENS1_25partition_config_selectorILNS1_17partition_subalgoE8EN3c108BFloat16ENS0_10empty_typeEbEEZZNS1_14partition_implILS5_8ELb0ES3_jPKS7_PS8_PKS8_NS0_5tupleIJPS7_S8_EEENSG_IJSD_SD_EEENS0_18inequality_wrapperIN6hipcub16HIPCUB_304000_NS8EqualityEEEPlJS8_EEE10hipError_tPvRmT3_T4_T5_T6_T7_T9_mT8_P12ihipStream_tbDpT10_ENKUlT_T0_E_clISt17integral_constantIbLb0EES19_EEDaS14_S15_EUlS14_E_NS1_11comp_targetILNS1_3genE9ELNS1_11target_archE1100ELNS1_3gpuE3ELNS1_3repE0EEENS1_30default_config_static_selectorELNS0_4arch9wavefront6targetE0EEEvT1_: ; @_ZN7rocprim17ROCPRIM_400000_NS6detail17trampoline_kernelINS0_14default_configENS1_25partition_config_selectorILNS1_17partition_subalgoE8EN3c108BFloat16ENS0_10empty_typeEbEEZZNS1_14partition_implILS5_8ELb0ES3_jPKS7_PS8_PKS8_NS0_5tupleIJPS7_S8_EEENSG_IJSD_SD_EEENS0_18inequality_wrapperIN6hipcub16HIPCUB_304000_NS8EqualityEEEPlJS8_EEE10hipError_tPvRmT3_T4_T5_T6_T7_T9_mT8_P12ihipStream_tbDpT10_ENKUlT_T0_E_clISt17integral_constantIbLb0EES19_EEDaS14_S15_EUlS14_E_NS1_11comp_targetILNS1_3genE9ELNS1_11target_archE1100ELNS1_3gpuE3ELNS1_3repE0EEENS1_30default_config_static_selectorELNS0_4arch9wavefront6targetE0EEEvT1_
; %bb.0:
	.section	.rodata,"a",@progbits
	.p2align	6, 0x0
	.amdhsa_kernel _ZN7rocprim17ROCPRIM_400000_NS6detail17trampoline_kernelINS0_14default_configENS1_25partition_config_selectorILNS1_17partition_subalgoE8EN3c108BFloat16ENS0_10empty_typeEbEEZZNS1_14partition_implILS5_8ELb0ES3_jPKS7_PS8_PKS8_NS0_5tupleIJPS7_S8_EEENSG_IJSD_SD_EEENS0_18inequality_wrapperIN6hipcub16HIPCUB_304000_NS8EqualityEEEPlJS8_EEE10hipError_tPvRmT3_T4_T5_T6_T7_T9_mT8_P12ihipStream_tbDpT10_ENKUlT_T0_E_clISt17integral_constantIbLb0EES19_EEDaS14_S15_EUlS14_E_NS1_11comp_targetILNS1_3genE9ELNS1_11target_archE1100ELNS1_3gpuE3ELNS1_3repE0EEENS1_30default_config_static_selectorELNS0_4arch9wavefront6targetE0EEEvT1_
		.amdhsa_group_segment_fixed_size 0
		.amdhsa_private_segment_fixed_size 0
		.amdhsa_kernarg_size 112
		.amdhsa_user_sgpr_count 2
		.amdhsa_user_sgpr_dispatch_ptr 0
		.amdhsa_user_sgpr_queue_ptr 0
		.amdhsa_user_sgpr_kernarg_segment_ptr 1
		.amdhsa_user_sgpr_dispatch_id 0
		.amdhsa_user_sgpr_kernarg_preload_length 0
		.amdhsa_user_sgpr_kernarg_preload_offset 0
		.amdhsa_user_sgpr_private_segment_size 0
		.amdhsa_wavefront_size32 1
		.amdhsa_uses_dynamic_stack 0
		.amdhsa_enable_private_segment 0
		.amdhsa_system_sgpr_workgroup_id_x 1
		.amdhsa_system_sgpr_workgroup_id_y 0
		.amdhsa_system_sgpr_workgroup_id_z 0
		.amdhsa_system_sgpr_workgroup_info 0
		.amdhsa_system_vgpr_workitem_id 0
		.amdhsa_next_free_vgpr 1
		.amdhsa_next_free_sgpr 1
		.amdhsa_named_barrier_count 0
		.amdhsa_reserve_vcc 0
		.amdhsa_float_round_mode_32 0
		.amdhsa_float_round_mode_16_64 0
		.amdhsa_float_denorm_mode_32 3
		.amdhsa_float_denorm_mode_16_64 3
		.amdhsa_fp16_overflow 0
		.amdhsa_memory_ordered 1
		.amdhsa_forward_progress 1
		.amdhsa_inst_pref_size 0
		.amdhsa_round_robin_scheduling 0
		.amdhsa_exception_fp_ieee_invalid_op 0
		.amdhsa_exception_fp_denorm_src 0
		.amdhsa_exception_fp_ieee_div_zero 0
		.amdhsa_exception_fp_ieee_overflow 0
		.amdhsa_exception_fp_ieee_underflow 0
		.amdhsa_exception_fp_ieee_inexact 0
		.amdhsa_exception_int_div_zero 0
	.end_amdhsa_kernel
	.section	.text._ZN7rocprim17ROCPRIM_400000_NS6detail17trampoline_kernelINS0_14default_configENS1_25partition_config_selectorILNS1_17partition_subalgoE8EN3c108BFloat16ENS0_10empty_typeEbEEZZNS1_14partition_implILS5_8ELb0ES3_jPKS7_PS8_PKS8_NS0_5tupleIJPS7_S8_EEENSG_IJSD_SD_EEENS0_18inequality_wrapperIN6hipcub16HIPCUB_304000_NS8EqualityEEEPlJS8_EEE10hipError_tPvRmT3_T4_T5_T6_T7_T9_mT8_P12ihipStream_tbDpT10_ENKUlT_T0_E_clISt17integral_constantIbLb0EES19_EEDaS14_S15_EUlS14_E_NS1_11comp_targetILNS1_3genE9ELNS1_11target_archE1100ELNS1_3gpuE3ELNS1_3repE0EEENS1_30default_config_static_selectorELNS0_4arch9wavefront6targetE0EEEvT1_,"axG",@progbits,_ZN7rocprim17ROCPRIM_400000_NS6detail17trampoline_kernelINS0_14default_configENS1_25partition_config_selectorILNS1_17partition_subalgoE8EN3c108BFloat16ENS0_10empty_typeEbEEZZNS1_14partition_implILS5_8ELb0ES3_jPKS7_PS8_PKS8_NS0_5tupleIJPS7_S8_EEENSG_IJSD_SD_EEENS0_18inequality_wrapperIN6hipcub16HIPCUB_304000_NS8EqualityEEEPlJS8_EEE10hipError_tPvRmT3_T4_T5_T6_T7_T9_mT8_P12ihipStream_tbDpT10_ENKUlT_T0_E_clISt17integral_constantIbLb0EES19_EEDaS14_S15_EUlS14_E_NS1_11comp_targetILNS1_3genE9ELNS1_11target_archE1100ELNS1_3gpuE3ELNS1_3repE0EEENS1_30default_config_static_selectorELNS0_4arch9wavefront6targetE0EEEvT1_,comdat
.Lfunc_end830:
	.size	_ZN7rocprim17ROCPRIM_400000_NS6detail17trampoline_kernelINS0_14default_configENS1_25partition_config_selectorILNS1_17partition_subalgoE8EN3c108BFloat16ENS0_10empty_typeEbEEZZNS1_14partition_implILS5_8ELb0ES3_jPKS7_PS8_PKS8_NS0_5tupleIJPS7_S8_EEENSG_IJSD_SD_EEENS0_18inequality_wrapperIN6hipcub16HIPCUB_304000_NS8EqualityEEEPlJS8_EEE10hipError_tPvRmT3_T4_T5_T6_T7_T9_mT8_P12ihipStream_tbDpT10_ENKUlT_T0_E_clISt17integral_constantIbLb0EES19_EEDaS14_S15_EUlS14_E_NS1_11comp_targetILNS1_3genE9ELNS1_11target_archE1100ELNS1_3gpuE3ELNS1_3repE0EEENS1_30default_config_static_selectorELNS0_4arch9wavefront6targetE0EEEvT1_, .Lfunc_end830-_ZN7rocprim17ROCPRIM_400000_NS6detail17trampoline_kernelINS0_14default_configENS1_25partition_config_selectorILNS1_17partition_subalgoE8EN3c108BFloat16ENS0_10empty_typeEbEEZZNS1_14partition_implILS5_8ELb0ES3_jPKS7_PS8_PKS8_NS0_5tupleIJPS7_S8_EEENSG_IJSD_SD_EEENS0_18inequality_wrapperIN6hipcub16HIPCUB_304000_NS8EqualityEEEPlJS8_EEE10hipError_tPvRmT3_T4_T5_T6_T7_T9_mT8_P12ihipStream_tbDpT10_ENKUlT_T0_E_clISt17integral_constantIbLb0EES19_EEDaS14_S15_EUlS14_E_NS1_11comp_targetILNS1_3genE9ELNS1_11target_archE1100ELNS1_3gpuE3ELNS1_3repE0EEENS1_30default_config_static_selectorELNS0_4arch9wavefront6targetE0EEEvT1_
                                        ; -- End function
	.set _ZN7rocprim17ROCPRIM_400000_NS6detail17trampoline_kernelINS0_14default_configENS1_25partition_config_selectorILNS1_17partition_subalgoE8EN3c108BFloat16ENS0_10empty_typeEbEEZZNS1_14partition_implILS5_8ELb0ES3_jPKS7_PS8_PKS8_NS0_5tupleIJPS7_S8_EEENSG_IJSD_SD_EEENS0_18inequality_wrapperIN6hipcub16HIPCUB_304000_NS8EqualityEEEPlJS8_EEE10hipError_tPvRmT3_T4_T5_T6_T7_T9_mT8_P12ihipStream_tbDpT10_ENKUlT_T0_E_clISt17integral_constantIbLb0EES19_EEDaS14_S15_EUlS14_E_NS1_11comp_targetILNS1_3genE9ELNS1_11target_archE1100ELNS1_3gpuE3ELNS1_3repE0EEENS1_30default_config_static_selectorELNS0_4arch9wavefront6targetE0EEEvT1_.num_vgpr, 0
	.set _ZN7rocprim17ROCPRIM_400000_NS6detail17trampoline_kernelINS0_14default_configENS1_25partition_config_selectorILNS1_17partition_subalgoE8EN3c108BFloat16ENS0_10empty_typeEbEEZZNS1_14partition_implILS5_8ELb0ES3_jPKS7_PS8_PKS8_NS0_5tupleIJPS7_S8_EEENSG_IJSD_SD_EEENS0_18inequality_wrapperIN6hipcub16HIPCUB_304000_NS8EqualityEEEPlJS8_EEE10hipError_tPvRmT3_T4_T5_T6_T7_T9_mT8_P12ihipStream_tbDpT10_ENKUlT_T0_E_clISt17integral_constantIbLb0EES19_EEDaS14_S15_EUlS14_E_NS1_11comp_targetILNS1_3genE9ELNS1_11target_archE1100ELNS1_3gpuE3ELNS1_3repE0EEENS1_30default_config_static_selectorELNS0_4arch9wavefront6targetE0EEEvT1_.num_agpr, 0
	.set _ZN7rocprim17ROCPRIM_400000_NS6detail17trampoline_kernelINS0_14default_configENS1_25partition_config_selectorILNS1_17partition_subalgoE8EN3c108BFloat16ENS0_10empty_typeEbEEZZNS1_14partition_implILS5_8ELb0ES3_jPKS7_PS8_PKS8_NS0_5tupleIJPS7_S8_EEENSG_IJSD_SD_EEENS0_18inequality_wrapperIN6hipcub16HIPCUB_304000_NS8EqualityEEEPlJS8_EEE10hipError_tPvRmT3_T4_T5_T6_T7_T9_mT8_P12ihipStream_tbDpT10_ENKUlT_T0_E_clISt17integral_constantIbLb0EES19_EEDaS14_S15_EUlS14_E_NS1_11comp_targetILNS1_3genE9ELNS1_11target_archE1100ELNS1_3gpuE3ELNS1_3repE0EEENS1_30default_config_static_selectorELNS0_4arch9wavefront6targetE0EEEvT1_.numbered_sgpr, 0
	.set _ZN7rocprim17ROCPRIM_400000_NS6detail17trampoline_kernelINS0_14default_configENS1_25partition_config_selectorILNS1_17partition_subalgoE8EN3c108BFloat16ENS0_10empty_typeEbEEZZNS1_14partition_implILS5_8ELb0ES3_jPKS7_PS8_PKS8_NS0_5tupleIJPS7_S8_EEENSG_IJSD_SD_EEENS0_18inequality_wrapperIN6hipcub16HIPCUB_304000_NS8EqualityEEEPlJS8_EEE10hipError_tPvRmT3_T4_T5_T6_T7_T9_mT8_P12ihipStream_tbDpT10_ENKUlT_T0_E_clISt17integral_constantIbLb0EES19_EEDaS14_S15_EUlS14_E_NS1_11comp_targetILNS1_3genE9ELNS1_11target_archE1100ELNS1_3gpuE3ELNS1_3repE0EEENS1_30default_config_static_selectorELNS0_4arch9wavefront6targetE0EEEvT1_.num_named_barrier, 0
	.set _ZN7rocprim17ROCPRIM_400000_NS6detail17trampoline_kernelINS0_14default_configENS1_25partition_config_selectorILNS1_17partition_subalgoE8EN3c108BFloat16ENS0_10empty_typeEbEEZZNS1_14partition_implILS5_8ELb0ES3_jPKS7_PS8_PKS8_NS0_5tupleIJPS7_S8_EEENSG_IJSD_SD_EEENS0_18inequality_wrapperIN6hipcub16HIPCUB_304000_NS8EqualityEEEPlJS8_EEE10hipError_tPvRmT3_T4_T5_T6_T7_T9_mT8_P12ihipStream_tbDpT10_ENKUlT_T0_E_clISt17integral_constantIbLb0EES19_EEDaS14_S15_EUlS14_E_NS1_11comp_targetILNS1_3genE9ELNS1_11target_archE1100ELNS1_3gpuE3ELNS1_3repE0EEENS1_30default_config_static_selectorELNS0_4arch9wavefront6targetE0EEEvT1_.private_seg_size, 0
	.set _ZN7rocprim17ROCPRIM_400000_NS6detail17trampoline_kernelINS0_14default_configENS1_25partition_config_selectorILNS1_17partition_subalgoE8EN3c108BFloat16ENS0_10empty_typeEbEEZZNS1_14partition_implILS5_8ELb0ES3_jPKS7_PS8_PKS8_NS0_5tupleIJPS7_S8_EEENSG_IJSD_SD_EEENS0_18inequality_wrapperIN6hipcub16HIPCUB_304000_NS8EqualityEEEPlJS8_EEE10hipError_tPvRmT3_T4_T5_T6_T7_T9_mT8_P12ihipStream_tbDpT10_ENKUlT_T0_E_clISt17integral_constantIbLb0EES19_EEDaS14_S15_EUlS14_E_NS1_11comp_targetILNS1_3genE9ELNS1_11target_archE1100ELNS1_3gpuE3ELNS1_3repE0EEENS1_30default_config_static_selectorELNS0_4arch9wavefront6targetE0EEEvT1_.uses_vcc, 0
	.set _ZN7rocprim17ROCPRIM_400000_NS6detail17trampoline_kernelINS0_14default_configENS1_25partition_config_selectorILNS1_17partition_subalgoE8EN3c108BFloat16ENS0_10empty_typeEbEEZZNS1_14partition_implILS5_8ELb0ES3_jPKS7_PS8_PKS8_NS0_5tupleIJPS7_S8_EEENSG_IJSD_SD_EEENS0_18inequality_wrapperIN6hipcub16HIPCUB_304000_NS8EqualityEEEPlJS8_EEE10hipError_tPvRmT3_T4_T5_T6_T7_T9_mT8_P12ihipStream_tbDpT10_ENKUlT_T0_E_clISt17integral_constantIbLb0EES19_EEDaS14_S15_EUlS14_E_NS1_11comp_targetILNS1_3genE9ELNS1_11target_archE1100ELNS1_3gpuE3ELNS1_3repE0EEENS1_30default_config_static_selectorELNS0_4arch9wavefront6targetE0EEEvT1_.uses_flat_scratch, 0
	.set _ZN7rocprim17ROCPRIM_400000_NS6detail17trampoline_kernelINS0_14default_configENS1_25partition_config_selectorILNS1_17partition_subalgoE8EN3c108BFloat16ENS0_10empty_typeEbEEZZNS1_14partition_implILS5_8ELb0ES3_jPKS7_PS8_PKS8_NS0_5tupleIJPS7_S8_EEENSG_IJSD_SD_EEENS0_18inequality_wrapperIN6hipcub16HIPCUB_304000_NS8EqualityEEEPlJS8_EEE10hipError_tPvRmT3_T4_T5_T6_T7_T9_mT8_P12ihipStream_tbDpT10_ENKUlT_T0_E_clISt17integral_constantIbLb0EES19_EEDaS14_S15_EUlS14_E_NS1_11comp_targetILNS1_3genE9ELNS1_11target_archE1100ELNS1_3gpuE3ELNS1_3repE0EEENS1_30default_config_static_selectorELNS0_4arch9wavefront6targetE0EEEvT1_.has_dyn_sized_stack, 0
	.set _ZN7rocprim17ROCPRIM_400000_NS6detail17trampoline_kernelINS0_14default_configENS1_25partition_config_selectorILNS1_17partition_subalgoE8EN3c108BFloat16ENS0_10empty_typeEbEEZZNS1_14partition_implILS5_8ELb0ES3_jPKS7_PS8_PKS8_NS0_5tupleIJPS7_S8_EEENSG_IJSD_SD_EEENS0_18inequality_wrapperIN6hipcub16HIPCUB_304000_NS8EqualityEEEPlJS8_EEE10hipError_tPvRmT3_T4_T5_T6_T7_T9_mT8_P12ihipStream_tbDpT10_ENKUlT_T0_E_clISt17integral_constantIbLb0EES19_EEDaS14_S15_EUlS14_E_NS1_11comp_targetILNS1_3genE9ELNS1_11target_archE1100ELNS1_3gpuE3ELNS1_3repE0EEENS1_30default_config_static_selectorELNS0_4arch9wavefront6targetE0EEEvT1_.has_recursion, 0
	.set _ZN7rocprim17ROCPRIM_400000_NS6detail17trampoline_kernelINS0_14default_configENS1_25partition_config_selectorILNS1_17partition_subalgoE8EN3c108BFloat16ENS0_10empty_typeEbEEZZNS1_14partition_implILS5_8ELb0ES3_jPKS7_PS8_PKS8_NS0_5tupleIJPS7_S8_EEENSG_IJSD_SD_EEENS0_18inequality_wrapperIN6hipcub16HIPCUB_304000_NS8EqualityEEEPlJS8_EEE10hipError_tPvRmT3_T4_T5_T6_T7_T9_mT8_P12ihipStream_tbDpT10_ENKUlT_T0_E_clISt17integral_constantIbLb0EES19_EEDaS14_S15_EUlS14_E_NS1_11comp_targetILNS1_3genE9ELNS1_11target_archE1100ELNS1_3gpuE3ELNS1_3repE0EEENS1_30default_config_static_selectorELNS0_4arch9wavefront6targetE0EEEvT1_.has_indirect_call, 0
	.section	.AMDGPU.csdata,"",@progbits
; Kernel info:
; codeLenInByte = 0
; TotalNumSgprs: 0
; NumVgprs: 0
; ScratchSize: 0
; MemoryBound: 0
; FloatMode: 240
; IeeeMode: 1
; LDSByteSize: 0 bytes/workgroup (compile time only)
; SGPRBlocks: 0
; VGPRBlocks: 0
; NumSGPRsForWavesPerEU: 1
; NumVGPRsForWavesPerEU: 1
; NamedBarCnt: 0
; Occupancy: 16
; WaveLimiterHint : 0
; COMPUTE_PGM_RSRC2:SCRATCH_EN: 0
; COMPUTE_PGM_RSRC2:USER_SGPR: 2
; COMPUTE_PGM_RSRC2:TRAP_HANDLER: 0
; COMPUTE_PGM_RSRC2:TGID_X_EN: 1
; COMPUTE_PGM_RSRC2:TGID_Y_EN: 0
; COMPUTE_PGM_RSRC2:TGID_Z_EN: 0
; COMPUTE_PGM_RSRC2:TIDIG_COMP_CNT: 0
	.section	.text._ZN7rocprim17ROCPRIM_400000_NS6detail17trampoline_kernelINS0_14default_configENS1_25partition_config_selectorILNS1_17partition_subalgoE8EN3c108BFloat16ENS0_10empty_typeEbEEZZNS1_14partition_implILS5_8ELb0ES3_jPKS7_PS8_PKS8_NS0_5tupleIJPS7_S8_EEENSG_IJSD_SD_EEENS0_18inequality_wrapperIN6hipcub16HIPCUB_304000_NS8EqualityEEEPlJS8_EEE10hipError_tPvRmT3_T4_T5_T6_T7_T9_mT8_P12ihipStream_tbDpT10_ENKUlT_T0_E_clISt17integral_constantIbLb0EES19_EEDaS14_S15_EUlS14_E_NS1_11comp_targetILNS1_3genE8ELNS1_11target_archE1030ELNS1_3gpuE2ELNS1_3repE0EEENS1_30default_config_static_selectorELNS0_4arch9wavefront6targetE0EEEvT1_,"axG",@progbits,_ZN7rocprim17ROCPRIM_400000_NS6detail17trampoline_kernelINS0_14default_configENS1_25partition_config_selectorILNS1_17partition_subalgoE8EN3c108BFloat16ENS0_10empty_typeEbEEZZNS1_14partition_implILS5_8ELb0ES3_jPKS7_PS8_PKS8_NS0_5tupleIJPS7_S8_EEENSG_IJSD_SD_EEENS0_18inequality_wrapperIN6hipcub16HIPCUB_304000_NS8EqualityEEEPlJS8_EEE10hipError_tPvRmT3_T4_T5_T6_T7_T9_mT8_P12ihipStream_tbDpT10_ENKUlT_T0_E_clISt17integral_constantIbLb0EES19_EEDaS14_S15_EUlS14_E_NS1_11comp_targetILNS1_3genE8ELNS1_11target_archE1030ELNS1_3gpuE2ELNS1_3repE0EEENS1_30default_config_static_selectorELNS0_4arch9wavefront6targetE0EEEvT1_,comdat
	.protected	_ZN7rocprim17ROCPRIM_400000_NS6detail17trampoline_kernelINS0_14default_configENS1_25partition_config_selectorILNS1_17partition_subalgoE8EN3c108BFloat16ENS0_10empty_typeEbEEZZNS1_14partition_implILS5_8ELb0ES3_jPKS7_PS8_PKS8_NS0_5tupleIJPS7_S8_EEENSG_IJSD_SD_EEENS0_18inequality_wrapperIN6hipcub16HIPCUB_304000_NS8EqualityEEEPlJS8_EEE10hipError_tPvRmT3_T4_T5_T6_T7_T9_mT8_P12ihipStream_tbDpT10_ENKUlT_T0_E_clISt17integral_constantIbLb0EES19_EEDaS14_S15_EUlS14_E_NS1_11comp_targetILNS1_3genE8ELNS1_11target_archE1030ELNS1_3gpuE2ELNS1_3repE0EEENS1_30default_config_static_selectorELNS0_4arch9wavefront6targetE0EEEvT1_ ; -- Begin function _ZN7rocprim17ROCPRIM_400000_NS6detail17trampoline_kernelINS0_14default_configENS1_25partition_config_selectorILNS1_17partition_subalgoE8EN3c108BFloat16ENS0_10empty_typeEbEEZZNS1_14partition_implILS5_8ELb0ES3_jPKS7_PS8_PKS8_NS0_5tupleIJPS7_S8_EEENSG_IJSD_SD_EEENS0_18inequality_wrapperIN6hipcub16HIPCUB_304000_NS8EqualityEEEPlJS8_EEE10hipError_tPvRmT3_T4_T5_T6_T7_T9_mT8_P12ihipStream_tbDpT10_ENKUlT_T0_E_clISt17integral_constantIbLb0EES19_EEDaS14_S15_EUlS14_E_NS1_11comp_targetILNS1_3genE8ELNS1_11target_archE1030ELNS1_3gpuE2ELNS1_3repE0EEENS1_30default_config_static_selectorELNS0_4arch9wavefront6targetE0EEEvT1_
	.globl	_ZN7rocprim17ROCPRIM_400000_NS6detail17trampoline_kernelINS0_14default_configENS1_25partition_config_selectorILNS1_17partition_subalgoE8EN3c108BFloat16ENS0_10empty_typeEbEEZZNS1_14partition_implILS5_8ELb0ES3_jPKS7_PS8_PKS8_NS0_5tupleIJPS7_S8_EEENSG_IJSD_SD_EEENS0_18inequality_wrapperIN6hipcub16HIPCUB_304000_NS8EqualityEEEPlJS8_EEE10hipError_tPvRmT3_T4_T5_T6_T7_T9_mT8_P12ihipStream_tbDpT10_ENKUlT_T0_E_clISt17integral_constantIbLb0EES19_EEDaS14_S15_EUlS14_E_NS1_11comp_targetILNS1_3genE8ELNS1_11target_archE1030ELNS1_3gpuE2ELNS1_3repE0EEENS1_30default_config_static_selectorELNS0_4arch9wavefront6targetE0EEEvT1_
	.p2align	8
	.type	_ZN7rocprim17ROCPRIM_400000_NS6detail17trampoline_kernelINS0_14default_configENS1_25partition_config_selectorILNS1_17partition_subalgoE8EN3c108BFloat16ENS0_10empty_typeEbEEZZNS1_14partition_implILS5_8ELb0ES3_jPKS7_PS8_PKS8_NS0_5tupleIJPS7_S8_EEENSG_IJSD_SD_EEENS0_18inequality_wrapperIN6hipcub16HIPCUB_304000_NS8EqualityEEEPlJS8_EEE10hipError_tPvRmT3_T4_T5_T6_T7_T9_mT8_P12ihipStream_tbDpT10_ENKUlT_T0_E_clISt17integral_constantIbLb0EES19_EEDaS14_S15_EUlS14_E_NS1_11comp_targetILNS1_3genE8ELNS1_11target_archE1030ELNS1_3gpuE2ELNS1_3repE0EEENS1_30default_config_static_selectorELNS0_4arch9wavefront6targetE0EEEvT1_,@function
_ZN7rocprim17ROCPRIM_400000_NS6detail17trampoline_kernelINS0_14default_configENS1_25partition_config_selectorILNS1_17partition_subalgoE8EN3c108BFloat16ENS0_10empty_typeEbEEZZNS1_14partition_implILS5_8ELb0ES3_jPKS7_PS8_PKS8_NS0_5tupleIJPS7_S8_EEENSG_IJSD_SD_EEENS0_18inequality_wrapperIN6hipcub16HIPCUB_304000_NS8EqualityEEEPlJS8_EEE10hipError_tPvRmT3_T4_T5_T6_T7_T9_mT8_P12ihipStream_tbDpT10_ENKUlT_T0_E_clISt17integral_constantIbLb0EES19_EEDaS14_S15_EUlS14_E_NS1_11comp_targetILNS1_3genE8ELNS1_11target_archE1030ELNS1_3gpuE2ELNS1_3repE0EEENS1_30default_config_static_selectorELNS0_4arch9wavefront6targetE0EEEvT1_: ; @_ZN7rocprim17ROCPRIM_400000_NS6detail17trampoline_kernelINS0_14default_configENS1_25partition_config_selectorILNS1_17partition_subalgoE8EN3c108BFloat16ENS0_10empty_typeEbEEZZNS1_14partition_implILS5_8ELb0ES3_jPKS7_PS8_PKS8_NS0_5tupleIJPS7_S8_EEENSG_IJSD_SD_EEENS0_18inequality_wrapperIN6hipcub16HIPCUB_304000_NS8EqualityEEEPlJS8_EEE10hipError_tPvRmT3_T4_T5_T6_T7_T9_mT8_P12ihipStream_tbDpT10_ENKUlT_T0_E_clISt17integral_constantIbLb0EES19_EEDaS14_S15_EUlS14_E_NS1_11comp_targetILNS1_3genE8ELNS1_11target_archE1030ELNS1_3gpuE2ELNS1_3repE0EEENS1_30default_config_static_selectorELNS0_4arch9wavefront6targetE0EEEvT1_
; %bb.0:
	.section	.rodata,"a",@progbits
	.p2align	6, 0x0
	.amdhsa_kernel _ZN7rocprim17ROCPRIM_400000_NS6detail17trampoline_kernelINS0_14default_configENS1_25partition_config_selectorILNS1_17partition_subalgoE8EN3c108BFloat16ENS0_10empty_typeEbEEZZNS1_14partition_implILS5_8ELb0ES3_jPKS7_PS8_PKS8_NS0_5tupleIJPS7_S8_EEENSG_IJSD_SD_EEENS0_18inequality_wrapperIN6hipcub16HIPCUB_304000_NS8EqualityEEEPlJS8_EEE10hipError_tPvRmT3_T4_T5_T6_T7_T9_mT8_P12ihipStream_tbDpT10_ENKUlT_T0_E_clISt17integral_constantIbLb0EES19_EEDaS14_S15_EUlS14_E_NS1_11comp_targetILNS1_3genE8ELNS1_11target_archE1030ELNS1_3gpuE2ELNS1_3repE0EEENS1_30default_config_static_selectorELNS0_4arch9wavefront6targetE0EEEvT1_
		.amdhsa_group_segment_fixed_size 0
		.amdhsa_private_segment_fixed_size 0
		.amdhsa_kernarg_size 112
		.amdhsa_user_sgpr_count 2
		.amdhsa_user_sgpr_dispatch_ptr 0
		.amdhsa_user_sgpr_queue_ptr 0
		.amdhsa_user_sgpr_kernarg_segment_ptr 1
		.amdhsa_user_sgpr_dispatch_id 0
		.amdhsa_user_sgpr_kernarg_preload_length 0
		.amdhsa_user_sgpr_kernarg_preload_offset 0
		.amdhsa_user_sgpr_private_segment_size 0
		.amdhsa_wavefront_size32 1
		.amdhsa_uses_dynamic_stack 0
		.amdhsa_enable_private_segment 0
		.amdhsa_system_sgpr_workgroup_id_x 1
		.amdhsa_system_sgpr_workgroup_id_y 0
		.amdhsa_system_sgpr_workgroup_id_z 0
		.amdhsa_system_sgpr_workgroup_info 0
		.amdhsa_system_vgpr_workitem_id 0
		.amdhsa_next_free_vgpr 1
		.amdhsa_next_free_sgpr 1
		.amdhsa_named_barrier_count 0
		.amdhsa_reserve_vcc 0
		.amdhsa_float_round_mode_32 0
		.amdhsa_float_round_mode_16_64 0
		.amdhsa_float_denorm_mode_32 3
		.amdhsa_float_denorm_mode_16_64 3
		.amdhsa_fp16_overflow 0
		.amdhsa_memory_ordered 1
		.amdhsa_forward_progress 1
		.amdhsa_inst_pref_size 0
		.amdhsa_round_robin_scheduling 0
		.amdhsa_exception_fp_ieee_invalid_op 0
		.amdhsa_exception_fp_denorm_src 0
		.amdhsa_exception_fp_ieee_div_zero 0
		.amdhsa_exception_fp_ieee_overflow 0
		.amdhsa_exception_fp_ieee_underflow 0
		.amdhsa_exception_fp_ieee_inexact 0
		.amdhsa_exception_int_div_zero 0
	.end_amdhsa_kernel
	.section	.text._ZN7rocprim17ROCPRIM_400000_NS6detail17trampoline_kernelINS0_14default_configENS1_25partition_config_selectorILNS1_17partition_subalgoE8EN3c108BFloat16ENS0_10empty_typeEbEEZZNS1_14partition_implILS5_8ELb0ES3_jPKS7_PS8_PKS8_NS0_5tupleIJPS7_S8_EEENSG_IJSD_SD_EEENS0_18inequality_wrapperIN6hipcub16HIPCUB_304000_NS8EqualityEEEPlJS8_EEE10hipError_tPvRmT3_T4_T5_T6_T7_T9_mT8_P12ihipStream_tbDpT10_ENKUlT_T0_E_clISt17integral_constantIbLb0EES19_EEDaS14_S15_EUlS14_E_NS1_11comp_targetILNS1_3genE8ELNS1_11target_archE1030ELNS1_3gpuE2ELNS1_3repE0EEENS1_30default_config_static_selectorELNS0_4arch9wavefront6targetE0EEEvT1_,"axG",@progbits,_ZN7rocprim17ROCPRIM_400000_NS6detail17trampoline_kernelINS0_14default_configENS1_25partition_config_selectorILNS1_17partition_subalgoE8EN3c108BFloat16ENS0_10empty_typeEbEEZZNS1_14partition_implILS5_8ELb0ES3_jPKS7_PS8_PKS8_NS0_5tupleIJPS7_S8_EEENSG_IJSD_SD_EEENS0_18inequality_wrapperIN6hipcub16HIPCUB_304000_NS8EqualityEEEPlJS8_EEE10hipError_tPvRmT3_T4_T5_T6_T7_T9_mT8_P12ihipStream_tbDpT10_ENKUlT_T0_E_clISt17integral_constantIbLb0EES19_EEDaS14_S15_EUlS14_E_NS1_11comp_targetILNS1_3genE8ELNS1_11target_archE1030ELNS1_3gpuE2ELNS1_3repE0EEENS1_30default_config_static_selectorELNS0_4arch9wavefront6targetE0EEEvT1_,comdat
.Lfunc_end831:
	.size	_ZN7rocprim17ROCPRIM_400000_NS6detail17trampoline_kernelINS0_14default_configENS1_25partition_config_selectorILNS1_17partition_subalgoE8EN3c108BFloat16ENS0_10empty_typeEbEEZZNS1_14partition_implILS5_8ELb0ES3_jPKS7_PS8_PKS8_NS0_5tupleIJPS7_S8_EEENSG_IJSD_SD_EEENS0_18inequality_wrapperIN6hipcub16HIPCUB_304000_NS8EqualityEEEPlJS8_EEE10hipError_tPvRmT3_T4_T5_T6_T7_T9_mT8_P12ihipStream_tbDpT10_ENKUlT_T0_E_clISt17integral_constantIbLb0EES19_EEDaS14_S15_EUlS14_E_NS1_11comp_targetILNS1_3genE8ELNS1_11target_archE1030ELNS1_3gpuE2ELNS1_3repE0EEENS1_30default_config_static_selectorELNS0_4arch9wavefront6targetE0EEEvT1_, .Lfunc_end831-_ZN7rocprim17ROCPRIM_400000_NS6detail17trampoline_kernelINS0_14default_configENS1_25partition_config_selectorILNS1_17partition_subalgoE8EN3c108BFloat16ENS0_10empty_typeEbEEZZNS1_14partition_implILS5_8ELb0ES3_jPKS7_PS8_PKS8_NS0_5tupleIJPS7_S8_EEENSG_IJSD_SD_EEENS0_18inequality_wrapperIN6hipcub16HIPCUB_304000_NS8EqualityEEEPlJS8_EEE10hipError_tPvRmT3_T4_T5_T6_T7_T9_mT8_P12ihipStream_tbDpT10_ENKUlT_T0_E_clISt17integral_constantIbLb0EES19_EEDaS14_S15_EUlS14_E_NS1_11comp_targetILNS1_3genE8ELNS1_11target_archE1030ELNS1_3gpuE2ELNS1_3repE0EEENS1_30default_config_static_selectorELNS0_4arch9wavefront6targetE0EEEvT1_
                                        ; -- End function
	.set _ZN7rocprim17ROCPRIM_400000_NS6detail17trampoline_kernelINS0_14default_configENS1_25partition_config_selectorILNS1_17partition_subalgoE8EN3c108BFloat16ENS0_10empty_typeEbEEZZNS1_14partition_implILS5_8ELb0ES3_jPKS7_PS8_PKS8_NS0_5tupleIJPS7_S8_EEENSG_IJSD_SD_EEENS0_18inequality_wrapperIN6hipcub16HIPCUB_304000_NS8EqualityEEEPlJS8_EEE10hipError_tPvRmT3_T4_T5_T6_T7_T9_mT8_P12ihipStream_tbDpT10_ENKUlT_T0_E_clISt17integral_constantIbLb0EES19_EEDaS14_S15_EUlS14_E_NS1_11comp_targetILNS1_3genE8ELNS1_11target_archE1030ELNS1_3gpuE2ELNS1_3repE0EEENS1_30default_config_static_selectorELNS0_4arch9wavefront6targetE0EEEvT1_.num_vgpr, 0
	.set _ZN7rocprim17ROCPRIM_400000_NS6detail17trampoline_kernelINS0_14default_configENS1_25partition_config_selectorILNS1_17partition_subalgoE8EN3c108BFloat16ENS0_10empty_typeEbEEZZNS1_14partition_implILS5_8ELb0ES3_jPKS7_PS8_PKS8_NS0_5tupleIJPS7_S8_EEENSG_IJSD_SD_EEENS0_18inequality_wrapperIN6hipcub16HIPCUB_304000_NS8EqualityEEEPlJS8_EEE10hipError_tPvRmT3_T4_T5_T6_T7_T9_mT8_P12ihipStream_tbDpT10_ENKUlT_T0_E_clISt17integral_constantIbLb0EES19_EEDaS14_S15_EUlS14_E_NS1_11comp_targetILNS1_3genE8ELNS1_11target_archE1030ELNS1_3gpuE2ELNS1_3repE0EEENS1_30default_config_static_selectorELNS0_4arch9wavefront6targetE0EEEvT1_.num_agpr, 0
	.set _ZN7rocprim17ROCPRIM_400000_NS6detail17trampoline_kernelINS0_14default_configENS1_25partition_config_selectorILNS1_17partition_subalgoE8EN3c108BFloat16ENS0_10empty_typeEbEEZZNS1_14partition_implILS5_8ELb0ES3_jPKS7_PS8_PKS8_NS0_5tupleIJPS7_S8_EEENSG_IJSD_SD_EEENS0_18inequality_wrapperIN6hipcub16HIPCUB_304000_NS8EqualityEEEPlJS8_EEE10hipError_tPvRmT3_T4_T5_T6_T7_T9_mT8_P12ihipStream_tbDpT10_ENKUlT_T0_E_clISt17integral_constantIbLb0EES19_EEDaS14_S15_EUlS14_E_NS1_11comp_targetILNS1_3genE8ELNS1_11target_archE1030ELNS1_3gpuE2ELNS1_3repE0EEENS1_30default_config_static_selectorELNS0_4arch9wavefront6targetE0EEEvT1_.numbered_sgpr, 0
	.set _ZN7rocprim17ROCPRIM_400000_NS6detail17trampoline_kernelINS0_14default_configENS1_25partition_config_selectorILNS1_17partition_subalgoE8EN3c108BFloat16ENS0_10empty_typeEbEEZZNS1_14partition_implILS5_8ELb0ES3_jPKS7_PS8_PKS8_NS0_5tupleIJPS7_S8_EEENSG_IJSD_SD_EEENS0_18inequality_wrapperIN6hipcub16HIPCUB_304000_NS8EqualityEEEPlJS8_EEE10hipError_tPvRmT3_T4_T5_T6_T7_T9_mT8_P12ihipStream_tbDpT10_ENKUlT_T0_E_clISt17integral_constantIbLb0EES19_EEDaS14_S15_EUlS14_E_NS1_11comp_targetILNS1_3genE8ELNS1_11target_archE1030ELNS1_3gpuE2ELNS1_3repE0EEENS1_30default_config_static_selectorELNS0_4arch9wavefront6targetE0EEEvT1_.num_named_barrier, 0
	.set _ZN7rocprim17ROCPRIM_400000_NS6detail17trampoline_kernelINS0_14default_configENS1_25partition_config_selectorILNS1_17partition_subalgoE8EN3c108BFloat16ENS0_10empty_typeEbEEZZNS1_14partition_implILS5_8ELb0ES3_jPKS7_PS8_PKS8_NS0_5tupleIJPS7_S8_EEENSG_IJSD_SD_EEENS0_18inequality_wrapperIN6hipcub16HIPCUB_304000_NS8EqualityEEEPlJS8_EEE10hipError_tPvRmT3_T4_T5_T6_T7_T9_mT8_P12ihipStream_tbDpT10_ENKUlT_T0_E_clISt17integral_constantIbLb0EES19_EEDaS14_S15_EUlS14_E_NS1_11comp_targetILNS1_3genE8ELNS1_11target_archE1030ELNS1_3gpuE2ELNS1_3repE0EEENS1_30default_config_static_selectorELNS0_4arch9wavefront6targetE0EEEvT1_.private_seg_size, 0
	.set _ZN7rocprim17ROCPRIM_400000_NS6detail17trampoline_kernelINS0_14default_configENS1_25partition_config_selectorILNS1_17partition_subalgoE8EN3c108BFloat16ENS0_10empty_typeEbEEZZNS1_14partition_implILS5_8ELb0ES3_jPKS7_PS8_PKS8_NS0_5tupleIJPS7_S8_EEENSG_IJSD_SD_EEENS0_18inequality_wrapperIN6hipcub16HIPCUB_304000_NS8EqualityEEEPlJS8_EEE10hipError_tPvRmT3_T4_T5_T6_T7_T9_mT8_P12ihipStream_tbDpT10_ENKUlT_T0_E_clISt17integral_constantIbLb0EES19_EEDaS14_S15_EUlS14_E_NS1_11comp_targetILNS1_3genE8ELNS1_11target_archE1030ELNS1_3gpuE2ELNS1_3repE0EEENS1_30default_config_static_selectorELNS0_4arch9wavefront6targetE0EEEvT1_.uses_vcc, 0
	.set _ZN7rocprim17ROCPRIM_400000_NS6detail17trampoline_kernelINS0_14default_configENS1_25partition_config_selectorILNS1_17partition_subalgoE8EN3c108BFloat16ENS0_10empty_typeEbEEZZNS1_14partition_implILS5_8ELb0ES3_jPKS7_PS8_PKS8_NS0_5tupleIJPS7_S8_EEENSG_IJSD_SD_EEENS0_18inequality_wrapperIN6hipcub16HIPCUB_304000_NS8EqualityEEEPlJS8_EEE10hipError_tPvRmT3_T4_T5_T6_T7_T9_mT8_P12ihipStream_tbDpT10_ENKUlT_T0_E_clISt17integral_constantIbLb0EES19_EEDaS14_S15_EUlS14_E_NS1_11comp_targetILNS1_3genE8ELNS1_11target_archE1030ELNS1_3gpuE2ELNS1_3repE0EEENS1_30default_config_static_selectorELNS0_4arch9wavefront6targetE0EEEvT1_.uses_flat_scratch, 0
	.set _ZN7rocprim17ROCPRIM_400000_NS6detail17trampoline_kernelINS0_14default_configENS1_25partition_config_selectorILNS1_17partition_subalgoE8EN3c108BFloat16ENS0_10empty_typeEbEEZZNS1_14partition_implILS5_8ELb0ES3_jPKS7_PS8_PKS8_NS0_5tupleIJPS7_S8_EEENSG_IJSD_SD_EEENS0_18inequality_wrapperIN6hipcub16HIPCUB_304000_NS8EqualityEEEPlJS8_EEE10hipError_tPvRmT3_T4_T5_T6_T7_T9_mT8_P12ihipStream_tbDpT10_ENKUlT_T0_E_clISt17integral_constantIbLb0EES19_EEDaS14_S15_EUlS14_E_NS1_11comp_targetILNS1_3genE8ELNS1_11target_archE1030ELNS1_3gpuE2ELNS1_3repE0EEENS1_30default_config_static_selectorELNS0_4arch9wavefront6targetE0EEEvT1_.has_dyn_sized_stack, 0
	.set _ZN7rocprim17ROCPRIM_400000_NS6detail17trampoline_kernelINS0_14default_configENS1_25partition_config_selectorILNS1_17partition_subalgoE8EN3c108BFloat16ENS0_10empty_typeEbEEZZNS1_14partition_implILS5_8ELb0ES3_jPKS7_PS8_PKS8_NS0_5tupleIJPS7_S8_EEENSG_IJSD_SD_EEENS0_18inequality_wrapperIN6hipcub16HIPCUB_304000_NS8EqualityEEEPlJS8_EEE10hipError_tPvRmT3_T4_T5_T6_T7_T9_mT8_P12ihipStream_tbDpT10_ENKUlT_T0_E_clISt17integral_constantIbLb0EES19_EEDaS14_S15_EUlS14_E_NS1_11comp_targetILNS1_3genE8ELNS1_11target_archE1030ELNS1_3gpuE2ELNS1_3repE0EEENS1_30default_config_static_selectorELNS0_4arch9wavefront6targetE0EEEvT1_.has_recursion, 0
	.set _ZN7rocprim17ROCPRIM_400000_NS6detail17trampoline_kernelINS0_14default_configENS1_25partition_config_selectorILNS1_17partition_subalgoE8EN3c108BFloat16ENS0_10empty_typeEbEEZZNS1_14partition_implILS5_8ELb0ES3_jPKS7_PS8_PKS8_NS0_5tupleIJPS7_S8_EEENSG_IJSD_SD_EEENS0_18inequality_wrapperIN6hipcub16HIPCUB_304000_NS8EqualityEEEPlJS8_EEE10hipError_tPvRmT3_T4_T5_T6_T7_T9_mT8_P12ihipStream_tbDpT10_ENKUlT_T0_E_clISt17integral_constantIbLb0EES19_EEDaS14_S15_EUlS14_E_NS1_11comp_targetILNS1_3genE8ELNS1_11target_archE1030ELNS1_3gpuE2ELNS1_3repE0EEENS1_30default_config_static_selectorELNS0_4arch9wavefront6targetE0EEEvT1_.has_indirect_call, 0
	.section	.AMDGPU.csdata,"",@progbits
; Kernel info:
; codeLenInByte = 0
; TotalNumSgprs: 0
; NumVgprs: 0
; ScratchSize: 0
; MemoryBound: 0
; FloatMode: 240
; IeeeMode: 1
; LDSByteSize: 0 bytes/workgroup (compile time only)
; SGPRBlocks: 0
; VGPRBlocks: 0
; NumSGPRsForWavesPerEU: 1
; NumVGPRsForWavesPerEU: 1
; NamedBarCnt: 0
; Occupancy: 16
; WaveLimiterHint : 0
; COMPUTE_PGM_RSRC2:SCRATCH_EN: 0
; COMPUTE_PGM_RSRC2:USER_SGPR: 2
; COMPUTE_PGM_RSRC2:TRAP_HANDLER: 0
; COMPUTE_PGM_RSRC2:TGID_X_EN: 1
; COMPUTE_PGM_RSRC2:TGID_Y_EN: 0
; COMPUTE_PGM_RSRC2:TGID_Z_EN: 0
; COMPUTE_PGM_RSRC2:TIDIG_COMP_CNT: 0
	.section	.text._ZN7rocprim17ROCPRIM_400000_NS6detail17trampoline_kernelINS0_14default_configENS1_25partition_config_selectorILNS1_17partition_subalgoE8EN3c108BFloat16ENS0_10empty_typeEbEEZZNS1_14partition_implILS5_8ELb0ES3_jPKS7_PS8_PKS8_NS0_5tupleIJPS7_S8_EEENSG_IJSD_SD_EEENS0_18inequality_wrapperIN6hipcub16HIPCUB_304000_NS8EqualityEEEPlJS8_EEE10hipError_tPvRmT3_T4_T5_T6_T7_T9_mT8_P12ihipStream_tbDpT10_ENKUlT_T0_E_clISt17integral_constantIbLb1EES19_EEDaS14_S15_EUlS14_E_NS1_11comp_targetILNS1_3genE0ELNS1_11target_archE4294967295ELNS1_3gpuE0ELNS1_3repE0EEENS1_30default_config_static_selectorELNS0_4arch9wavefront6targetE0EEEvT1_,"axG",@progbits,_ZN7rocprim17ROCPRIM_400000_NS6detail17trampoline_kernelINS0_14default_configENS1_25partition_config_selectorILNS1_17partition_subalgoE8EN3c108BFloat16ENS0_10empty_typeEbEEZZNS1_14partition_implILS5_8ELb0ES3_jPKS7_PS8_PKS8_NS0_5tupleIJPS7_S8_EEENSG_IJSD_SD_EEENS0_18inequality_wrapperIN6hipcub16HIPCUB_304000_NS8EqualityEEEPlJS8_EEE10hipError_tPvRmT3_T4_T5_T6_T7_T9_mT8_P12ihipStream_tbDpT10_ENKUlT_T0_E_clISt17integral_constantIbLb1EES19_EEDaS14_S15_EUlS14_E_NS1_11comp_targetILNS1_3genE0ELNS1_11target_archE4294967295ELNS1_3gpuE0ELNS1_3repE0EEENS1_30default_config_static_selectorELNS0_4arch9wavefront6targetE0EEEvT1_,comdat
	.protected	_ZN7rocprim17ROCPRIM_400000_NS6detail17trampoline_kernelINS0_14default_configENS1_25partition_config_selectorILNS1_17partition_subalgoE8EN3c108BFloat16ENS0_10empty_typeEbEEZZNS1_14partition_implILS5_8ELb0ES3_jPKS7_PS8_PKS8_NS0_5tupleIJPS7_S8_EEENSG_IJSD_SD_EEENS0_18inequality_wrapperIN6hipcub16HIPCUB_304000_NS8EqualityEEEPlJS8_EEE10hipError_tPvRmT3_T4_T5_T6_T7_T9_mT8_P12ihipStream_tbDpT10_ENKUlT_T0_E_clISt17integral_constantIbLb1EES19_EEDaS14_S15_EUlS14_E_NS1_11comp_targetILNS1_3genE0ELNS1_11target_archE4294967295ELNS1_3gpuE0ELNS1_3repE0EEENS1_30default_config_static_selectorELNS0_4arch9wavefront6targetE0EEEvT1_ ; -- Begin function _ZN7rocprim17ROCPRIM_400000_NS6detail17trampoline_kernelINS0_14default_configENS1_25partition_config_selectorILNS1_17partition_subalgoE8EN3c108BFloat16ENS0_10empty_typeEbEEZZNS1_14partition_implILS5_8ELb0ES3_jPKS7_PS8_PKS8_NS0_5tupleIJPS7_S8_EEENSG_IJSD_SD_EEENS0_18inequality_wrapperIN6hipcub16HIPCUB_304000_NS8EqualityEEEPlJS8_EEE10hipError_tPvRmT3_T4_T5_T6_T7_T9_mT8_P12ihipStream_tbDpT10_ENKUlT_T0_E_clISt17integral_constantIbLb1EES19_EEDaS14_S15_EUlS14_E_NS1_11comp_targetILNS1_3genE0ELNS1_11target_archE4294967295ELNS1_3gpuE0ELNS1_3repE0EEENS1_30default_config_static_selectorELNS0_4arch9wavefront6targetE0EEEvT1_
	.globl	_ZN7rocprim17ROCPRIM_400000_NS6detail17trampoline_kernelINS0_14default_configENS1_25partition_config_selectorILNS1_17partition_subalgoE8EN3c108BFloat16ENS0_10empty_typeEbEEZZNS1_14partition_implILS5_8ELb0ES3_jPKS7_PS8_PKS8_NS0_5tupleIJPS7_S8_EEENSG_IJSD_SD_EEENS0_18inequality_wrapperIN6hipcub16HIPCUB_304000_NS8EqualityEEEPlJS8_EEE10hipError_tPvRmT3_T4_T5_T6_T7_T9_mT8_P12ihipStream_tbDpT10_ENKUlT_T0_E_clISt17integral_constantIbLb1EES19_EEDaS14_S15_EUlS14_E_NS1_11comp_targetILNS1_3genE0ELNS1_11target_archE4294967295ELNS1_3gpuE0ELNS1_3repE0EEENS1_30default_config_static_selectorELNS0_4arch9wavefront6targetE0EEEvT1_
	.p2align	8
	.type	_ZN7rocprim17ROCPRIM_400000_NS6detail17trampoline_kernelINS0_14default_configENS1_25partition_config_selectorILNS1_17partition_subalgoE8EN3c108BFloat16ENS0_10empty_typeEbEEZZNS1_14partition_implILS5_8ELb0ES3_jPKS7_PS8_PKS8_NS0_5tupleIJPS7_S8_EEENSG_IJSD_SD_EEENS0_18inequality_wrapperIN6hipcub16HIPCUB_304000_NS8EqualityEEEPlJS8_EEE10hipError_tPvRmT3_T4_T5_T6_T7_T9_mT8_P12ihipStream_tbDpT10_ENKUlT_T0_E_clISt17integral_constantIbLb1EES19_EEDaS14_S15_EUlS14_E_NS1_11comp_targetILNS1_3genE0ELNS1_11target_archE4294967295ELNS1_3gpuE0ELNS1_3repE0EEENS1_30default_config_static_selectorELNS0_4arch9wavefront6targetE0EEEvT1_,@function
_ZN7rocprim17ROCPRIM_400000_NS6detail17trampoline_kernelINS0_14default_configENS1_25partition_config_selectorILNS1_17partition_subalgoE8EN3c108BFloat16ENS0_10empty_typeEbEEZZNS1_14partition_implILS5_8ELb0ES3_jPKS7_PS8_PKS8_NS0_5tupleIJPS7_S8_EEENSG_IJSD_SD_EEENS0_18inequality_wrapperIN6hipcub16HIPCUB_304000_NS8EqualityEEEPlJS8_EEE10hipError_tPvRmT3_T4_T5_T6_T7_T9_mT8_P12ihipStream_tbDpT10_ENKUlT_T0_E_clISt17integral_constantIbLb1EES19_EEDaS14_S15_EUlS14_E_NS1_11comp_targetILNS1_3genE0ELNS1_11target_archE4294967295ELNS1_3gpuE0ELNS1_3repE0EEENS1_30default_config_static_selectorELNS0_4arch9wavefront6targetE0EEEvT1_: ; @_ZN7rocprim17ROCPRIM_400000_NS6detail17trampoline_kernelINS0_14default_configENS1_25partition_config_selectorILNS1_17partition_subalgoE8EN3c108BFloat16ENS0_10empty_typeEbEEZZNS1_14partition_implILS5_8ELb0ES3_jPKS7_PS8_PKS8_NS0_5tupleIJPS7_S8_EEENSG_IJSD_SD_EEENS0_18inequality_wrapperIN6hipcub16HIPCUB_304000_NS8EqualityEEEPlJS8_EEE10hipError_tPvRmT3_T4_T5_T6_T7_T9_mT8_P12ihipStream_tbDpT10_ENKUlT_T0_E_clISt17integral_constantIbLb1EES19_EEDaS14_S15_EUlS14_E_NS1_11comp_targetILNS1_3genE0ELNS1_11target_archE4294967295ELNS1_3gpuE0ELNS1_3repE0EEENS1_30default_config_static_selectorELNS0_4arch9wavefront6targetE0EEEvT1_
; %bb.0:
	s_endpgm
	.section	.rodata,"a",@progbits
	.p2align	6, 0x0
	.amdhsa_kernel _ZN7rocprim17ROCPRIM_400000_NS6detail17trampoline_kernelINS0_14default_configENS1_25partition_config_selectorILNS1_17partition_subalgoE8EN3c108BFloat16ENS0_10empty_typeEbEEZZNS1_14partition_implILS5_8ELb0ES3_jPKS7_PS8_PKS8_NS0_5tupleIJPS7_S8_EEENSG_IJSD_SD_EEENS0_18inequality_wrapperIN6hipcub16HIPCUB_304000_NS8EqualityEEEPlJS8_EEE10hipError_tPvRmT3_T4_T5_T6_T7_T9_mT8_P12ihipStream_tbDpT10_ENKUlT_T0_E_clISt17integral_constantIbLb1EES19_EEDaS14_S15_EUlS14_E_NS1_11comp_targetILNS1_3genE0ELNS1_11target_archE4294967295ELNS1_3gpuE0ELNS1_3repE0EEENS1_30default_config_static_selectorELNS0_4arch9wavefront6targetE0EEEvT1_
		.amdhsa_group_segment_fixed_size 0
		.amdhsa_private_segment_fixed_size 0
		.amdhsa_kernarg_size 128
		.amdhsa_user_sgpr_count 2
		.amdhsa_user_sgpr_dispatch_ptr 0
		.amdhsa_user_sgpr_queue_ptr 0
		.amdhsa_user_sgpr_kernarg_segment_ptr 1
		.amdhsa_user_sgpr_dispatch_id 0
		.amdhsa_user_sgpr_kernarg_preload_length 0
		.amdhsa_user_sgpr_kernarg_preload_offset 0
		.amdhsa_user_sgpr_private_segment_size 0
		.amdhsa_wavefront_size32 1
		.amdhsa_uses_dynamic_stack 0
		.amdhsa_enable_private_segment 0
		.amdhsa_system_sgpr_workgroup_id_x 1
		.amdhsa_system_sgpr_workgroup_id_y 0
		.amdhsa_system_sgpr_workgroup_id_z 0
		.amdhsa_system_sgpr_workgroup_info 0
		.amdhsa_system_vgpr_workitem_id 0
		.amdhsa_next_free_vgpr 1
		.amdhsa_next_free_sgpr 1
		.amdhsa_named_barrier_count 0
		.amdhsa_reserve_vcc 0
		.amdhsa_float_round_mode_32 0
		.amdhsa_float_round_mode_16_64 0
		.amdhsa_float_denorm_mode_32 3
		.amdhsa_float_denorm_mode_16_64 3
		.amdhsa_fp16_overflow 0
		.amdhsa_memory_ordered 1
		.amdhsa_forward_progress 1
		.amdhsa_inst_pref_size 1
		.amdhsa_round_robin_scheduling 0
		.amdhsa_exception_fp_ieee_invalid_op 0
		.amdhsa_exception_fp_denorm_src 0
		.amdhsa_exception_fp_ieee_div_zero 0
		.amdhsa_exception_fp_ieee_overflow 0
		.amdhsa_exception_fp_ieee_underflow 0
		.amdhsa_exception_fp_ieee_inexact 0
		.amdhsa_exception_int_div_zero 0
	.end_amdhsa_kernel
	.section	.text._ZN7rocprim17ROCPRIM_400000_NS6detail17trampoline_kernelINS0_14default_configENS1_25partition_config_selectorILNS1_17partition_subalgoE8EN3c108BFloat16ENS0_10empty_typeEbEEZZNS1_14partition_implILS5_8ELb0ES3_jPKS7_PS8_PKS8_NS0_5tupleIJPS7_S8_EEENSG_IJSD_SD_EEENS0_18inequality_wrapperIN6hipcub16HIPCUB_304000_NS8EqualityEEEPlJS8_EEE10hipError_tPvRmT3_T4_T5_T6_T7_T9_mT8_P12ihipStream_tbDpT10_ENKUlT_T0_E_clISt17integral_constantIbLb1EES19_EEDaS14_S15_EUlS14_E_NS1_11comp_targetILNS1_3genE0ELNS1_11target_archE4294967295ELNS1_3gpuE0ELNS1_3repE0EEENS1_30default_config_static_selectorELNS0_4arch9wavefront6targetE0EEEvT1_,"axG",@progbits,_ZN7rocprim17ROCPRIM_400000_NS6detail17trampoline_kernelINS0_14default_configENS1_25partition_config_selectorILNS1_17partition_subalgoE8EN3c108BFloat16ENS0_10empty_typeEbEEZZNS1_14partition_implILS5_8ELb0ES3_jPKS7_PS8_PKS8_NS0_5tupleIJPS7_S8_EEENSG_IJSD_SD_EEENS0_18inequality_wrapperIN6hipcub16HIPCUB_304000_NS8EqualityEEEPlJS8_EEE10hipError_tPvRmT3_T4_T5_T6_T7_T9_mT8_P12ihipStream_tbDpT10_ENKUlT_T0_E_clISt17integral_constantIbLb1EES19_EEDaS14_S15_EUlS14_E_NS1_11comp_targetILNS1_3genE0ELNS1_11target_archE4294967295ELNS1_3gpuE0ELNS1_3repE0EEENS1_30default_config_static_selectorELNS0_4arch9wavefront6targetE0EEEvT1_,comdat
.Lfunc_end832:
	.size	_ZN7rocprim17ROCPRIM_400000_NS6detail17trampoline_kernelINS0_14default_configENS1_25partition_config_selectorILNS1_17partition_subalgoE8EN3c108BFloat16ENS0_10empty_typeEbEEZZNS1_14partition_implILS5_8ELb0ES3_jPKS7_PS8_PKS8_NS0_5tupleIJPS7_S8_EEENSG_IJSD_SD_EEENS0_18inequality_wrapperIN6hipcub16HIPCUB_304000_NS8EqualityEEEPlJS8_EEE10hipError_tPvRmT3_T4_T5_T6_T7_T9_mT8_P12ihipStream_tbDpT10_ENKUlT_T0_E_clISt17integral_constantIbLb1EES19_EEDaS14_S15_EUlS14_E_NS1_11comp_targetILNS1_3genE0ELNS1_11target_archE4294967295ELNS1_3gpuE0ELNS1_3repE0EEENS1_30default_config_static_selectorELNS0_4arch9wavefront6targetE0EEEvT1_, .Lfunc_end832-_ZN7rocprim17ROCPRIM_400000_NS6detail17trampoline_kernelINS0_14default_configENS1_25partition_config_selectorILNS1_17partition_subalgoE8EN3c108BFloat16ENS0_10empty_typeEbEEZZNS1_14partition_implILS5_8ELb0ES3_jPKS7_PS8_PKS8_NS0_5tupleIJPS7_S8_EEENSG_IJSD_SD_EEENS0_18inequality_wrapperIN6hipcub16HIPCUB_304000_NS8EqualityEEEPlJS8_EEE10hipError_tPvRmT3_T4_T5_T6_T7_T9_mT8_P12ihipStream_tbDpT10_ENKUlT_T0_E_clISt17integral_constantIbLb1EES19_EEDaS14_S15_EUlS14_E_NS1_11comp_targetILNS1_3genE0ELNS1_11target_archE4294967295ELNS1_3gpuE0ELNS1_3repE0EEENS1_30default_config_static_selectorELNS0_4arch9wavefront6targetE0EEEvT1_
                                        ; -- End function
	.set _ZN7rocprim17ROCPRIM_400000_NS6detail17trampoline_kernelINS0_14default_configENS1_25partition_config_selectorILNS1_17partition_subalgoE8EN3c108BFloat16ENS0_10empty_typeEbEEZZNS1_14partition_implILS5_8ELb0ES3_jPKS7_PS8_PKS8_NS0_5tupleIJPS7_S8_EEENSG_IJSD_SD_EEENS0_18inequality_wrapperIN6hipcub16HIPCUB_304000_NS8EqualityEEEPlJS8_EEE10hipError_tPvRmT3_T4_T5_T6_T7_T9_mT8_P12ihipStream_tbDpT10_ENKUlT_T0_E_clISt17integral_constantIbLb1EES19_EEDaS14_S15_EUlS14_E_NS1_11comp_targetILNS1_3genE0ELNS1_11target_archE4294967295ELNS1_3gpuE0ELNS1_3repE0EEENS1_30default_config_static_selectorELNS0_4arch9wavefront6targetE0EEEvT1_.num_vgpr, 0
	.set _ZN7rocprim17ROCPRIM_400000_NS6detail17trampoline_kernelINS0_14default_configENS1_25partition_config_selectorILNS1_17partition_subalgoE8EN3c108BFloat16ENS0_10empty_typeEbEEZZNS1_14partition_implILS5_8ELb0ES3_jPKS7_PS8_PKS8_NS0_5tupleIJPS7_S8_EEENSG_IJSD_SD_EEENS0_18inequality_wrapperIN6hipcub16HIPCUB_304000_NS8EqualityEEEPlJS8_EEE10hipError_tPvRmT3_T4_T5_T6_T7_T9_mT8_P12ihipStream_tbDpT10_ENKUlT_T0_E_clISt17integral_constantIbLb1EES19_EEDaS14_S15_EUlS14_E_NS1_11comp_targetILNS1_3genE0ELNS1_11target_archE4294967295ELNS1_3gpuE0ELNS1_3repE0EEENS1_30default_config_static_selectorELNS0_4arch9wavefront6targetE0EEEvT1_.num_agpr, 0
	.set _ZN7rocprim17ROCPRIM_400000_NS6detail17trampoline_kernelINS0_14default_configENS1_25partition_config_selectorILNS1_17partition_subalgoE8EN3c108BFloat16ENS0_10empty_typeEbEEZZNS1_14partition_implILS5_8ELb0ES3_jPKS7_PS8_PKS8_NS0_5tupleIJPS7_S8_EEENSG_IJSD_SD_EEENS0_18inequality_wrapperIN6hipcub16HIPCUB_304000_NS8EqualityEEEPlJS8_EEE10hipError_tPvRmT3_T4_T5_T6_T7_T9_mT8_P12ihipStream_tbDpT10_ENKUlT_T0_E_clISt17integral_constantIbLb1EES19_EEDaS14_S15_EUlS14_E_NS1_11comp_targetILNS1_3genE0ELNS1_11target_archE4294967295ELNS1_3gpuE0ELNS1_3repE0EEENS1_30default_config_static_selectorELNS0_4arch9wavefront6targetE0EEEvT1_.numbered_sgpr, 0
	.set _ZN7rocprim17ROCPRIM_400000_NS6detail17trampoline_kernelINS0_14default_configENS1_25partition_config_selectorILNS1_17partition_subalgoE8EN3c108BFloat16ENS0_10empty_typeEbEEZZNS1_14partition_implILS5_8ELb0ES3_jPKS7_PS8_PKS8_NS0_5tupleIJPS7_S8_EEENSG_IJSD_SD_EEENS0_18inequality_wrapperIN6hipcub16HIPCUB_304000_NS8EqualityEEEPlJS8_EEE10hipError_tPvRmT3_T4_T5_T6_T7_T9_mT8_P12ihipStream_tbDpT10_ENKUlT_T0_E_clISt17integral_constantIbLb1EES19_EEDaS14_S15_EUlS14_E_NS1_11comp_targetILNS1_3genE0ELNS1_11target_archE4294967295ELNS1_3gpuE0ELNS1_3repE0EEENS1_30default_config_static_selectorELNS0_4arch9wavefront6targetE0EEEvT1_.num_named_barrier, 0
	.set _ZN7rocprim17ROCPRIM_400000_NS6detail17trampoline_kernelINS0_14default_configENS1_25partition_config_selectorILNS1_17partition_subalgoE8EN3c108BFloat16ENS0_10empty_typeEbEEZZNS1_14partition_implILS5_8ELb0ES3_jPKS7_PS8_PKS8_NS0_5tupleIJPS7_S8_EEENSG_IJSD_SD_EEENS0_18inequality_wrapperIN6hipcub16HIPCUB_304000_NS8EqualityEEEPlJS8_EEE10hipError_tPvRmT3_T4_T5_T6_T7_T9_mT8_P12ihipStream_tbDpT10_ENKUlT_T0_E_clISt17integral_constantIbLb1EES19_EEDaS14_S15_EUlS14_E_NS1_11comp_targetILNS1_3genE0ELNS1_11target_archE4294967295ELNS1_3gpuE0ELNS1_3repE0EEENS1_30default_config_static_selectorELNS0_4arch9wavefront6targetE0EEEvT1_.private_seg_size, 0
	.set _ZN7rocprim17ROCPRIM_400000_NS6detail17trampoline_kernelINS0_14default_configENS1_25partition_config_selectorILNS1_17partition_subalgoE8EN3c108BFloat16ENS0_10empty_typeEbEEZZNS1_14partition_implILS5_8ELb0ES3_jPKS7_PS8_PKS8_NS0_5tupleIJPS7_S8_EEENSG_IJSD_SD_EEENS0_18inequality_wrapperIN6hipcub16HIPCUB_304000_NS8EqualityEEEPlJS8_EEE10hipError_tPvRmT3_T4_T5_T6_T7_T9_mT8_P12ihipStream_tbDpT10_ENKUlT_T0_E_clISt17integral_constantIbLb1EES19_EEDaS14_S15_EUlS14_E_NS1_11comp_targetILNS1_3genE0ELNS1_11target_archE4294967295ELNS1_3gpuE0ELNS1_3repE0EEENS1_30default_config_static_selectorELNS0_4arch9wavefront6targetE0EEEvT1_.uses_vcc, 0
	.set _ZN7rocprim17ROCPRIM_400000_NS6detail17trampoline_kernelINS0_14default_configENS1_25partition_config_selectorILNS1_17partition_subalgoE8EN3c108BFloat16ENS0_10empty_typeEbEEZZNS1_14partition_implILS5_8ELb0ES3_jPKS7_PS8_PKS8_NS0_5tupleIJPS7_S8_EEENSG_IJSD_SD_EEENS0_18inequality_wrapperIN6hipcub16HIPCUB_304000_NS8EqualityEEEPlJS8_EEE10hipError_tPvRmT3_T4_T5_T6_T7_T9_mT8_P12ihipStream_tbDpT10_ENKUlT_T0_E_clISt17integral_constantIbLb1EES19_EEDaS14_S15_EUlS14_E_NS1_11comp_targetILNS1_3genE0ELNS1_11target_archE4294967295ELNS1_3gpuE0ELNS1_3repE0EEENS1_30default_config_static_selectorELNS0_4arch9wavefront6targetE0EEEvT1_.uses_flat_scratch, 0
	.set _ZN7rocprim17ROCPRIM_400000_NS6detail17trampoline_kernelINS0_14default_configENS1_25partition_config_selectorILNS1_17partition_subalgoE8EN3c108BFloat16ENS0_10empty_typeEbEEZZNS1_14partition_implILS5_8ELb0ES3_jPKS7_PS8_PKS8_NS0_5tupleIJPS7_S8_EEENSG_IJSD_SD_EEENS0_18inequality_wrapperIN6hipcub16HIPCUB_304000_NS8EqualityEEEPlJS8_EEE10hipError_tPvRmT3_T4_T5_T6_T7_T9_mT8_P12ihipStream_tbDpT10_ENKUlT_T0_E_clISt17integral_constantIbLb1EES19_EEDaS14_S15_EUlS14_E_NS1_11comp_targetILNS1_3genE0ELNS1_11target_archE4294967295ELNS1_3gpuE0ELNS1_3repE0EEENS1_30default_config_static_selectorELNS0_4arch9wavefront6targetE0EEEvT1_.has_dyn_sized_stack, 0
	.set _ZN7rocprim17ROCPRIM_400000_NS6detail17trampoline_kernelINS0_14default_configENS1_25partition_config_selectorILNS1_17partition_subalgoE8EN3c108BFloat16ENS0_10empty_typeEbEEZZNS1_14partition_implILS5_8ELb0ES3_jPKS7_PS8_PKS8_NS0_5tupleIJPS7_S8_EEENSG_IJSD_SD_EEENS0_18inequality_wrapperIN6hipcub16HIPCUB_304000_NS8EqualityEEEPlJS8_EEE10hipError_tPvRmT3_T4_T5_T6_T7_T9_mT8_P12ihipStream_tbDpT10_ENKUlT_T0_E_clISt17integral_constantIbLb1EES19_EEDaS14_S15_EUlS14_E_NS1_11comp_targetILNS1_3genE0ELNS1_11target_archE4294967295ELNS1_3gpuE0ELNS1_3repE0EEENS1_30default_config_static_selectorELNS0_4arch9wavefront6targetE0EEEvT1_.has_recursion, 0
	.set _ZN7rocprim17ROCPRIM_400000_NS6detail17trampoline_kernelINS0_14default_configENS1_25partition_config_selectorILNS1_17partition_subalgoE8EN3c108BFloat16ENS0_10empty_typeEbEEZZNS1_14partition_implILS5_8ELb0ES3_jPKS7_PS8_PKS8_NS0_5tupleIJPS7_S8_EEENSG_IJSD_SD_EEENS0_18inequality_wrapperIN6hipcub16HIPCUB_304000_NS8EqualityEEEPlJS8_EEE10hipError_tPvRmT3_T4_T5_T6_T7_T9_mT8_P12ihipStream_tbDpT10_ENKUlT_T0_E_clISt17integral_constantIbLb1EES19_EEDaS14_S15_EUlS14_E_NS1_11comp_targetILNS1_3genE0ELNS1_11target_archE4294967295ELNS1_3gpuE0ELNS1_3repE0EEENS1_30default_config_static_selectorELNS0_4arch9wavefront6targetE0EEEvT1_.has_indirect_call, 0
	.section	.AMDGPU.csdata,"",@progbits
; Kernel info:
; codeLenInByte = 4
; TotalNumSgprs: 0
; NumVgprs: 0
; ScratchSize: 0
; MemoryBound: 0
; FloatMode: 240
; IeeeMode: 1
; LDSByteSize: 0 bytes/workgroup (compile time only)
; SGPRBlocks: 0
; VGPRBlocks: 0
; NumSGPRsForWavesPerEU: 1
; NumVGPRsForWavesPerEU: 1
; NamedBarCnt: 0
; Occupancy: 16
; WaveLimiterHint : 0
; COMPUTE_PGM_RSRC2:SCRATCH_EN: 0
; COMPUTE_PGM_RSRC2:USER_SGPR: 2
; COMPUTE_PGM_RSRC2:TRAP_HANDLER: 0
; COMPUTE_PGM_RSRC2:TGID_X_EN: 1
; COMPUTE_PGM_RSRC2:TGID_Y_EN: 0
; COMPUTE_PGM_RSRC2:TGID_Z_EN: 0
; COMPUTE_PGM_RSRC2:TIDIG_COMP_CNT: 0
	.section	.text._ZN7rocprim17ROCPRIM_400000_NS6detail17trampoline_kernelINS0_14default_configENS1_25partition_config_selectorILNS1_17partition_subalgoE8EN3c108BFloat16ENS0_10empty_typeEbEEZZNS1_14partition_implILS5_8ELb0ES3_jPKS7_PS8_PKS8_NS0_5tupleIJPS7_S8_EEENSG_IJSD_SD_EEENS0_18inequality_wrapperIN6hipcub16HIPCUB_304000_NS8EqualityEEEPlJS8_EEE10hipError_tPvRmT3_T4_T5_T6_T7_T9_mT8_P12ihipStream_tbDpT10_ENKUlT_T0_E_clISt17integral_constantIbLb1EES19_EEDaS14_S15_EUlS14_E_NS1_11comp_targetILNS1_3genE5ELNS1_11target_archE942ELNS1_3gpuE9ELNS1_3repE0EEENS1_30default_config_static_selectorELNS0_4arch9wavefront6targetE0EEEvT1_,"axG",@progbits,_ZN7rocprim17ROCPRIM_400000_NS6detail17trampoline_kernelINS0_14default_configENS1_25partition_config_selectorILNS1_17partition_subalgoE8EN3c108BFloat16ENS0_10empty_typeEbEEZZNS1_14partition_implILS5_8ELb0ES3_jPKS7_PS8_PKS8_NS0_5tupleIJPS7_S8_EEENSG_IJSD_SD_EEENS0_18inequality_wrapperIN6hipcub16HIPCUB_304000_NS8EqualityEEEPlJS8_EEE10hipError_tPvRmT3_T4_T5_T6_T7_T9_mT8_P12ihipStream_tbDpT10_ENKUlT_T0_E_clISt17integral_constantIbLb1EES19_EEDaS14_S15_EUlS14_E_NS1_11comp_targetILNS1_3genE5ELNS1_11target_archE942ELNS1_3gpuE9ELNS1_3repE0EEENS1_30default_config_static_selectorELNS0_4arch9wavefront6targetE0EEEvT1_,comdat
	.protected	_ZN7rocprim17ROCPRIM_400000_NS6detail17trampoline_kernelINS0_14default_configENS1_25partition_config_selectorILNS1_17partition_subalgoE8EN3c108BFloat16ENS0_10empty_typeEbEEZZNS1_14partition_implILS5_8ELb0ES3_jPKS7_PS8_PKS8_NS0_5tupleIJPS7_S8_EEENSG_IJSD_SD_EEENS0_18inequality_wrapperIN6hipcub16HIPCUB_304000_NS8EqualityEEEPlJS8_EEE10hipError_tPvRmT3_T4_T5_T6_T7_T9_mT8_P12ihipStream_tbDpT10_ENKUlT_T0_E_clISt17integral_constantIbLb1EES19_EEDaS14_S15_EUlS14_E_NS1_11comp_targetILNS1_3genE5ELNS1_11target_archE942ELNS1_3gpuE9ELNS1_3repE0EEENS1_30default_config_static_selectorELNS0_4arch9wavefront6targetE0EEEvT1_ ; -- Begin function _ZN7rocprim17ROCPRIM_400000_NS6detail17trampoline_kernelINS0_14default_configENS1_25partition_config_selectorILNS1_17partition_subalgoE8EN3c108BFloat16ENS0_10empty_typeEbEEZZNS1_14partition_implILS5_8ELb0ES3_jPKS7_PS8_PKS8_NS0_5tupleIJPS7_S8_EEENSG_IJSD_SD_EEENS0_18inequality_wrapperIN6hipcub16HIPCUB_304000_NS8EqualityEEEPlJS8_EEE10hipError_tPvRmT3_T4_T5_T6_T7_T9_mT8_P12ihipStream_tbDpT10_ENKUlT_T0_E_clISt17integral_constantIbLb1EES19_EEDaS14_S15_EUlS14_E_NS1_11comp_targetILNS1_3genE5ELNS1_11target_archE942ELNS1_3gpuE9ELNS1_3repE0EEENS1_30default_config_static_selectorELNS0_4arch9wavefront6targetE0EEEvT1_
	.globl	_ZN7rocprim17ROCPRIM_400000_NS6detail17trampoline_kernelINS0_14default_configENS1_25partition_config_selectorILNS1_17partition_subalgoE8EN3c108BFloat16ENS0_10empty_typeEbEEZZNS1_14partition_implILS5_8ELb0ES3_jPKS7_PS8_PKS8_NS0_5tupleIJPS7_S8_EEENSG_IJSD_SD_EEENS0_18inequality_wrapperIN6hipcub16HIPCUB_304000_NS8EqualityEEEPlJS8_EEE10hipError_tPvRmT3_T4_T5_T6_T7_T9_mT8_P12ihipStream_tbDpT10_ENKUlT_T0_E_clISt17integral_constantIbLb1EES19_EEDaS14_S15_EUlS14_E_NS1_11comp_targetILNS1_3genE5ELNS1_11target_archE942ELNS1_3gpuE9ELNS1_3repE0EEENS1_30default_config_static_selectorELNS0_4arch9wavefront6targetE0EEEvT1_
	.p2align	8
	.type	_ZN7rocprim17ROCPRIM_400000_NS6detail17trampoline_kernelINS0_14default_configENS1_25partition_config_selectorILNS1_17partition_subalgoE8EN3c108BFloat16ENS0_10empty_typeEbEEZZNS1_14partition_implILS5_8ELb0ES3_jPKS7_PS8_PKS8_NS0_5tupleIJPS7_S8_EEENSG_IJSD_SD_EEENS0_18inequality_wrapperIN6hipcub16HIPCUB_304000_NS8EqualityEEEPlJS8_EEE10hipError_tPvRmT3_T4_T5_T6_T7_T9_mT8_P12ihipStream_tbDpT10_ENKUlT_T0_E_clISt17integral_constantIbLb1EES19_EEDaS14_S15_EUlS14_E_NS1_11comp_targetILNS1_3genE5ELNS1_11target_archE942ELNS1_3gpuE9ELNS1_3repE0EEENS1_30default_config_static_selectorELNS0_4arch9wavefront6targetE0EEEvT1_,@function
_ZN7rocprim17ROCPRIM_400000_NS6detail17trampoline_kernelINS0_14default_configENS1_25partition_config_selectorILNS1_17partition_subalgoE8EN3c108BFloat16ENS0_10empty_typeEbEEZZNS1_14partition_implILS5_8ELb0ES3_jPKS7_PS8_PKS8_NS0_5tupleIJPS7_S8_EEENSG_IJSD_SD_EEENS0_18inequality_wrapperIN6hipcub16HIPCUB_304000_NS8EqualityEEEPlJS8_EEE10hipError_tPvRmT3_T4_T5_T6_T7_T9_mT8_P12ihipStream_tbDpT10_ENKUlT_T0_E_clISt17integral_constantIbLb1EES19_EEDaS14_S15_EUlS14_E_NS1_11comp_targetILNS1_3genE5ELNS1_11target_archE942ELNS1_3gpuE9ELNS1_3repE0EEENS1_30default_config_static_selectorELNS0_4arch9wavefront6targetE0EEEvT1_: ; @_ZN7rocprim17ROCPRIM_400000_NS6detail17trampoline_kernelINS0_14default_configENS1_25partition_config_selectorILNS1_17partition_subalgoE8EN3c108BFloat16ENS0_10empty_typeEbEEZZNS1_14partition_implILS5_8ELb0ES3_jPKS7_PS8_PKS8_NS0_5tupleIJPS7_S8_EEENSG_IJSD_SD_EEENS0_18inequality_wrapperIN6hipcub16HIPCUB_304000_NS8EqualityEEEPlJS8_EEE10hipError_tPvRmT3_T4_T5_T6_T7_T9_mT8_P12ihipStream_tbDpT10_ENKUlT_T0_E_clISt17integral_constantIbLb1EES19_EEDaS14_S15_EUlS14_E_NS1_11comp_targetILNS1_3genE5ELNS1_11target_archE942ELNS1_3gpuE9ELNS1_3repE0EEENS1_30default_config_static_selectorELNS0_4arch9wavefront6targetE0EEEvT1_
; %bb.0:
	.section	.rodata,"a",@progbits
	.p2align	6, 0x0
	.amdhsa_kernel _ZN7rocprim17ROCPRIM_400000_NS6detail17trampoline_kernelINS0_14default_configENS1_25partition_config_selectorILNS1_17partition_subalgoE8EN3c108BFloat16ENS0_10empty_typeEbEEZZNS1_14partition_implILS5_8ELb0ES3_jPKS7_PS8_PKS8_NS0_5tupleIJPS7_S8_EEENSG_IJSD_SD_EEENS0_18inequality_wrapperIN6hipcub16HIPCUB_304000_NS8EqualityEEEPlJS8_EEE10hipError_tPvRmT3_T4_T5_T6_T7_T9_mT8_P12ihipStream_tbDpT10_ENKUlT_T0_E_clISt17integral_constantIbLb1EES19_EEDaS14_S15_EUlS14_E_NS1_11comp_targetILNS1_3genE5ELNS1_11target_archE942ELNS1_3gpuE9ELNS1_3repE0EEENS1_30default_config_static_selectorELNS0_4arch9wavefront6targetE0EEEvT1_
		.amdhsa_group_segment_fixed_size 0
		.amdhsa_private_segment_fixed_size 0
		.amdhsa_kernarg_size 128
		.amdhsa_user_sgpr_count 2
		.amdhsa_user_sgpr_dispatch_ptr 0
		.amdhsa_user_sgpr_queue_ptr 0
		.amdhsa_user_sgpr_kernarg_segment_ptr 1
		.amdhsa_user_sgpr_dispatch_id 0
		.amdhsa_user_sgpr_kernarg_preload_length 0
		.amdhsa_user_sgpr_kernarg_preload_offset 0
		.amdhsa_user_sgpr_private_segment_size 0
		.amdhsa_wavefront_size32 1
		.amdhsa_uses_dynamic_stack 0
		.amdhsa_enable_private_segment 0
		.amdhsa_system_sgpr_workgroup_id_x 1
		.amdhsa_system_sgpr_workgroup_id_y 0
		.amdhsa_system_sgpr_workgroup_id_z 0
		.amdhsa_system_sgpr_workgroup_info 0
		.amdhsa_system_vgpr_workitem_id 0
		.amdhsa_next_free_vgpr 1
		.amdhsa_next_free_sgpr 1
		.amdhsa_named_barrier_count 0
		.amdhsa_reserve_vcc 0
		.amdhsa_float_round_mode_32 0
		.amdhsa_float_round_mode_16_64 0
		.amdhsa_float_denorm_mode_32 3
		.amdhsa_float_denorm_mode_16_64 3
		.amdhsa_fp16_overflow 0
		.amdhsa_memory_ordered 1
		.amdhsa_forward_progress 1
		.amdhsa_inst_pref_size 0
		.amdhsa_round_robin_scheduling 0
		.amdhsa_exception_fp_ieee_invalid_op 0
		.amdhsa_exception_fp_denorm_src 0
		.amdhsa_exception_fp_ieee_div_zero 0
		.amdhsa_exception_fp_ieee_overflow 0
		.amdhsa_exception_fp_ieee_underflow 0
		.amdhsa_exception_fp_ieee_inexact 0
		.amdhsa_exception_int_div_zero 0
	.end_amdhsa_kernel
	.section	.text._ZN7rocprim17ROCPRIM_400000_NS6detail17trampoline_kernelINS0_14default_configENS1_25partition_config_selectorILNS1_17partition_subalgoE8EN3c108BFloat16ENS0_10empty_typeEbEEZZNS1_14partition_implILS5_8ELb0ES3_jPKS7_PS8_PKS8_NS0_5tupleIJPS7_S8_EEENSG_IJSD_SD_EEENS0_18inequality_wrapperIN6hipcub16HIPCUB_304000_NS8EqualityEEEPlJS8_EEE10hipError_tPvRmT3_T4_T5_T6_T7_T9_mT8_P12ihipStream_tbDpT10_ENKUlT_T0_E_clISt17integral_constantIbLb1EES19_EEDaS14_S15_EUlS14_E_NS1_11comp_targetILNS1_3genE5ELNS1_11target_archE942ELNS1_3gpuE9ELNS1_3repE0EEENS1_30default_config_static_selectorELNS0_4arch9wavefront6targetE0EEEvT1_,"axG",@progbits,_ZN7rocprim17ROCPRIM_400000_NS6detail17trampoline_kernelINS0_14default_configENS1_25partition_config_selectorILNS1_17partition_subalgoE8EN3c108BFloat16ENS0_10empty_typeEbEEZZNS1_14partition_implILS5_8ELb0ES3_jPKS7_PS8_PKS8_NS0_5tupleIJPS7_S8_EEENSG_IJSD_SD_EEENS0_18inequality_wrapperIN6hipcub16HIPCUB_304000_NS8EqualityEEEPlJS8_EEE10hipError_tPvRmT3_T4_T5_T6_T7_T9_mT8_P12ihipStream_tbDpT10_ENKUlT_T0_E_clISt17integral_constantIbLb1EES19_EEDaS14_S15_EUlS14_E_NS1_11comp_targetILNS1_3genE5ELNS1_11target_archE942ELNS1_3gpuE9ELNS1_3repE0EEENS1_30default_config_static_selectorELNS0_4arch9wavefront6targetE0EEEvT1_,comdat
.Lfunc_end833:
	.size	_ZN7rocprim17ROCPRIM_400000_NS6detail17trampoline_kernelINS0_14default_configENS1_25partition_config_selectorILNS1_17partition_subalgoE8EN3c108BFloat16ENS0_10empty_typeEbEEZZNS1_14partition_implILS5_8ELb0ES3_jPKS7_PS8_PKS8_NS0_5tupleIJPS7_S8_EEENSG_IJSD_SD_EEENS0_18inequality_wrapperIN6hipcub16HIPCUB_304000_NS8EqualityEEEPlJS8_EEE10hipError_tPvRmT3_T4_T5_T6_T7_T9_mT8_P12ihipStream_tbDpT10_ENKUlT_T0_E_clISt17integral_constantIbLb1EES19_EEDaS14_S15_EUlS14_E_NS1_11comp_targetILNS1_3genE5ELNS1_11target_archE942ELNS1_3gpuE9ELNS1_3repE0EEENS1_30default_config_static_selectorELNS0_4arch9wavefront6targetE0EEEvT1_, .Lfunc_end833-_ZN7rocprim17ROCPRIM_400000_NS6detail17trampoline_kernelINS0_14default_configENS1_25partition_config_selectorILNS1_17partition_subalgoE8EN3c108BFloat16ENS0_10empty_typeEbEEZZNS1_14partition_implILS5_8ELb0ES3_jPKS7_PS8_PKS8_NS0_5tupleIJPS7_S8_EEENSG_IJSD_SD_EEENS0_18inequality_wrapperIN6hipcub16HIPCUB_304000_NS8EqualityEEEPlJS8_EEE10hipError_tPvRmT3_T4_T5_T6_T7_T9_mT8_P12ihipStream_tbDpT10_ENKUlT_T0_E_clISt17integral_constantIbLb1EES19_EEDaS14_S15_EUlS14_E_NS1_11comp_targetILNS1_3genE5ELNS1_11target_archE942ELNS1_3gpuE9ELNS1_3repE0EEENS1_30default_config_static_selectorELNS0_4arch9wavefront6targetE0EEEvT1_
                                        ; -- End function
	.set _ZN7rocprim17ROCPRIM_400000_NS6detail17trampoline_kernelINS0_14default_configENS1_25partition_config_selectorILNS1_17partition_subalgoE8EN3c108BFloat16ENS0_10empty_typeEbEEZZNS1_14partition_implILS5_8ELb0ES3_jPKS7_PS8_PKS8_NS0_5tupleIJPS7_S8_EEENSG_IJSD_SD_EEENS0_18inequality_wrapperIN6hipcub16HIPCUB_304000_NS8EqualityEEEPlJS8_EEE10hipError_tPvRmT3_T4_T5_T6_T7_T9_mT8_P12ihipStream_tbDpT10_ENKUlT_T0_E_clISt17integral_constantIbLb1EES19_EEDaS14_S15_EUlS14_E_NS1_11comp_targetILNS1_3genE5ELNS1_11target_archE942ELNS1_3gpuE9ELNS1_3repE0EEENS1_30default_config_static_selectorELNS0_4arch9wavefront6targetE0EEEvT1_.num_vgpr, 0
	.set _ZN7rocprim17ROCPRIM_400000_NS6detail17trampoline_kernelINS0_14default_configENS1_25partition_config_selectorILNS1_17partition_subalgoE8EN3c108BFloat16ENS0_10empty_typeEbEEZZNS1_14partition_implILS5_8ELb0ES3_jPKS7_PS8_PKS8_NS0_5tupleIJPS7_S8_EEENSG_IJSD_SD_EEENS0_18inequality_wrapperIN6hipcub16HIPCUB_304000_NS8EqualityEEEPlJS8_EEE10hipError_tPvRmT3_T4_T5_T6_T7_T9_mT8_P12ihipStream_tbDpT10_ENKUlT_T0_E_clISt17integral_constantIbLb1EES19_EEDaS14_S15_EUlS14_E_NS1_11comp_targetILNS1_3genE5ELNS1_11target_archE942ELNS1_3gpuE9ELNS1_3repE0EEENS1_30default_config_static_selectorELNS0_4arch9wavefront6targetE0EEEvT1_.num_agpr, 0
	.set _ZN7rocprim17ROCPRIM_400000_NS6detail17trampoline_kernelINS0_14default_configENS1_25partition_config_selectorILNS1_17partition_subalgoE8EN3c108BFloat16ENS0_10empty_typeEbEEZZNS1_14partition_implILS5_8ELb0ES3_jPKS7_PS8_PKS8_NS0_5tupleIJPS7_S8_EEENSG_IJSD_SD_EEENS0_18inequality_wrapperIN6hipcub16HIPCUB_304000_NS8EqualityEEEPlJS8_EEE10hipError_tPvRmT3_T4_T5_T6_T7_T9_mT8_P12ihipStream_tbDpT10_ENKUlT_T0_E_clISt17integral_constantIbLb1EES19_EEDaS14_S15_EUlS14_E_NS1_11comp_targetILNS1_3genE5ELNS1_11target_archE942ELNS1_3gpuE9ELNS1_3repE0EEENS1_30default_config_static_selectorELNS0_4arch9wavefront6targetE0EEEvT1_.numbered_sgpr, 0
	.set _ZN7rocprim17ROCPRIM_400000_NS6detail17trampoline_kernelINS0_14default_configENS1_25partition_config_selectorILNS1_17partition_subalgoE8EN3c108BFloat16ENS0_10empty_typeEbEEZZNS1_14partition_implILS5_8ELb0ES3_jPKS7_PS8_PKS8_NS0_5tupleIJPS7_S8_EEENSG_IJSD_SD_EEENS0_18inequality_wrapperIN6hipcub16HIPCUB_304000_NS8EqualityEEEPlJS8_EEE10hipError_tPvRmT3_T4_T5_T6_T7_T9_mT8_P12ihipStream_tbDpT10_ENKUlT_T0_E_clISt17integral_constantIbLb1EES19_EEDaS14_S15_EUlS14_E_NS1_11comp_targetILNS1_3genE5ELNS1_11target_archE942ELNS1_3gpuE9ELNS1_3repE0EEENS1_30default_config_static_selectorELNS0_4arch9wavefront6targetE0EEEvT1_.num_named_barrier, 0
	.set _ZN7rocprim17ROCPRIM_400000_NS6detail17trampoline_kernelINS0_14default_configENS1_25partition_config_selectorILNS1_17partition_subalgoE8EN3c108BFloat16ENS0_10empty_typeEbEEZZNS1_14partition_implILS5_8ELb0ES3_jPKS7_PS8_PKS8_NS0_5tupleIJPS7_S8_EEENSG_IJSD_SD_EEENS0_18inequality_wrapperIN6hipcub16HIPCUB_304000_NS8EqualityEEEPlJS8_EEE10hipError_tPvRmT3_T4_T5_T6_T7_T9_mT8_P12ihipStream_tbDpT10_ENKUlT_T0_E_clISt17integral_constantIbLb1EES19_EEDaS14_S15_EUlS14_E_NS1_11comp_targetILNS1_3genE5ELNS1_11target_archE942ELNS1_3gpuE9ELNS1_3repE0EEENS1_30default_config_static_selectorELNS0_4arch9wavefront6targetE0EEEvT1_.private_seg_size, 0
	.set _ZN7rocprim17ROCPRIM_400000_NS6detail17trampoline_kernelINS0_14default_configENS1_25partition_config_selectorILNS1_17partition_subalgoE8EN3c108BFloat16ENS0_10empty_typeEbEEZZNS1_14partition_implILS5_8ELb0ES3_jPKS7_PS8_PKS8_NS0_5tupleIJPS7_S8_EEENSG_IJSD_SD_EEENS0_18inequality_wrapperIN6hipcub16HIPCUB_304000_NS8EqualityEEEPlJS8_EEE10hipError_tPvRmT3_T4_T5_T6_T7_T9_mT8_P12ihipStream_tbDpT10_ENKUlT_T0_E_clISt17integral_constantIbLb1EES19_EEDaS14_S15_EUlS14_E_NS1_11comp_targetILNS1_3genE5ELNS1_11target_archE942ELNS1_3gpuE9ELNS1_3repE0EEENS1_30default_config_static_selectorELNS0_4arch9wavefront6targetE0EEEvT1_.uses_vcc, 0
	.set _ZN7rocprim17ROCPRIM_400000_NS6detail17trampoline_kernelINS0_14default_configENS1_25partition_config_selectorILNS1_17partition_subalgoE8EN3c108BFloat16ENS0_10empty_typeEbEEZZNS1_14partition_implILS5_8ELb0ES3_jPKS7_PS8_PKS8_NS0_5tupleIJPS7_S8_EEENSG_IJSD_SD_EEENS0_18inequality_wrapperIN6hipcub16HIPCUB_304000_NS8EqualityEEEPlJS8_EEE10hipError_tPvRmT3_T4_T5_T6_T7_T9_mT8_P12ihipStream_tbDpT10_ENKUlT_T0_E_clISt17integral_constantIbLb1EES19_EEDaS14_S15_EUlS14_E_NS1_11comp_targetILNS1_3genE5ELNS1_11target_archE942ELNS1_3gpuE9ELNS1_3repE0EEENS1_30default_config_static_selectorELNS0_4arch9wavefront6targetE0EEEvT1_.uses_flat_scratch, 0
	.set _ZN7rocprim17ROCPRIM_400000_NS6detail17trampoline_kernelINS0_14default_configENS1_25partition_config_selectorILNS1_17partition_subalgoE8EN3c108BFloat16ENS0_10empty_typeEbEEZZNS1_14partition_implILS5_8ELb0ES3_jPKS7_PS8_PKS8_NS0_5tupleIJPS7_S8_EEENSG_IJSD_SD_EEENS0_18inequality_wrapperIN6hipcub16HIPCUB_304000_NS8EqualityEEEPlJS8_EEE10hipError_tPvRmT3_T4_T5_T6_T7_T9_mT8_P12ihipStream_tbDpT10_ENKUlT_T0_E_clISt17integral_constantIbLb1EES19_EEDaS14_S15_EUlS14_E_NS1_11comp_targetILNS1_3genE5ELNS1_11target_archE942ELNS1_3gpuE9ELNS1_3repE0EEENS1_30default_config_static_selectorELNS0_4arch9wavefront6targetE0EEEvT1_.has_dyn_sized_stack, 0
	.set _ZN7rocprim17ROCPRIM_400000_NS6detail17trampoline_kernelINS0_14default_configENS1_25partition_config_selectorILNS1_17partition_subalgoE8EN3c108BFloat16ENS0_10empty_typeEbEEZZNS1_14partition_implILS5_8ELb0ES3_jPKS7_PS8_PKS8_NS0_5tupleIJPS7_S8_EEENSG_IJSD_SD_EEENS0_18inequality_wrapperIN6hipcub16HIPCUB_304000_NS8EqualityEEEPlJS8_EEE10hipError_tPvRmT3_T4_T5_T6_T7_T9_mT8_P12ihipStream_tbDpT10_ENKUlT_T0_E_clISt17integral_constantIbLb1EES19_EEDaS14_S15_EUlS14_E_NS1_11comp_targetILNS1_3genE5ELNS1_11target_archE942ELNS1_3gpuE9ELNS1_3repE0EEENS1_30default_config_static_selectorELNS0_4arch9wavefront6targetE0EEEvT1_.has_recursion, 0
	.set _ZN7rocprim17ROCPRIM_400000_NS6detail17trampoline_kernelINS0_14default_configENS1_25partition_config_selectorILNS1_17partition_subalgoE8EN3c108BFloat16ENS0_10empty_typeEbEEZZNS1_14partition_implILS5_8ELb0ES3_jPKS7_PS8_PKS8_NS0_5tupleIJPS7_S8_EEENSG_IJSD_SD_EEENS0_18inequality_wrapperIN6hipcub16HIPCUB_304000_NS8EqualityEEEPlJS8_EEE10hipError_tPvRmT3_T4_T5_T6_T7_T9_mT8_P12ihipStream_tbDpT10_ENKUlT_T0_E_clISt17integral_constantIbLb1EES19_EEDaS14_S15_EUlS14_E_NS1_11comp_targetILNS1_3genE5ELNS1_11target_archE942ELNS1_3gpuE9ELNS1_3repE0EEENS1_30default_config_static_selectorELNS0_4arch9wavefront6targetE0EEEvT1_.has_indirect_call, 0
	.section	.AMDGPU.csdata,"",@progbits
; Kernel info:
; codeLenInByte = 0
; TotalNumSgprs: 0
; NumVgprs: 0
; ScratchSize: 0
; MemoryBound: 0
; FloatMode: 240
; IeeeMode: 1
; LDSByteSize: 0 bytes/workgroup (compile time only)
; SGPRBlocks: 0
; VGPRBlocks: 0
; NumSGPRsForWavesPerEU: 1
; NumVGPRsForWavesPerEU: 1
; NamedBarCnt: 0
; Occupancy: 16
; WaveLimiterHint : 0
; COMPUTE_PGM_RSRC2:SCRATCH_EN: 0
; COMPUTE_PGM_RSRC2:USER_SGPR: 2
; COMPUTE_PGM_RSRC2:TRAP_HANDLER: 0
; COMPUTE_PGM_RSRC2:TGID_X_EN: 1
; COMPUTE_PGM_RSRC2:TGID_Y_EN: 0
; COMPUTE_PGM_RSRC2:TGID_Z_EN: 0
; COMPUTE_PGM_RSRC2:TIDIG_COMP_CNT: 0
	.section	.text._ZN7rocprim17ROCPRIM_400000_NS6detail17trampoline_kernelINS0_14default_configENS1_25partition_config_selectorILNS1_17partition_subalgoE8EN3c108BFloat16ENS0_10empty_typeEbEEZZNS1_14partition_implILS5_8ELb0ES3_jPKS7_PS8_PKS8_NS0_5tupleIJPS7_S8_EEENSG_IJSD_SD_EEENS0_18inequality_wrapperIN6hipcub16HIPCUB_304000_NS8EqualityEEEPlJS8_EEE10hipError_tPvRmT3_T4_T5_T6_T7_T9_mT8_P12ihipStream_tbDpT10_ENKUlT_T0_E_clISt17integral_constantIbLb1EES19_EEDaS14_S15_EUlS14_E_NS1_11comp_targetILNS1_3genE4ELNS1_11target_archE910ELNS1_3gpuE8ELNS1_3repE0EEENS1_30default_config_static_selectorELNS0_4arch9wavefront6targetE0EEEvT1_,"axG",@progbits,_ZN7rocprim17ROCPRIM_400000_NS6detail17trampoline_kernelINS0_14default_configENS1_25partition_config_selectorILNS1_17partition_subalgoE8EN3c108BFloat16ENS0_10empty_typeEbEEZZNS1_14partition_implILS5_8ELb0ES3_jPKS7_PS8_PKS8_NS0_5tupleIJPS7_S8_EEENSG_IJSD_SD_EEENS0_18inequality_wrapperIN6hipcub16HIPCUB_304000_NS8EqualityEEEPlJS8_EEE10hipError_tPvRmT3_T4_T5_T6_T7_T9_mT8_P12ihipStream_tbDpT10_ENKUlT_T0_E_clISt17integral_constantIbLb1EES19_EEDaS14_S15_EUlS14_E_NS1_11comp_targetILNS1_3genE4ELNS1_11target_archE910ELNS1_3gpuE8ELNS1_3repE0EEENS1_30default_config_static_selectorELNS0_4arch9wavefront6targetE0EEEvT1_,comdat
	.protected	_ZN7rocprim17ROCPRIM_400000_NS6detail17trampoline_kernelINS0_14default_configENS1_25partition_config_selectorILNS1_17partition_subalgoE8EN3c108BFloat16ENS0_10empty_typeEbEEZZNS1_14partition_implILS5_8ELb0ES3_jPKS7_PS8_PKS8_NS0_5tupleIJPS7_S8_EEENSG_IJSD_SD_EEENS0_18inequality_wrapperIN6hipcub16HIPCUB_304000_NS8EqualityEEEPlJS8_EEE10hipError_tPvRmT3_T4_T5_T6_T7_T9_mT8_P12ihipStream_tbDpT10_ENKUlT_T0_E_clISt17integral_constantIbLb1EES19_EEDaS14_S15_EUlS14_E_NS1_11comp_targetILNS1_3genE4ELNS1_11target_archE910ELNS1_3gpuE8ELNS1_3repE0EEENS1_30default_config_static_selectorELNS0_4arch9wavefront6targetE0EEEvT1_ ; -- Begin function _ZN7rocprim17ROCPRIM_400000_NS6detail17trampoline_kernelINS0_14default_configENS1_25partition_config_selectorILNS1_17partition_subalgoE8EN3c108BFloat16ENS0_10empty_typeEbEEZZNS1_14partition_implILS5_8ELb0ES3_jPKS7_PS8_PKS8_NS0_5tupleIJPS7_S8_EEENSG_IJSD_SD_EEENS0_18inequality_wrapperIN6hipcub16HIPCUB_304000_NS8EqualityEEEPlJS8_EEE10hipError_tPvRmT3_T4_T5_T6_T7_T9_mT8_P12ihipStream_tbDpT10_ENKUlT_T0_E_clISt17integral_constantIbLb1EES19_EEDaS14_S15_EUlS14_E_NS1_11comp_targetILNS1_3genE4ELNS1_11target_archE910ELNS1_3gpuE8ELNS1_3repE0EEENS1_30default_config_static_selectorELNS0_4arch9wavefront6targetE0EEEvT1_
	.globl	_ZN7rocprim17ROCPRIM_400000_NS6detail17trampoline_kernelINS0_14default_configENS1_25partition_config_selectorILNS1_17partition_subalgoE8EN3c108BFloat16ENS0_10empty_typeEbEEZZNS1_14partition_implILS5_8ELb0ES3_jPKS7_PS8_PKS8_NS0_5tupleIJPS7_S8_EEENSG_IJSD_SD_EEENS0_18inequality_wrapperIN6hipcub16HIPCUB_304000_NS8EqualityEEEPlJS8_EEE10hipError_tPvRmT3_T4_T5_T6_T7_T9_mT8_P12ihipStream_tbDpT10_ENKUlT_T0_E_clISt17integral_constantIbLb1EES19_EEDaS14_S15_EUlS14_E_NS1_11comp_targetILNS1_3genE4ELNS1_11target_archE910ELNS1_3gpuE8ELNS1_3repE0EEENS1_30default_config_static_selectorELNS0_4arch9wavefront6targetE0EEEvT1_
	.p2align	8
	.type	_ZN7rocprim17ROCPRIM_400000_NS6detail17trampoline_kernelINS0_14default_configENS1_25partition_config_selectorILNS1_17partition_subalgoE8EN3c108BFloat16ENS0_10empty_typeEbEEZZNS1_14partition_implILS5_8ELb0ES3_jPKS7_PS8_PKS8_NS0_5tupleIJPS7_S8_EEENSG_IJSD_SD_EEENS0_18inequality_wrapperIN6hipcub16HIPCUB_304000_NS8EqualityEEEPlJS8_EEE10hipError_tPvRmT3_T4_T5_T6_T7_T9_mT8_P12ihipStream_tbDpT10_ENKUlT_T0_E_clISt17integral_constantIbLb1EES19_EEDaS14_S15_EUlS14_E_NS1_11comp_targetILNS1_3genE4ELNS1_11target_archE910ELNS1_3gpuE8ELNS1_3repE0EEENS1_30default_config_static_selectorELNS0_4arch9wavefront6targetE0EEEvT1_,@function
_ZN7rocprim17ROCPRIM_400000_NS6detail17trampoline_kernelINS0_14default_configENS1_25partition_config_selectorILNS1_17partition_subalgoE8EN3c108BFloat16ENS0_10empty_typeEbEEZZNS1_14partition_implILS5_8ELb0ES3_jPKS7_PS8_PKS8_NS0_5tupleIJPS7_S8_EEENSG_IJSD_SD_EEENS0_18inequality_wrapperIN6hipcub16HIPCUB_304000_NS8EqualityEEEPlJS8_EEE10hipError_tPvRmT3_T4_T5_T6_T7_T9_mT8_P12ihipStream_tbDpT10_ENKUlT_T0_E_clISt17integral_constantIbLb1EES19_EEDaS14_S15_EUlS14_E_NS1_11comp_targetILNS1_3genE4ELNS1_11target_archE910ELNS1_3gpuE8ELNS1_3repE0EEENS1_30default_config_static_selectorELNS0_4arch9wavefront6targetE0EEEvT1_: ; @_ZN7rocprim17ROCPRIM_400000_NS6detail17trampoline_kernelINS0_14default_configENS1_25partition_config_selectorILNS1_17partition_subalgoE8EN3c108BFloat16ENS0_10empty_typeEbEEZZNS1_14partition_implILS5_8ELb0ES3_jPKS7_PS8_PKS8_NS0_5tupleIJPS7_S8_EEENSG_IJSD_SD_EEENS0_18inequality_wrapperIN6hipcub16HIPCUB_304000_NS8EqualityEEEPlJS8_EEE10hipError_tPvRmT3_T4_T5_T6_T7_T9_mT8_P12ihipStream_tbDpT10_ENKUlT_T0_E_clISt17integral_constantIbLb1EES19_EEDaS14_S15_EUlS14_E_NS1_11comp_targetILNS1_3genE4ELNS1_11target_archE910ELNS1_3gpuE8ELNS1_3repE0EEENS1_30default_config_static_selectorELNS0_4arch9wavefront6targetE0EEEvT1_
; %bb.0:
	.section	.rodata,"a",@progbits
	.p2align	6, 0x0
	.amdhsa_kernel _ZN7rocprim17ROCPRIM_400000_NS6detail17trampoline_kernelINS0_14default_configENS1_25partition_config_selectorILNS1_17partition_subalgoE8EN3c108BFloat16ENS0_10empty_typeEbEEZZNS1_14partition_implILS5_8ELb0ES3_jPKS7_PS8_PKS8_NS0_5tupleIJPS7_S8_EEENSG_IJSD_SD_EEENS0_18inequality_wrapperIN6hipcub16HIPCUB_304000_NS8EqualityEEEPlJS8_EEE10hipError_tPvRmT3_T4_T5_T6_T7_T9_mT8_P12ihipStream_tbDpT10_ENKUlT_T0_E_clISt17integral_constantIbLb1EES19_EEDaS14_S15_EUlS14_E_NS1_11comp_targetILNS1_3genE4ELNS1_11target_archE910ELNS1_3gpuE8ELNS1_3repE0EEENS1_30default_config_static_selectorELNS0_4arch9wavefront6targetE0EEEvT1_
		.amdhsa_group_segment_fixed_size 0
		.amdhsa_private_segment_fixed_size 0
		.amdhsa_kernarg_size 128
		.amdhsa_user_sgpr_count 2
		.amdhsa_user_sgpr_dispatch_ptr 0
		.amdhsa_user_sgpr_queue_ptr 0
		.amdhsa_user_sgpr_kernarg_segment_ptr 1
		.amdhsa_user_sgpr_dispatch_id 0
		.amdhsa_user_sgpr_kernarg_preload_length 0
		.amdhsa_user_sgpr_kernarg_preload_offset 0
		.amdhsa_user_sgpr_private_segment_size 0
		.amdhsa_wavefront_size32 1
		.amdhsa_uses_dynamic_stack 0
		.amdhsa_enable_private_segment 0
		.amdhsa_system_sgpr_workgroup_id_x 1
		.amdhsa_system_sgpr_workgroup_id_y 0
		.amdhsa_system_sgpr_workgroup_id_z 0
		.amdhsa_system_sgpr_workgroup_info 0
		.amdhsa_system_vgpr_workitem_id 0
		.amdhsa_next_free_vgpr 1
		.amdhsa_next_free_sgpr 1
		.amdhsa_named_barrier_count 0
		.amdhsa_reserve_vcc 0
		.amdhsa_float_round_mode_32 0
		.amdhsa_float_round_mode_16_64 0
		.amdhsa_float_denorm_mode_32 3
		.amdhsa_float_denorm_mode_16_64 3
		.amdhsa_fp16_overflow 0
		.amdhsa_memory_ordered 1
		.amdhsa_forward_progress 1
		.amdhsa_inst_pref_size 0
		.amdhsa_round_robin_scheduling 0
		.amdhsa_exception_fp_ieee_invalid_op 0
		.amdhsa_exception_fp_denorm_src 0
		.amdhsa_exception_fp_ieee_div_zero 0
		.amdhsa_exception_fp_ieee_overflow 0
		.amdhsa_exception_fp_ieee_underflow 0
		.amdhsa_exception_fp_ieee_inexact 0
		.amdhsa_exception_int_div_zero 0
	.end_amdhsa_kernel
	.section	.text._ZN7rocprim17ROCPRIM_400000_NS6detail17trampoline_kernelINS0_14default_configENS1_25partition_config_selectorILNS1_17partition_subalgoE8EN3c108BFloat16ENS0_10empty_typeEbEEZZNS1_14partition_implILS5_8ELb0ES3_jPKS7_PS8_PKS8_NS0_5tupleIJPS7_S8_EEENSG_IJSD_SD_EEENS0_18inequality_wrapperIN6hipcub16HIPCUB_304000_NS8EqualityEEEPlJS8_EEE10hipError_tPvRmT3_T4_T5_T6_T7_T9_mT8_P12ihipStream_tbDpT10_ENKUlT_T0_E_clISt17integral_constantIbLb1EES19_EEDaS14_S15_EUlS14_E_NS1_11comp_targetILNS1_3genE4ELNS1_11target_archE910ELNS1_3gpuE8ELNS1_3repE0EEENS1_30default_config_static_selectorELNS0_4arch9wavefront6targetE0EEEvT1_,"axG",@progbits,_ZN7rocprim17ROCPRIM_400000_NS6detail17trampoline_kernelINS0_14default_configENS1_25partition_config_selectorILNS1_17partition_subalgoE8EN3c108BFloat16ENS0_10empty_typeEbEEZZNS1_14partition_implILS5_8ELb0ES3_jPKS7_PS8_PKS8_NS0_5tupleIJPS7_S8_EEENSG_IJSD_SD_EEENS0_18inequality_wrapperIN6hipcub16HIPCUB_304000_NS8EqualityEEEPlJS8_EEE10hipError_tPvRmT3_T4_T5_T6_T7_T9_mT8_P12ihipStream_tbDpT10_ENKUlT_T0_E_clISt17integral_constantIbLb1EES19_EEDaS14_S15_EUlS14_E_NS1_11comp_targetILNS1_3genE4ELNS1_11target_archE910ELNS1_3gpuE8ELNS1_3repE0EEENS1_30default_config_static_selectorELNS0_4arch9wavefront6targetE0EEEvT1_,comdat
.Lfunc_end834:
	.size	_ZN7rocprim17ROCPRIM_400000_NS6detail17trampoline_kernelINS0_14default_configENS1_25partition_config_selectorILNS1_17partition_subalgoE8EN3c108BFloat16ENS0_10empty_typeEbEEZZNS1_14partition_implILS5_8ELb0ES3_jPKS7_PS8_PKS8_NS0_5tupleIJPS7_S8_EEENSG_IJSD_SD_EEENS0_18inequality_wrapperIN6hipcub16HIPCUB_304000_NS8EqualityEEEPlJS8_EEE10hipError_tPvRmT3_T4_T5_T6_T7_T9_mT8_P12ihipStream_tbDpT10_ENKUlT_T0_E_clISt17integral_constantIbLb1EES19_EEDaS14_S15_EUlS14_E_NS1_11comp_targetILNS1_3genE4ELNS1_11target_archE910ELNS1_3gpuE8ELNS1_3repE0EEENS1_30default_config_static_selectorELNS0_4arch9wavefront6targetE0EEEvT1_, .Lfunc_end834-_ZN7rocprim17ROCPRIM_400000_NS6detail17trampoline_kernelINS0_14default_configENS1_25partition_config_selectorILNS1_17partition_subalgoE8EN3c108BFloat16ENS0_10empty_typeEbEEZZNS1_14partition_implILS5_8ELb0ES3_jPKS7_PS8_PKS8_NS0_5tupleIJPS7_S8_EEENSG_IJSD_SD_EEENS0_18inequality_wrapperIN6hipcub16HIPCUB_304000_NS8EqualityEEEPlJS8_EEE10hipError_tPvRmT3_T4_T5_T6_T7_T9_mT8_P12ihipStream_tbDpT10_ENKUlT_T0_E_clISt17integral_constantIbLb1EES19_EEDaS14_S15_EUlS14_E_NS1_11comp_targetILNS1_3genE4ELNS1_11target_archE910ELNS1_3gpuE8ELNS1_3repE0EEENS1_30default_config_static_selectorELNS0_4arch9wavefront6targetE0EEEvT1_
                                        ; -- End function
	.set _ZN7rocprim17ROCPRIM_400000_NS6detail17trampoline_kernelINS0_14default_configENS1_25partition_config_selectorILNS1_17partition_subalgoE8EN3c108BFloat16ENS0_10empty_typeEbEEZZNS1_14partition_implILS5_8ELb0ES3_jPKS7_PS8_PKS8_NS0_5tupleIJPS7_S8_EEENSG_IJSD_SD_EEENS0_18inequality_wrapperIN6hipcub16HIPCUB_304000_NS8EqualityEEEPlJS8_EEE10hipError_tPvRmT3_T4_T5_T6_T7_T9_mT8_P12ihipStream_tbDpT10_ENKUlT_T0_E_clISt17integral_constantIbLb1EES19_EEDaS14_S15_EUlS14_E_NS1_11comp_targetILNS1_3genE4ELNS1_11target_archE910ELNS1_3gpuE8ELNS1_3repE0EEENS1_30default_config_static_selectorELNS0_4arch9wavefront6targetE0EEEvT1_.num_vgpr, 0
	.set _ZN7rocprim17ROCPRIM_400000_NS6detail17trampoline_kernelINS0_14default_configENS1_25partition_config_selectorILNS1_17partition_subalgoE8EN3c108BFloat16ENS0_10empty_typeEbEEZZNS1_14partition_implILS5_8ELb0ES3_jPKS7_PS8_PKS8_NS0_5tupleIJPS7_S8_EEENSG_IJSD_SD_EEENS0_18inequality_wrapperIN6hipcub16HIPCUB_304000_NS8EqualityEEEPlJS8_EEE10hipError_tPvRmT3_T4_T5_T6_T7_T9_mT8_P12ihipStream_tbDpT10_ENKUlT_T0_E_clISt17integral_constantIbLb1EES19_EEDaS14_S15_EUlS14_E_NS1_11comp_targetILNS1_3genE4ELNS1_11target_archE910ELNS1_3gpuE8ELNS1_3repE0EEENS1_30default_config_static_selectorELNS0_4arch9wavefront6targetE0EEEvT1_.num_agpr, 0
	.set _ZN7rocprim17ROCPRIM_400000_NS6detail17trampoline_kernelINS0_14default_configENS1_25partition_config_selectorILNS1_17partition_subalgoE8EN3c108BFloat16ENS0_10empty_typeEbEEZZNS1_14partition_implILS5_8ELb0ES3_jPKS7_PS8_PKS8_NS0_5tupleIJPS7_S8_EEENSG_IJSD_SD_EEENS0_18inequality_wrapperIN6hipcub16HIPCUB_304000_NS8EqualityEEEPlJS8_EEE10hipError_tPvRmT3_T4_T5_T6_T7_T9_mT8_P12ihipStream_tbDpT10_ENKUlT_T0_E_clISt17integral_constantIbLb1EES19_EEDaS14_S15_EUlS14_E_NS1_11comp_targetILNS1_3genE4ELNS1_11target_archE910ELNS1_3gpuE8ELNS1_3repE0EEENS1_30default_config_static_selectorELNS0_4arch9wavefront6targetE0EEEvT1_.numbered_sgpr, 0
	.set _ZN7rocprim17ROCPRIM_400000_NS6detail17trampoline_kernelINS0_14default_configENS1_25partition_config_selectorILNS1_17partition_subalgoE8EN3c108BFloat16ENS0_10empty_typeEbEEZZNS1_14partition_implILS5_8ELb0ES3_jPKS7_PS8_PKS8_NS0_5tupleIJPS7_S8_EEENSG_IJSD_SD_EEENS0_18inequality_wrapperIN6hipcub16HIPCUB_304000_NS8EqualityEEEPlJS8_EEE10hipError_tPvRmT3_T4_T5_T6_T7_T9_mT8_P12ihipStream_tbDpT10_ENKUlT_T0_E_clISt17integral_constantIbLb1EES19_EEDaS14_S15_EUlS14_E_NS1_11comp_targetILNS1_3genE4ELNS1_11target_archE910ELNS1_3gpuE8ELNS1_3repE0EEENS1_30default_config_static_selectorELNS0_4arch9wavefront6targetE0EEEvT1_.num_named_barrier, 0
	.set _ZN7rocprim17ROCPRIM_400000_NS6detail17trampoline_kernelINS0_14default_configENS1_25partition_config_selectorILNS1_17partition_subalgoE8EN3c108BFloat16ENS0_10empty_typeEbEEZZNS1_14partition_implILS5_8ELb0ES3_jPKS7_PS8_PKS8_NS0_5tupleIJPS7_S8_EEENSG_IJSD_SD_EEENS0_18inequality_wrapperIN6hipcub16HIPCUB_304000_NS8EqualityEEEPlJS8_EEE10hipError_tPvRmT3_T4_T5_T6_T7_T9_mT8_P12ihipStream_tbDpT10_ENKUlT_T0_E_clISt17integral_constantIbLb1EES19_EEDaS14_S15_EUlS14_E_NS1_11comp_targetILNS1_3genE4ELNS1_11target_archE910ELNS1_3gpuE8ELNS1_3repE0EEENS1_30default_config_static_selectorELNS0_4arch9wavefront6targetE0EEEvT1_.private_seg_size, 0
	.set _ZN7rocprim17ROCPRIM_400000_NS6detail17trampoline_kernelINS0_14default_configENS1_25partition_config_selectorILNS1_17partition_subalgoE8EN3c108BFloat16ENS0_10empty_typeEbEEZZNS1_14partition_implILS5_8ELb0ES3_jPKS7_PS8_PKS8_NS0_5tupleIJPS7_S8_EEENSG_IJSD_SD_EEENS0_18inequality_wrapperIN6hipcub16HIPCUB_304000_NS8EqualityEEEPlJS8_EEE10hipError_tPvRmT3_T4_T5_T6_T7_T9_mT8_P12ihipStream_tbDpT10_ENKUlT_T0_E_clISt17integral_constantIbLb1EES19_EEDaS14_S15_EUlS14_E_NS1_11comp_targetILNS1_3genE4ELNS1_11target_archE910ELNS1_3gpuE8ELNS1_3repE0EEENS1_30default_config_static_selectorELNS0_4arch9wavefront6targetE0EEEvT1_.uses_vcc, 0
	.set _ZN7rocprim17ROCPRIM_400000_NS6detail17trampoline_kernelINS0_14default_configENS1_25partition_config_selectorILNS1_17partition_subalgoE8EN3c108BFloat16ENS0_10empty_typeEbEEZZNS1_14partition_implILS5_8ELb0ES3_jPKS7_PS8_PKS8_NS0_5tupleIJPS7_S8_EEENSG_IJSD_SD_EEENS0_18inequality_wrapperIN6hipcub16HIPCUB_304000_NS8EqualityEEEPlJS8_EEE10hipError_tPvRmT3_T4_T5_T6_T7_T9_mT8_P12ihipStream_tbDpT10_ENKUlT_T0_E_clISt17integral_constantIbLb1EES19_EEDaS14_S15_EUlS14_E_NS1_11comp_targetILNS1_3genE4ELNS1_11target_archE910ELNS1_3gpuE8ELNS1_3repE0EEENS1_30default_config_static_selectorELNS0_4arch9wavefront6targetE0EEEvT1_.uses_flat_scratch, 0
	.set _ZN7rocprim17ROCPRIM_400000_NS6detail17trampoline_kernelINS0_14default_configENS1_25partition_config_selectorILNS1_17partition_subalgoE8EN3c108BFloat16ENS0_10empty_typeEbEEZZNS1_14partition_implILS5_8ELb0ES3_jPKS7_PS8_PKS8_NS0_5tupleIJPS7_S8_EEENSG_IJSD_SD_EEENS0_18inequality_wrapperIN6hipcub16HIPCUB_304000_NS8EqualityEEEPlJS8_EEE10hipError_tPvRmT3_T4_T5_T6_T7_T9_mT8_P12ihipStream_tbDpT10_ENKUlT_T0_E_clISt17integral_constantIbLb1EES19_EEDaS14_S15_EUlS14_E_NS1_11comp_targetILNS1_3genE4ELNS1_11target_archE910ELNS1_3gpuE8ELNS1_3repE0EEENS1_30default_config_static_selectorELNS0_4arch9wavefront6targetE0EEEvT1_.has_dyn_sized_stack, 0
	.set _ZN7rocprim17ROCPRIM_400000_NS6detail17trampoline_kernelINS0_14default_configENS1_25partition_config_selectorILNS1_17partition_subalgoE8EN3c108BFloat16ENS0_10empty_typeEbEEZZNS1_14partition_implILS5_8ELb0ES3_jPKS7_PS8_PKS8_NS0_5tupleIJPS7_S8_EEENSG_IJSD_SD_EEENS0_18inequality_wrapperIN6hipcub16HIPCUB_304000_NS8EqualityEEEPlJS8_EEE10hipError_tPvRmT3_T4_T5_T6_T7_T9_mT8_P12ihipStream_tbDpT10_ENKUlT_T0_E_clISt17integral_constantIbLb1EES19_EEDaS14_S15_EUlS14_E_NS1_11comp_targetILNS1_3genE4ELNS1_11target_archE910ELNS1_3gpuE8ELNS1_3repE0EEENS1_30default_config_static_selectorELNS0_4arch9wavefront6targetE0EEEvT1_.has_recursion, 0
	.set _ZN7rocprim17ROCPRIM_400000_NS6detail17trampoline_kernelINS0_14default_configENS1_25partition_config_selectorILNS1_17partition_subalgoE8EN3c108BFloat16ENS0_10empty_typeEbEEZZNS1_14partition_implILS5_8ELb0ES3_jPKS7_PS8_PKS8_NS0_5tupleIJPS7_S8_EEENSG_IJSD_SD_EEENS0_18inequality_wrapperIN6hipcub16HIPCUB_304000_NS8EqualityEEEPlJS8_EEE10hipError_tPvRmT3_T4_T5_T6_T7_T9_mT8_P12ihipStream_tbDpT10_ENKUlT_T0_E_clISt17integral_constantIbLb1EES19_EEDaS14_S15_EUlS14_E_NS1_11comp_targetILNS1_3genE4ELNS1_11target_archE910ELNS1_3gpuE8ELNS1_3repE0EEENS1_30default_config_static_selectorELNS0_4arch9wavefront6targetE0EEEvT1_.has_indirect_call, 0
	.section	.AMDGPU.csdata,"",@progbits
; Kernel info:
; codeLenInByte = 0
; TotalNumSgprs: 0
; NumVgprs: 0
; ScratchSize: 0
; MemoryBound: 0
; FloatMode: 240
; IeeeMode: 1
; LDSByteSize: 0 bytes/workgroup (compile time only)
; SGPRBlocks: 0
; VGPRBlocks: 0
; NumSGPRsForWavesPerEU: 1
; NumVGPRsForWavesPerEU: 1
; NamedBarCnt: 0
; Occupancy: 16
; WaveLimiterHint : 0
; COMPUTE_PGM_RSRC2:SCRATCH_EN: 0
; COMPUTE_PGM_RSRC2:USER_SGPR: 2
; COMPUTE_PGM_RSRC2:TRAP_HANDLER: 0
; COMPUTE_PGM_RSRC2:TGID_X_EN: 1
; COMPUTE_PGM_RSRC2:TGID_Y_EN: 0
; COMPUTE_PGM_RSRC2:TGID_Z_EN: 0
; COMPUTE_PGM_RSRC2:TIDIG_COMP_CNT: 0
	.section	.text._ZN7rocprim17ROCPRIM_400000_NS6detail17trampoline_kernelINS0_14default_configENS1_25partition_config_selectorILNS1_17partition_subalgoE8EN3c108BFloat16ENS0_10empty_typeEbEEZZNS1_14partition_implILS5_8ELb0ES3_jPKS7_PS8_PKS8_NS0_5tupleIJPS7_S8_EEENSG_IJSD_SD_EEENS0_18inequality_wrapperIN6hipcub16HIPCUB_304000_NS8EqualityEEEPlJS8_EEE10hipError_tPvRmT3_T4_T5_T6_T7_T9_mT8_P12ihipStream_tbDpT10_ENKUlT_T0_E_clISt17integral_constantIbLb1EES19_EEDaS14_S15_EUlS14_E_NS1_11comp_targetILNS1_3genE3ELNS1_11target_archE908ELNS1_3gpuE7ELNS1_3repE0EEENS1_30default_config_static_selectorELNS0_4arch9wavefront6targetE0EEEvT1_,"axG",@progbits,_ZN7rocprim17ROCPRIM_400000_NS6detail17trampoline_kernelINS0_14default_configENS1_25partition_config_selectorILNS1_17partition_subalgoE8EN3c108BFloat16ENS0_10empty_typeEbEEZZNS1_14partition_implILS5_8ELb0ES3_jPKS7_PS8_PKS8_NS0_5tupleIJPS7_S8_EEENSG_IJSD_SD_EEENS0_18inequality_wrapperIN6hipcub16HIPCUB_304000_NS8EqualityEEEPlJS8_EEE10hipError_tPvRmT3_T4_T5_T6_T7_T9_mT8_P12ihipStream_tbDpT10_ENKUlT_T0_E_clISt17integral_constantIbLb1EES19_EEDaS14_S15_EUlS14_E_NS1_11comp_targetILNS1_3genE3ELNS1_11target_archE908ELNS1_3gpuE7ELNS1_3repE0EEENS1_30default_config_static_selectorELNS0_4arch9wavefront6targetE0EEEvT1_,comdat
	.protected	_ZN7rocprim17ROCPRIM_400000_NS6detail17trampoline_kernelINS0_14default_configENS1_25partition_config_selectorILNS1_17partition_subalgoE8EN3c108BFloat16ENS0_10empty_typeEbEEZZNS1_14partition_implILS5_8ELb0ES3_jPKS7_PS8_PKS8_NS0_5tupleIJPS7_S8_EEENSG_IJSD_SD_EEENS0_18inequality_wrapperIN6hipcub16HIPCUB_304000_NS8EqualityEEEPlJS8_EEE10hipError_tPvRmT3_T4_T5_T6_T7_T9_mT8_P12ihipStream_tbDpT10_ENKUlT_T0_E_clISt17integral_constantIbLb1EES19_EEDaS14_S15_EUlS14_E_NS1_11comp_targetILNS1_3genE3ELNS1_11target_archE908ELNS1_3gpuE7ELNS1_3repE0EEENS1_30default_config_static_selectorELNS0_4arch9wavefront6targetE0EEEvT1_ ; -- Begin function _ZN7rocprim17ROCPRIM_400000_NS6detail17trampoline_kernelINS0_14default_configENS1_25partition_config_selectorILNS1_17partition_subalgoE8EN3c108BFloat16ENS0_10empty_typeEbEEZZNS1_14partition_implILS5_8ELb0ES3_jPKS7_PS8_PKS8_NS0_5tupleIJPS7_S8_EEENSG_IJSD_SD_EEENS0_18inequality_wrapperIN6hipcub16HIPCUB_304000_NS8EqualityEEEPlJS8_EEE10hipError_tPvRmT3_T4_T5_T6_T7_T9_mT8_P12ihipStream_tbDpT10_ENKUlT_T0_E_clISt17integral_constantIbLb1EES19_EEDaS14_S15_EUlS14_E_NS1_11comp_targetILNS1_3genE3ELNS1_11target_archE908ELNS1_3gpuE7ELNS1_3repE0EEENS1_30default_config_static_selectorELNS0_4arch9wavefront6targetE0EEEvT1_
	.globl	_ZN7rocprim17ROCPRIM_400000_NS6detail17trampoline_kernelINS0_14default_configENS1_25partition_config_selectorILNS1_17partition_subalgoE8EN3c108BFloat16ENS0_10empty_typeEbEEZZNS1_14partition_implILS5_8ELb0ES3_jPKS7_PS8_PKS8_NS0_5tupleIJPS7_S8_EEENSG_IJSD_SD_EEENS0_18inequality_wrapperIN6hipcub16HIPCUB_304000_NS8EqualityEEEPlJS8_EEE10hipError_tPvRmT3_T4_T5_T6_T7_T9_mT8_P12ihipStream_tbDpT10_ENKUlT_T0_E_clISt17integral_constantIbLb1EES19_EEDaS14_S15_EUlS14_E_NS1_11comp_targetILNS1_3genE3ELNS1_11target_archE908ELNS1_3gpuE7ELNS1_3repE0EEENS1_30default_config_static_selectorELNS0_4arch9wavefront6targetE0EEEvT1_
	.p2align	8
	.type	_ZN7rocprim17ROCPRIM_400000_NS6detail17trampoline_kernelINS0_14default_configENS1_25partition_config_selectorILNS1_17partition_subalgoE8EN3c108BFloat16ENS0_10empty_typeEbEEZZNS1_14partition_implILS5_8ELb0ES3_jPKS7_PS8_PKS8_NS0_5tupleIJPS7_S8_EEENSG_IJSD_SD_EEENS0_18inequality_wrapperIN6hipcub16HIPCUB_304000_NS8EqualityEEEPlJS8_EEE10hipError_tPvRmT3_T4_T5_T6_T7_T9_mT8_P12ihipStream_tbDpT10_ENKUlT_T0_E_clISt17integral_constantIbLb1EES19_EEDaS14_S15_EUlS14_E_NS1_11comp_targetILNS1_3genE3ELNS1_11target_archE908ELNS1_3gpuE7ELNS1_3repE0EEENS1_30default_config_static_selectorELNS0_4arch9wavefront6targetE0EEEvT1_,@function
_ZN7rocprim17ROCPRIM_400000_NS6detail17trampoline_kernelINS0_14default_configENS1_25partition_config_selectorILNS1_17partition_subalgoE8EN3c108BFloat16ENS0_10empty_typeEbEEZZNS1_14partition_implILS5_8ELb0ES3_jPKS7_PS8_PKS8_NS0_5tupleIJPS7_S8_EEENSG_IJSD_SD_EEENS0_18inequality_wrapperIN6hipcub16HIPCUB_304000_NS8EqualityEEEPlJS8_EEE10hipError_tPvRmT3_T4_T5_T6_T7_T9_mT8_P12ihipStream_tbDpT10_ENKUlT_T0_E_clISt17integral_constantIbLb1EES19_EEDaS14_S15_EUlS14_E_NS1_11comp_targetILNS1_3genE3ELNS1_11target_archE908ELNS1_3gpuE7ELNS1_3repE0EEENS1_30default_config_static_selectorELNS0_4arch9wavefront6targetE0EEEvT1_: ; @_ZN7rocprim17ROCPRIM_400000_NS6detail17trampoline_kernelINS0_14default_configENS1_25partition_config_selectorILNS1_17partition_subalgoE8EN3c108BFloat16ENS0_10empty_typeEbEEZZNS1_14partition_implILS5_8ELb0ES3_jPKS7_PS8_PKS8_NS0_5tupleIJPS7_S8_EEENSG_IJSD_SD_EEENS0_18inequality_wrapperIN6hipcub16HIPCUB_304000_NS8EqualityEEEPlJS8_EEE10hipError_tPvRmT3_T4_T5_T6_T7_T9_mT8_P12ihipStream_tbDpT10_ENKUlT_T0_E_clISt17integral_constantIbLb1EES19_EEDaS14_S15_EUlS14_E_NS1_11comp_targetILNS1_3genE3ELNS1_11target_archE908ELNS1_3gpuE7ELNS1_3repE0EEENS1_30default_config_static_selectorELNS0_4arch9wavefront6targetE0EEEvT1_
; %bb.0:
	.section	.rodata,"a",@progbits
	.p2align	6, 0x0
	.amdhsa_kernel _ZN7rocprim17ROCPRIM_400000_NS6detail17trampoline_kernelINS0_14default_configENS1_25partition_config_selectorILNS1_17partition_subalgoE8EN3c108BFloat16ENS0_10empty_typeEbEEZZNS1_14partition_implILS5_8ELb0ES3_jPKS7_PS8_PKS8_NS0_5tupleIJPS7_S8_EEENSG_IJSD_SD_EEENS0_18inequality_wrapperIN6hipcub16HIPCUB_304000_NS8EqualityEEEPlJS8_EEE10hipError_tPvRmT3_T4_T5_T6_T7_T9_mT8_P12ihipStream_tbDpT10_ENKUlT_T0_E_clISt17integral_constantIbLb1EES19_EEDaS14_S15_EUlS14_E_NS1_11comp_targetILNS1_3genE3ELNS1_11target_archE908ELNS1_3gpuE7ELNS1_3repE0EEENS1_30default_config_static_selectorELNS0_4arch9wavefront6targetE0EEEvT1_
		.amdhsa_group_segment_fixed_size 0
		.amdhsa_private_segment_fixed_size 0
		.amdhsa_kernarg_size 128
		.amdhsa_user_sgpr_count 2
		.amdhsa_user_sgpr_dispatch_ptr 0
		.amdhsa_user_sgpr_queue_ptr 0
		.amdhsa_user_sgpr_kernarg_segment_ptr 1
		.amdhsa_user_sgpr_dispatch_id 0
		.amdhsa_user_sgpr_kernarg_preload_length 0
		.amdhsa_user_sgpr_kernarg_preload_offset 0
		.amdhsa_user_sgpr_private_segment_size 0
		.amdhsa_wavefront_size32 1
		.amdhsa_uses_dynamic_stack 0
		.amdhsa_enable_private_segment 0
		.amdhsa_system_sgpr_workgroup_id_x 1
		.amdhsa_system_sgpr_workgroup_id_y 0
		.amdhsa_system_sgpr_workgroup_id_z 0
		.amdhsa_system_sgpr_workgroup_info 0
		.amdhsa_system_vgpr_workitem_id 0
		.amdhsa_next_free_vgpr 1
		.amdhsa_next_free_sgpr 1
		.amdhsa_named_barrier_count 0
		.amdhsa_reserve_vcc 0
		.amdhsa_float_round_mode_32 0
		.amdhsa_float_round_mode_16_64 0
		.amdhsa_float_denorm_mode_32 3
		.amdhsa_float_denorm_mode_16_64 3
		.amdhsa_fp16_overflow 0
		.amdhsa_memory_ordered 1
		.amdhsa_forward_progress 1
		.amdhsa_inst_pref_size 0
		.amdhsa_round_robin_scheduling 0
		.amdhsa_exception_fp_ieee_invalid_op 0
		.amdhsa_exception_fp_denorm_src 0
		.amdhsa_exception_fp_ieee_div_zero 0
		.amdhsa_exception_fp_ieee_overflow 0
		.amdhsa_exception_fp_ieee_underflow 0
		.amdhsa_exception_fp_ieee_inexact 0
		.amdhsa_exception_int_div_zero 0
	.end_amdhsa_kernel
	.section	.text._ZN7rocprim17ROCPRIM_400000_NS6detail17trampoline_kernelINS0_14default_configENS1_25partition_config_selectorILNS1_17partition_subalgoE8EN3c108BFloat16ENS0_10empty_typeEbEEZZNS1_14partition_implILS5_8ELb0ES3_jPKS7_PS8_PKS8_NS0_5tupleIJPS7_S8_EEENSG_IJSD_SD_EEENS0_18inequality_wrapperIN6hipcub16HIPCUB_304000_NS8EqualityEEEPlJS8_EEE10hipError_tPvRmT3_T4_T5_T6_T7_T9_mT8_P12ihipStream_tbDpT10_ENKUlT_T0_E_clISt17integral_constantIbLb1EES19_EEDaS14_S15_EUlS14_E_NS1_11comp_targetILNS1_3genE3ELNS1_11target_archE908ELNS1_3gpuE7ELNS1_3repE0EEENS1_30default_config_static_selectorELNS0_4arch9wavefront6targetE0EEEvT1_,"axG",@progbits,_ZN7rocprim17ROCPRIM_400000_NS6detail17trampoline_kernelINS0_14default_configENS1_25partition_config_selectorILNS1_17partition_subalgoE8EN3c108BFloat16ENS0_10empty_typeEbEEZZNS1_14partition_implILS5_8ELb0ES3_jPKS7_PS8_PKS8_NS0_5tupleIJPS7_S8_EEENSG_IJSD_SD_EEENS0_18inequality_wrapperIN6hipcub16HIPCUB_304000_NS8EqualityEEEPlJS8_EEE10hipError_tPvRmT3_T4_T5_T6_T7_T9_mT8_P12ihipStream_tbDpT10_ENKUlT_T0_E_clISt17integral_constantIbLb1EES19_EEDaS14_S15_EUlS14_E_NS1_11comp_targetILNS1_3genE3ELNS1_11target_archE908ELNS1_3gpuE7ELNS1_3repE0EEENS1_30default_config_static_selectorELNS0_4arch9wavefront6targetE0EEEvT1_,comdat
.Lfunc_end835:
	.size	_ZN7rocprim17ROCPRIM_400000_NS6detail17trampoline_kernelINS0_14default_configENS1_25partition_config_selectorILNS1_17partition_subalgoE8EN3c108BFloat16ENS0_10empty_typeEbEEZZNS1_14partition_implILS5_8ELb0ES3_jPKS7_PS8_PKS8_NS0_5tupleIJPS7_S8_EEENSG_IJSD_SD_EEENS0_18inequality_wrapperIN6hipcub16HIPCUB_304000_NS8EqualityEEEPlJS8_EEE10hipError_tPvRmT3_T4_T5_T6_T7_T9_mT8_P12ihipStream_tbDpT10_ENKUlT_T0_E_clISt17integral_constantIbLb1EES19_EEDaS14_S15_EUlS14_E_NS1_11comp_targetILNS1_3genE3ELNS1_11target_archE908ELNS1_3gpuE7ELNS1_3repE0EEENS1_30default_config_static_selectorELNS0_4arch9wavefront6targetE0EEEvT1_, .Lfunc_end835-_ZN7rocprim17ROCPRIM_400000_NS6detail17trampoline_kernelINS0_14default_configENS1_25partition_config_selectorILNS1_17partition_subalgoE8EN3c108BFloat16ENS0_10empty_typeEbEEZZNS1_14partition_implILS5_8ELb0ES3_jPKS7_PS8_PKS8_NS0_5tupleIJPS7_S8_EEENSG_IJSD_SD_EEENS0_18inequality_wrapperIN6hipcub16HIPCUB_304000_NS8EqualityEEEPlJS8_EEE10hipError_tPvRmT3_T4_T5_T6_T7_T9_mT8_P12ihipStream_tbDpT10_ENKUlT_T0_E_clISt17integral_constantIbLb1EES19_EEDaS14_S15_EUlS14_E_NS1_11comp_targetILNS1_3genE3ELNS1_11target_archE908ELNS1_3gpuE7ELNS1_3repE0EEENS1_30default_config_static_selectorELNS0_4arch9wavefront6targetE0EEEvT1_
                                        ; -- End function
	.set _ZN7rocprim17ROCPRIM_400000_NS6detail17trampoline_kernelINS0_14default_configENS1_25partition_config_selectorILNS1_17partition_subalgoE8EN3c108BFloat16ENS0_10empty_typeEbEEZZNS1_14partition_implILS5_8ELb0ES3_jPKS7_PS8_PKS8_NS0_5tupleIJPS7_S8_EEENSG_IJSD_SD_EEENS0_18inequality_wrapperIN6hipcub16HIPCUB_304000_NS8EqualityEEEPlJS8_EEE10hipError_tPvRmT3_T4_T5_T6_T7_T9_mT8_P12ihipStream_tbDpT10_ENKUlT_T0_E_clISt17integral_constantIbLb1EES19_EEDaS14_S15_EUlS14_E_NS1_11comp_targetILNS1_3genE3ELNS1_11target_archE908ELNS1_3gpuE7ELNS1_3repE0EEENS1_30default_config_static_selectorELNS0_4arch9wavefront6targetE0EEEvT1_.num_vgpr, 0
	.set _ZN7rocprim17ROCPRIM_400000_NS6detail17trampoline_kernelINS0_14default_configENS1_25partition_config_selectorILNS1_17partition_subalgoE8EN3c108BFloat16ENS0_10empty_typeEbEEZZNS1_14partition_implILS5_8ELb0ES3_jPKS7_PS8_PKS8_NS0_5tupleIJPS7_S8_EEENSG_IJSD_SD_EEENS0_18inequality_wrapperIN6hipcub16HIPCUB_304000_NS8EqualityEEEPlJS8_EEE10hipError_tPvRmT3_T4_T5_T6_T7_T9_mT8_P12ihipStream_tbDpT10_ENKUlT_T0_E_clISt17integral_constantIbLb1EES19_EEDaS14_S15_EUlS14_E_NS1_11comp_targetILNS1_3genE3ELNS1_11target_archE908ELNS1_3gpuE7ELNS1_3repE0EEENS1_30default_config_static_selectorELNS0_4arch9wavefront6targetE0EEEvT1_.num_agpr, 0
	.set _ZN7rocprim17ROCPRIM_400000_NS6detail17trampoline_kernelINS0_14default_configENS1_25partition_config_selectorILNS1_17partition_subalgoE8EN3c108BFloat16ENS0_10empty_typeEbEEZZNS1_14partition_implILS5_8ELb0ES3_jPKS7_PS8_PKS8_NS0_5tupleIJPS7_S8_EEENSG_IJSD_SD_EEENS0_18inequality_wrapperIN6hipcub16HIPCUB_304000_NS8EqualityEEEPlJS8_EEE10hipError_tPvRmT3_T4_T5_T6_T7_T9_mT8_P12ihipStream_tbDpT10_ENKUlT_T0_E_clISt17integral_constantIbLb1EES19_EEDaS14_S15_EUlS14_E_NS1_11comp_targetILNS1_3genE3ELNS1_11target_archE908ELNS1_3gpuE7ELNS1_3repE0EEENS1_30default_config_static_selectorELNS0_4arch9wavefront6targetE0EEEvT1_.numbered_sgpr, 0
	.set _ZN7rocprim17ROCPRIM_400000_NS6detail17trampoline_kernelINS0_14default_configENS1_25partition_config_selectorILNS1_17partition_subalgoE8EN3c108BFloat16ENS0_10empty_typeEbEEZZNS1_14partition_implILS5_8ELb0ES3_jPKS7_PS8_PKS8_NS0_5tupleIJPS7_S8_EEENSG_IJSD_SD_EEENS0_18inequality_wrapperIN6hipcub16HIPCUB_304000_NS8EqualityEEEPlJS8_EEE10hipError_tPvRmT3_T4_T5_T6_T7_T9_mT8_P12ihipStream_tbDpT10_ENKUlT_T0_E_clISt17integral_constantIbLb1EES19_EEDaS14_S15_EUlS14_E_NS1_11comp_targetILNS1_3genE3ELNS1_11target_archE908ELNS1_3gpuE7ELNS1_3repE0EEENS1_30default_config_static_selectorELNS0_4arch9wavefront6targetE0EEEvT1_.num_named_barrier, 0
	.set _ZN7rocprim17ROCPRIM_400000_NS6detail17trampoline_kernelINS0_14default_configENS1_25partition_config_selectorILNS1_17partition_subalgoE8EN3c108BFloat16ENS0_10empty_typeEbEEZZNS1_14partition_implILS5_8ELb0ES3_jPKS7_PS8_PKS8_NS0_5tupleIJPS7_S8_EEENSG_IJSD_SD_EEENS0_18inequality_wrapperIN6hipcub16HIPCUB_304000_NS8EqualityEEEPlJS8_EEE10hipError_tPvRmT3_T4_T5_T6_T7_T9_mT8_P12ihipStream_tbDpT10_ENKUlT_T0_E_clISt17integral_constantIbLb1EES19_EEDaS14_S15_EUlS14_E_NS1_11comp_targetILNS1_3genE3ELNS1_11target_archE908ELNS1_3gpuE7ELNS1_3repE0EEENS1_30default_config_static_selectorELNS0_4arch9wavefront6targetE0EEEvT1_.private_seg_size, 0
	.set _ZN7rocprim17ROCPRIM_400000_NS6detail17trampoline_kernelINS0_14default_configENS1_25partition_config_selectorILNS1_17partition_subalgoE8EN3c108BFloat16ENS0_10empty_typeEbEEZZNS1_14partition_implILS5_8ELb0ES3_jPKS7_PS8_PKS8_NS0_5tupleIJPS7_S8_EEENSG_IJSD_SD_EEENS0_18inequality_wrapperIN6hipcub16HIPCUB_304000_NS8EqualityEEEPlJS8_EEE10hipError_tPvRmT3_T4_T5_T6_T7_T9_mT8_P12ihipStream_tbDpT10_ENKUlT_T0_E_clISt17integral_constantIbLb1EES19_EEDaS14_S15_EUlS14_E_NS1_11comp_targetILNS1_3genE3ELNS1_11target_archE908ELNS1_3gpuE7ELNS1_3repE0EEENS1_30default_config_static_selectorELNS0_4arch9wavefront6targetE0EEEvT1_.uses_vcc, 0
	.set _ZN7rocprim17ROCPRIM_400000_NS6detail17trampoline_kernelINS0_14default_configENS1_25partition_config_selectorILNS1_17partition_subalgoE8EN3c108BFloat16ENS0_10empty_typeEbEEZZNS1_14partition_implILS5_8ELb0ES3_jPKS7_PS8_PKS8_NS0_5tupleIJPS7_S8_EEENSG_IJSD_SD_EEENS0_18inequality_wrapperIN6hipcub16HIPCUB_304000_NS8EqualityEEEPlJS8_EEE10hipError_tPvRmT3_T4_T5_T6_T7_T9_mT8_P12ihipStream_tbDpT10_ENKUlT_T0_E_clISt17integral_constantIbLb1EES19_EEDaS14_S15_EUlS14_E_NS1_11comp_targetILNS1_3genE3ELNS1_11target_archE908ELNS1_3gpuE7ELNS1_3repE0EEENS1_30default_config_static_selectorELNS0_4arch9wavefront6targetE0EEEvT1_.uses_flat_scratch, 0
	.set _ZN7rocprim17ROCPRIM_400000_NS6detail17trampoline_kernelINS0_14default_configENS1_25partition_config_selectorILNS1_17partition_subalgoE8EN3c108BFloat16ENS0_10empty_typeEbEEZZNS1_14partition_implILS5_8ELb0ES3_jPKS7_PS8_PKS8_NS0_5tupleIJPS7_S8_EEENSG_IJSD_SD_EEENS0_18inequality_wrapperIN6hipcub16HIPCUB_304000_NS8EqualityEEEPlJS8_EEE10hipError_tPvRmT3_T4_T5_T6_T7_T9_mT8_P12ihipStream_tbDpT10_ENKUlT_T0_E_clISt17integral_constantIbLb1EES19_EEDaS14_S15_EUlS14_E_NS1_11comp_targetILNS1_3genE3ELNS1_11target_archE908ELNS1_3gpuE7ELNS1_3repE0EEENS1_30default_config_static_selectorELNS0_4arch9wavefront6targetE0EEEvT1_.has_dyn_sized_stack, 0
	.set _ZN7rocprim17ROCPRIM_400000_NS6detail17trampoline_kernelINS0_14default_configENS1_25partition_config_selectorILNS1_17partition_subalgoE8EN3c108BFloat16ENS0_10empty_typeEbEEZZNS1_14partition_implILS5_8ELb0ES3_jPKS7_PS8_PKS8_NS0_5tupleIJPS7_S8_EEENSG_IJSD_SD_EEENS0_18inequality_wrapperIN6hipcub16HIPCUB_304000_NS8EqualityEEEPlJS8_EEE10hipError_tPvRmT3_T4_T5_T6_T7_T9_mT8_P12ihipStream_tbDpT10_ENKUlT_T0_E_clISt17integral_constantIbLb1EES19_EEDaS14_S15_EUlS14_E_NS1_11comp_targetILNS1_3genE3ELNS1_11target_archE908ELNS1_3gpuE7ELNS1_3repE0EEENS1_30default_config_static_selectorELNS0_4arch9wavefront6targetE0EEEvT1_.has_recursion, 0
	.set _ZN7rocprim17ROCPRIM_400000_NS6detail17trampoline_kernelINS0_14default_configENS1_25partition_config_selectorILNS1_17partition_subalgoE8EN3c108BFloat16ENS0_10empty_typeEbEEZZNS1_14partition_implILS5_8ELb0ES3_jPKS7_PS8_PKS8_NS0_5tupleIJPS7_S8_EEENSG_IJSD_SD_EEENS0_18inequality_wrapperIN6hipcub16HIPCUB_304000_NS8EqualityEEEPlJS8_EEE10hipError_tPvRmT3_T4_T5_T6_T7_T9_mT8_P12ihipStream_tbDpT10_ENKUlT_T0_E_clISt17integral_constantIbLb1EES19_EEDaS14_S15_EUlS14_E_NS1_11comp_targetILNS1_3genE3ELNS1_11target_archE908ELNS1_3gpuE7ELNS1_3repE0EEENS1_30default_config_static_selectorELNS0_4arch9wavefront6targetE0EEEvT1_.has_indirect_call, 0
	.section	.AMDGPU.csdata,"",@progbits
; Kernel info:
; codeLenInByte = 0
; TotalNumSgprs: 0
; NumVgprs: 0
; ScratchSize: 0
; MemoryBound: 0
; FloatMode: 240
; IeeeMode: 1
; LDSByteSize: 0 bytes/workgroup (compile time only)
; SGPRBlocks: 0
; VGPRBlocks: 0
; NumSGPRsForWavesPerEU: 1
; NumVGPRsForWavesPerEU: 1
; NamedBarCnt: 0
; Occupancy: 16
; WaveLimiterHint : 0
; COMPUTE_PGM_RSRC2:SCRATCH_EN: 0
; COMPUTE_PGM_RSRC2:USER_SGPR: 2
; COMPUTE_PGM_RSRC2:TRAP_HANDLER: 0
; COMPUTE_PGM_RSRC2:TGID_X_EN: 1
; COMPUTE_PGM_RSRC2:TGID_Y_EN: 0
; COMPUTE_PGM_RSRC2:TGID_Z_EN: 0
; COMPUTE_PGM_RSRC2:TIDIG_COMP_CNT: 0
	.section	.text._ZN7rocprim17ROCPRIM_400000_NS6detail17trampoline_kernelINS0_14default_configENS1_25partition_config_selectorILNS1_17partition_subalgoE8EN3c108BFloat16ENS0_10empty_typeEbEEZZNS1_14partition_implILS5_8ELb0ES3_jPKS7_PS8_PKS8_NS0_5tupleIJPS7_S8_EEENSG_IJSD_SD_EEENS0_18inequality_wrapperIN6hipcub16HIPCUB_304000_NS8EqualityEEEPlJS8_EEE10hipError_tPvRmT3_T4_T5_T6_T7_T9_mT8_P12ihipStream_tbDpT10_ENKUlT_T0_E_clISt17integral_constantIbLb1EES19_EEDaS14_S15_EUlS14_E_NS1_11comp_targetILNS1_3genE2ELNS1_11target_archE906ELNS1_3gpuE6ELNS1_3repE0EEENS1_30default_config_static_selectorELNS0_4arch9wavefront6targetE0EEEvT1_,"axG",@progbits,_ZN7rocprim17ROCPRIM_400000_NS6detail17trampoline_kernelINS0_14default_configENS1_25partition_config_selectorILNS1_17partition_subalgoE8EN3c108BFloat16ENS0_10empty_typeEbEEZZNS1_14partition_implILS5_8ELb0ES3_jPKS7_PS8_PKS8_NS0_5tupleIJPS7_S8_EEENSG_IJSD_SD_EEENS0_18inequality_wrapperIN6hipcub16HIPCUB_304000_NS8EqualityEEEPlJS8_EEE10hipError_tPvRmT3_T4_T5_T6_T7_T9_mT8_P12ihipStream_tbDpT10_ENKUlT_T0_E_clISt17integral_constantIbLb1EES19_EEDaS14_S15_EUlS14_E_NS1_11comp_targetILNS1_3genE2ELNS1_11target_archE906ELNS1_3gpuE6ELNS1_3repE0EEENS1_30default_config_static_selectorELNS0_4arch9wavefront6targetE0EEEvT1_,comdat
	.protected	_ZN7rocprim17ROCPRIM_400000_NS6detail17trampoline_kernelINS0_14default_configENS1_25partition_config_selectorILNS1_17partition_subalgoE8EN3c108BFloat16ENS0_10empty_typeEbEEZZNS1_14partition_implILS5_8ELb0ES3_jPKS7_PS8_PKS8_NS0_5tupleIJPS7_S8_EEENSG_IJSD_SD_EEENS0_18inequality_wrapperIN6hipcub16HIPCUB_304000_NS8EqualityEEEPlJS8_EEE10hipError_tPvRmT3_T4_T5_T6_T7_T9_mT8_P12ihipStream_tbDpT10_ENKUlT_T0_E_clISt17integral_constantIbLb1EES19_EEDaS14_S15_EUlS14_E_NS1_11comp_targetILNS1_3genE2ELNS1_11target_archE906ELNS1_3gpuE6ELNS1_3repE0EEENS1_30default_config_static_selectorELNS0_4arch9wavefront6targetE0EEEvT1_ ; -- Begin function _ZN7rocprim17ROCPRIM_400000_NS6detail17trampoline_kernelINS0_14default_configENS1_25partition_config_selectorILNS1_17partition_subalgoE8EN3c108BFloat16ENS0_10empty_typeEbEEZZNS1_14partition_implILS5_8ELb0ES3_jPKS7_PS8_PKS8_NS0_5tupleIJPS7_S8_EEENSG_IJSD_SD_EEENS0_18inequality_wrapperIN6hipcub16HIPCUB_304000_NS8EqualityEEEPlJS8_EEE10hipError_tPvRmT3_T4_T5_T6_T7_T9_mT8_P12ihipStream_tbDpT10_ENKUlT_T0_E_clISt17integral_constantIbLb1EES19_EEDaS14_S15_EUlS14_E_NS1_11comp_targetILNS1_3genE2ELNS1_11target_archE906ELNS1_3gpuE6ELNS1_3repE0EEENS1_30default_config_static_selectorELNS0_4arch9wavefront6targetE0EEEvT1_
	.globl	_ZN7rocprim17ROCPRIM_400000_NS6detail17trampoline_kernelINS0_14default_configENS1_25partition_config_selectorILNS1_17partition_subalgoE8EN3c108BFloat16ENS0_10empty_typeEbEEZZNS1_14partition_implILS5_8ELb0ES3_jPKS7_PS8_PKS8_NS0_5tupleIJPS7_S8_EEENSG_IJSD_SD_EEENS0_18inequality_wrapperIN6hipcub16HIPCUB_304000_NS8EqualityEEEPlJS8_EEE10hipError_tPvRmT3_T4_T5_T6_T7_T9_mT8_P12ihipStream_tbDpT10_ENKUlT_T0_E_clISt17integral_constantIbLb1EES19_EEDaS14_S15_EUlS14_E_NS1_11comp_targetILNS1_3genE2ELNS1_11target_archE906ELNS1_3gpuE6ELNS1_3repE0EEENS1_30default_config_static_selectorELNS0_4arch9wavefront6targetE0EEEvT1_
	.p2align	8
	.type	_ZN7rocprim17ROCPRIM_400000_NS6detail17trampoline_kernelINS0_14default_configENS1_25partition_config_selectorILNS1_17partition_subalgoE8EN3c108BFloat16ENS0_10empty_typeEbEEZZNS1_14partition_implILS5_8ELb0ES3_jPKS7_PS8_PKS8_NS0_5tupleIJPS7_S8_EEENSG_IJSD_SD_EEENS0_18inequality_wrapperIN6hipcub16HIPCUB_304000_NS8EqualityEEEPlJS8_EEE10hipError_tPvRmT3_T4_T5_T6_T7_T9_mT8_P12ihipStream_tbDpT10_ENKUlT_T0_E_clISt17integral_constantIbLb1EES19_EEDaS14_S15_EUlS14_E_NS1_11comp_targetILNS1_3genE2ELNS1_11target_archE906ELNS1_3gpuE6ELNS1_3repE0EEENS1_30default_config_static_selectorELNS0_4arch9wavefront6targetE0EEEvT1_,@function
_ZN7rocprim17ROCPRIM_400000_NS6detail17trampoline_kernelINS0_14default_configENS1_25partition_config_selectorILNS1_17partition_subalgoE8EN3c108BFloat16ENS0_10empty_typeEbEEZZNS1_14partition_implILS5_8ELb0ES3_jPKS7_PS8_PKS8_NS0_5tupleIJPS7_S8_EEENSG_IJSD_SD_EEENS0_18inequality_wrapperIN6hipcub16HIPCUB_304000_NS8EqualityEEEPlJS8_EEE10hipError_tPvRmT3_T4_T5_T6_T7_T9_mT8_P12ihipStream_tbDpT10_ENKUlT_T0_E_clISt17integral_constantIbLb1EES19_EEDaS14_S15_EUlS14_E_NS1_11comp_targetILNS1_3genE2ELNS1_11target_archE906ELNS1_3gpuE6ELNS1_3repE0EEENS1_30default_config_static_selectorELNS0_4arch9wavefront6targetE0EEEvT1_: ; @_ZN7rocprim17ROCPRIM_400000_NS6detail17trampoline_kernelINS0_14default_configENS1_25partition_config_selectorILNS1_17partition_subalgoE8EN3c108BFloat16ENS0_10empty_typeEbEEZZNS1_14partition_implILS5_8ELb0ES3_jPKS7_PS8_PKS8_NS0_5tupleIJPS7_S8_EEENSG_IJSD_SD_EEENS0_18inequality_wrapperIN6hipcub16HIPCUB_304000_NS8EqualityEEEPlJS8_EEE10hipError_tPvRmT3_T4_T5_T6_T7_T9_mT8_P12ihipStream_tbDpT10_ENKUlT_T0_E_clISt17integral_constantIbLb1EES19_EEDaS14_S15_EUlS14_E_NS1_11comp_targetILNS1_3genE2ELNS1_11target_archE906ELNS1_3gpuE6ELNS1_3repE0EEENS1_30default_config_static_selectorELNS0_4arch9wavefront6targetE0EEEvT1_
; %bb.0:
	.section	.rodata,"a",@progbits
	.p2align	6, 0x0
	.amdhsa_kernel _ZN7rocprim17ROCPRIM_400000_NS6detail17trampoline_kernelINS0_14default_configENS1_25partition_config_selectorILNS1_17partition_subalgoE8EN3c108BFloat16ENS0_10empty_typeEbEEZZNS1_14partition_implILS5_8ELb0ES3_jPKS7_PS8_PKS8_NS0_5tupleIJPS7_S8_EEENSG_IJSD_SD_EEENS0_18inequality_wrapperIN6hipcub16HIPCUB_304000_NS8EqualityEEEPlJS8_EEE10hipError_tPvRmT3_T4_T5_T6_T7_T9_mT8_P12ihipStream_tbDpT10_ENKUlT_T0_E_clISt17integral_constantIbLb1EES19_EEDaS14_S15_EUlS14_E_NS1_11comp_targetILNS1_3genE2ELNS1_11target_archE906ELNS1_3gpuE6ELNS1_3repE0EEENS1_30default_config_static_selectorELNS0_4arch9wavefront6targetE0EEEvT1_
		.amdhsa_group_segment_fixed_size 0
		.amdhsa_private_segment_fixed_size 0
		.amdhsa_kernarg_size 128
		.amdhsa_user_sgpr_count 2
		.amdhsa_user_sgpr_dispatch_ptr 0
		.amdhsa_user_sgpr_queue_ptr 0
		.amdhsa_user_sgpr_kernarg_segment_ptr 1
		.amdhsa_user_sgpr_dispatch_id 0
		.amdhsa_user_sgpr_kernarg_preload_length 0
		.amdhsa_user_sgpr_kernarg_preload_offset 0
		.amdhsa_user_sgpr_private_segment_size 0
		.amdhsa_wavefront_size32 1
		.amdhsa_uses_dynamic_stack 0
		.amdhsa_enable_private_segment 0
		.amdhsa_system_sgpr_workgroup_id_x 1
		.amdhsa_system_sgpr_workgroup_id_y 0
		.amdhsa_system_sgpr_workgroup_id_z 0
		.amdhsa_system_sgpr_workgroup_info 0
		.amdhsa_system_vgpr_workitem_id 0
		.amdhsa_next_free_vgpr 1
		.amdhsa_next_free_sgpr 1
		.amdhsa_named_barrier_count 0
		.amdhsa_reserve_vcc 0
		.amdhsa_float_round_mode_32 0
		.amdhsa_float_round_mode_16_64 0
		.amdhsa_float_denorm_mode_32 3
		.amdhsa_float_denorm_mode_16_64 3
		.amdhsa_fp16_overflow 0
		.amdhsa_memory_ordered 1
		.amdhsa_forward_progress 1
		.amdhsa_inst_pref_size 0
		.amdhsa_round_robin_scheduling 0
		.amdhsa_exception_fp_ieee_invalid_op 0
		.amdhsa_exception_fp_denorm_src 0
		.amdhsa_exception_fp_ieee_div_zero 0
		.amdhsa_exception_fp_ieee_overflow 0
		.amdhsa_exception_fp_ieee_underflow 0
		.amdhsa_exception_fp_ieee_inexact 0
		.amdhsa_exception_int_div_zero 0
	.end_amdhsa_kernel
	.section	.text._ZN7rocprim17ROCPRIM_400000_NS6detail17trampoline_kernelINS0_14default_configENS1_25partition_config_selectorILNS1_17partition_subalgoE8EN3c108BFloat16ENS0_10empty_typeEbEEZZNS1_14partition_implILS5_8ELb0ES3_jPKS7_PS8_PKS8_NS0_5tupleIJPS7_S8_EEENSG_IJSD_SD_EEENS0_18inequality_wrapperIN6hipcub16HIPCUB_304000_NS8EqualityEEEPlJS8_EEE10hipError_tPvRmT3_T4_T5_T6_T7_T9_mT8_P12ihipStream_tbDpT10_ENKUlT_T0_E_clISt17integral_constantIbLb1EES19_EEDaS14_S15_EUlS14_E_NS1_11comp_targetILNS1_3genE2ELNS1_11target_archE906ELNS1_3gpuE6ELNS1_3repE0EEENS1_30default_config_static_selectorELNS0_4arch9wavefront6targetE0EEEvT1_,"axG",@progbits,_ZN7rocprim17ROCPRIM_400000_NS6detail17trampoline_kernelINS0_14default_configENS1_25partition_config_selectorILNS1_17partition_subalgoE8EN3c108BFloat16ENS0_10empty_typeEbEEZZNS1_14partition_implILS5_8ELb0ES3_jPKS7_PS8_PKS8_NS0_5tupleIJPS7_S8_EEENSG_IJSD_SD_EEENS0_18inequality_wrapperIN6hipcub16HIPCUB_304000_NS8EqualityEEEPlJS8_EEE10hipError_tPvRmT3_T4_T5_T6_T7_T9_mT8_P12ihipStream_tbDpT10_ENKUlT_T0_E_clISt17integral_constantIbLb1EES19_EEDaS14_S15_EUlS14_E_NS1_11comp_targetILNS1_3genE2ELNS1_11target_archE906ELNS1_3gpuE6ELNS1_3repE0EEENS1_30default_config_static_selectorELNS0_4arch9wavefront6targetE0EEEvT1_,comdat
.Lfunc_end836:
	.size	_ZN7rocprim17ROCPRIM_400000_NS6detail17trampoline_kernelINS0_14default_configENS1_25partition_config_selectorILNS1_17partition_subalgoE8EN3c108BFloat16ENS0_10empty_typeEbEEZZNS1_14partition_implILS5_8ELb0ES3_jPKS7_PS8_PKS8_NS0_5tupleIJPS7_S8_EEENSG_IJSD_SD_EEENS0_18inequality_wrapperIN6hipcub16HIPCUB_304000_NS8EqualityEEEPlJS8_EEE10hipError_tPvRmT3_T4_T5_T6_T7_T9_mT8_P12ihipStream_tbDpT10_ENKUlT_T0_E_clISt17integral_constantIbLb1EES19_EEDaS14_S15_EUlS14_E_NS1_11comp_targetILNS1_3genE2ELNS1_11target_archE906ELNS1_3gpuE6ELNS1_3repE0EEENS1_30default_config_static_selectorELNS0_4arch9wavefront6targetE0EEEvT1_, .Lfunc_end836-_ZN7rocprim17ROCPRIM_400000_NS6detail17trampoline_kernelINS0_14default_configENS1_25partition_config_selectorILNS1_17partition_subalgoE8EN3c108BFloat16ENS0_10empty_typeEbEEZZNS1_14partition_implILS5_8ELb0ES3_jPKS7_PS8_PKS8_NS0_5tupleIJPS7_S8_EEENSG_IJSD_SD_EEENS0_18inequality_wrapperIN6hipcub16HIPCUB_304000_NS8EqualityEEEPlJS8_EEE10hipError_tPvRmT3_T4_T5_T6_T7_T9_mT8_P12ihipStream_tbDpT10_ENKUlT_T0_E_clISt17integral_constantIbLb1EES19_EEDaS14_S15_EUlS14_E_NS1_11comp_targetILNS1_3genE2ELNS1_11target_archE906ELNS1_3gpuE6ELNS1_3repE0EEENS1_30default_config_static_selectorELNS0_4arch9wavefront6targetE0EEEvT1_
                                        ; -- End function
	.set _ZN7rocprim17ROCPRIM_400000_NS6detail17trampoline_kernelINS0_14default_configENS1_25partition_config_selectorILNS1_17partition_subalgoE8EN3c108BFloat16ENS0_10empty_typeEbEEZZNS1_14partition_implILS5_8ELb0ES3_jPKS7_PS8_PKS8_NS0_5tupleIJPS7_S8_EEENSG_IJSD_SD_EEENS0_18inequality_wrapperIN6hipcub16HIPCUB_304000_NS8EqualityEEEPlJS8_EEE10hipError_tPvRmT3_T4_T5_T6_T7_T9_mT8_P12ihipStream_tbDpT10_ENKUlT_T0_E_clISt17integral_constantIbLb1EES19_EEDaS14_S15_EUlS14_E_NS1_11comp_targetILNS1_3genE2ELNS1_11target_archE906ELNS1_3gpuE6ELNS1_3repE0EEENS1_30default_config_static_selectorELNS0_4arch9wavefront6targetE0EEEvT1_.num_vgpr, 0
	.set _ZN7rocprim17ROCPRIM_400000_NS6detail17trampoline_kernelINS0_14default_configENS1_25partition_config_selectorILNS1_17partition_subalgoE8EN3c108BFloat16ENS0_10empty_typeEbEEZZNS1_14partition_implILS5_8ELb0ES3_jPKS7_PS8_PKS8_NS0_5tupleIJPS7_S8_EEENSG_IJSD_SD_EEENS0_18inequality_wrapperIN6hipcub16HIPCUB_304000_NS8EqualityEEEPlJS8_EEE10hipError_tPvRmT3_T4_T5_T6_T7_T9_mT8_P12ihipStream_tbDpT10_ENKUlT_T0_E_clISt17integral_constantIbLb1EES19_EEDaS14_S15_EUlS14_E_NS1_11comp_targetILNS1_3genE2ELNS1_11target_archE906ELNS1_3gpuE6ELNS1_3repE0EEENS1_30default_config_static_selectorELNS0_4arch9wavefront6targetE0EEEvT1_.num_agpr, 0
	.set _ZN7rocprim17ROCPRIM_400000_NS6detail17trampoline_kernelINS0_14default_configENS1_25partition_config_selectorILNS1_17partition_subalgoE8EN3c108BFloat16ENS0_10empty_typeEbEEZZNS1_14partition_implILS5_8ELb0ES3_jPKS7_PS8_PKS8_NS0_5tupleIJPS7_S8_EEENSG_IJSD_SD_EEENS0_18inequality_wrapperIN6hipcub16HIPCUB_304000_NS8EqualityEEEPlJS8_EEE10hipError_tPvRmT3_T4_T5_T6_T7_T9_mT8_P12ihipStream_tbDpT10_ENKUlT_T0_E_clISt17integral_constantIbLb1EES19_EEDaS14_S15_EUlS14_E_NS1_11comp_targetILNS1_3genE2ELNS1_11target_archE906ELNS1_3gpuE6ELNS1_3repE0EEENS1_30default_config_static_selectorELNS0_4arch9wavefront6targetE0EEEvT1_.numbered_sgpr, 0
	.set _ZN7rocprim17ROCPRIM_400000_NS6detail17trampoline_kernelINS0_14default_configENS1_25partition_config_selectorILNS1_17partition_subalgoE8EN3c108BFloat16ENS0_10empty_typeEbEEZZNS1_14partition_implILS5_8ELb0ES3_jPKS7_PS8_PKS8_NS0_5tupleIJPS7_S8_EEENSG_IJSD_SD_EEENS0_18inequality_wrapperIN6hipcub16HIPCUB_304000_NS8EqualityEEEPlJS8_EEE10hipError_tPvRmT3_T4_T5_T6_T7_T9_mT8_P12ihipStream_tbDpT10_ENKUlT_T0_E_clISt17integral_constantIbLb1EES19_EEDaS14_S15_EUlS14_E_NS1_11comp_targetILNS1_3genE2ELNS1_11target_archE906ELNS1_3gpuE6ELNS1_3repE0EEENS1_30default_config_static_selectorELNS0_4arch9wavefront6targetE0EEEvT1_.num_named_barrier, 0
	.set _ZN7rocprim17ROCPRIM_400000_NS6detail17trampoline_kernelINS0_14default_configENS1_25partition_config_selectorILNS1_17partition_subalgoE8EN3c108BFloat16ENS0_10empty_typeEbEEZZNS1_14partition_implILS5_8ELb0ES3_jPKS7_PS8_PKS8_NS0_5tupleIJPS7_S8_EEENSG_IJSD_SD_EEENS0_18inequality_wrapperIN6hipcub16HIPCUB_304000_NS8EqualityEEEPlJS8_EEE10hipError_tPvRmT3_T4_T5_T6_T7_T9_mT8_P12ihipStream_tbDpT10_ENKUlT_T0_E_clISt17integral_constantIbLb1EES19_EEDaS14_S15_EUlS14_E_NS1_11comp_targetILNS1_3genE2ELNS1_11target_archE906ELNS1_3gpuE6ELNS1_3repE0EEENS1_30default_config_static_selectorELNS0_4arch9wavefront6targetE0EEEvT1_.private_seg_size, 0
	.set _ZN7rocprim17ROCPRIM_400000_NS6detail17trampoline_kernelINS0_14default_configENS1_25partition_config_selectorILNS1_17partition_subalgoE8EN3c108BFloat16ENS0_10empty_typeEbEEZZNS1_14partition_implILS5_8ELb0ES3_jPKS7_PS8_PKS8_NS0_5tupleIJPS7_S8_EEENSG_IJSD_SD_EEENS0_18inequality_wrapperIN6hipcub16HIPCUB_304000_NS8EqualityEEEPlJS8_EEE10hipError_tPvRmT3_T4_T5_T6_T7_T9_mT8_P12ihipStream_tbDpT10_ENKUlT_T0_E_clISt17integral_constantIbLb1EES19_EEDaS14_S15_EUlS14_E_NS1_11comp_targetILNS1_3genE2ELNS1_11target_archE906ELNS1_3gpuE6ELNS1_3repE0EEENS1_30default_config_static_selectorELNS0_4arch9wavefront6targetE0EEEvT1_.uses_vcc, 0
	.set _ZN7rocprim17ROCPRIM_400000_NS6detail17trampoline_kernelINS0_14default_configENS1_25partition_config_selectorILNS1_17partition_subalgoE8EN3c108BFloat16ENS0_10empty_typeEbEEZZNS1_14partition_implILS5_8ELb0ES3_jPKS7_PS8_PKS8_NS0_5tupleIJPS7_S8_EEENSG_IJSD_SD_EEENS0_18inequality_wrapperIN6hipcub16HIPCUB_304000_NS8EqualityEEEPlJS8_EEE10hipError_tPvRmT3_T4_T5_T6_T7_T9_mT8_P12ihipStream_tbDpT10_ENKUlT_T0_E_clISt17integral_constantIbLb1EES19_EEDaS14_S15_EUlS14_E_NS1_11comp_targetILNS1_3genE2ELNS1_11target_archE906ELNS1_3gpuE6ELNS1_3repE0EEENS1_30default_config_static_selectorELNS0_4arch9wavefront6targetE0EEEvT1_.uses_flat_scratch, 0
	.set _ZN7rocprim17ROCPRIM_400000_NS6detail17trampoline_kernelINS0_14default_configENS1_25partition_config_selectorILNS1_17partition_subalgoE8EN3c108BFloat16ENS0_10empty_typeEbEEZZNS1_14partition_implILS5_8ELb0ES3_jPKS7_PS8_PKS8_NS0_5tupleIJPS7_S8_EEENSG_IJSD_SD_EEENS0_18inequality_wrapperIN6hipcub16HIPCUB_304000_NS8EqualityEEEPlJS8_EEE10hipError_tPvRmT3_T4_T5_T6_T7_T9_mT8_P12ihipStream_tbDpT10_ENKUlT_T0_E_clISt17integral_constantIbLb1EES19_EEDaS14_S15_EUlS14_E_NS1_11comp_targetILNS1_3genE2ELNS1_11target_archE906ELNS1_3gpuE6ELNS1_3repE0EEENS1_30default_config_static_selectorELNS0_4arch9wavefront6targetE0EEEvT1_.has_dyn_sized_stack, 0
	.set _ZN7rocprim17ROCPRIM_400000_NS6detail17trampoline_kernelINS0_14default_configENS1_25partition_config_selectorILNS1_17partition_subalgoE8EN3c108BFloat16ENS0_10empty_typeEbEEZZNS1_14partition_implILS5_8ELb0ES3_jPKS7_PS8_PKS8_NS0_5tupleIJPS7_S8_EEENSG_IJSD_SD_EEENS0_18inequality_wrapperIN6hipcub16HIPCUB_304000_NS8EqualityEEEPlJS8_EEE10hipError_tPvRmT3_T4_T5_T6_T7_T9_mT8_P12ihipStream_tbDpT10_ENKUlT_T0_E_clISt17integral_constantIbLb1EES19_EEDaS14_S15_EUlS14_E_NS1_11comp_targetILNS1_3genE2ELNS1_11target_archE906ELNS1_3gpuE6ELNS1_3repE0EEENS1_30default_config_static_selectorELNS0_4arch9wavefront6targetE0EEEvT1_.has_recursion, 0
	.set _ZN7rocprim17ROCPRIM_400000_NS6detail17trampoline_kernelINS0_14default_configENS1_25partition_config_selectorILNS1_17partition_subalgoE8EN3c108BFloat16ENS0_10empty_typeEbEEZZNS1_14partition_implILS5_8ELb0ES3_jPKS7_PS8_PKS8_NS0_5tupleIJPS7_S8_EEENSG_IJSD_SD_EEENS0_18inequality_wrapperIN6hipcub16HIPCUB_304000_NS8EqualityEEEPlJS8_EEE10hipError_tPvRmT3_T4_T5_T6_T7_T9_mT8_P12ihipStream_tbDpT10_ENKUlT_T0_E_clISt17integral_constantIbLb1EES19_EEDaS14_S15_EUlS14_E_NS1_11comp_targetILNS1_3genE2ELNS1_11target_archE906ELNS1_3gpuE6ELNS1_3repE0EEENS1_30default_config_static_selectorELNS0_4arch9wavefront6targetE0EEEvT1_.has_indirect_call, 0
	.section	.AMDGPU.csdata,"",@progbits
; Kernel info:
; codeLenInByte = 0
; TotalNumSgprs: 0
; NumVgprs: 0
; ScratchSize: 0
; MemoryBound: 0
; FloatMode: 240
; IeeeMode: 1
; LDSByteSize: 0 bytes/workgroup (compile time only)
; SGPRBlocks: 0
; VGPRBlocks: 0
; NumSGPRsForWavesPerEU: 1
; NumVGPRsForWavesPerEU: 1
; NamedBarCnt: 0
; Occupancy: 16
; WaveLimiterHint : 0
; COMPUTE_PGM_RSRC2:SCRATCH_EN: 0
; COMPUTE_PGM_RSRC2:USER_SGPR: 2
; COMPUTE_PGM_RSRC2:TRAP_HANDLER: 0
; COMPUTE_PGM_RSRC2:TGID_X_EN: 1
; COMPUTE_PGM_RSRC2:TGID_Y_EN: 0
; COMPUTE_PGM_RSRC2:TGID_Z_EN: 0
; COMPUTE_PGM_RSRC2:TIDIG_COMP_CNT: 0
	.section	.text._ZN7rocprim17ROCPRIM_400000_NS6detail17trampoline_kernelINS0_14default_configENS1_25partition_config_selectorILNS1_17partition_subalgoE8EN3c108BFloat16ENS0_10empty_typeEbEEZZNS1_14partition_implILS5_8ELb0ES3_jPKS7_PS8_PKS8_NS0_5tupleIJPS7_S8_EEENSG_IJSD_SD_EEENS0_18inequality_wrapperIN6hipcub16HIPCUB_304000_NS8EqualityEEEPlJS8_EEE10hipError_tPvRmT3_T4_T5_T6_T7_T9_mT8_P12ihipStream_tbDpT10_ENKUlT_T0_E_clISt17integral_constantIbLb1EES19_EEDaS14_S15_EUlS14_E_NS1_11comp_targetILNS1_3genE10ELNS1_11target_archE1200ELNS1_3gpuE4ELNS1_3repE0EEENS1_30default_config_static_selectorELNS0_4arch9wavefront6targetE0EEEvT1_,"axG",@progbits,_ZN7rocprim17ROCPRIM_400000_NS6detail17trampoline_kernelINS0_14default_configENS1_25partition_config_selectorILNS1_17partition_subalgoE8EN3c108BFloat16ENS0_10empty_typeEbEEZZNS1_14partition_implILS5_8ELb0ES3_jPKS7_PS8_PKS8_NS0_5tupleIJPS7_S8_EEENSG_IJSD_SD_EEENS0_18inequality_wrapperIN6hipcub16HIPCUB_304000_NS8EqualityEEEPlJS8_EEE10hipError_tPvRmT3_T4_T5_T6_T7_T9_mT8_P12ihipStream_tbDpT10_ENKUlT_T0_E_clISt17integral_constantIbLb1EES19_EEDaS14_S15_EUlS14_E_NS1_11comp_targetILNS1_3genE10ELNS1_11target_archE1200ELNS1_3gpuE4ELNS1_3repE0EEENS1_30default_config_static_selectorELNS0_4arch9wavefront6targetE0EEEvT1_,comdat
	.protected	_ZN7rocprim17ROCPRIM_400000_NS6detail17trampoline_kernelINS0_14default_configENS1_25partition_config_selectorILNS1_17partition_subalgoE8EN3c108BFloat16ENS0_10empty_typeEbEEZZNS1_14partition_implILS5_8ELb0ES3_jPKS7_PS8_PKS8_NS0_5tupleIJPS7_S8_EEENSG_IJSD_SD_EEENS0_18inequality_wrapperIN6hipcub16HIPCUB_304000_NS8EqualityEEEPlJS8_EEE10hipError_tPvRmT3_T4_T5_T6_T7_T9_mT8_P12ihipStream_tbDpT10_ENKUlT_T0_E_clISt17integral_constantIbLb1EES19_EEDaS14_S15_EUlS14_E_NS1_11comp_targetILNS1_3genE10ELNS1_11target_archE1200ELNS1_3gpuE4ELNS1_3repE0EEENS1_30default_config_static_selectorELNS0_4arch9wavefront6targetE0EEEvT1_ ; -- Begin function _ZN7rocprim17ROCPRIM_400000_NS6detail17trampoline_kernelINS0_14default_configENS1_25partition_config_selectorILNS1_17partition_subalgoE8EN3c108BFloat16ENS0_10empty_typeEbEEZZNS1_14partition_implILS5_8ELb0ES3_jPKS7_PS8_PKS8_NS0_5tupleIJPS7_S8_EEENSG_IJSD_SD_EEENS0_18inequality_wrapperIN6hipcub16HIPCUB_304000_NS8EqualityEEEPlJS8_EEE10hipError_tPvRmT3_T4_T5_T6_T7_T9_mT8_P12ihipStream_tbDpT10_ENKUlT_T0_E_clISt17integral_constantIbLb1EES19_EEDaS14_S15_EUlS14_E_NS1_11comp_targetILNS1_3genE10ELNS1_11target_archE1200ELNS1_3gpuE4ELNS1_3repE0EEENS1_30default_config_static_selectorELNS0_4arch9wavefront6targetE0EEEvT1_
	.globl	_ZN7rocprim17ROCPRIM_400000_NS6detail17trampoline_kernelINS0_14default_configENS1_25partition_config_selectorILNS1_17partition_subalgoE8EN3c108BFloat16ENS0_10empty_typeEbEEZZNS1_14partition_implILS5_8ELb0ES3_jPKS7_PS8_PKS8_NS0_5tupleIJPS7_S8_EEENSG_IJSD_SD_EEENS0_18inequality_wrapperIN6hipcub16HIPCUB_304000_NS8EqualityEEEPlJS8_EEE10hipError_tPvRmT3_T4_T5_T6_T7_T9_mT8_P12ihipStream_tbDpT10_ENKUlT_T0_E_clISt17integral_constantIbLb1EES19_EEDaS14_S15_EUlS14_E_NS1_11comp_targetILNS1_3genE10ELNS1_11target_archE1200ELNS1_3gpuE4ELNS1_3repE0EEENS1_30default_config_static_selectorELNS0_4arch9wavefront6targetE0EEEvT1_
	.p2align	8
	.type	_ZN7rocprim17ROCPRIM_400000_NS6detail17trampoline_kernelINS0_14default_configENS1_25partition_config_selectorILNS1_17partition_subalgoE8EN3c108BFloat16ENS0_10empty_typeEbEEZZNS1_14partition_implILS5_8ELb0ES3_jPKS7_PS8_PKS8_NS0_5tupleIJPS7_S8_EEENSG_IJSD_SD_EEENS0_18inequality_wrapperIN6hipcub16HIPCUB_304000_NS8EqualityEEEPlJS8_EEE10hipError_tPvRmT3_T4_T5_T6_T7_T9_mT8_P12ihipStream_tbDpT10_ENKUlT_T0_E_clISt17integral_constantIbLb1EES19_EEDaS14_S15_EUlS14_E_NS1_11comp_targetILNS1_3genE10ELNS1_11target_archE1200ELNS1_3gpuE4ELNS1_3repE0EEENS1_30default_config_static_selectorELNS0_4arch9wavefront6targetE0EEEvT1_,@function
_ZN7rocprim17ROCPRIM_400000_NS6detail17trampoline_kernelINS0_14default_configENS1_25partition_config_selectorILNS1_17partition_subalgoE8EN3c108BFloat16ENS0_10empty_typeEbEEZZNS1_14partition_implILS5_8ELb0ES3_jPKS7_PS8_PKS8_NS0_5tupleIJPS7_S8_EEENSG_IJSD_SD_EEENS0_18inequality_wrapperIN6hipcub16HIPCUB_304000_NS8EqualityEEEPlJS8_EEE10hipError_tPvRmT3_T4_T5_T6_T7_T9_mT8_P12ihipStream_tbDpT10_ENKUlT_T0_E_clISt17integral_constantIbLb1EES19_EEDaS14_S15_EUlS14_E_NS1_11comp_targetILNS1_3genE10ELNS1_11target_archE1200ELNS1_3gpuE4ELNS1_3repE0EEENS1_30default_config_static_selectorELNS0_4arch9wavefront6targetE0EEEvT1_: ; @_ZN7rocprim17ROCPRIM_400000_NS6detail17trampoline_kernelINS0_14default_configENS1_25partition_config_selectorILNS1_17partition_subalgoE8EN3c108BFloat16ENS0_10empty_typeEbEEZZNS1_14partition_implILS5_8ELb0ES3_jPKS7_PS8_PKS8_NS0_5tupleIJPS7_S8_EEENSG_IJSD_SD_EEENS0_18inequality_wrapperIN6hipcub16HIPCUB_304000_NS8EqualityEEEPlJS8_EEE10hipError_tPvRmT3_T4_T5_T6_T7_T9_mT8_P12ihipStream_tbDpT10_ENKUlT_T0_E_clISt17integral_constantIbLb1EES19_EEDaS14_S15_EUlS14_E_NS1_11comp_targetILNS1_3genE10ELNS1_11target_archE1200ELNS1_3gpuE4ELNS1_3repE0EEENS1_30default_config_static_selectorELNS0_4arch9wavefront6targetE0EEEvT1_
; %bb.0:
	.section	.rodata,"a",@progbits
	.p2align	6, 0x0
	.amdhsa_kernel _ZN7rocprim17ROCPRIM_400000_NS6detail17trampoline_kernelINS0_14default_configENS1_25partition_config_selectorILNS1_17partition_subalgoE8EN3c108BFloat16ENS0_10empty_typeEbEEZZNS1_14partition_implILS5_8ELb0ES3_jPKS7_PS8_PKS8_NS0_5tupleIJPS7_S8_EEENSG_IJSD_SD_EEENS0_18inequality_wrapperIN6hipcub16HIPCUB_304000_NS8EqualityEEEPlJS8_EEE10hipError_tPvRmT3_T4_T5_T6_T7_T9_mT8_P12ihipStream_tbDpT10_ENKUlT_T0_E_clISt17integral_constantIbLb1EES19_EEDaS14_S15_EUlS14_E_NS1_11comp_targetILNS1_3genE10ELNS1_11target_archE1200ELNS1_3gpuE4ELNS1_3repE0EEENS1_30default_config_static_selectorELNS0_4arch9wavefront6targetE0EEEvT1_
		.amdhsa_group_segment_fixed_size 0
		.amdhsa_private_segment_fixed_size 0
		.amdhsa_kernarg_size 128
		.amdhsa_user_sgpr_count 2
		.amdhsa_user_sgpr_dispatch_ptr 0
		.amdhsa_user_sgpr_queue_ptr 0
		.amdhsa_user_sgpr_kernarg_segment_ptr 1
		.amdhsa_user_sgpr_dispatch_id 0
		.amdhsa_user_sgpr_kernarg_preload_length 0
		.amdhsa_user_sgpr_kernarg_preload_offset 0
		.amdhsa_user_sgpr_private_segment_size 0
		.amdhsa_wavefront_size32 1
		.amdhsa_uses_dynamic_stack 0
		.amdhsa_enable_private_segment 0
		.amdhsa_system_sgpr_workgroup_id_x 1
		.amdhsa_system_sgpr_workgroup_id_y 0
		.amdhsa_system_sgpr_workgroup_id_z 0
		.amdhsa_system_sgpr_workgroup_info 0
		.amdhsa_system_vgpr_workitem_id 0
		.amdhsa_next_free_vgpr 1
		.amdhsa_next_free_sgpr 1
		.amdhsa_named_barrier_count 0
		.amdhsa_reserve_vcc 0
		.amdhsa_float_round_mode_32 0
		.amdhsa_float_round_mode_16_64 0
		.amdhsa_float_denorm_mode_32 3
		.amdhsa_float_denorm_mode_16_64 3
		.amdhsa_fp16_overflow 0
		.amdhsa_memory_ordered 1
		.amdhsa_forward_progress 1
		.amdhsa_inst_pref_size 0
		.amdhsa_round_robin_scheduling 0
		.amdhsa_exception_fp_ieee_invalid_op 0
		.amdhsa_exception_fp_denorm_src 0
		.amdhsa_exception_fp_ieee_div_zero 0
		.amdhsa_exception_fp_ieee_overflow 0
		.amdhsa_exception_fp_ieee_underflow 0
		.amdhsa_exception_fp_ieee_inexact 0
		.amdhsa_exception_int_div_zero 0
	.end_amdhsa_kernel
	.section	.text._ZN7rocprim17ROCPRIM_400000_NS6detail17trampoline_kernelINS0_14default_configENS1_25partition_config_selectorILNS1_17partition_subalgoE8EN3c108BFloat16ENS0_10empty_typeEbEEZZNS1_14partition_implILS5_8ELb0ES3_jPKS7_PS8_PKS8_NS0_5tupleIJPS7_S8_EEENSG_IJSD_SD_EEENS0_18inequality_wrapperIN6hipcub16HIPCUB_304000_NS8EqualityEEEPlJS8_EEE10hipError_tPvRmT3_T4_T5_T6_T7_T9_mT8_P12ihipStream_tbDpT10_ENKUlT_T0_E_clISt17integral_constantIbLb1EES19_EEDaS14_S15_EUlS14_E_NS1_11comp_targetILNS1_3genE10ELNS1_11target_archE1200ELNS1_3gpuE4ELNS1_3repE0EEENS1_30default_config_static_selectorELNS0_4arch9wavefront6targetE0EEEvT1_,"axG",@progbits,_ZN7rocprim17ROCPRIM_400000_NS6detail17trampoline_kernelINS0_14default_configENS1_25partition_config_selectorILNS1_17partition_subalgoE8EN3c108BFloat16ENS0_10empty_typeEbEEZZNS1_14partition_implILS5_8ELb0ES3_jPKS7_PS8_PKS8_NS0_5tupleIJPS7_S8_EEENSG_IJSD_SD_EEENS0_18inequality_wrapperIN6hipcub16HIPCUB_304000_NS8EqualityEEEPlJS8_EEE10hipError_tPvRmT3_T4_T5_T6_T7_T9_mT8_P12ihipStream_tbDpT10_ENKUlT_T0_E_clISt17integral_constantIbLb1EES19_EEDaS14_S15_EUlS14_E_NS1_11comp_targetILNS1_3genE10ELNS1_11target_archE1200ELNS1_3gpuE4ELNS1_3repE0EEENS1_30default_config_static_selectorELNS0_4arch9wavefront6targetE0EEEvT1_,comdat
.Lfunc_end837:
	.size	_ZN7rocprim17ROCPRIM_400000_NS6detail17trampoline_kernelINS0_14default_configENS1_25partition_config_selectorILNS1_17partition_subalgoE8EN3c108BFloat16ENS0_10empty_typeEbEEZZNS1_14partition_implILS5_8ELb0ES3_jPKS7_PS8_PKS8_NS0_5tupleIJPS7_S8_EEENSG_IJSD_SD_EEENS0_18inequality_wrapperIN6hipcub16HIPCUB_304000_NS8EqualityEEEPlJS8_EEE10hipError_tPvRmT3_T4_T5_T6_T7_T9_mT8_P12ihipStream_tbDpT10_ENKUlT_T0_E_clISt17integral_constantIbLb1EES19_EEDaS14_S15_EUlS14_E_NS1_11comp_targetILNS1_3genE10ELNS1_11target_archE1200ELNS1_3gpuE4ELNS1_3repE0EEENS1_30default_config_static_selectorELNS0_4arch9wavefront6targetE0EEEvT1_, .Lfunc_end837-_ZN7rocprim17ROCPRIM_400000_NS6detail17trampoline_kernelINS0_14default_configENS1_25partition_config_selectorILNS1_17partition_subalgoE8EN3c108BFloat16ENS0_10empty_typeEbEEZZNS1_14partition_implILS5_8ELb0ES3_jPKS7_PS8_PKS8_NS0_5tupleIJPS7_S8_EEENSG_IJSD_SD_EEENS0_18inequality_wrapperIN6hipcub16HIPCUB_304000_NS8EqualityEEEPlJS8_EEE10hipError_tPvRmT3_T4_T5_T6_T7_T9_mT8_P12ihipStream_tbDpT10_ENKUlT_T0_E_clISt17integral_constantIbLb1EES19_EEDaS14_S15_EUlS14_E_NS1_11comp_targetILNS1_3genE10ELNS1_11target_archE1200ELNS1_3gpuE4ELNS1_3repE0EEENS1_30default_config_static_selectorELNS0_4arch9wavefront6targetE0EEEvT1_
                                        ; -- End function
	.set _ZN7rocprim17ROCPRIM_400000_NS6detail17trampoline_kernelINS0_14default_configENS1_25partition_config_selectorILNS1_17partition_subalgoE8EN3c108BFloat16ENS0_10empty_typeEbEEZZNS1_14partition_implILS5_8ELb0ES3_jPKS7_PS8_PKS8_NS0_5tupleIJPS7_S8_EEENSG_IJSD_SD_EEENS0_18inequality_wrapperIN6hipcub16HIPCUB_304000_NS8EqualityEEEPlJS8_EEE10hipError_tPvRmT3_T4_T5_T6_T7_T9_mT8_P12ihipStream_tbDpT10_ENKUlT_T0_E_clISt17integral_constantIbLb1EES19_EEDaS14_S15_EUlS14_E_NS1_11comp_targetILNS1_3genE10ELNS1_11target_archE1200ELNS1_3gpuE4ELNS1_3repE0EEENS1_30default_config_static_selectorELNS0_4arch9wavefront6targetE0EEEvT1_.num_vgpr, 0
	.set _ZN7rocprim17ROCPRIM_400000_NS6detail17trampoline_kernelINS0_14default_configENS1_25partition_config_selectorILNS1_17partition_subalgoE8EN3c108BFloat16ENS0_10empty_typeEbEEZZNS1_14partition_implILS5_8ELb0ES3_jPKS7_PS8_PKS8_NS0_5tupleIJPS7_S8_EEENSG_IJSD_SD_EEENS0_18inequality_wrapperIN6hipcub16HIPCUB_304000_NS8EqualityEEEPlJS8_EEE10hipError_tPvRmT3_T4_T5_T6_T7_T9_mT8_P12ihipStream_tbDpT10_ENKUlT_T0_E_clISt17integral_constantIbLb1EES19_EEDaS14_S15_EUlS14_E_NS1_11comp_targetILNS1_3genE10ELNS1_11target_archE1200ELNS1_3gpuE4ELNS1_3repE0EEENS1_30default_config_static_selectorELNS0_4arch9wavefront6targetE0EEEvT1_.num_agpr, 0
	.set _ZN7rocprim17ROCPRIM_400000_NS6detail17trampoline_kernelINS0_14default_configENS1_25partition_config_selectorILNS1_17partition_subalgoE8EN3c108BFloat16ENS0_10empty_typeEbEEZZNS1_14partition_implILS5_8ELb0ES3_jPKS7_PS8_PKS8_NS0_5tupleIJPS7_S8_EEENSG_IJSD_SD_EEENS0_18inequality_wrapperIN6hipcub16HIPCUB_304000_NS8EqualityEEEPlJS8_EEE10hipError_tPvRmT3_T4_T5_T6_T7_T9_mT8_P12ihipStream_tbDpT10_ENKUlT_T0_E_clISt17integral_constantIbLb1EES19_EEDaS14_S15_EUlS14_E_NS1_11comp_targetILNS1_3genE10ELNS1_11target_archE1200ELNS1_3gpuE4ELNS1_3repE0EEENS1_30default_config_static_selectorELNS0_4arch9wavefront6targetE0EEEvT1_.numbered_sgpr, 0
	.set _ZN7rocprim17ROCPRIM_400000_NS6detail17trampoline_kernelINS0_14default_configENS1_25partition_config_selectorILNS1_17partition_subalgoE8EN3c108BFloat16ENS0_10empty_typeEbEEZZNS1_14partition_implILS5_8ELb0ES3_jPKS7_PS8_PKS8_NS0_5tupleIJPS7_S8_EEENSG_IJSD_SD_EEENS0_18inequality_wrapperIN6hipcub16HIPCUB_304000_NS8EqualityEEEPlJS8_EEE10hipError_tPvRmT3_T4_T5_T6_T7_T9_mT8_P12ihipStream_tbDpT10_ENKUlT_T0_E_clISt17integral_constantIbLb1EES19_EEDaS14_S15_EUlS14_E_NS1_11comp_targetILNS1_3genE10ELNS1_11target_archE1200ELNS1_3gpuE4ELNS1_3repE0EEENS1_30default_config_static_selectorELNS0_4arch9wavefront6targetE0EEEvT1_.num_named_barrier, 0
	.set _ZN7rocprim17ROCPRIM_400000_NS6detail17trampoline_kernelINS0_14default_configENS1_25partition_config_selectorILNS1_17partition_subalgoE8EN3c108BFloat16ENS0_10empty_typeEbEEZZNS1_14partition_implILS5_8ELb0ES3_jPKS7_PS8_PKS8_NS0_5tupleIJPS7_S8_EEENSG_IJSD_SD_EEENS0_18inequality_wrapperIN6hipcub16HIPCUB_304000_NS8EqualityEEEPlJS8_EEE10hipError_tPvRmT3_T4_T5_T6_T7_T9_mT8_P12ihipStream_tbDpT10_ENKUlT_T0_E_clISt17integral_constantIbLb1EES19_EEDaS14_S15_EUlS14_E_NS1_11comp_targetILNS1_3genE10ELNS1_11target_archE1200ELNS1_3gpuE4ELNS1_3repE0EEENS1_30default_config_static_selectorELNS0_4arch9wavefront6targetE0EEEvT1_.private_seg_size, 0
	.set _ZN7rocprim17ROCPRIM_400000_NS6detail17trampoline_kernelINS0_14default_configENS1_25partition_config_selectorILNS1_17partition_subalgoE8EN3c108BFloat16ENS0_10empty_typeEbEEZZNS1_14partition_implILS5_8ELb0ES3_jPKS7_PS8_PKS8_NS0_5tupleIJPS7_S8_EEENSG_IJSD_SD_EEENS0_18inequality_wrapperIN6hipcub16HIPCUB_304000_NS8EqualityEEEPlJS8_EEE10hipError_tPvRmT3_T4_T5_T6_T7_T9_mT8_P12ihipStream_tbDpT10_ENKUlT_T0_E_clISt17integral_constantIbLb1EES19_EEDaS14_S15_EUlS14_E_NS1_11comp_targetILNS1_3genE10ELNS1_11target_archE1200ELNS1_3gpuE4ELNS1_3repE0EEENS1_30default_config_static_selectorELNS0_4arch9wavefront6targetE0EEEvT1_.uses_vcc, 0
	.set _ZN7rocprim17ROCPRIM_400000_NS6detail17trampoline_kernelINS0_14default_configENS1_25partition_config_selectorILNS1_17partition_subalgoE8EN3c108BFloat16ENS0_10empty_typeEbEEZZNS1_14partition_implILS5_8ELb0ES3_jPKS7_PS8_PKS8_NS0_5tupleIJPS7_S8_EEENSG_IJSD_SD_EEENS0_18inequality_wrapperIN6hipcub16HIPCUB_304000_NS8EqualityEEEPlJS8_EEE10hipError_tPvRmT3_T4_T5_T6_T7_T9_mT8_P12ihipStream_tbDpT10_ENKUlT_T0_E_clISt17integral_constantIbLb1EES19_EEDaS14_S15_EUlS14_E_NS1_11comp_targetILNS1_3genE10ELNS1_11target_archE1200ELNS1_3gpuE4ELNS1_3repE0EEENS1_30default_config_static_selectorELNS0_4arch9wavefront6targetE0EEEvT1_.uses_flat_scratch, 0
	.set _ZN7rocprim17ROCPRIM_400000_NS6detail17trampoline_kernelINS0_14default_configENS1_25partition_config_selectorILNS1_17partition_subalgoE8EN3c108BFloat16ENS0_10empty_typeEbEEZZNS1_14partition_implILS5_8ELb0ES3_jPKS7_PS8_PKS8_NS0_5tupleIJPS7_S8_EEENSG_IJSD_SD_EEENS0_18inequality_wrapperIN6hipcub16HIPCUB_304000_NS8EqualityEEEPlJS8_EEE10hipError_tPvRmT3_T4_T5_T6_T7_T9_mT8_P12ihipStream_tbDpT10_ENKUlT_T0_E_clISt17integral_constantIbLb1EES19_EEDaS14_S15_EUlS14_E_NS1_11comp_targetILNS1_3genE10ELNS1_11target_archE1200ELNS1_3gpuE4ELNS1_3repE0EEENS1_30default_config_static_selectorELNS0_4arch9wavefront6targetE0EEEvT1_.has_dyn_sized_stack, 0
	.set _ZN7rocprim17ROCPRIM_400000_NS6detail17trampoline_kernelINS0_14default_configENS1_25partition_config_selectorILNS1_17partition_subalgoE8EN3c108BFloat16ENS0_10empty_typeEbEEZZNS1_14partition_implILS5_8ELb0ES3_jPKS7_PS8_PKS8_NS0_5tupleIJPS7_S8_EEENSG_IJSD_SD_EEENS0_18inequality_wrapperIN6hipcub16HIPCUB_304000_NS8EqualityEEEPlJS8_EEE10hipError_tPvRmT3_T4_T5_T6_T7_T9_mT8_P12ihipStream_tbDpT10_ENKUlT_T0_E_clISt17integral_constantIbLb1EES19_EEDaS14_S15_EUlS14_E_NS1_11comp_targetILNS1_3genE10ELNS1_11target_archE1200ELNS1_3gpuE4ELNS1_3repE0EEENS1_30default_config_static_selectorELNS0_4arch9wavefront6targetE0EEEvT1_.has_recursion, 0
	.set _ZN7rocprim17ROCPRIM_400000_NS6detail17trampoline_kernelINS0_14default_configENS1_25partition_config_selectorILNS1_17partition_subalgoE8EN3c108BFloat16ENS0_10empty_typeEbEEZZNS1_14partition_implILS5_8ELb0ES3_jPKS7_PS8_PKS8_NS0_5tupleIJPS7_S8_EEENSG_IJSD_SD_EEENS0_18inequality_wrapperIN6hipcub16HIPCUB_304000_NS8EqualityEEEPlJS8_EEE10hipError_tPvRmT3_T4_T5_T6_T7_T9_mT8_P12ihipStream_tbDpT10_ENKUlT_T0_E_clISt17integral_constantIbLb1EES19_EEDaS14_S15_EUlS14_E_NS1_11comp_targetILNS1_3genE10ELNS1_11target_archE1200ELNS1_3gpuE4ELNS1_3repE0EEENS1_30default_config_static_selectorELNS0_4arch9wavefront6targetE0EEEvT1_.has_indirect_call, 0
	.section	.AMDGPU.csdata,"",@progbits
; Kernel info:
; codeLenInByte = 0
; TotalNumSgprs: 0
; NumVgprs: 0
; ScratchSize: 0
; MemoryBound: 0
; FloatMode: 240
; IeeeMode: 1
; LDSByteSize: 0 bytes/workgroup (compile time only)
; SGPRBlocks: 0
; VGPRBlocks: 0
; NumSGPRsForWavesPerEU: 1
; NumVGPRsForWavesPerEU: 1
; NamedBarCnt: 0
; Occupancy: 16
; WaveLimiterHint : 0
; COMPUTE_PGM_RSRC2:SCRATCH_EN: 0
; COMPUTE_PGM_RSRC2:USER_SGPR: 2
; COMPUTE_PGM_RSRC2:TRAP_HANDLER: 0
; COMPUTE_PGM_RSRC2:TGID_X_EN: 1
; COMPUTE_PGM_RSRC2:TGID_Y_EN: 0
; COMPUTE_PGM_RSRC2:TGID_Z_EN: 0
; COMPUTE_PGM_RSRC2:TIDIG_COMP_CNT: 0
	.section	.text._ZN7rocprim17ROCPRIM_400000_NS6detail17trampoline_kernelINS0_14default_configENS1_25partition_config_selectorILNS1_17partition_subalgoE8EN3c108BFloat16ENS0_10empty_typeEbEEZZNS1_14partition_implILS5_8ELb0ES3_jPKS7_PS8_PKS8_NS0_5tupleIJPS7_S8_EEENSG_IJSD_SD_EEENS0_18inequality_wrapperIN6hipcub16HIPCUB_304000_NS8EqualityEEEPlJS8_EEE10hipError_tPvRmT3_T4_T5_T6_T7_T9_mT8_P12ihipStream_tbDpT10_ENKUlT_T0_E_clISt17integral_constantIbLb1EES19_EEDaS14_S15_EUlS14_E_NS1_11comp_targetILNS1_3genE9ELNS1_11target_archE1100ELNS1_3gpuE3ELNS1_3repE0EEENS1_30default_config_static_selectorELNS0_4arch9wavefront6targetE0EEEvT1_,"axG",@progbits,_ZN7rocprim17ROCPRIM_400000_NS6detail17trampoline_kernelINS0_14default_configENS1_25partition_config_selectorILNS1_17partition_subalgoE8EN3c108BFloat16ENS0_10empty_typeEbEEZZNS1_14partition_implILS5_8ELb0ES3_jPKS7_PS8_PKS8_NS0_5tupleIJPS7_S8_EEENSG_IJSD_SD_EEENS0_18inequality_wrapperIN6hipcub16HIPCUB_304000_NS8EqualityEEEPlJS8_EEE10hipError_tPvRmT3_T4_T5_T6_T7_T9_mT8_P12ihipStream_tbDpT10_ENKUlT_T0_E_clISt17integral_constantIbLb1EES19_EEDaS14_S15_EUlS14_E_NS1_11comp_targetILNS1_3genE9ELNS1_11target_archE1100ELNS1_3gpuE3ELNS1_3repE0EEENS1_30default_config_static_selectorELNS0_4arch9wavefront6targetE0EEEvT1_,comdat
	.protected	_ZN7rocprim17ROCPRIM_400000_NS6detail17trampoline_kernelINS0_14default_configENS1_25partition_config_selectorILNS1_17partition_subalgoE8EN3c108BFloat16ENS0_10empty_typeEbEEZZNS1_14partition_implILS5_8ELb0ES3_jPKS7_PS8_PKS8_NS0_5tupleIJPS7_S8_EEENSG_IJSD_SD_EEENS0_18inequality_wrapperIN6hipcub16HIPCUB_304000_NS8EqualityEEEPlJS8_EEE10hipError_tPvRmT3_T4_T5_T6_T7_T9_mT8_P12ihipStream_tbDpT10_ENKUlT_T0_E_clISt17integral_constantIbLb1EES19_EEDaS14_S15_EUlS14_E_NS1_11comp_targetILNS1_3genE9ELNS1_11target_archE1100ELNS1_3gpuE3ELNS1_3repE0EEENS1_30default_config_static_selectorELNS0_4arch9wavefront6targetE0EEEvT1_ ; -- Begin function _ZN7rocprim17ROCPRIM_400000_NS6detail17trampoline_kernelINS0_14default_configENS1_25partition_config_selectorILNS1_17partition_subalgoE8EN3c108BFloat16ENS0_10empty_typeEbEEZZNS1_14partition_implILS5_8ELb0ES3_jPKS7_PS8_PKS8_NS0_5tupleIJPS7_S8_EEENSG_IJSD_SD_EEENS0_18inequality_wrapperIN6hipcub16HIPCUB_304000_NS8EqualityEEEPlJS8_EEE10hipError_tPvRmT3_T4_T5_T6_T7_T9_mT8_P12ihipStream_tbDpT10_ENKUlT_T0_E_clISt17integral_constantIbLb1EES19_EEDaS14_S15_EUlS14_E_NS1_11comp_targetILNS1_3genE9ELNS1_11target_archE1100ELNS1_3gpuE3ELNS1_3repE0EEENS1_30default_config_static_selectorELNS0_4arch9wavefront6targetE0EEEvT1_
	.globl	_ZN7rocprim17ROCPRIM_400000_NS6detail17trampoline_kernelINS0_14default_configENS1_25partition_config_selectorILNS1_17partition_subalgoE8EN3c108BFloat16ENS0_10empty_typeEbEEZZNS1_14partition_implILS5_8ELb0ES3_jPKS7_PS8_PKS8_NS0_5tupleIJPS7_S8_EEENSG_IJSD_SD_EEENS0_18inequality_wrapperIN6hipcub16HIPCUB_304000_NS8EqualityEEEPlJS8_EEE10hipError_tPvRmT3_T4_T5_T6_T7_T9_mT8_P12ihipStream_tbDpT10_ENKUlT_T0_E_clISt17integral_constantIbLb1EES19_EEDaS14_S15_EUlS14_E_NS1_11comp_targetILNS1_3genE9ELNS1_11target_archE1100ELNS1_3gpuE3ELNS1_3repE0EEENS1_30default_config_static_selectorELNS0_4arch9wavefront6targetE0EEEvT1_
	.p2align	8
	.type	_ZN7rocprim17ROCPRIM_400000_NS6detail17trampoline_kernelINS0_14default_configENS1_25partition_config_selectorILNS1_17partition_subalgoE8EN3c108BFloat16ENS0_10empty_typeEbEEZZNS1_14partition_implILS5_8ELb0ES3_jPKS7_PS8_PKS8_NS0_5tupleIJPS7_S8_EEENSG_IJSD_SD_EEENS0_18inequality_wrapperIN6hipcub16HIPCUB_304000_NS8EqualityEEEPlJS8_EEE10hipError_tPvRmT3_T4_T5_T6_T7_T9_mT8_P12ihipStream_tbDpT10_ENKUlT_T0_E_clISt17integral_constantIbLb1EES19_EEDaS14_S15_EUlS14_E_NS1_11comp_targetILNS1_3genE9ELNS1_11target_archE1100ELNS1_3gpuE3ELNS1_3repE0EEENS1_30default_config_static_selectorELNS0_4arch9wavefront6targetE0EEEvT1_,@function
_ZN7rocprim17ROCPRIM_400000_NS6detail17trampoline_kernelINS0_14default_configENS1_25partition_config_selectorILNS1_17partition_subalgoE8EN3c108BFloat16ENS0_10empty_typeEbEEZZNS1_14partition_implILS5_8ELb0ES3_jPKS7_PS8_PKS8_NS0_5tupleIJPS7_S8_EEENSG_IJSD_SD_EEENS0_18inequality_wrapperIN6hipcub16HIPCUB_304000_NS8EqualityEEEPlJS8_EEE10hipError_tPvRmT3_T4_T5_T6_T7_T9_mT8_P12ihipStream_tbDpT10_ENKUlT_T0_E_clISt17integral_constantIbLb1EES19_EEDaS14_S15_EUlS14_E_NS1_11comp_targetILNS1_3genE9ELNS1_11target_archE1100ELNS1_3gpuE3ELNS1_3repE0EEENS1_30default_config_static_selectorELNS0_4arch9wavefront6targetE0EEEvT1_: ; @_ZN7rocprim17ROCPRIM_400000_NS6detail17trampoline_kernelINS0_14default_configENS1_25partition_config_selectorILNS1_17partition_subalgoE8EN3c108BFloat16ENS0_10empty_typeEbEEZZNS1_14partition_implILS5_8ELb0ES3_jPKS7_PS8_PKS8_NS0_5tupleIJPS7_S8_EEENSG_IJSD_SD_EEENS0_18inequality_wrapperIN6hipcub16HIPCUB_304000_NS8EqualityEEEPlJS8_EEE10hipError_tPvRmT3_T4_T5_T6_T7_T9_mT8_P12ihipStream_tbDpT10_ENKUlT_T0_E_clISt17integral_constantIbLb1EES19_EEDaS14_S15_EUlS14_E_NS1_11comp_targetILNS1_3genE9ELNS1_11target_archE1100ELNS1_3gpuE3ELNS1_3repE0EEENS1_30default_config_static_selectorELNS0_4arch9wavefront6targetE0EEEvT1_
; %bb.0:
	.section	.rodata,"a",@progbits
	.p2align	6, 0x0
	.amdhsa_kernel _ZN7rocprim17ROCPRIM_400000_NS6detail17trampoline_kernelINS0_14default_configENS1_25partition_config_selectorILNS1_17partition_subalgoE8EN3c108BFloat16ENS0_10empty_typeEbEEZZNS1_14partition_implILS5_8ELb0ES3_jPKS7_PS8_PKS8_NS0_5tupleIJPS7_S8_EEENSG_IJSD_SD_EEENS0_18inequality_wrapperIN6hipcub16HIPCUB_304000_NS8EqualityEEEPlJS8_EEE10hipError_tPvRmT3_T4_T5_T6_T7_T9_mT8_P12ihipStream_tbDpT10_ENKUlT_T0_E_clISt17integral_constantIbLb1EES19_EEDaS14_S15_EUlS14_E_NS1_11comp_targetILNS1_3genE9ELNS1_11target_archE1100ELNS1_3gpuE3ELNS1_3repE0EEENS1_30default_config_static_selectorELNS0_4arch9wavefront6targetE0EEEvT1_
		.amdhsa_group_segment_fixed_size 0
		.amdhsa_private_segment_fixed_size 0
		.amdhsa_kernarg_size 128
		.amdhsa_user_sgpr_count 2
		.amdhsa_user_sgpr_dispatch_ptr 0
		.amdhsa_user_sgpr_queue_ptr 0
		.amdhsa_user_sgpr_kernarg_segment_ptr 1
		.amdhsa_user_sgpr_dispatch_id 0
		.amdhsa_user_sgpr_kernarg_preload_length 0
		.amdhsa_user_sgpr_kernarg_preload_offset 0
		.amdhsa_user_sgpr_private_segment_size 0
		.amdhsa_wavefront_size32 1
		.amdhsa_uses_dynamic_stack 0
		.amdhsa_enable_private_segment 0
		.amdhsa_system_sgpr_workgroup_id_x 1
		.amdhsa_system_sgpr_workgroup_id_y 0
		.amdhsa_system_sgpr_workgroup_id_z 0
		.amdhsa_system_sgpr_workgroup_info 0
		.amdhsa_system_vgpr_workitem_id 0
		.amdhsa_next_free_vgpr 1
		.amdhsa_next_free_sgpr 1
		.amdhsa_named_barrier_count 0
		.amdhsa_reserve_vcc 0
		.amdhsa_float_round_mode_32 0
		.amdhsa_float_round_mode_16_64 0
		.amdhsa_float_denorm_mode_32 3
		.amdhsa_float_denorm_mode_16_64 3
		.amdhsa_fp16_overflow 0
		.amdhsa_memory_ordered 1
		.amdhsa_forward_progress 1
		.amdhsa_inst_pref_size 0
		.amdhsa_round_robin_scheduling 0
		.amdhsa_exception_fp_ieee_invalid_op 0
		.amdhsa_exception_fp_denorm_src 0
		.amdhsa_exception_fp_ieee_div_zero 0
		.amdhsa_exception_fp_ieee_overflow 0
		.amdhsa_exception_fp_ieee_underflow 0
		.amdhsa_exception_fp_ieee_inexact 0
		.amdhsa_exception_int_div_zero 0
	.end_amdhsa_kernel
	.section	.text._ZN7rocprim17ROCPRIM_400000_NS6detail17trampoline_kernelINS0_14default_configENS1_25partition_config_selectorILNS1_17partition_subalgoE8EN3c108BFloat16ENS0_10empty_typeEbEEZZNS1_14partition_implILS5_8ELb0ES3_jPKS7_PS8_PKS8_NS0_5tupleIJPS7_S8_EEENSG_IJSD_SD_EEENS0_18inequality_wrapperIN6hipcub16HIPCUB_304000_NS8EqualityEEEPlJS8_EEE10hipError_tPvRmT3_T4_T5_T6_T7_T9_mT8_P12ihipStream_tbDpT10_ENKUlT_T0_E_clISt17integral_constantIbLb1EES19_EEDaS14_S15_EUlS14_E_NS1_11comp_targetILNS1_3genE9ELNS1_11target_archE1100ELNS1_3gpuE3ELNS1_3repE0EEENS1_30default_config_static_selectorELNS0_4arch9wavefront6targetE0EEEvT1_,"axG",@progbits,_ZN7rocprim17ROCPRIM_400000_NS6detail17trampoline_kernelINS0_14default_configENS1_25partition_config_selectorILNS1_17partition_subalgoE8EN3c108BFloat16ENS0_10empty_typeEbEEZZNS1_14partition_implILS5_8ELb0ES3_jPKS7_PS8_PKS8_NS0_5tupleIJPS7_S8_EEENSG_IJSD_SD_EEENS0_18inequality_wrapperIN6hipcub16HIPCUB_304000_NS8EqualityEEEPlJS8_EEE10hipError_tPvRmT3_T4_T5_T6_T7_T9_mT8_P12ihipStream_tbDpT10_ENKUlT_T0_E_clISt17integral_constantIbLb1EES19_EEDaS14_S15_EUlS14_E_NS1_11comp_targetILNS1_3genE9ELNS1_11target_archE1100ELNS1_3gpuE3ELNS1_3repE0EEENS1_30default_config_static_selectorELNS0_4arch9wavefront6targetE0EEEvT1_,comdat
.Lfunc_end838:
	.size	_ZN7rocprim17ROCPRIM_400000_NS6detail17trampoline_kernelINS0_14default_configENS1_25partition_config_selectorILNS1_17partition_subalgoE8EN3c108BFloat16ENS0_10empty_typeEbEEZZNS1_14partition_implILS5_8ELb0ES3_jPKS7_PS8_PKS8_NS0_5tupleIJPS7_S8_EEENSG_IJSD_SD_EEENS0_18inequality_wrapperIN6hipcub16HIPCUB_304000_NS8EqualityEEEPlJS8_EEE10hipError_tPvRmT3_T4_T5_T6_T7_T9_mT8_P12ihipStream_tbDpT10_ENKUlT_T0_E_clISt17integral_constantIbLb1EES19_EEDaS14_S15_EUlS14_E_NS1_11comp_targetILNS1_3genE9ELNS1_11target_archE1100ELNS1_3gpuE3ELNS1_3repE0EEENS1_30default_config_static_selectorELNS0_4arch9wavefront6targetE0EEEvT1_, .Lfunc_end838-_ZN7rocprim17ROCPRIM_400000_NS6detail17trampoline_kernelINS0_14default_configENS1_25partition_config_selectorILNS1_17partition_subalgoE8EN3c108BFloat16ENS0_10empty_typeEbEEZZNS1_14partition_implILS5_8ELb0ES3_jPKS7_PS8_PKS8_NS0_5tupleIJPS7_S8_EEENSG_IJSD_SD_EEENS0_18inequality_wrapperIN6hipcub16HIPCUB_304000_NS8EqualityEEEPlJS8_EEE10hipError_tPvRmT3_T4_T5_T6_T7_T9_mT8_P12ihipStream_tbDpT10_ENKUlT_T0_E_clISt17integral_constantIbLb1EES19_EEDaS14_S15_EUlS14_E_NS1_11comp_targetILNS1_3genE9ELNS1_11target_archE1100ELNS1_3gpuE3ELNS1_3repE0EEENS1_30default_config_static_selectorELNS0_4arch9wavefront6targetE0EEEvT1_
                                        ; -- End function
	.set _ZN7rocprim17ROCPRIM_400000_NS6detail17trampoline_kernelINS0_14default_configENS1_25partition_config_selectorILNS1_17partition_subalgoE8EN3c108BFloat16ENS0_10empty_typeEbEEZZNS1_14partition_implILS5_8ELb0ES3_jPKS7_PS8_PKS8_NS0_5tupleIJPS7_S8_EEENSG_IJSD_SD_EEENS0_18inequality_wrapperIN6hipcub16HIPCUB_304000_NS8EqualityEEEPlJS8_EEE10hipError_tPvRmT3_T4_T5_T6_T7_T9_mT8_P12ihipStream_tbDpT10_ENKUlT_T0_E_clISt17integral_constantIbLb1EES19_EEDaS14_S15_EUlS14_E_NS1_11comp_targetILNS1_3genE9ELNS1_11target_archE1100ELNS1_3gpuE3ELNS1_3repE0EEENS1_30default_config_static_selectorELNS0_4arch9wavefront6targetE0EEEvT1_.num_vgpr, 0
	.set _ZN7rocprim17ROCPRIM_400000_NS6detail17trampoline_kernelINS0_14default_configENS1_25partition_config_selectorILNS1_17partition_subalgoE8EN3c108BFloat16ENS0_10empty_typeEbEEZZNS1_14partition_implILS5_8ELb0ES3_jPKS7_PS8_PKS8_NS0_5tupleIJPS7_S8_EEENSG_IJSD_SD_EEENS0_18inequality_wrapperIN6hipcub16HIPCUB_304000_NS8EqualityEEEPlJS8_EEE10hipError_tPvRmT3_T4_T5_T6_T7_T9_mT8_P12ihipStream_tbDpT10_ENKUlT_T0_E_clISt17integral_constantIbLb1EES19_EEDaS14_S15_EUlS14_E_NS1_11comp_targetILNS1_3genE9ELNS1_11target_archE1100ELNS1_3gpuE3ELNS1_3repE0EEENS1_30default_config_static_selectorELNS0_4arch9wavefront6targetE0EEEvT1_.num_agpr, 0
	.set _ZN7rocprim17ROCPRIM_400000_NS6detail17trampoline_kernelINS0_14default_configENS1_25partition_config_selectorILNS1_17partition_subalgoE8EN3c108BFloat16ENS0_10empty_typeEbEEZZNS1_14partition_implILS5_8ELb0ES3_jPKS7_PS8_PKS8_NS0_5tupleIJPS7_S8_EEENSG_IJSD_SD_EEENS0_18inequality_wrapperIN6hipcub16HIPCUB_304000_NS8EqualityEEEPlJS8_EEE10hipError_tPvRmT3_T4_T5_T6_T7_T9_mT8_P12ihipStream_tbDpT10_ENKUlT_T0_E_clISt17integral_constantIbLb1EES19_EEDaS14_S15_EUlS14_E_NS1_11comp_targetILNS1_3genE9ELNS1_11target_archE1100ELNS1_3gpuE3ELNS1_3repE0EEENS1_30default_config_static_selectorELNS0_4arch9wavefront6targetE0EEEvT1_.numbered_sgpr, 0
	.set _ZN7rocprim17ROCPRIM_400000_NS6detail17trampoline_kernelINS0_14default_configENS1_25partition_config_selectorILNS1_17partition_subalgoE8EN3c108BFloat16ENS0_10empty_typeEbEEZZNS1_14partition_implILS5_8ELb0ES3_jPKS7_PS8_PKS8_NS0_5tupleIJPS7_S8_EEENSG_IJSD_SD_EEENS0_18inequality_wrapperIN6hipcub16HIPCUB_304000_NS8EqualityEEEPlJS8_EEE10hipError_tPvRmT3_T4_T5_T6_T7_T9_mT8_P12ihipStream_tbDpT10_ENKUlT_T0_E_clISt17integral_constantIbLb1EES19_EEDaS14_S15_EUlS14_E_NS1_11comp_targetILNS1_3genE9ELNS1_11target_archE1100ELNS1_3gpuE3ELNS1_3repE0EEENS1_30default_config_static_selectorELNS0_4arch9wavefront6targetE0EEEvT1_.num_named_barrier, 0
	.set _ZN7rocprim17ROCPRIM_400000_NS6detail17trampoline_kernelINS0_14default_configENS1_25partition_config_selectorILNS1_17partition_subalgoE8EN3c108BFloat16ENS0_10empty_typeEbEEZZNS1_14partition_implILS5_8ELb0ES3_jPKS7_PS8_PKS8_NS0_5tupleIJPS7_S8_EEENSG_IJSD_SD_EEENS0_18inequality_wrapperIN6hipcub16HIPCUB_304000_NS8EqualityEEEPlJS8_EEE10hipError_tPvRmT3_T4_T5_T6_T7_T9_mT8_P12ihipStream_tbDpT10_ENKUlT_T0_E_clISt17integral_constantIbLb1EES19_EEDaS14_S15_EUlS14_E_NS1_11comp_targetILNS1_3genE9ELNS1_11target_archE1100ELNS1_3gpuE3ELNS1_3repE0EEENS1_30default_config_static_selectorELNS0_4arch9wavefront6targetE0EEEvT1_.private_seg_size, 0
	.set _ZN7rocprim17ROCPRIM_400000_NS6detail17trampoline_kernelINS0_14default_configENS1_25partition_config_selectorILNS1_17partition_subalgoE8EN3c108BFloat16ENS0_10empty_typeEbEEZZNS1_14partition_implILS5_8ELb0ES3_jPKS7_PS8_PKS8_NS0_5tupleIJPS7_S8_EEENSG_IJSD_SD_EEENS0_18inequality_wrapperIN6hipcub16HIPCUB_304000_NS8EqualityEEEPlJS8_EEE10hipError_tPvRmT3_T4_T5_T6_T7_T9_mT8_P12ihipStream_tbDpT10_ENKUlT_T0_E_clISt17integral_constantIbLb1EES19_EEDaS14_S15_EUlS14_E_NS1_11comp_targetILNS1_3genE9ELNS1_11target_archE1100ELNS1_3gpuE3ELNS1_3repE0EEENS1_30default_config_static_selectorELNS0_4arch9wavefront6targetE0EEEvT1_.uses_vcc, 0
	.set _ZN7rocprim17ROCPRIM_400000_NS6detail17trampoline_kernelINS0_14default_configENS1_25partition_config_selectorILNS1_17partition_subalgoE8EN3c108BFloat16ENS0_10empty_typeEbEEZZNS1_14partition_implILS5_8ELb0ES3_jPKS7_PS8_PKS8_NS0_5tupleIJPS7_S8_EEENSG_IJSD_SD_EEENS0_18inequality_wrapperIN6hipcub16HIPCUB_304000_NS8EqualityEEEPlJS8_EEE10hipError_tPvRmT3_T4_T5_T6_T7_T9_mT8_P12ihipStream_tbDpT10_ENKUlT_T0_E_clISt17integral_constantIbLb1EES19_EEDaS14_S15_EUlS14_E_NS1_11comp_targetILNS1_3genE9ELNS1_11target_archE1100ELNS1_3gpuE3ELNS1_3repE0EEENS1_30default_config_static_selectorELNS0_4arch9wavefront6targetE0EEEvT1_.uses_flat_scratch, 0
	.set _ZN7rocprim17ROCPRIM_400000_NS6detail17trampoline_kernelINS0_14default_configENS1_25partition_config_selectorILNS1_17partition_subalgoE8EN3c108BFloat16ENS0_10empty_typeEbEEZZNS1_14partition_implILS5_8ELb0ES3_jPKS7_PS8_PKS8_NS0_5tupleIJPS7_S8_EEENSG_IJSD_SD_EEENS0_18inequality_wrapperIN6hipcub16HIPCUB_304000_NS8EqualityEEEPlJS8_EEE10hipError_tPvRmT3_T4_T5_T6_T7_T9_mT8_P12ihipStream_tbDpT10_ENKUlT_T0_E_clISt17integral_constantIbLb1EES19_EEDaS14_S15_EUlS14_E_NS1_11comp_targetILNS1_3genE9ELNS1_11target_archE1100ELNS1_3gpuE3ELNS1_3repE0EEENS1_30default_config_static_selectorELNS0_4arch9wavefront6targetE0EEEvT1_.has_dyn_sized_stack, 0
	.set _ZN7rocprim17ROCPRIM_400000_NS6detail17trampoline_kernelINS0_14default_configENS1_25partition_config_selectorILNS1_17partition_subalgoE8EN3c108BFloat16ENS0_10empty_typeEbEEZZNS1_14partition_implILS5_8ELb0ES3_jPKS7_PS8_PKS8_NS0_5tupleIJPS7_S8_EEENSG_IJSD_SD_EEENS0_18inequality_wrapperIN6hipcub16HIPCUB_304000_NS8EqualityEEEPlJS8_EEE10hipError_tPvRmT3_T4_T5_T6_T7_T9_mT8_P12ihipStream_tbDpT10_ENKUlT_T0_E_clISt17integral_constantIbLb1EES19_EEDaS14_S15_EUlS14_E_NS1_11comp_targetILNS1_3genE9ELNS1_11target_archE1100ELNS1_3gpuE3ELNS1_3repE0EEENS1_30default_config_static_selectorELNS0_4arch9wavefront6targetE0EEEvT1_.has_recursion, 0
	.set _ZN7rocprim17ROCPRIM_400000_NS6detail17trampoline_kernelINS0_14default_configENS1_25partition_config_selectorILNS1_17partition_subalgoE8EN3c108BFloat16ENS0_10empty_typeEbEEZZNS1_14partition_implILS5_8ELb0ES3_jPKS7_PS8_PKS8_NS0_5tupleIJPS7_S8_EEENSG_IJSD_SD_EEENS0_18inequality_wrapperIN6hipcub16HIPCUB_304000_NS8EqualityEEEPlJS8_EEE10hipError_tPvRmT3_T4_T5_T6_T7_T9_mT8_P12ihipStream_tbDpT10_ENKUlT_T0_E_clISt17integral_constantIbLb1EES19_EEDaS14_S15_EUlS14_E_NS1_11comp_targetILNS1_3genE9ELNS1_11target_archE1100ELNS1_3gpuE3ELNS1_3repE0EEENS1_30default_config_static_selectorELNS0_4arch9wavefront6targetE0EEEvT1_.has_indirect_call, 0
	.section	.AMDGPU.csdata,"",@progbits
; Kernel info:
; codeLenInByte = 0
; TotalNumSgprs: 0
; NumVgprs: 0
; ScratchSize: 0
; MemoryBound: 0
; FloatMode: 240
; IeeeMode: 1
; LDSByteSize: 0 bytes/workgroup (compile time only)
; SGPRBlocks: 0
; VGPRBlocks: 0
; NumSGPRsForWavesPerEU: 1
; NumVGPRsForWavesPerEU: 1
; NamedBarCnt: 0
; Occupancy: 16
; WaveLimiterHint : 0
; COMPUTE_PGM_RSRC2:SCRATCH_EN: 0
; COMPUTE_PGM_RSRC2:USER_SGPR: 2
; COMPUTE_PGM_RSRC2:TRAP_HANDLER: 0
; COMPUTE_PGM_RSRC2:TGID_X_EN: 1
; COMPUTE_PGM_RSRC2:TGID_Y_EN: 0
; COMPUTE_PGM_RSRC2:TGID_Z_EN: 0
; COMPUTE_PGM_RSRC2:TIDIG_COMP_CNT: 0
	.section	.text._ZN7rocprim17ROCPRIM_400000_NS6detail17trampoline_kernelINS0_14default_configENS1_25partition_config_selectorILNS1_17partition_subalgoE8EN3c108BFloat16ENS0_10empty_typeEbEEZZNS1_14partition_implILS5_8ELb0ES3_jPKS7_PS8_PKS8_NS0_5tupleIJPS7_S8_EEENSG_IJSD_SD_EEENS0_18inequality_wrapperIN6hipcub16HIPCUB_304000_NS8EqualityEEEPlJS8_EEE10hipError_tPvRmT3_T4_T5_T6_T7_T9_mT8_P12ihipStream_tbDpT10_ENKUlT_T0_E_clISt17integral_constantIbLb1EES19_EEDaS14_S15_EUlS14_E_NS1_11comp_targetILNS1_3genE8ELNS1_11target_archE1030ELNS1_3gpuE2ELNS1_3repE0EEENS1_30default_config_static_selectorELNS0_4arch9wavefront6targetE0EEEvT1_,"axG",@progbits,_ZN7rocprim17ROCPRIM_400000_NS6detail17trampoline_kernelINS0_14default_configENS1_25partition_config_selectorILNS1_17partition_subalgoE8EN3c108BFloat16ENS0_10empty_typeEbEEZZNS1_14partition_implILS5_8ELb0ES3_jPKS7_PS8_PKS8_NS0_5tupleIJPS7_S8_EEENSG_IJSD_SD_EEENS0_18inequality_wrapperIN6hipcub16HIPCUB_304000_NS8EqualityEEEPlJS8_EEE10hipError_tPvRmT3_T4_T5_T6_T7_T9_mT8_P12ihipStream_tbDpT10_ENKUlT_T0_E_clISt17integral_constantIbLb1EES19_EEDaS14_S15_EUlS14_E_NS1_11comp_targetILNS1_3genE8ELNS1_11target_archE1030ELNS1_3gpuE2ELNS1_3repE0EEENS1_30default_config_static_selectorELNS0_4arch9wavefront6targetE0EEEvT1_,comdat
	.protected	_ZN7rocprim17ROCPRIM_400000_NS6detail17trampoline_kernelINS0_14default_configENS1_25partition_config_selectorILNS1_17partition_subalgoE8EN3c108BFloat16ENS0_10empty_typeEbEEZZNS1_14partition_implILS5_8ELb0ES3_jPKS7_PS8_PKS8_NS0_5tupleIJPS7_S8_EEENSG_IJSD_SD_EEENS0_18inequality_wrapperIN6hipcub16HIPCUB_304000_NS8EqualityEEEPlJS8_EEE10hipError_tPvRmT3_T4_T5_T6_T7_T9_mT8_P12ihipStream_tbDpT10_ENKUlT_T0_E_clISt17integral_constantIbLb1EES19_EEDaS14_S15_EUlS14_E_NS1_11comp_targetILNS1_3genE8ELNS1_11target_archE1030ELNS1_3gpuE2ELNS1_3repE0EEENS1_30default_config_static_selectorELNS0_4arch9wavefront6targetE0EEEvT1_ ; -- Begin function _ZN7rocprim17ROCPRIM_400000_NS6detail17trampoline_kernelINS0_14default_configENS1_25partition_config_selectorILNS1_17partition_subalgoE8EN3c108BFloat16ENS0_10empty_typeEbEEZZNS1_14partition_implILS5_8ELb0ES3_jPKS7_PS8_PKS8_NS0_5tupleIJPS7_S8_EEENSG_IJSD_SD_EEENS0_18inequality_wrapperIN6hipcub16HIPCUB_304000_NS8EqualityEEEPlJS8_EEE10hipError_tPvRmT3_T4_T5_T6_T7_T9_mT8_P12ihipStream_tbDpT10_ENKUlT_T0_E_clISt17integral_constantIbLb1EES19_EEDaS14_S15_EUlS14_E_NS1_11comp_targetILNS1_3genE8ELNS1_11target_archE1030ELNS1_3gpuE2ELNS1_3repE0EEENS1_30default_config_static_selectorELNS0_4arch9wavefront6targetE0EEEvT1_
	.globl	_ZN7rocprim17ROCPRIM_400000_NS6detail17trampoline_kernelINS0_14default_configENS1_25partition_config_selectorILNS1_17partition_subalgoE8EN3c108BFloat16ENS0_10empty_typeEbEEZZNS1_14partition_implILS5_8ELb0ES3_jPKS7_PS8_PKS8_NS0_5tupleIJPS7_S8_EEENSG_IJSD_SD_EEENS0_18inequality_wrapperIN6hipcub16HIPCUB_304000_NS8EqualityEEEPlJS8_EEE10hipError_tPvRmT3_T4_T5_T6_T7_T9_mT8_P12ihipStream_tbDpT10_ENKUlT_T0_E_clISt17integral_constantIbLb1EES19_EEDaS14_S15_EUlS14_E_NS1_11comp_targetILNS1_3genE8ELNS1_11target_archE1030ELNS1_3gpuE2ELNS1_3repE0EEENS1_30default_config_static_selectorELNS0_4arch9wavefront6targetE0EEEvT1_
	.p2align	8
	.type	_ZN7rocprim17ROCPRIM_400000_NS6detail17trampoline_kernelINS0_14default_configENS1_25partition_config_selectorILNS1_17partition_subalgoE8EN3c108BFloat16ENS0_10empty_typeEbEEZZNS1_14partition_implILS5_8ELb0ES3_jPKS7_PS8_PKS8_NS0_5tupleIJPS7_S8_EEENSG_IJSD_SD_EEENS0_18inequality_wrapperIN6hipcub16HIPCUB_304000_NS8EqualityEEEPlJS8_EEE10hipError_tPvRmT3_T4_T5_T6_T7_T9_mT8_P12ihipStream_tbDpT10_ENKUlT_T0_E_clISt17integral_constantIbLb1EES19_EEDaS14_S15_EUlS14_E_NS1_11comp_targetILNS1_3genE8ELNS1_11target_archE1030ELNS1_3gpuE2ELNS1_3repE0EEENS1_30default_config_static_selectorELNS0_4arch9wavefront6targetE0EEEvT1_,@function
_ZN7rocprim17ROCPRIM_400000_NS6detail17trampoline_kernelINS0_14default_configENS1_25partition_config_selectorILNS1_17partition_subalgoE8EN3c108BFloat16ENS0_10empty_typeEbEEZZNS1_14partition_implILS5_8ELb0ES3_jPKS7_PS8_PKS8_NS0_5tupleIJPS7_S8_EEENSG_IJSD_SD_EEENS0_18inequality_wrapperIN6hipcub16HIPCUB_304000_NS8EqualityEEEPlJS8_EEE10hipError_tPvRmT3_T4_T5_T6_T7_T9_mT8_P12ihipStream_tbDpT10_ENKUlT_T0_E_clISt17integral_constantIbLb1EES19_EEDaS14_S15_EUlS14_E_NS1_11comp_targetILNS1_3genE8ELNS1_11target_archE1030ELNS1_3gpuE2ELNS1_3repE0EEENS1_30default_config_static_selectorELNS0_4arch9wavefront6targetE0EEEvT1_: ; @_ZN7rocprim17ROCPRIM_400000_NS6detail17trampoline_kernelINS0_14default_configENS1_25partition_config_selectorILNS1_17partition_subalgoE8EN3c108BFloat16ENS0_10empty_typeEbEEZZNS1_14partition_implILS5_8ELb0ES3_jPKS7_PS8_PKS8_NS0_5tupleIJPS7_S8_EEENSG_IJSD_SD_EEENS0_18inequality_wrapperIN6hipcub16HIPCUB_304000_NS8EqualityEEEPlJS8_EEE10hipError_tPvRmT3_T4_T5_T6_T7_T9_mT8_P12ihipStream_tbDpT10_ENKUlT_T0_E_clISt17integral_constantIbLb1EES19_EEDaS14_S15_EUlS14_E_NS1_11comp_targetILNS1_3genE8ELNS1_11target_archE1030ELNS1_3gpuE2ELNS1_3repE0EEENS1_30default_config_static_selectorELNS0_4arch9wavefront6targetE0EEEvT1_
; %bb.0:
	.section	.rodata,"a",@progbits
	.p2align	6, 0x0
	.amdhsa_kernel _ZN7rocprim17ROCPRIM_400000_NS6detail17trampoline_kernelINS0_14default_configENS1_25partition_config_selectorILNS1_17partition_subalgoE8EN3c108BFloat16ENS0_10empty_typeEbEEZZNS1_14partition_implILS5_8ELb0ES3_jPKS7_PS8_PKS8_NS0_5tupleIJPS7_S8_EEENSG_IJSD_SD_EEENS0_18inequality_wrapperIN6hipcub16HIPCUB_304000_NS8EqualityEEEPlJS8_EEE10hipError_tPvRmT3_T4_T5_T6_T7_T9_mT8_P12ihipStream_tbDpT10_ENKUlT_T0_E_clISt17integral_constantIbLb1EES19_EEDaS14_S15_EUlS14_E_NS1_11comp_targetILNS1_3genE8ELNS1_11target_archE1030ELNS1_3gpuE2ELNS1_3repE0EEENS1_30default_config_static_selectorELNS0_4arch9wavefront6targetE0EEEvT1_
		.amdhsa_group_segment_fixed_size 0
		.amdhsa_private_segment_fixed_size 0
		.amdhsa_kernarg_size 128
		.amdhsa_user_sgpr_count 2
		.amdhsa_user_sgpr_dispatch_ptr 0
		.amdhsa_user_sgpr_queue_ptr 0
		.amdhsa_user_sgpr_kernarg_segment_ptr 1
		.amdhsa_user_sgpr_dispatch_id 0
		.amdhsa_user_sgpr_kernarg_preload_length 0
		.amdhsa_user_sgpr_kernarg_preload_offset 0
		.amdhsa_user_sgpr_private_segment_size 0
		.amdhsa_wavefront_size32 1
		.amdhsa_uses_dynamic_stack 0
		.amdhsa_enable_private_segment 0
		.amdhsa_system_sgpr_workgroup_id_x 1
		.amdhsa_system_sgpr_workgroup_id_y 0
		.amdhsa_system_sgpr_workgroup_id_z 0
		.amdhsa_system_sgpr_workgroup_info 0
		.amdhsa_system_vgpr_workitem_id 0
		.amdhsa_next_free_vgpr 1
		.amdhsa_next_free_sgpr 1
		.amdhsa_named_barrier_count 0
		.amdhsa_reserve_vcc 0
		.amdhsa_float_round_mode_32 0
		.amdhsa_float_round_mode_16_64 0
		.amdhsa_float_denorm_mode_32 3
		.amdhsa_float_denorm_mode_16_64 3
		.amdhsa_fp16_overflow 0
		.amdhsa_memory_ordered 1
		.amdhsa_forward_progress 1
		.amdhsa_inst_pref_size 0
		.amdhsa_round_robin_scheduling 0
		.amdhsa_exception_fp_ieee_invalid_op 0
		.amdhsa_exception_fp_denorm_src 0
		.amdhsa_exception_fp_ieee_div_zero 0
		.amdhsa_exception_fp_ieee_overflow 0
		.amdhsa_exception_fp_ieee_underflow 0
		.amdhsa_exception_fp_ieee_inexact 0
		.amdhsa_exception_int_div_zero 0
	.end_amdhsa_kernel
	.section	.text._ZN7rocprim17ROCPRIM_400000_NS6detail17trampoline_kernelINS0_14default_configENS1_25partition_config_selectorILNS1_17partition_subalgoE8EN3c108BFloat16ENS0_10empty_typeEbEEZZNS1_14partition_implILS5_8ELb0ES3_jPKS7_PS8_PKS8_NS0_5tupleIJPS7_S8_EEENSG_IJSD_SD_EEENS0_18inequality_wrapperIN6hipcub16HIPCUB_304000_NS8EqualityEEEPlJS8_EEE10hipError_tPvRmT3_T4_T5_T6_T7_T9_mT8_P12ihipStream_tbDpT10_ENKUlT_T0_E_clISt17integral_constantIbLb1EES19_EEDaS14_S15_EUlS14_E_NS1_11comp_targetILNS1_3genE8ELNS1_11target_archE1030ELNS1_3gpuE2ELNS1_3repE0EEENS1_30default_config_static_selectorELNS0_4arch9wavefront6targetE0EEEvT1_,"axG",@progbits,_ZN7rocprim17ROCPRIM_400000_NS6detail17trampoline_kernelINS0_14default_configENS1_25partition_config_selectorILNS1_17partition_subalgoE8EN3c108BFloat16ENS0_10empty_typeEbEEZZNS1_14partition_implILS5_8ELb0ES3_jPKS7_PS8_PKS8_NS0_5tupleIJPS7_S8_EEENSG_IJSD_SD_EEENS0_18inequality_wrapperIN6hipcub16HIPCUB_304000_NS8EqualityEEEPlJS8_EEE10hipError_tPvRmT3_T4_T5_T6_T7_T9_mT8_P12ihipStream_tbDpT10_ENKUlT_T0_E_clISt17integral_constantIbLb1EES19_EEDaS14_S15_EUlS14_E_NS1_11comp_targetILNS1_3genE8ELNS1_11target_archE1030ELNS1_3gpuE2ELNS1_3repE0EEENS1_30default_config_static_selectorELNS0_4arch9wavefront6targetE0EEEvT1_,comdat
.Lfunc_end839:
	.size	_ZN7rocprim17ROCPRIM_400000_NS6detail17trampoline_kernelINS0_14default_configENS1_25partition_config_selectorILNS1_17partition_subalgoE8EN3c108BFloat16ENS0_10empty_typeEbEEZZNS1_14partition_implILS5_8ELb0ES3_jPKS7_PS8_PKS8_NS0_5tupleIJPS7_S8_EEENSG_IJSD_SD_EEENS0_18inequality_wrapperIN6hipcub16HIPCUB_304000_NS8EqualityEEEPlJS8_EEE10hipError_tPvRmT3_T4_T5_T6_T7_T9_mT8_P12ihipStream_tbDpT10_ENKUlT_T0_E_clISt17integral_constantIbLb1EES19_EEDaS14_S15_EUlS14_E_NS1_11comp_targetILNS1_3genE8ELNS1_11target_archE1030ELNS1_3gpuE2ELNS1_3repE0EEENS1_30default_config_static_selectorELNS0_4arch9wavefront6targetE0EEEvT1_, .Lfunc_end839-_ZN7rocprim17ROCPRIM_400000_NS6detail17trampoline_kernelINS0_14default_configENS1_25partition_config_selectorILNS1_17partition_subalgoE8EN3c108BFloat16ENS0_10empty_typeEbEEZZNS1_14partition_implILS5_8ELb0ES3_jPKS7_PS8_PKS8_NS0_5tupleIJPS7_S8_EEENSG_IJSD_SD_EEENS0_18inequality_wrapperIN6hipcub16HIPCUB_304000_NS8EqualityEEEPlJS8_EEE10hipError_tPvRmT3_T4_T5_T6_T7_T9_mT8_P12ihipStream_tbDpT10_ENKUlT_T0_E_clISt17integral_constantIbLb1EES19_EEDaS14_S15_EUlS14_E_NS1_11comp_targetILNS1_3genE8ELNS1_11target_archE1030ELNS1_3gpuE2ELNS1_3repE0EEENS1_30default_config_static_selectorELNS0_4arch9wavefront6targetE0EEEvT1_
                                        ; -- End function
	.set _ZN7rocprim17ROCPRIM_400000_NS6detail17trampoline_kernelINS0_14default_configENS1_25partition_config_selectorILNS1_17partition_subalgoE8EN3c108BFloat16ENS0_10empty_typeEbEEZZNS1_14partition_implILS5_8ELb0ES3_jPKS7_PS8_PKS8_NS0_5tupleIJPS7_S8_EEENSG_IJSD_SD_EEENS0_18inequality_wrapperIN6hipcub16HIPCUB_304000_NS8EqualityEEEPlJS8_EEE10hipError_tPvRmT3_T4_T5_T6_T7_T9_mT8_P12ihipStream_tbDpT10_ENKUlT_T0_E_clISt17integral_constantIbLb1EES19_EEDaS14_S15_EUlS14_E_NS1_11comp_targetILNS1_3genE8ELNS1_11target_archE1030ELNS1_3gpuE2ELNS1_3repE0EEENS1_30default_config_static_selectorELNS0_4arch9wavefront6targetE0EEEvT1_.num_vgpr, 0
	.set _ZN7rocprim17ROCPRIM_400000_NS6detail17trampoline_kernelINS0_14default_configENS1_25partition_config_selectorILNS1_17partition_subalgoE8EN3c108BFloat16ENS0_10empty_typeEbEEZZNS1_14partition_implILS5_8ELb0ES3_jPKS7_PS8_PKS8_NS0_5tupleIJPS7_S8_EEENSG_IJSD_SD_EEENS0_18inequality_wrapperIN6hipcub16HIPCUB_304000_NS8EqualityEEEPlJS8_EEE10hipError_tPvRmT3_T4_T5_T6_T7_T9_mT8_P12ihipStream_tbDpT10_ENKUlT_T0_E_clISt17integral_constantIbLb1EES19_EEDaS14_S15_EUlS14_E_NS1_11comp_targetILNS1_3genE8ELNS1_11target_archE1030ELNS1_3gpuE2ELNS1_3repE0EEENS1_30default_config_static_selectorELNS0_4arch9wavefront6targetE0EEEvT1_.num_agpr, 0
	.set _ZN7rocprim17ROCPRIM_400000_NS6detail17trampoline_kernelINS0_14default_configENS1_25partition_config_selectorILNS1_17partition_subalgoE8EN3c108BFloat16ENS0_10empty_typeEbEEZZNS1_14partition_implILS5_8ELb0ES3_jPKS7_PS8_PKS8_NS0_5tupleIJPS7_S8_EEENSG_IJSD_SD_EEENS0_18inequality_wrapperIN6hipcub16HIPCUB_304000_NS8EqualityEEEPlJS8_EEE10hipError_tPvRmT3_T4_T5_T6_T7_T9_mT8_P12ihipStream_tbDpT10_ENKUlT_T0_E_clISt17integral_constantIbLb1EES19_EEDaS14_S15_EUlS14_E_NS1_11comp_targetILNS1_3genE8ELNS1_11target_archE1030ELNS1_3gpuE2ELNS1_3repE0EEENS1_30default_config_static_selectorELNS0_4arch9wavefront6targetE0EEEvT1_.numbered_sgpr, 0
	.set _ZN7rocprim17ROCPRIM_400000_NS6detail17trampoline_kernelINS0_14default_configENS1_25partition_config_selectorILNS1_17partition_subalgoE8EN3c108BFloat16ENS0_10empty_typeEbEEZZNS1_14partition_implILS5_8ELb0ES3_jPKS7_PS8_PKS8_NS0_5tupleIJPS7_S8_EEENSG_IJSD_SD_EEENS0_18inequality_wrapperIN6hipcub16HIPCUB_304000_NS8EqualityEEEPlJS8_EEE10hipError_tPvRmT3_T4_T5_T6_T7_T9_mT8_P12ihipStream_tbDpT10_ENKUlT_T0_E_clISt17integral_constantIbLb1EES19_EEDaS14_S15_EUlS14_E_NS1_11comp_targetILNS1_3genE8ELNS1_11target_archE1030ELNS1_3gpuE2ELNS1_3repE0EEENS1_30default_config_static_selectorELNS0_4arch9wavefront6targetE0EEEvT1_.num_named_barrier, 0
	.set _ZN7rocprim17ROCPRIM_400000_NS6detail17trampoline_kernelINS0_14default_configENS1_25partition_config_selectorILNS1_17partition_subalgoE8EN3c108BFloat16ENS0_10empty_typeEbEEZZNS1_14partition_implILS5_8ELb0ES3_jPKS7_PS8_PKS8_NS0_5tupleIJPS7_S8_EEENSG_IJSD_SD_EEENS0_18inequality_wrapperIN6hipcub16HIPCUB_304000_NS8EqualityEEEPlJS8_EEE10hipError_tPvRmT3_T4_T5_T6_T7_T9_mT8_P12ihipStream_tbDpT10_ENKUlT_T0_E_clISt17integral_constantIbLb1EES19_EEDaS14_S15_EUlS14_E_NS1_11comp_targetILNS1_3genE8ELNS1_11target_archE1030ELNS1_3gpuE2ELNS1_3repE0EEENS1_30default_config_static_selectorELNS0_4arch9wavefront6targetE0EEEvT1_.private_seg_size, 0
	.set _ZN7rocprim17ROCPRIM_400000_NS6detail17trampoline_kernelINS0_14default_configENS1_25partition_config_selectorILNS1_17partition_subalgoE8EN3c108BFloat16ENS0_10empty_typeEbEEZZNS1_14partition_implILS5_8ELb0ES3_jPKS7_PS8_PKS8_NS0_5tupleIJPS7_S8_EEENSG_IJSD_SD_EEENS0_18inequality_wrapperIN6hipcub16HIPCUB_304000_NS8EqualityEEEPlJS8_EEE10hipError_tPvRmT3_T4_T5_T6_T7_T9_mT8_P12ihipStream_tbDpT10_ENKUlT_T0_E_clISt17integral_constantIbLb1EES19_EEDaS14_S15_EUlS14_E_NS1_11comp_targetILNS1_3genE8ELNS1_11target_archE1030ELNS1_3gpuE2ELNS1_3repE0EEENS1_30default_config_static_selectorELNS0_4arch9wavefront6targetE0EEEvT1_.uses_vcc, 0
	.set _ZN7rocprim17ROCPRIM_400000_NS6detail17trampoline_kernelINS0_14default_configENS1_25partition_config_selectorILNS1_17partition_subalgoE8EN3c108BFloat16ENS0_10empty_typeEbEEZZNS1_14partition_implILS5_8ELb0ES3_jPKS7_PS8_PKS8_NS0_5tupleIJPS7_S8_EEENSG_IJSD_SD_EEENS0_18inequality_wrapperIN6hipcub16HIPCUB_304000_NS8EqualityEEEPlJS8_EEE10hipError_tPvRmT3_T4_T5_T6_T7_T9_mT8_P12ihipStream_tbDpT10_ENKUlT_T0_E_clISt17integral_constantIbLb1EES19_EEDaS14_S15_EUlS14_E_NS1_11comp_targetILNS1_3genE8ELNS1_11target_archE1030ELNS1_3gpuE2ELNS1_3repE0EEENS1_30default_config_static_selectorELNS0_4arch9wavefront6targetE0EEEvT1_.uses_flat_scratch, 0
	.set _ZN7rocprim17ROCPRIM_400000_NS6detail17trampoline_kernelINS0_14default_configENS1_25partition_config_selectorILNS1_17partition_subalgoE8EN3c108BFloat16ENS0_10empty_typeEbEEZZNS1_14partition_implILS5_8ELb0ES3_jPKS7_PS8_PKS8_NS0_5tupleIJPS7_S8_EEENSG_IJSD_SD_EEENS0_18inequality_wrapperIN6hipcub16HIPCUB_304000_NS8EqualityEEEPlJS8_EEE10hipError_tPvRmT3_T4_T5_T6_T7_T9_mT8_P12ihipStream_tbDpT10_ENKUlT_T0_E_clISt17integral_constantIbLb1EES19_EEDaS14_S15_EUlS14_E_NS1_11comp_targetILNS1_3genE8ELNS1_11target_archE1030ELNS1_3gpuE2ELNS1_3repE0EEENS1_30default_config_static_selectorELNS0_4arch9wavefront6targetE0EEEvT1_.has_dyn_sized_stack, 0
	.set _ZN7rocprim17ROCPRIM_400000_NS6detail17trampoline_kernelINS0_14default_configENS1_25partition_config_selectorILNS1_17partition_subalgoE8EN3c108BFloat16ENS0_10empty_typeEbEEZZNS1_14partition_implILS5_8ELb0ES3_jPKS7_PS8_PKS8_NS0_5tupleIJPS7_S8_EEENSG_IJSD_SD_EEENS0_18inequality_wrapperIN6hipcub16HIPCUB_304000_NS8EqualityEEEPlJS8_EEE10hipError_tPvRmT3_T4_T5_T6_T7_T9_mT8_P12ihipStream_tbDpT10_ENKUlT_T0_E_clISt17integral_constantIbLb1EES19_EEDaS14_S15_EUlS14_E_NS1_11comp_targetILNS1_3genE8ELNS1_11target_archE1030ELNS1_3gpuE2ELNS1_3repE0EEENS1_30default_config_static_selectorELNS0_4arch9wavefront6targetE0EEEvT1_.has_recursion, 0
	.set _ZN7rocprim17ROCPRIM_400000_NS6detail17trampoline_kernelINS0_14default_configENS1_25partition_config_selectorILNS1_17partition_subalgoE8EN3c108BFloat16ENS0_10empty_typeEbEEZZNS1_14partition_implILS5_8ELb0ES3_jPKS7_PS8_PKS8_NS0_5tupleIJPS7_S8_EEENSG_IJSD_SD_EEENS0_18inequality_wrapperIN6hipcub16HIPCUB_304000_NS8EqualityEEEPlJS8_EEE10hipError_tPvRmT3_T4_T5_T6_T7_T9_mT8_P12ihipStream_tbDpT10_ENKUlT_T0_E_clISt17integral_constantIbLb1EES19_EEDaS14_S15_EUlS14_E_NS1_11comp_targetILNS1_3genE8ELNS1_11target_archE1030ELNS1_3gpuE2ELNS1_3repE0EEENS1_30default_config_static_selectorELNS0_4arch9wavefront6targetE0EEEvT1_.has_indirect_call, 0
	.section	.AMDGPU.csdata,"",@progbits
; Kernel info:
; codeLenInByte = 0
; TotalNumSgprs: 0
; NumVgprs: 0
; ScratchSize: 0
; MemoryBound: 0
; FloatMode: 240
; IeeeMode: 1
; LDSByteSize: 0 bytes/workgroup (compile time only)
; SGPRBlocks: 0
; VGPRBlocks: 0
; NumSGPRsForWavesPerEU: 1
; NumVGPRsForWavesPerEU: 1
; NamedBarCnt: 0
; Occupancy: 16
; WaveLimiterHint : 0
; COMPUTE_PGM_RSRC2:SCRATCH_EN: 0
; COMPUTE_PGM_RSRC2:USER_SGPR: 2
; COMPUTE_PGM_RSRC2:TRAP_HANDLER: 0
; COMPUTE_PGM_RSRC2:TGID_X_EN: 1
; COMPUTE_PGM_RSRC2:TGID_Y_EN: 0
; COMPUTE_PGM_RSRC2:TGID_Z_EN: 0
; COMPUTE_PGM_RSRC2:TIDIG_COMP_CNT: 0
	.section	.text._ZN7rocprim17ROCPRIM_400000_NS6detail17trampoline_kernelINS0_14default_configENS1_25partition_config_selectorILNS1_17partition_subalgoE8EN3c108BFloat16ENS0_10empty_typeEbEEZZNS1_14partition_implILS5_8ELb0ES3_jPKS7_PS8_PKS8_NS0_5tupleIJPS7_S8_EEENSG_IJSD_SD_EEENS0_18inequality_wrapperIN6hipcub16HIPCUB_304000_NS8EqualityEEEPlJS8_EEE10hipError_tPvRmT3_T4_T5_T6_T7_T9_mT8_P12ihipStream_tbDpT10_ENKUlT_T0_E_clISt17integral_constantIbLb1EES18_IbLb0EEEEDaS14_S15_EUlS14_E_NS1_11comp_targetILNS1_3genE0ELNS1_11target_archE4294967295ELNS1_3gpuE0ELNS1_3repE0EEENS1_30default_config_static_selectorELNS0_4arch9wavefront6targetE0EEEvT1_,"axG",@progbits,_ZN7rocprim17ROCPRIM_400000_NS6detail17trampoline_kernelINS0_14default_configENS1_25partition_config_selectorILNS1_17partition_subalgoE8EN3c108BFloat16ENS0_10empty_typeEbEEZZNS1_14partition_implILS5_8ELb0ES3_jPKS7_PS8_PKS8_NS0_5tupleIJPS7_S8_EEENSG_IJSD_SD_EEENS0_18inequality_wrapperIN6hipcub16HIPCUB_304000_NS8EqualityEEEPlJS8_EEE10hipError_tPvRmT3_T4_T5_T6_T7_T9_mT8_P12ihipStream_tbDpT10_ENKUlT_T0_E_clISt17integral_constantIbLb1EES18_IbLb0EEEEDaS14_S15_EUlS14_E_NS1_11comp_targetILNS1_3genE0ELNS1_11target_archE4294967295ELNS1_3gpuE0ELNS1_3repE0EEENS1_30default_config_static_selectorELNS0_4arch9wavefront6targetE0EEEvT1_,comdat
	.protected	_ZN7rocprim17ROCPRIM_400000_NS6detail17trampoline_kernelINS0_14default_configENS1_25partition_config_selectorILNS1_17partition_subalgoE8EN3c108BFloat16ENS0_10empty_typeEbEEZZNS1_14partition_implILS5_8ELb0ES3_jPKS7_PS8_PKS8_NS0_5tupleIJPS7_S8_EEENSG_IJSD_SD_EEENS0_18inequality_wrapperIN6hipcub16HIPCUB_304000_NS8EqualityEEEPlJS8_EEE10hipError_tPvRmT3_T4_T5_T6_T7_T9_mT8_P12ihipStream_tbDpT10_ENKUlT_T0_E_clISt17integral_constantIbLb1EES18_IbLb0EEEEDaS14_S15_EUlS14_E_NS1_11comp_targetILNS1_3genE0ELNS1_11target_archE4294967295ELNS1_3gpuE0ELNS1_3repE0EEENS1_30default_config_static_selectorELNS0_4arch9wavefront6targetE0EEEvT1_ ; -- Begin function _ZN7rocprim17ROCPRIM_400000_NS6detail17trampoline_kernelINS0_14default_configENS1_25partition_config_selectorILNS1_17partition_subalgoE8EN3c108BFloat16ENS0_10empty_typeEbEEZZNS1_14partition_implILS5_8ELb0ES3_jPKS7_PS8_PKS8_NS0_5tupleIJPS7_S8_EEENSG_IJSD_SD_EEENS0_18inequality_wrapperIN6hipcub16HIPCUB_304000_NS8EqualityEEEPlJS8_EEE10hipError_tPvRmT3_T4_T5_T6_T7_T9_mT8_P12ihipStream_tbDpT10_ENKUlT_T0_E_clISt17integral_constantIbLb1EES18_IbLb0EEEEDaS14_S15_EUlS14_E_NS1_11comp_targetILNS1_3genE0ELNS1_11target_archE4294967295ELNS1_3gpuE0ELNS1_3repE0EEENS1_30default_config_static_selectorELNS0_4arch9wavefront6targetE0EEEvT1_
	.globl	_ZN7rocprim17ROCPRIM_400000_NS6detail17trampoline_kernelINS0_14default_configENS1_25partition_config_selectorILNS1_17partition_subalgoE8EN3c108BFloat16ENS0_10empty_typeEbEEZZNS1_14partition_implILS5_8ELb0ES3_jPKS7_PS8_PKS8_NS0_5tupleIJPS7_S8_EEENSG_IJSD_SD_EEENS0_18inequality_wrapperIN6hipcub16HIPCUB_304000_NS8EqualityEEEPlJS8_EEE10hipError_tPvRmT3_T4_T5_T6_T7_T9_mT8_P12ihipStream_tbDpT10_ENKUlT_T0_E_clISt17integral_constantIbLb1EES18_IbLb0EEEEDaS14_S15_EUlS14_E_NS1_11comp_targetILNS1_3genE0ELNS1_11target_archE4294967295ELNS1_3gpuE0ELNS1_3repE0EEENS1_30default_config_static_selectorELNS0_4arch9wavefront6targetE0EEEvT1_
	.p2align	8
	.type	_ZN7rocprim17ROCPRIM_400000_NS6detail17trampoline_kernelINS0_14default_configENS1_25partition_config_selectorILNS1_17partition_subalgoE8EN3c108BFloat16ENS0_10empty_typeEbEEZZNS1_14partition_implILS5_8ELb0ES3_jPKS7_PS8_PKS8_NS0_5tupleIJPS7_S8_EEENSG_IJSD_SD_EEENS0_18inequality_wrapperIN6hipcub16HIPCUB_304000_NS8EqualityEEEPlJS8_EEE10hipError_tPvRmT3_T4_T5_T6_T7_T9_mT8_P12ihipStream_tbDpT10_ENKUlT_T0_E_clISt17integral_constantIbLb1EES18_IbLb0EEEEDaS14_S15_EUlS14_E_NS1_11comp_targetILNS1_3genE0ELNS1_11target_archE4294967295ELNS1_3gpuE0ELNS1_3repE0EEENS1_30default_config_static_selectorELNS0_4arch9wavefront6targetE0EEEvT1_,@function
_ZN7rocprim17ROCPRIM_400000_NS6detail17trampoline_kernelINS0_14default_configENS1_25partition_config_selectorILNS1_17partition_subalgoE8EN3c108BFloat16ENS0_10empty_typeEbEEZZNS1_14partition_implILS5_8ELb0ES3_jPKS7_PS8_PKS8_NS0_5tupleIJPS7_S8_EEENSG_IJSD_SD_EEENS0_18inequality_wrapperIN6hipcub16HIPCUB_304000_NS8EqualityEEEPlJS8_EEE10hipError_tPvRmT3_T4_T5_T6_T7_T9_mT8_P12ihipStream_tbDpT10_ENKUlT_T0_E_clISt17integral_constantIbLb1EES18_IbLb0EEEEDaS14_S15_EUlS14_E_NS1_11comp_targetILNS1_3genE0ELNS1_11target_archE4294967295ELNS1_3gpuE0ELNS1_3repE0EEENS1_30default_config_static_selectorELNS0_4arch9wavefront6targetE0EEEvT1_: ; @_ZN7rocprim17ROCPRIM_400000_NS6detail17trampoline_kernelINS0_14default_configENS1_25partition_config_selectorILNS1_17partition_subalgoE8EN3c108BFloat16ENS0_10empty_typeEbEEZZNS1_14partition_implILS5_8ELb0ES3_jPKS7_PS8_PKS8_NS0_5tupleIJPS7_S8_EEENSG_IJSD_SD_EEENS0_18inequality_wrapperIN6hipcub16HIPCUB_304000_NS8EqualityEEEPlJS8_EEE10hipError_tPvRmT3_T4_T5_T6_T7_T9_mT8_P12ihipStream_tbDpT10_ENKUlT_T0_E_clISt17integral_constantIbLb1EES18_IbLb0EEEEDaS14_S15_EUlS14_E_NS1_11comp_targetILNS1_3genE0ELNS1_11target_archE4294967295ELNS1_3gpuE0ELNS1_3repE0EEENS1_30default_config_static_selectorELNS0_4arch9wavefront6targetE0EEEvT1_
; %bb.0:
	s_endpgm
	.section	.rodata,"a",@progbits
	.p2align	6, 0x0
	.amdhsa_kernel _ZN7rocprim17ROCPRIM_400000_NS6detail17trampoline_kernelINS0_14default_configENS1_25partition_config_selectorILNS1_17partition_subalgoE8EN3c108BFloat16ENS0_10empty_typeEbEEZZNS1_14partition_implILS5_8ELb0ES3_jPKS7_PS8_PKS8_NS0_5tupleIJPS7_S8_EEENSG_IJSD_SD_EEENS0_18inequality_wrapperIN6hipcub16HIPCUB_304000_NS8EqualityEEEPlJS8_EEE10hipError_tPvRmT3_T4_T5_T6_T7_T9_mT8_P12ihipStream_tbDpT10_ENKUlT_T0_E_clISt17integral_constantIbLb1EES18_IbLb0EEEEDaS14_S15_EUlS14_E_NS1_11comp_targetILNS1_3genE0ELNS1_11target_archE4294967295ELNS1_3gpuE0ELNS1_3repE0EEENS1_30default_config_static_selectorELNS0_4arch9wavefront6targetE0EEEvT1_
		.amdhsa_group_segment_fixed_size 0
		.amdhsa_private_segment_fixed_size 0
		.amdhsa_kernarg_size 112
		.amdhsa_user_sgpr_count 2
		.amdhsa_user_sgpr_dispatch_ptr 0
		.amdhsa_user_sgpr_queue_ptr 0
		.amdhsa_user_sgpr_kernarg_segment_ptr 1
		.amdhsa_user_sgpr_dispatch_id 0
		.amdhsa_user_sgpr_kernarg_preload_length 0
		.amdhsa_user_sgpr_kernarg_preload_offset 0
		.amdhsa_user_sgpr_private_segment_size 0
		.amdhsa_wavefront_size32 1
		.amdhsa_uses_dynamic_stack 0
		.amdhsa_enable_private_segment 0
		.amdhsa_system_sgpr_workgroup_id_x 1
		.amdhsa_system_sgpr_workgroup_id_y 0
		.amdhsa_system_sgpr_workgroup_id_z 0
		.amdhsa_system_sgpr_workgroup_info 0
		.amdhsa_system_vgpr_workitem_id 0
		.amdhsa_next_free_vgpr 1
		.amdhsa_next_free_sgpr 1
		.amdhsa_named_barrier_count 0
		.amdhsa_reserve_vcc 0
		.amdhsa_float_round_mode_32 0
		.amdhsa_float_round_mode_16_64 0
		.amdhsa_float_denorm_mode_32 3
		.amdhsa_float_denorm_mode_16_64 3
		.amdhsa_fp16_overflow 0
		.amdhsa_memory_ordered 1
		.amdhsa_forward_progress 1
		.amdhsa_inst_pref_size 1
		.amdhsa_round_robin_scheduling 0
		.amdhsa_exception_fp_ieee_invalid_op 0
		.amdhsa_exception_fp_denorm_src 0
		.amdhsa_exception_fp_ieee_div_zero 0
		.amdhsa_exception_fp_ieee_overflow 0
		.amdhsa_exception_fp_ieee_underflow 0
		.amdhsa_exception_fp_ieee_inexact 0
		.amdhsa_exception_int_div_zero 0
	.end_amdhsa_kernel
	.section	.text._ZN7rocprim17ROCPRIM_400000_NS6detail17trampoline_kernelINS0_14default_configENS1_25partition_config_selectorILNS1_17partition_subalgoE8EN3c108BFloat16ENS0_10empty_typeEbEEZZNS1_14partition_implILS5_8ELb0ES3_jPKS7_PS8_PKS8_NS0_5tupleIJPS7_S8_EEENSG_IJSD_SD_EEENS0_18inequality_wrapperIN6hipcub16HIPCUB_304000_NS8EqualityEEEPlJS8_EEE10hipError_tPvRmT3_T4_T5_T6_T7_T9_mT8_P12ihipStream_tbDpT10_ENKUlT_T0_E_clISt17integral_constantIbLb1EES18_IbLb0EEEEDaS14_S15_EUlS14_E_NS1_11comp_targetILNS1_3genE0ELNS1_11target_archE4294967295ELNS1_3gpuE0ELNS1_3repE0EEENS1_30default_config_static_selectorELNS0_4arch9wavefront6targetE0EEEvT1_,"axG",@progbits,_ZN7rocprim17ROCPRIM_400000_NS6detail17trampoline_kernelINS0_14default_configENS1_25partition_config_selectorILNS1_17partition_subalgoE8EN3c108BFloat16ENS0_10empty_typeEbEEZZNS1_14partition_implILS5_8ELb0ES3_jPKS7_PS8_PKS8_NS0_5tupleIJPS7_S8_EEENSG_IJSD_SD_EEENS0_18inequality_wrapperIN6hipcub16HIPCUB_304000_NS8EqualityEEEPlJS8_EEE10hipError_tPvRmT3_T4_T5_T6_T7_T9_mT8_P12ihipStream_tbDpT10_ENKUlT_T0_E_clISt17integral_constantIbLb1EES18_IbLb0EEEEDaS14_S15_EUlS14_E_NS1_11comp_targetILNS1_3genE0ELNS1_11target_archE4294967295ELNS1_3gpuE0ELNS1_3repE0EEENS1_30default_config_static_selectorELNS0_4arch9wavefront6targetE0EEEvT1_,comdat
.Lfunc_end840:
	.size	_ZN7rocprim17ROCPRIM_400000_NS6detail17trampoline_kernelINS0_14default_configENS1_25partition_config_selectorILNS1_17partition_subalgoE8EN3c108BFloat16ENS0_10empty_typeEbEEZZNS1_14partition_implILS5_8ELb0ES3_jPKS7_PS8_PKS8_NS0_5tupleIJPS7_S8_EEENSG_IJSD_SD_EEENS0_18inequality_wrapperIN6hipcub16HIPCUB_304000_NS8EqualityEEEPlJS8_EEE10hipError_tPvRmT3_T4_T5_T6_T7_T9_mT8_P12ihipStream_tbDpT10_ENKUlT_T0_E_clISt17integral_constantIbLb1EES18_IbLb0EEEEDaS14_S15_EUlS14_E_NS1_11comp_targetILNS1_3genE0ELNS1_11target_archE4294967295ELNS1_3gpuE0ELNS1_3repE0EEENS1_30default_config_static_selectorELNS0_4arch9wavefront6targetE0EEEvT1_, .Lfunc_end840-_ZN7rocprim17ROCPRIM_400000_NS6detail17trampoline_kernelINS0_14default_configENS1_25partition_config_selectorILNS1_17partition_subalgoE8EN3c108BFloat16ENS0_10empty_typeEbEEZZNS1_14partition_implILS5_8ELb0ES3_jPKS7_PS8_PKS8_NS0_5tupleIJPS7_S8_EEENSG_IJSD_SD_EEENS0_18inequality_wrapperIN6hipcub16HIPCUB_304000_NS8EqualityEEEPlJS8_EEE10hipError_tPvRmT3_T4_T5_T6_T7_T9_mT8_P12ihipStream_tbDpT10_ENKUlT_T0_E_clISt17integral_constantIbLb1EES18_IbLb0EEEEDaS14_S15_EUlS14_E_NS1_11comp_targetILNS1_3genE0ELNS1_11target_archE4294967295ELNS1_3gpuE0ELNS1_3repE0EEENS1_30default_config_static_selectorELNS0_4arch9wavefront6targetE0EEEvT1_
                                        ; -- End function
	.set _ZN7rocprim17ROCPRIM_400000_NS6detail17trampoline_kernelINS0_14default_configENS1_25partition_config_selectorILNS1_17partition_subalgoE8EN3c108BFloat16ENS0_10empty_typeEbEEZZNS1_14partition_implILS5_8ELb0ES3_jPKS7_PS8_PKS8_NS0_5tupleIJPS7_S8_EEENSG_IJSD_SD_EEENS0_18inequality_wrapperIN6hipcub16HIPCUB_304000_NS8EqualityEEEPlJS8_EEE10hipError_tPvRmT3_T4_T5_T6_T7_T9_mT8_P12ihipStream_tbDpT10_ENKUlT_T0_E_clISt17integral_constantIbLb1EES18_IbLb0EEEEDaS14_S15_EUlS14_E_NS1_11comp_targetILNS1_3genE0ELNS1_11target_archE4294967295ELNS1_3gpuE0ELNS1_3repE0EEENS1_30default_config_static_selectorELNS0_4arch9wavefront6targetE0EEEvT1_.num_vgpr, 0
	.set _ZN7rocprim17ROCPRIM_400000_NS6detail17trampoline_kernelINS0_14default_configENS1_25partition_config_selectorILNS1_17partition_subalgoE8EN3c108BFloat16ENS0_10empty_typeEbEEZZNS1_14partition_implILS5_8ELb0ES3_jPKS7_PS8_PKS8_NS0_5tupleIJPS7_S8_EEENSG_IJSD_SD_EEENS0_18inequality_wrapperIN6hipcub16HIPCUB_304000_NS8EqualityEEEPlJS8_EEE10hipError_tPvRmT3_T4_T5_T6_T7_T9_mT8_P12ihipStream_tbDpT10_ENKUlT_T0_E_clISt17integral_constantIbLb1EES18_IbLb0EEEEDaS14_S15_EUlS14_E_NS1_11comp_targetILNS1_3genE0ELNS1_11target_archE4294967295ELNS1_3gpuE0ELNS1_3repE0EEENS1_30default_config_static_selectorELNS0_4arch9wavefront6targetE0EEEvT1_.num_agpr, 0
	.set _ZN7rocprim17ROCPRIM_400000_NS6detail17trampoline_kernelINS0_14default_configENS1_25partition_config_selectorILNS1_17partition_subalgoE8EN3c108BFloat16ENS0_10empty_typeEbEEZZNS1_14partition_implILS5_8ELb0ES3_jPKS7_PS8_PKS8_NS0_5tupleIJPS7_S8_EEENSG_IJSD_SD_EEENS0_18inequality_wrapperIN6hipcub16HIPCUB_304000_NS8EqualityEEEPlJS8_EEE10hipError_tPvRmT3_T4_T5_T6_T7_T9_mT8_P12ihipStream_tbDpT10_ENKUlT_T0_E_clISt17integral_constantIbLb1EES18_IbLb0EEEEDaS14_S15_EUlS14_E_NS1_11comp_targetILNS1_3genE0ELNS1_11target_archE4294967295ELNS1_3gpuE0ELNS1_3repE0EEENS1_30default_config_static_selectorELNS0_4arch9wavefront6targetE0EEEvT1_.numbered_sgpr, 0
	.set _ZN7rocprim17ROCPRIM_400000_NS6detail17trampoline_kernelINS0_14default_configENS1_25partition_config_selectorILNS1_17partition_subalgoE8EN3c108BFloat16ENS0_10empty_typeEbEEZZNS1_14partition_implILS5_8ELb0ES3_jPKS7_PS8_PKS8_NS0_5tupleIJPS7_S8_EEENSG_IJSD_SD_EEENS0_18inequality_wrapperIN6hipcub16HIPCUB_304000_NS8EqualityEEEPlJS8_EEE10hipError_tPvRmT3_T4_T5_T6_T7_T9_mT8_P12ihipStream_tbDpT10_ENKUlT_T0_E_clISt17integral_constantIbLb1EES18_IbLb0EEEEDaS14_S15_EUlS14_E_NS1_11comp_targetILNS1_3genE0ELNS1_11target_archE4294967295ELNS1_3gpuE0ELNS1_3repE0EEENS1_30default_config_static_selectorELNS0_4arch9wavefront6targetE0EEEvT1_.num_named_barrier, 0
	.set _ZN7rocprim17ROCPRIM_400000_NS6detail17trampoline_kernelINS0_14default_configENS1_25partition_config_selectorILNS1_17partition_subalgoE8EN3c108BFloat16ENS0_10empty_typeEbEEZZNS1_14partition_implILS5_8ELb0ES3_jPKS7_PS8_PKS8_NS0_5tupleIJPS7_S8_EEENSG_IJSD_SD_EEENS0_18inequality_wrapperIN6hipcub16HIPCUB_304000_NS8EqualityEEEPlJS8_EEE10hipError_tPvRmT3_T4_T5_T6_T7_T9_mT8_P12ihipStream_tbDpT10_ENKUlT_T0_E_clISt17integral_constantIbLb1EES18_IbLb0EEEEDaS14_S15_EUlS14_E_NS1_11comp_targetILNS1_3genE0ELNS1_11target_archE4294967295ELNS1_3gpuE0ELNS1_3repE0EEENS1_30default_config_static_selectorELNS0_4arch9wavefront6targetE0EEEvT1_.private_seg_size, 0
	.set _ZN7rocprim17ROCPRIM_400000_NS6detail17trampoline_kernelINS0_14default_configENS1_25partition_config_selectorILNS1_17partition_subalgoE8EN3c108BFloat16ENS0_10empty_typeEbEEZZNS1_14partition_implILS5_8ELb0ES3_jPKS7_PS8_PKS8_NS0_5tupleIJPS7_S8_EEENSG_IJSD_SD_EEENS0_18inequality_wrapperIN6hipcub16HIPCUB_304000_NS8EqualityEEEPlJS8_EEE10hipError_tPvRmT3_T4_T5_T6_T7_T9_mT8_P12ihipStream_tbDpT10_ENKUlT_T0_E_clISt17integral_constantIbLb1EES18_IbLb0EEEEDaS14_S15_EUlS14_E_NS1_11comp_targetILNS1_3genE0ELNS1_11target_archE4294967295ELNS1_3gpuE0ELNS1_3repE0EEENS1_30default_config_static_selectorELNS0_4arch9wavefront6targetE0EEEvT1_.uses_vcc, 0
	.set _ZN7rocprim17ROCPRIM_400000_NS6detail17trampoline_kernelINS0_14default_configENS1_25partition_config_selectorILNS1_17partition_subalgoE8EN3c108BFloat16ENS0_10empty_typeEbEEZZNS1_14partition_implILS5_8ELb0ES3_jPKS7_PS8_PKS8_NS0_5tupleIJPS7_S8_EEENSG_IJSD_SD_EEENS0_18inequality_wrapperIN6hipcub16HIPCUB_304000_NS8EqualityEEEPlJS8_EEE10hipError_tPvRmT3_T4_T5_T6_T7_T9_mT8_P12ihipStream_tbDpT10_ENKUlT_T0_E_clISt17integral_constantIbLb1EES18_IbLb0EEEEDaS14_S15_EUlS14_E_NS1_11comp_targetILNS1_3genE0ELNS1_11target_archE4294967295ELNS1_3gpuE0ELNS1_3repE0EEENS1_30default_config_static_selectorELNS0_4arch9wavefront6targetE0EEEvT1_.uses_flat_scratch, 0
	.set _ZN7rocprim17ROCPRIM_400000_NS6detail17trampoline_kernelINS0_14default_configENS1_25partition_config_selectorILNS1_17partition_subalgoE8EN3c108BFloat16ENS0_10empty_typeEbEEZZNS1_14partition_implILS5_8ELb0ES3_jPKS7_PS8_PKS8_NS0_5tupleIJPS7_S8_EEENSG_IJSD_SD_EEENS0_18inequality_wrapperIN6hipcub16HIPCUB_304000_NS8EqualityEEEPlJS8_EEE10hipError_tPvRmT3_T4_T5_T6_T7_T9_mT8_P12ihipStream_tbDpT10_ENKUlT_T0_E_clISt17integral_constantIbLb1EES18_IbLb0EEEEDaS14_S15_EUlS14_E_NS1_11comp_targetILNS1_3genE0ELNS1_11target_archE4294967295ELNS1_3gpuE0ELNS1_3repE0EEENS1_30default_config_static_selectorELNS0_4arch9wavefront6targetE0EEEvT1_.has_dyn_sized_stack, 0
	.set _ZN7rocprim17ROCPRIM_400000_NS6detail17trampoline_kernelINS0_14default_configENS1_25partition_config_selectorILNS1_17partition_subalgoE8EN3c108BFloat16ENS0_10empty_typeEbEEZZNS1_14partition_implILS5_8ELb0ES3_jPKS7_PS8_PKS8_NS0_5tupleIJPS7_S8_EEENSG_IJSD_SD_EEENS0_18inequality_wrapperIN6hipcub16HIPCUB_304000_NS8EqualityEEEPlJS8_EEE10hipError_tPvRmT3_T4_T5_T6_T7_T9_mT8_P12ihipStream_tbDpT10_ENKUlT_T0_E_clISt17integral_constantIbLb1EES18_IbLb0EEEEDaS14_S15_EUlS14_E_NS1_11comp_targetILNS1_3genE0ELNS1_11target_archE4294967295ELNS1_3gpuE0ELNS1_3repE0EEENS1_30default_config_static_selectorELNS0_4arch9wavefront6targetE0EEEvT1_.has_recursion, 0
	.set _ZN7rocprim17ROCPRIM_400000_NS6detail17trampoline_kernelINS0_14default_configENS1_25partition_config_selectorILNS1_17partition_subalgoE8EN3c108BFloat16ENS0_10empty_typeEbEEZZNS1_14partition_implILS5_8ELb0ES3_jPKS7_PS8_PKS8_NS0_5tupleIJPS7_S8_EEENSG_IJSD_SD_EEENS0_18inequality_wrapperIN6hipcub16HIPCUB_304000_NS8EqualityEEEPlJS8_EEE10hipError_tPvRmT3_T4_T5_T6_T7_T9_mT8_P12ihipStream_tbDpT10_ENKUlT_T0_E_clISt17integral_constantIbLb1EES18_IbLb0EEEEDaS14_S15_EUlS14_E_NS1_11comp_targetILNS1_3genE0ELNS1_11target_archE4294967295ELNS1_3gpuE0ELNS1_3repE0EEENS1_30default_config_static_selectorELNS0_4arch9wavefront6targetE0EEEvT1_.has_indirect_call, 0
	.section	.AMDGPU.csdata,"",@progbits
; Kernel info:
; codeLenInByte = 4
; TotalNumSgprs: 0
; NumVgprs: 0
; ScratchSize: 0
; MemoryBound: 0
; FloatMode: 240
; IeeeMode: 1
; LDSByteSize: 0 bytes/workgroup (compile time only)
; SGPRBlocks: 0
; VGPRBlocks: 0
; NumSGPRsForWavesPerEU: 1
; NumVGPRsForWavesPerEU: 1
; NamedBarCnt: 0
; Occupancy: 16
; WaveLimiterHint : 0
; COMPUTE_PGM_RSRC2:SCRATCH_EN: 0
; COMPUTE_PGM_RSRC2:USER_SGPR: 2
; COMPUTE_PGM_RSRC2:TRAP_HANDLER: 0
; COMPUTE_PGM_RSRC2:TGID_X_EN: 1
; COMPUTE_PGM_RSRC2:TGID_Y_EN: 0
; COMPUTE_PGM_RSRC2:TGID_Z_EN: 0
; COMPUTE_PGM_RSRC2:TIDIG_COMP_CNT: 0
	.section	.text._ZN7rocprim17ROCPRIM_400000_NS6detail17trampoline_kernelINS0_14default_configENS1_25partition_config_selectorILNS1_17partition_subalgoE8EN3c108BFloat16ENS0_10empty_typeEbEEZZNS1_14partition_implILS5_8ELb0ES3_jPKS7_PS8_PKS8_NS0_5tupleIJPS7_S8_EEENSG_IJSD_SD_EEENS0_18inequality_wrapperIN6hipcub16HIPCUB_304000_NS8EqualityEEEPlJS8_EEE10hipError_tPvRmT3_T4_T5_T6_T7_T9_mT8_P12ihipStream_tbDpT10_ENKUlT_T0_E_clISt17integral_constantIbLb1EES18_IbLb0EEEEDaS14_S15_EUlS14_E_NS1_11comp_targetILNS1_3genE5ELNS1_11target_archE942ELNS1_3gpuE9ELNS1_3repE0EEENS1_30default_config_static_selectorELNS0_4arch9wavefront6targetE0EEEvT1_,"axG",@progbits,_ZN7rocprim17ROCPRIM_400000_NS6detail17trampoline_kernelINS0_14default_configENS1_25partition_config_selectorILNS1_17partition_subalgoE8EN3c108BFloat16ENS0_10empty_typeEbEEZZNS1_14partition_implILS5_8ELb0ES3_jPKS7_PS8_PKS8_NS0_5tupleIJPS7_S8_EEENSG_IJSD_SD_EEENS0_18inequality_wrapperIN6hipcub16HIPCUB_304000_NS8EqualityEEEPlJS8_EEE10hipError_tPvRmT3_T4_T5_T6_T7_T9_mT8_P12ihipStream_tbDpT10_ENKUlT_T0_E_clISt17integral_constantIbLb1EES18_IbLb0EEEEDaS14_S15_EUlS14_E_NS1_11comp_targetILNS1_3genE5ELNS1_11target_archE942ELNS1_3gpuE9ELNS1_3repE0EEENS1_30default_config_static_selectorELNS0_4arch9wavefront6targetE0EEEvT1_,comdat
	.protected	_ZN7rocprim17ROCPRIM_400000_NS6detail17trampoline_kernelINS0_14default_configENS1_25partition_config_selectorILNS1_17partition_subalgoE8EN3c108BFloat16ENS0_10empty_typeEbEEZZNS1_14partition_implILS5_8ELb0ES3_jPKS7_PS8_PKS8_NS0_5tupleIJPS7_S8_EEENSG_IJSD_SD_EEENS0_18inequality_wrapperIN6hipcub16HIPCUB_304000_NS8EqualityEEEPlJS8_EEE10hipError_tPvRmT3_T4_T5_T6_T7_T9_mT8_P12ihipStream_tbDpT10_ENKUlT_T0_E_clISt17integral_constantIbLb1EES18_IbLb0EEEEDaS14_S15_EUlS14_E_NS1_11comp_targetILNS1_3genE5ELNS1_11target_archE942ELNS1_3gpuE9ELNS1_3repE0EEENS1_30default_config_static_selectorELNS0_4arch9wavefront6targetE0EEEvT1_ ; -- Begin function _ZN7rocprim17ROCPRIM_400000_NS6detail17trampoline_kernelINS0_14default_configENS1_25partition_config_selectorILNS1_17partition_subalgoE8EN3c108BFloat16ENS0_10empty_typeEbEEZZNS1_14partition_implILS5_8ELb0ES3_jPKS7_PS8_PKS8_NS0_5tupleIJPS7_S8_EEENSG_IJSD_SD_EEENS0_18inequality_wrapperIN6hipcub16HIPCUB_304000_NS8EqualityEEEPlJS8_EEE10hipError_tPvRmT3_T4_T5_T6_T7_T9_mT8_P12ihipStream_tbDpT10_ENKUlT_T0_E_clISt17integral_constantIbLb1EES18_IbLb0EEEEDaS14_S15_EUlS14_E_NS1_11comp_targetILNS1_3genE5ELNS1_11target_archE942ELNS1_3gpuE9ELNS1_3repE0EEENS1_30default_config_static_selectorELNS0_4arch9wavefront6targetE0EEEvT1_
	.globl	_ZN7rocprim17ROCPRIM_400000_NS6detail17trampoline_kernelINS0_14default_configENS1_25partition_config_selectorILNS1_17partition_subalgoE8EN3c108BFloat16ENS0_10empty_typeEbEEZZNS1_14partition_implILS5_8ELb0ES3_jPKS7_PS8_PKS8_NS0_5tupleIJPS7_S8_EEENSG_IJSD_SD_EEENS0_18inequality_wrapperIN6hipcub16HIPCUB_304000_NS8EqualityEEEPlJS8_EEE10hipError_tPvRmT3_T4_T5_T6_T7_T9_mT8_P12ihipStream_tbDpT10_ENKUlT_T0_E_clISt17integral_constantIbLb1EES18_IbLb0EEEEDaS14_S15_EUlS14_E_NS1_11comp_targetILNS1_3genE5ELNS1_11target_archE942ELNS1_3gpuE9ELNS1_3repE0EEENS1_30default_config_static_selectorELNS0_4arch9wavefront6targetE0EEEvT1_
	.p2align	8
	.type	_ZN7rocprim17ROCPRIM_400000_NS6detail17trampoline_kernelINS0_14default_configENS1_25partition_config_selectorILNS1_17partition_subalgoE8EN3c108BFloat16ENS0_10empty_typeEbEEZZNS1_14partition_implILS5_8ELb0ES3_jPKS7_PS8_PKS8_NS0_5tupleIJPS7_S8_EEENSG_IJSD_SD_EEENS0_18inequality_wrapperIN6hipcub16HIPCUB_304000_NS8EqualityEEEPlJS8_EEE10hipError_tPvRmT3_T4_T5_T6_T7_T9_mT8_P12ihipStream_tbDpT10_ENKUlT_T0_E_clISt17integral_constantIbLb1EES18_IbLb0EEEEDaS14_S15_EUlS14_E_NS1_11comp_targetILNS1_3genE5ELNS1_11target_archE942ELNS1_3gpuE9ELNS1_3repE0EEENS1_30default_config_static_selectorELNS0_4arch9wavefront6targetE0EEEvT1_,@function
_ZN7rocprim17ROCPRIM_400000_NS6detail17trampoline_kernelINS0_14default_configENS1_25partition_config_selectorILNS1_17partition_subalgoE8EN3c108BFloat16ENS0_10empty_typeEbEEZZNS1_14partition_implILS5_8ELb0ES3_jPKS7_PS8_PKS8_NS0_5tupleIJPS7_S8_EEENSG_IJSD_SD_EEENS0_18inequality_wrapperIN6hipcub16HIPCUB_304000_NS8EqualityEEEPlJS8_EEE10hipError_tPvRmT3_T4_T5_T6_T7_T9_mT8_P12ihipStream_tbDpT10_ENKUlT_T0_E_clISt17integral_constantIbLb1EES18_IbLb0EEEEDaS14_S15_EUlS14_E_NS1_11comp_targetILNS1_3genE5ELNS1_11target_archE942ELNS1_3gpuE9ELNS1_3repE0EEENS1_30default_config_static_selectorELNS0_4arch9wavefront6targetE0EEEvT1_: ; @_ZN7rocprim17ROCPRIM_400000_NS6detail17trampoline_kernelINS0_14default_configENS1_25partition_config_selectorILNS1_17partition_subalgoE8EN3c108BFloat16ENS0_10empty_typeEbEEZZNS1_14partition_implILS5_8ELb0ES3_jPKS7_PS8_PKS8_NS0_5tupleIJPS7_S8_EEENSG_IJSD_SD_EEENS0_18inequality_wrapperIN6hipcub16HIPCUB_304000_NS8EqualityEEEPlJS8_EEE10hipError_tPvRmT3_T4_T5_T6_T7_T9_mT8_P12ihipStream_tbDpT10_ENKUlT_T0_E_clISt17integral_constantIbLb1EES18_IbLb0EEEEDaS14_S15_EUlS14_E_NS1_11comp_targetILNS1_3genE5ELNS1_11target_archE942ELNS1_3gpuE9ELNS1_3repE0EEENS1_30default_config_static_selectorELNS0_4arch9wavefront6targetE0EEEvT1_
; %bb.0:
	.section	.rodata,"a",@progbits
	.p2align	6, 0x0
	.amdhsa_kernel _ZN7rocprim17ROCPRIM_400000_NS6detail17trampoline_kernelINS0_14default_configENS1_25partition_config_selectorILNS1_17partition_subalgoE8EN3c108BFloat16ENS0_10empty_typeEbEEZZNS1_14partition_implILS5_8ELb0ES3_jPKS7_PS8_PKS8_NS0_5tupleIJPS7_S8_EEENSG_IJSD_SD_EEENS0_18inequality_wrapperIN6hipcub16HIPCUB_304000_NS8EqualityEEEPlJS8_EEE10hipError_tPvRmT3_T4_T5_T6_T7_T9_mT8_P12ihipStream_tbDpT10_ENKUlT_T0_E_clISt17integral_constantIbLb1EES18_IbLb0EEEEDaS14_S15_EUlS14_E_NS1_11comp_targetILNS1_3genE5ELNS1_11target_archE942ELNS1_3gpuE9ELNS1_3repE0EEENS1_30default_config_static_selectorELNS0_4arch9wavefront6targetE0EEEvT1_
		.amdhsa_group_segment_fixed_size 0
		.amdhsa_private_segment_fixed_size 0
		.amdhsa_kernarg_size 112
		.amdhsa_user_sgpr_count 2
		.amdhsa_user_sgpr_dispatch_ptr 0
		.amdhsa_user_sgpr_queue_ptr 0
		.amdhsa_user_sgpr_kernarg_segment_ptr 1
		.amdhsa_user_sgpr_dispatch_id 0
		.amdhsa_user_sgpr_kernarg_preload_length 0
		.amdhsa_user_sgpr_kernarg_preload_offset 0
		.amdhsa_user_sgpr_private_segment_size 0
		.amdhsa_wavefront_size32 1
		.amdhsa_uses_dynamic_stack 0
		.amdhsa_enable_private_segment 0
		.amdhsa_system_sgpr_workgroup_id_x 1
		.amdhsa_system_sgpr_workgroup_id_y 0
		.amdhsa_system_sgpr_workgroup_id_z 0
		.amdhsa_system_sgpr_workgroup_info 0
		.amdhsa_system_vgpr_workitem_id 0
		.amdhsa_next_free_vgpr 1
		.amdhsa_next_free_sgpr 1
		.amdhsa_named_barrier_count 0
		.amdhsa_reserve_vcc 0
		.amdhsa_float_round_mode_32 0
		.amdhsa_float_round_mode_16_64 0
		.amdhsa_float_denorm_mode_32 3
		.amdhsa_float_denorm_mode_16_64 3
		.amdhsa_fp16_overflow 0
		.amdhsa_memory_ordered 1
		.amdhsa_forward_progress 1
		.amdhsa_inst_pref_size 0
		.amdhsa_round_robin_scheduling 0
		.amdhsa_exception_fp_ieee_invalid_op 0
		.amdhsa_exception_fp_denorm_src 0
		.amdhsa_exception_fp_ieee_div_zero 0
		.amdhsa_exception_fp_ieee_overflow 0
		.amdhsa_exception_fp_ieee_underflow 0
		.amdhsa_exception_fp_ieee_inexact 0
		.amdhsa_exception_int_div_zero 0
	.end_amdhsa_kernel
	.section	.text._ZN7rocprim17ROCPRIM_400000_NS6detail17trampoline_kernelINS0_14default_configENS1_25partition_config_selectorILNS1_17partition_subalgoE8EN3c108BFloat16ENS0_10empty_typeEbEEZZNS1_14partition_implILS5_8ELb0ES3_jPKS7_PS8_PKS8_NS0_5tupleIJPS7_S8_EEENSG_IJSD_SD_EEENS0_18inequality_wrapperIN6hipcub16HIPCUB_304000_NS8EqualityEEEPlJS8_EEE10hipError_tPvRmT3_T4_T5_T6_T7_T9_mT8_P12ihipStream_tbDpT10_ENKUlT_T0_E_clISt17integral_constantIbLb1EES18_IbLb0EEEEDaS14_S15_EUlS14_E_NS1_11comp_targetILNS1_3genE5ELNS1_11target_archE942ELNS1_3gpuE9ELNS1_3repE0EEENS1_30default_config_static_selectorELNS0_4arch9wavefront6targetE0EEEvT1_,"axG",@progbits,_ZN7rocprim17ROCPRIM_400000_NS6detail17trampoline_kernelINS0_14default_configENS1_25partition_config_selectorILNS1_17partition_subalgoE8EN3c108BFloat16ENS0_10empty_typeEbEEZZNS1_14partition_implILS5_8ELb0ES3_jPKS7_PS8_PKS8_NS0_5tupleIJPS7_S8_EEENSG_IJSD_SD_EEENS0_18inequality_wrapperIN6hipcub16HIPCUB_304000_NS8EqualityEEEPlJS8_EEE10hipError_tPvRmT3_T4_T5_T6_T7_T9_mT8_P12ihipStream_tbDpT10_ENKUlT_T0_E_clISt17integral_constantIbLb1EES18_IbLb0EEEEDaS14_S15_EUlS14_E_NS1_11comp_targetILNS1_3genE5ELNS1_11target_archE942ELNS1_3gpuE9ELNS1_3repE0EEENS1_30default_config_static_selectorELNS0_4arch9wavefront6targetE0EEEvT1_,comdat
.Lfunc_end841:
	.size	_ZN7rocprim17ROCPRIM_400000_NS6detail17trampoline_kernelINS0_14default_configENS1_25partition_config_selectorILNS1_17partition_subalgoE8EN3c108BFloat16ENS0_10empty_typeEbEEZZNS1_14partition_implILS5_8ELb0ES3_jPKS7_PS8_PKS8_NS0_5tupleIJPS7_S8_EEENSG_IJSD_SD_EEENS0_18inequality_wrapperIN6hipcub16HIPCUB_304000_NS8EqualityEEEPlJS8_EEE10hipError_tPvRmT3_T4_T5_T6_T7_T9_mT8_P12ihipStream_tbDpT10_ENKUlT_T0_E_clISt17integral_constantIbLb1EES18_IbLb0EEEEDaS14_S15_EUlS14_E_NS1_11comp_targetILNS1_3genE5ELNS1_11target_archE942ELNS1_3gpuE9ELNS1_3repE0EEENS1_30default_config_static_selectorELNS0_4arch9wavefront6targetE0EEEvT1_, .Lfunc_end841-_ZN7rocprim17ROCPRIM_400000_NS6detail17trampoline_kernelINS0_14default_configENS1_25partition_config_selectorILNS1_17partition_subalgoE8EN3c108BFloat16ENS0_10empty_typeEbEEZZNS1_14partition_implILS5_8ELb0ES3_jPKS7_PS8_PKS8_NS0_5tupleIJPS7_S8_EEENSG_IJSD_SD_EEENS0_18inequality_wrapperIN6hipcub16HIPCUB_304000_NS8EqualityEEEPlJS8_EEE10hipError_tPvRmT3_T4_T5_T6_T7_T9_mT8_P12ihipStream_tbDpT10_ENKUlT_T0_E_clISt17integral_constantIbLb1EES18_IbLb0EEEEDaS14_S15_EUlS14_E_NS1_11comp_targetILNS1_3genE5ELNS1_11target_archE942ELNS1_3gpuE9ELNS1_3repE0EEENS1_30default_config_static_selectorELNS0_4arch9wavefront6targetE0EEEvT1_
                                        ; -- End function
	.set _ZN7rocprim17ROCPRIM_400000_NS6detail17trampoline_kernelINS0_14default_configENS1_25partition_config_selectorILNS1_17partition_subalgoE8EN3c108BFloat16ENS0_10empty_typeEbEEZZNS1_14partition_implILS5_8ELb0ES3_jPKS7_PS8_PKS8_NS0_5tupleIJPS7_S8_EEENSG_IJSD_SD_EEENS0_18inequality_wrapperIN6hipcub16HIPCUB_304000_NS8EqualityEEEPlJS8_EEE10hipError_tPvRmT3_T4_T5_T6_T7_T9_mT8_P12ihipStream_tbDpT10_ENKUlT_T0_E_clISt17integral_constantIbLb1EES18_IbLb0EEEEDaS14_S15_EUlS14_E_NS1_11comp_targetILNS1_3genE5ELNS1_11target_archE942ELNS1_3gpuE9ELNS1_3repE0EEENS1_30default_config_static_selectorELNS0_4arch9wavefront6targetE0EEEvT1_.num_vgpr, 0
	.set _ZN7rocprim17ROCPRIM_400000_NS6detail17trampoline_kernelINS0_14default_configENS1_25partition_config_selectorILNS1_17partition_subalgoE8EN3c108BFloat16ENS0_10empty_typeEbEEZZNS1_14partition_implILS5_8ELb0ES3_jPKS7_PS8_PKS8_NS0_5tupleIJPS7_S8_EEENSG_IJSD_SD_EEENS0_18inequality_wrapperIN6hipcub16HIPCUB_304000_NS8EqualityEEEPlJS8_EEE10hipError_tPvRmT3_T4_T5_T6_T7_T9_mT8_P12ihipStream_tbDpT10_ENKUlT_T0_E_clISt17integral_constantIbLb1EES18_IbLb0EEEEDaS14_S15_EUlS14_E_NS1_11comp_targetILNS1_3genE5ELNS1_11target_archE942ELNS1_3gpuE9ELNS1_3repE0EEENS1_30default_config_static_selectorELNS0_4arch9wavefront6targetE0EEEvT1_.num_agpr, 0
	.set _ZN7rocprim17ROCPRIM_400000_NS6detail17trampoline_kernelINS0_14default_configENS1_25partition_config_selectorILNS1_17partition_subalgoE8EN3c108BFloat16ENS0_10empty_typeEbEEZZNS1_14partition_implILS5_8ELb0ES3_jPKS7_PS8_PKS8_NS0_5tupleIJPS7_S8_EEENSG_IJSD_SD_EEENS0_18inequality_wrapperIN6hipcub16HIPCUB_304000_NS8EqualityEEEPlJS8_EEE10hipError_tPvRmT3_T4_T5_T6_T7_T9_mT8_P12ihipStream_tbDpT10_ENKUlT_T0_E_clISt17integral_constantIbLb1EES18_IbLb0EEEEDaS14_S15_EUlS14_E_NS1_11comp_targetILNS1_3genE5ELNS1_11target_archE942ELNS1_3gpuE9ELNS1_3repE0EEENS1_30default_config_static_selectorELNS0_4arch9wavefront6targetE0EEEvT1_.numbered_sgpr, 0
	.set _ZN7rocprim17ROCPRIM_400000_NS6detail17trampoline_kernelINS0_14default_configENS1_25partition_config_selectorILNS1_17partition_subalgoE8EN3c108BFloat16ENS0_10empty_typeEbEEZZNS1_14partition_implILS5_8ELb0ES3_jPKS7_PS8_PKS8_NS0_5tupleIJPS7_S8_EEENSG_IJSD_SD_EEENS0_18inequality_wrapperIN6hipcub16HIPCUB_304000_NS8EqualityEEEPlJS8_EEE10hipError_tPvRmT3_T4_T5_T6_T7_T9_mT8_P12ihipStream_tbDpT10_ENKUlT_T0_E_clISt17integral_constantIbLb1EES18_IbLb0EEEEDaS14_S15_EUlS14_E_NS1_11comp_targetILNS1_3genE5ELNS1_11target_archE942ELNS1_3gpuE9ELNS1_3repE0EEENS1_30default_config_static_selectorELNS0_4arch9wavefront6targetE0EEEvT1_.num_named_barrier, 0
	.set _ZN7rocprim17ROCPRIM_400000_NS6detail17trampoline_kernelINS0_14default_configENS1_25partition_config_selectorILNS1_17partition_subalgoE8EN3c108BFloat16ENS0_10empty_typeEbEEZZNS1_14partition_implILS5_8ELb0ES3_jPKS7_PS8_PKS8_NS0_5tupleIJPS7_S8_EEENSG_IJSD_SD_EEENS0_18inequality_wrapperIN6hipcub16HIPCUB_304000_NS8EqualityEEEPlJS8_EEE10hipError_tPvRmT3_T4_T5_T6_T7_T9_mT8_P12ihipStream_tbDpT10_ENKUlT_T0_E_clISt17integral_constantIbLb1EES18_IbLb0EEEEDaS14_S15_EUlS14_E_NS1_11comp_targetILNS1_3genE5ELNS1_11target_archE942ELNS1_3gpuE9ELNS1_3repE0EEENS1_30default_config_static_selectorELNS0_4arch9wavefront6targetE0EEEvT1_.private_seg_size, 0
	.set _ZN7rocprim17ROCPRIM_400000_NS6detail17trampoline_kernelINS0_14default_configENS1_25partition_config_selectorILNS1_17partition_subalgoE8EN3c108BFloat16ENS0_10empty_typeEbEEZZNS1_14partition_implILS5_8ELb0ES3_jPKS7_PS8_PKS8_NS0_5tupleIJPS7_S8_EEENSG_IJSD_SD_EEENS0_18inequality_wrapperIN6hipcub16HIPCUB_304000_NS8EqualityEEEPlJS8_EEE10hipError_tPvRmT3_T4_T5_T6_T7_T9_mT8_P12ihipStream_tbDpT10_ENKUlT_T0_E_clISt17integral_constantIbLb1EES18_IbLb0EEEEDaS14_S15_EUlS14_E_NS1_11comp_targetILNS1_3genE5ELNS1_11target_archE942ELNS1_3gpuE9ELNS1_3repE0EEENS1_30default_config_static_selectorELNS0_4arch9wavefront6targetE0EEEvT1_.uses_vcc, 0
	.set _ZN7rocprim17ROCPRIM_400000_NS6detail17trampoline_kernelINS0_14default_configENS1_25partition_config_selectorILNS1_17partition_subalgoE8EN3c108BFloat16ENS0_10empty_typeEbEEZZNS1_14partition_implILS5_8ELb0ES3_jPKS7_PS8_PKS8_NS0_5tupleIJPS7_S8_EEENSG_IJSD_SD_EEENS0_18inequality_wrapperIN6hipcub16HIPCUB_304000_NS8EqualityEEEPlJS8_EEE10hipError_tPvRmT3_T4_T5_T6_T7_T9_mT8_P12ihipStream_tbDpT10_ENKUlT_T0_E_clISt17integral_constantIbLb1EES18_IbLb0EEEEDaS14_S15_EUlS14_E_NS1_11comp_targetILNS1_3genE5ELNS1_11target_archE942ELNS1_3gpuE9ELNS1_3repE0EEENS1_30default_config_static_selectorELNS0_4arch9wavefront6targetE0EEEvT1_.uses_flat_scratch, 0
	.set _ZN7rocprim17ROCPRIM_400000_NS6detail17trampoline_kernelINS0_14default_configENS1_25partition_config_selectorILNS1_17partition_subalgoE8EN3c108BFloat16ENS0_10empty_typeEbEEZZNS1_14partition_implILS5_8ELb0ES3_jPKS7_PS8_PKS8_NS0_5tupleIJPS7_S8_EEENSG_IJSD_SD_EEENS0_18inequality_wrapperIN6hipcub16HIPCUB_304000_NS8EqualityEEEPlJS8_EEE10hipError_tPvRmT3_T4_T5_T6_T7_T9_mT8_P12ihipStream_tbDpT10_ENKUlT_T0_E_clISt17integral_constantIbLb1EES18_IbLb0EEEEDaS14_S15_EUlS14_E_NS1_11comp_targetILNS1_3genE5ELNS1_11target_archE942ELNS1_3gpuE9ELNS1_3repE0EEENS1_30default_config_static_selectorELNS0_4arch9wavefront6targetE0EEEvT1_.has_dyn_sized_stack, 0
	.set _ZN7rocprim17ROCPRIM_400000_NS6detail17trampoline_kernelINS0_14default_configENS1_25partition_config_selectorILNS1_17partition_subalgoE8EN3c108BFloat16ENS0_10empty_typeEbEEZZNS1_14partition_implILS5_8ELb0ES3_jPKS7_PS8_PKS8_NS0_5tupleIJPS7_S8_EEENSG_IJSD_SD_EEENS0_18inequality_wrapperIN6hipcub16HIPCUB_304000_NS8EqualityEEEPlJS8_EEE10hipError_tPvRmT3_T4_T5_T6_T7_T9_mT8_P12ihipStream_tbDpT10_ENKUlT_T0_E_clISt17integral_constantIbLb1EES18_IbLb0EEEEDaS14_S15_EUlS14_E_NS1_11comp_targetILNS1_3genE5ELNS1_11target_archE942ELNS1_3gpuE9ELNS1_3repE0EEENS1_30default_config_static_selectorELNS0_4arch9wavefront6targetE0EEEvT1_.has_recursion, 0
	.set _ZN7rocprim17ROCPRIM_400000_NS6detail17trampoline_kernelINS0_14default_configENS1_25partition_config_selectorILNS1_17partition_subalgoE8EN3c108BFloat16ENS0_10empty_typeEbEEZZNS1_14partition_implILS5_8ELb0ES3_jPKS7_PS8_PKS8_NS0_5tupleIJPS7_S8_EEENSG_IJSD_SD_EEENS0_18inequality_wrapperIN6hipcub16HIPCUB_304000_NS8EqualityEEEPlJS8_EEE10hipError_tPvRmT3_T4_T5_T6_T7_T9_mT8_P12ihipStream_tbDpT10_ENKUlT_T0_E_clISt17integral_constantIbLb1EES18_IbLb0EEEEDaS14_S15_EUlS14_E_NS1_11comp_targetILNS1_3genE5ELNS1_11target_archE942ELNS1_3gpuE9ELNS1_3repE0EEENS1_30default_config_static_selectorELNS0_4arch9wavefront6targetE0EEEvT1_.has_indirect_call, 0
	.section	.AMDGPU.csdata,"",@progbits
; Kernel info:
; codeLenInByte = 0
; TotalNumSgprs: 0
; NumVgprs: 0
; ScratchSize: 0
; MemoryBound: 0
; FloatMode: 240
; IeeeMode: 1
; LDSByteSize: 0 bytes/workgroup (compile time only)
; SGPRBlocks: 0
; VGPRBlocks: 0
; NumSGPRsForWavesPerEU: 1
; NumVGPRsForWavesPerEU: 1
; NamedBarCnt: 0
; Occupancy: 16
; WaveLimiterHint : 0
; COMPUTE_PGM_RSRC2:SCRATCH_EN: 0
; COMPUTE_PGM_RSRC2:USER_SGPR: 2
; COMPUTE_PGM_RSRC2:TRAP_HANDLER: 0
; COMPUTE_PGM_RSRC2:TGID_X_EN: 1
; COMPUTE_PGM_RSRC2:TGID_Y_EN: 0
; COMPUTE_PGM_RSRC2:TGID_Z_EN: 0
; COMPUTE_PGM_RSRC2:TIDIG_COMP_CNT: 0
	.section	.text._ZN7rocprim17ROCPRIM_400000_NS6detail17trampoline_kernelINS0_14default_configENS1_25partition_config_selectorILNS1_17partition_subalgoE8EN3c108BFloat16ENS0_10empty_typeEbEEZZNS1_14partition_implILS5_8ELb0ES3_jPKS7_PS8_PKS8_NS0_5tupleIJPS7_S8_EEENSG_IJSD_SD_EEENS0_18inequality_wrapperIN6hipcub16HIPCUB_304000_NS8EqualityEEEPlJS8_EEE10hipError_tPvRmT3_T4_T5_T6_T7_T9_mT8_P12ihipStream_tbDpT10_ENKUlT_T0_E_clISt17integral_constantIbLb1EES18_IbLb0EEEEDaS14_S15_EUlS14_E_NS1_11comp_targetILNS1_3genE4ELNS1_11target_archE910ELNS1_3gpuE8ELNS1_3repE0EEENS1_30default_config_static_selectorELNS0_4arch9wavefront6targetE0EEEvT1_,"axG",@progbits,_ZN7rocprim17ROCPRIM_400000_NS6detail17trampoline_kernelINS0_14default_configENS1_25partition_config_selectorILNS1_17partition_subalgoE8EN3c108BFloat16ENS0_10empty_typeEbEEZZNS1_14partition_implILS5_8ELb0ES3_jPKS7_PS8_PKS8_NS0_5tupleIJPS7_S8_EEENSG_IJSD_SD_EEENS0_18inequality_wrapperIN6hipcub16HIPCUB_304000_NS8EqualityEEEPlJS8_EEE10hipError_tPvRmT3_T4_T5_T6_T7_T9_mT8_P12ihipStream_tbDpT10_ENKUlT_T0_E_clISt17integral_constantIbLb1EES18_IbLb0EEEEDaS14_S15_EUlS14_E_NS1_11comp_targetILNS1_3genE4ELNS1_11target_archE910ELNS1_3gpuE8ELNS1_3repE0EEENS1_30default_config_static_selectorELNS0_4arch9wavefront6targetE0EEEvT1_,comdat
	.protected	_ZN7rocprim17ROCPRIM_400000_NS6detail17trampoline_kernelINS0_14default_configENS1_25partition_config_selectorILNS1_17partition_subalgoE8EN3c108BFloat16ENS0_10empty_typeEbEEZZNS1_14partition_implILS5_8ELb0ES3_jPKS7_PS8_PKS8_NS0_5tupleIJPS7_S8_EEENSG_IJSD_SD_EEENS0_18inequality_wrapperIN6hipcub16HIPCUB_304000_NS8EqualityEEEPlJS8_EEE10hipError_tPvRmT3_T4_T5_T6_T7_T9_mT8_P12ihipStream_tbDpT10_ENKUlT_T0_E_clISt17integral_constantIbLb1EES18_IbLb0EEEEDaS14_S15_EUlS14_E_NS1_11comp_targetILNS1_3genE4ELNS1_11target_archE910ELNS1_3gpuE8ELNS1_3repE0EEENS1_30default_config_static_selectorELNS0_4arch9wavefront6targetE0EEEvT1_ ; -- Begin function _ZN7rocprim17ROCPRIM_400000_NS6detail17trampoline_kernelINS0_14default_configENS1_25partition_config_selectorILNS1_17partition_subalgoE8EN3c108BFloat16ENS0_10empty_typeEbEEZZNS1_14partition_implILS5_8ELb0ES3_jPKS7_PS8_PKS8_NS0_5tupleIJPS7_S8_EEENSG_IJSD_SD_EEENS0_18inequality_wrapperIN6hipcub16HIPCUB_304000_NS8EqualityEEEPlJS8_EEE10hipError_tPvRmT3_T4_T5_T6_T7_T9_mT8_P12ihipStream_tbDpT10_ENKUlT_T0_E_clISt17integral_constantIbLb1EES18_IbLb0EEEEDaS14_S15_EUlS14_E_NS1_11comp_targetILNS1_3genE4ELNS1_11target_archE910ELNS1_3gpuE8ELNS1_3repE0EEENS1_30default_config_static_selectorELNS0_4arch9wavefront6targetE0EEEvT1_
	.globl	_ZN7rocprim17ROCPRIM_400000_NS6detail17trampoline_kernelINS0_14default_configENS1_25partition_config_selectorILNS1_17partition_subalgoE8EN3c108BFloat16ENS0_10empty_typeEbEEZZNS1_14partition_implILS5_8ELb0ES3_jPKS7_PS8_PKS8_NS0_5tupleIJPS7_S8_EEENSG_IJSD_SD_EEENS0_18inequality_wrapperIN6hipcub16HIPCUB_304000_NS8EqualityEEEPlJS8_EEE10hipError_tPvRmT3_T4_T5_T6_T7_T9_mT8_P12ihipStream_tbDpT10_ENKUlT_T0_E_clISt17integral_constantIbLb1EES18_IbLb0EEEEDaS14_S15_EUlS14_E_NS1_11comp_targetILNS1_3genE4ELNS1_11target_archE910ELNS1_3gpuE8ELNS1_3repE0EEENS1_30default_config_static_selectorELNS0_4arch9wavefront6targetE0EEEvT1_
	.p2align	8
	.type	_ZN7rocprim17ROCPRIM_400000_NS6detail17trampoline_kernelINS0_14default_configENS1_25partition_config_selectorILNS1_17partition_subalgoE8EN3c108BFloat16ENS0_10empty_typeEbEEZZNS1_14partition_implILS5_8ELb0ES3_jPKS7_PS8_PKS8_NS0_5tupleIJPS7_S8_EEENSG_IJSD_SD_EEENS0_18inequality_wrapperIN6hipcub16HIPCUB_304000_NS8EqualityEEEPlJS8_EEE10hipError_tPvRmT3_T4_T5_T6_T7_T9_mT8_P12ihipStream_tbDpT10_ENKUlT_T0_E_clISt17integral_constantIbLb1EES18_IbLb0EEEEDaS14_S15_EUlS14_E_NS1_11comp_targetILNS1_3genE4ELNS1_11target_archE910ELNS1_3gpuE8ELNS1_3repE0EEENS1_30default_config_static_selectorELNS0_4arch9wavefront6targetE0EEEvT1_,@function
_ZN7rocprim17ROCPRIM_400000_NS6detail17trampoline_kernelINS0_14default_configENS1_25partition_config_selectorILNS1_17partition_subalgoE8EN3c108BFloat16ENS0_10empty_typeEbEEZZNS1_14partition_implILS5_8ELb0ES3_jPKS7_PS8_PKS8_NS0_5tupleIJPS7_S8_EEENSG_IJSD_SD_EEENS0_18inequality_wrapperIN6hipcub16HIPCUB_304000_NS8EqualityEEEPlJS8_EEE10hipError_tPvRmT3_T4_T5_T6_T7_T9_mT8_P12ihipStream_tbDpT10_ENKUlT_T0_E_clISt17integral_constantIbLb1EES18_IbLb0EEEEDaS14_S15_EUlS14_E_NS1_11comp_targetILNS1_3genE4ELNS1_11target_archE910ELNS1_3gpuE8ELNS1_3repE0EEENS1_30default_config_static_selectorELNS0_4arch9wavefront6targetE0EEEvT1_: ; @_ZN7rocprim17ROCPRIM_400000_NS6detail17trampoline_kernelINS0_14default_configENS1_25partition_config_selectorILNS1_17partition_subalgoE8EN3c108BFloat16ENS0_10empty_typeEbEEZZNS1_14partition_implILS5_8ELb0ES3_jPKS7_PS8_PKS8_NS0_5tupleIJPS7_S8_EEENSG_IJSD_SD_EEENS0_18inequality_wrapperIN6hipcub16HIPCUB_304000_NS8EqualityEEEPlJS8_EEE10hipError_tPvRmT3_T4_T5_T6_T7_T9_mT8_P12ihipStream_tbDpT10_ENKUlT_T0_E_clISt17integral_constantIbLb1EES18_IbLb0EEEEDaS14_S15_EUlS14_E_NS1_11comp_targetILNS1_3genE4ELNS1_11target_archE910ELNS1_3gpuE8ELNS1_3repE0EEENS1_30default_config_static_selectorELNS0_4arch9wavefront6targetE0EEEvT1_
; %bb.0:
	.section	.rodata,"a",@progbits
	.p2align	6, 0x0
	.amdhsa_kernel _ZN7rocprim17ROCPRIM_400000_NS6detail17trampoline_kernelINS0_14default_configENS1_25partition_config_selectorILNS1_17partition_subalgoE8EN3c108BFloat16ENS0_10empty_typeEbEEZZNS1_14partition_implILS5_8ELb0ES3_jPKS7_PS8_PKS8_NS0_5tupleIJPS7_S8_EEENSG_IJSD_SD_EEENS0_18inequality_wrapperIN6hipcub16HIPCUB_304000_NS8EqualityEEEPlJS8_EEE10hipError_tPvRmT3_T4_T5_T6_T7_T9_mT8_P12ihipStream_tbDpT10_ENKUlT_T0_E_clISt17integral_constantIbLb1EES18_IbLb0EEEEDaS14_S15_EUlS14_E_NS1_11comp_targetILNS1_3genE4ELNS1_11target_archE910ELNS1_3gpuE8ELNS1_3repE0EEENS1_30default_config_static_selectorELNS0_4arch9wavefront6targetE0EEEvT1_
		.amdhsa_group_segment_fixed_size 0
		.amdhsa_private_segment_fixed_size 0
		.amdhsa_kernarg_size 112
		.amdhsa_user_sgpr_count 2
		.amdhsa_user_sgpr_dispatch_ptr 0
		.amdhsa_user_sgpr_queue_ptr 0
		.amdhsa_user_sgpr_kernarg_segment_ptr 1
		.amdhsa_user_sgpr_dispatch_id 0
		.amdhsa_user_sgpr_kernarg_preload_length 0
		.amdhsa_user_sgpr_kernarg_preload_offset 0
		.amdhsa_user_sgpr_private_segment_size 0
		.amdhsa_wavefront_size32 1
		.amdhsa_uses_dynamic_stack 0
		.amdhsa_enable_private_segment 0
		.amdhsa_system_sgpr_workgroup_id_x 1
		.amdhsa_system_sgpr_workgroup_id_y 0
		.amdhsa_system_sgpr_workgroup_id_z 0
		.amdhsa_system_sgpr_workgroup_info 0
		.amdhsa_system_vgpr_workitem_id 0
		.amdhsa_next_free_vgpr 1
		.amdhsa_next_free_sgpr 1
		.amdhsa_named_barrier_count 0
		.amdhsa_reserve_vcc 0
		.amdhsa_float_round_mode_32 0
		.amdhsa_float_round_mode_16_64 0
		.amdhsa_float_denorm_mode_32 3
		.amdhsa_float_denorm_mode_16_64 3
		.amdhsa_fp16_overflow 0
		.amdhsa_memory_ordered 1
		.amdhsa_forward_progress 1
		.amdhsa_inst_pref_size 0
		.amdhsa_round_robin_scheduling 0
		.amdhsa_exception_fp_ieee_invalid_op 0
		.amdhsa_exception_fp_denorm_src 0
		.amdhsa_exception_fp_ieee_div_zero 0
		.amdhsa_exception_fp_ieee_overflow 0
		.amdhsa_exception_fp_ieee_underflow 0
		.amdhsa_exception_fp_ieee_inexact 0
		.amdhsa_exception_int_div_zero 0
	.end_amdhsa_kernel
	.section	.text._ZN7rocprim17ROCPRIM_400000_NS6detail17trampoline_kernelINS0_14default_configENS1_25partition_config_selectorILNS1_17partition_subalgoE8EN3c108BFloat16ENS0_10empty_typeEbEEZZNS1_14partition_implILS5_8ELb0ES3_jPKS7_PS8_PKS8_NS0_5tupleIJPS7_S8_EEENSG_IJSD_SD_EEENS0_18inequality_wrapperIN6hipcub16HIPCUB_304000_NS8EqualityEEEPlJS8_EEE10hipError_tPvRmT3_T4_T5_T6_T7_T9_mT8_P12ihipStream_tbDpT10_ENKUlT_T0_E_clISt17integral_constantIbLb1EES18_IbLb0EEEEDaS14_S15_EUlS14_E_NS1_11comp_targetILNS1_3genE4ELNS1_11target_archE910ELNS1_3gpuE8ELNS1_3repE0EEENS1_30default_config_static_selectorELNS0_4arch9wavefront6targetE0EEEvT1_,"axG",@progbits,_ZN7rocprim17ROCPRIM_400000_NS6detail17trampoline_kernelINS0_14default_configENS1_25partition_config_selectorILNS1_17partition_subalgoE8EN3c108BFloat16ENS0_10empty_typeEbEEZZNS1_14partition_implILS5_8ELb0ES3_jPKS7_PS8_PKS8_NS0_5tupleIJPS7_S8_EEENSG_IJSD_SD_EEENS0_18inequality_wrapperIN6hipcub16HIPCUB_304000_NS8EqualityEEEPlJS8_EEE10hipError_tPvRmT3_T4_T5_T6_T7_T9_mT8_P12ihipStream_tbDpT10_ENKUlT_T0_E_clISt17integral_constantIbLb1EES18_IbLb0EEEEDaS14_S15_EUlS14_E_NS1_11comp_targetILNS1_3genE4ELNS1_11target_archE910ELNS1_3gpuE8ELNS1_3repE0EEENS1_30default_config_static_selectorELNS0_4arch9wavefront6targetE0EEEvT1_,comdat
.Lfunc_end842:
	.size	_ZN7rocprim17ROCPRIM_400000_NS6detail17trampoline_kernelINS0_14default_configENS1_25partition_config_selectorILNS1_17partition_subalgoE8EN3c108BFloat16ENS0_10empty_typeEbEEZZNS1_14partition_implILS5_8ELb0ES3_jPKS7_PS8_PKS8_NS0_5tupleIJPS7_S8_EEENSG_IJSD_SD_EEENS0_18inequality_wrapperIN6hipcub16HIPCUB_304000_NS8EqualityEEEPlJS8_EEE10hipError_tPvRmT3_T4_T5_T6_T7_T9_mT8_P12ihipStream_tbDpT10_ENKUlT_T0_E_clISt17integral_constantIbLb1EES18_IbLb0EEEEDaS14_S15_EUlS14_E_NS1_11comp_targetILNS1_3genE4ELNS1_11target_archE910ELNS1_3gpuE8ELNS1_3repE0EEENS1_30default_config_static_selectorELNS0_4arch9wavefront6targetE0EEEvT1_, .Lfunc_end842-_ZN7rocprim17ROCPRIM_400000_NS6detail17trampoline_kernelINS0_14default_configENS1_25partition_config_selectorILNS1_17partition_subalgoE8EN3c108BFloat16ENS0_10empty_typeEbEEZZNS1_14partition_implILS5_8ELb0ES3_jPKS7_PS8_PKS8_NS0_5tupleIJPS7_S8_EEENSG_IJSD_SD_EEENS0_18inequality_wrapperIN6hipcub16HIPCUB_304000_NS8EqualityEEEPlJS8_EEE10hipError_tPvRmT3_T4_T5_T6_T7_T9_mT8_P12ihipStream_tbDpT10_ENKUlT_T0_E_clISt17integral_constantIbLb1EES18_IbLb0EEEEDaS14_S15_EUlS14_E_NS1_11comp_targetILNS1_3genE4ELNS1_11target_archE910ELNS1_3gpuE8ELNS1_3repE0EEENS1_30default_config_static_selectorELNS0_4arch9wavefront6targetE0EEEvT1_
                                        ; -- End function
	.set _ZN7rocprim17ROCPRIM_400000_NS6detail17trampoline_kernelINS0_14default_configENS1_25partition_config_selectorILNS1_17partition_subalgoE8EN3c108BFloat16ENS0_10empty_typeEbEEZZNS1_14partition_implILS5_8ELb0ES3_jPKS7_PS8_PKS8_NS0_5tupleIJPS7_S8_EEENSG_IJSD_SD_EEENS0_18inequality_wrapperIN6hipcub16HIPCUB_304000_NS8EqualityEEEPlJS8_EEE10hipError_tPvRmT3_T4_T5_T6_T7_T9_mT8_P12ihipStream_tbDpT10_ENKUlT_T0_E_clISt17integral_constantIbLb1EES18_IbLb0EEEEDaS14_S15_EUlS14_E_NS1_11comp_targetILNS1_3genE4ELNS1_11target_archE910ELNS1_3gpuE8ELNS1_3repE0EEENS1_30default_config_static_selectorELNS0_4arch9wavefront6targetE0EEEvT1_.num_vgpr, 0
	.set _ZN7rocprim17ROCPRIM_400000_NS6detail17trampoline_kernelINS0_14default_configENS1_25partition_config_selectorILNS1_17partition_subalgoE8EN3c108BFloat16ENS0_10empty_typeEbEEZZNS1_14partition_implILS5_8ELb0ES3_jPKS7_PS8_PKS8_NS0_5tupleIJPS7_S8_EEENSG_IJSD_SD_EEENS0_18inequality_wrapperIN6hipcub16HIPCUB_304000_NS8EqualityEEEPlJS8_EEE10hipError_tPvRmT3_T4_T5_T6_T7_T9_mT8_P12ihipStream_tbDpT10_ENKUlT_T0_E_clISt17integral_constantIbLb1EES18_IbLb0EEEEDaS14_S15_EUlS14_E_NS1_11comp_targetILNS1_3genE4ELNS1_11target_archE910ELNS1_3gpuE8ELNS1_3repE0EEENS1_30default_config_static_selectorELNS0_4arch9wavefront6targetE0EEEvT1_.num_agpr, 0
	.set _ZN7rocprim17ROCPRIM_400000_NS6detail17trampoline_kernelINS0_14default_configENS1_25partition_config_selectorILNS1_17partition_subalgoE8EN3c108BFloat16ENS0_10empty_typeEbEEZZNS1_14partition_implILS5_8ELb0ES3_jPKS7_PS8_PKS8_NS0_5tupleIJPS7_S8_EEENSG_IJSD_SD_EEENS0_18inequality_wrapperIN6hipcub16HIPCUB_304000_NS8EqualityEEEPlJS8_EEE10hipError_tPvRmT3_T4_T5_T6_T7_T9_mT8_P12ihipStream_tbDpT10_ENKUlT_T0_E_clISt17integral_constantIbLb1EES18_IbLb0EEEEDaS14_S15_EUlS14_E_NS1_11comp_targetILNS1_3genE4ELNS1_11target_archE910ELNS1_3gpuE8ELNS1_3repE0EEENS1_30default_config_static_selectorELNS0_4arch9wavefront6targetE0EEEvT1_.numbered_sgpr, 0
	.set _ZN7rocprim17ROCPRIM_400000_NS6detail17trampoline_kernelINS0_14default_configENS1_25partition_config_selectorILNS1_17partition_subalgoE8EN3c108BFloat16ENS0_10empty_typeEbEEZZNS1_14partition_implILS5_8ELb0ES3_jPKS7_PS8_PKS8_NS0_5tupleIJPS7_S8_EEENSG_IJSD_SD_EEENS0_18inequality_wrapperIN6hipcub16HIPCUB_304000_NS8EqualityEEEPlJS8_EEE10hipError_tPvRmT3_T4_T5_T6_T7_T9_mT8_P12ihipStream_tbDpT10_ENKUlT_T0_E_clISt17integral_constantIbLb1EES18_IbLb0EEEEDaS14_S15_EUlS14_E_NS1_11comp_targetILNS1_3genE4ELNS1_11target_archE910ELNS1_3gpuE8ELNS1_3repE0EEENS1_30default_config_static_selectorELNS0_4arch9wavefront6targetE0EEEvT1_.num_named_barrier, 0
	.set _ZN7rocprim17ROCPRIM_400000_NS6detail17trampoline_kernelINS0_14default_configENS1_25partition_config_selectorILNS1_17partition_subalgoE8EN3c108BFloat16ENS0_10empty_typeEbEEZZNS1_14partition_implILS5_8ELb0ES3_jPKS7_PS8_PKS8_NS0_5tupleIJPS7_S8_EEENSG_IJSD_SD_EEENS0_18inequality_wrapperIN6hipcub16HIPCUB_304000_NS8EqualityEEEPlJS8_EEE10hipError_tPvRmT3_T4_T5_T6_T7_T9_mT8_P12ihipStream_tbDpT10_ENKUlT_T0_E_clISt17integral_constantIbLb1EES18_IbLb0EEEEDaS14_S15_EUlS14_E_NS1_11comp_targetILNS1_3genE4ELNS1_11target_archE910ELNS1_3gpuE8ELNS1_3repE0EEENS1_30default_config_static_selectorELNS0_4arch9wavefront6targetE0EEEvT1_.private_seg_size, 0
	.set _ZN7rocprim17ROCPRIM_400000_NS6detail17trampoline_kernelINS0_14default_configENS1_25partition_config_selectorILNS1_17partition_subalgoE8EN3c108BFloat16ENS0_10empty_typeEbEEZZNS1_14partition_implILS5_8ELb0ES3_jPKS7_PS8_PKS8_NS0_5tupleIJPS7_S8_EEENSG_IJSD_SD_EEENS0_18inequality_wrapperIN6hipcub16HIPCUB_304000_NS8EqualityEEEPlJS8_EEE10hipError_tPvRmT3_T4_T5_T6_T7_T9_mT8_P12ihipStream_tbDpT10_ENKUlT_T0_E_clISt17integral_constantIbLb1EES18_IbLb0EEEEDaS14_S15_EUlS14_E_NS1_11comp_targetILNS1_3genE4ELNS1_11target_archE910ELNS1_3gpuE8ELNS1_3repE0EEENS1_30default_config_static_selectorELNS0_4arch9wavefront6targetE0EEEvT1_.uses_vcc, 0
	.set _ZN7rocprim17ROCPRIM_400000_NS6detail17trampoline_kernelINS0_14default_configENS1_25partition_config_selectorILNS1_17partition_subalgoE8EN3c108BFloat16ENS0_10empty_typeEbEEZZNS1_14partition_implILS5_8ELb0ES3_jPKS7_PS8_PKS8_NS0_5tupleIJPS7_S8_EEENSG_IJSD_SD_EEENS0_18inequality_wrapperIN6hipcub16HIPCUB_304000_NS8EqualityEEEPlJS8_EEE10hipError_tPvRmT3_T4_T5_T6_T7_T9_mT8_P12ihipStream_tbDpT10_ENKUlT_T0_E_clISt17integral_constantIbLb1EES18_IbLb0EEEEDaS14_S15_EUlS14_E_NS1_11comp_targetILNS1_3genE4ELNS1_11target_archE910ELNS1_3gpuE8ELNS1_3repE0EEENS1_30default_config_static_selectorELNS0_4arch9wavefront6targetE0EEEvT1_.uses_flat_scratch, 0
	.set _ZN7rocprim17ROCPRIM_400000_NS6detail17trampoline_kernelINS0_14default_configENS1_25partition_config_selectorILNS1_17partition_subalgoE8EN3c108BFloat16ENS0_10empty_typeEbEEZZNS1_14partition_implILS5_8ELb0ES3_jPKS7_PS8_PKS8_NS0_5tupleIJPS7_S8_EEENSG_IJSD_SD_EEENS0_18inequality_wrapperIN6hipcub16HIPCUB_304000_NS8EqualityEEEPlJS8_EEE10hipError_tPvRmT3_T4_T5_T6_T7_T9_mT8_P12ihipStream_tbDpT10_ENKUlT_T0_E_clISt17integral_constantIbLb1EES18_IbLb0EEEEDaS14_S15_EUlS14_E_NS1_11comp_targetILNS1_3genE4ELNS1_11target_archE910ELNS1_3gpuE8ELNS1_3repE0EEENS1_30default_config_static_selectorELNS0_4arch9wavefront6targetE0EEEvT1_.has_dyn_sized_stack, 0
	.set _ZN7rocprim17ROCPRIM_400000_NS6detail17trampoline_kernelINS0_14default_configENS1_25partition_config_selectorILNS1_17partition_subalgoE8EN3c108BFloat16ENS0_10empty_typeEbEEZZNS1_14partition_implILS5_8ELb0ES3_jPKS7_PS8_PKS8_NS0_5tupleIJPS7_S8_EEENSG_IJSD_SD_EEENS0_18inequality_wrapperIN6hipcub16HIPCUB_304000_NS8EqualityEEEPlJS8_EEE10hipError_tPvRmT3_T4_T5_T6_T7_T9_mT8_P12ihipStream_tbDpT10_ENKUlT_T0_E_clISt17integral_constantIbLb1EES18_IbLb0EEEEDaS14_S15_EUlS14_E_NS1_11comp_targetILNS1_3genE4ELNS1_11target_archE910ELNS1_3gpuE8ELNS1_3repE0EEENS1_30default_config_static_selectorELNS0_4arch9wavefront6targetE0EEEvT1_.has_recursion, 0
	.set _ZN7rocprim17ROCPRIM_400000_NS6detail17trampoline_kernelINS0_14default_configENS1_25partition_config_selectorILNS1_17partition_subalgoE8EN3c108BFloat16ENS0_10empty_typeEbEEZZNS1_14partition_implILS5_8ELb0ES3_jPKS7_PS8_PKS8_NS0_5tupleIJPS7_S8_EEENSG_IJSD_SD_EEENS0_18inequality_wrapperIN6hipcub16HIPCUB_304000_NS8EqualityEEEPlJS8_EEE10hipError_tPvRmT3_T4_T5_T6_T7_T9_mT8_P12ihipStream_tbDpT10_ENKUlT_T0_E_clISt17integral_constantIbLb1EES18_IbLb0EEEEDaS14_S15_EUlS14_E_NS1_11comp_targetILNS1_3genE4ELNS1_11target_archE910ELNS1_3gpuE8ELNS1_3repE0EEENS1_30default_config_static_selectorELNS0_4arch9wavefront6targetE0EEEvT1_.has_indirect_call, 0
	.section	.AMDGPU.csdata,"",@progbits
; Kernel info:
; codeLenInByte = 0
; TotalNumSgprs: 0
; NumVgprs: 0
; ScratchSize: 0
; MemoryBound: 0
; FloatMode: 240
; IeeeMode: 1
; LDSByteSize: 0 bytes/workgroup (compile time only)
; SGPRBlocks: 0
; VGPRBlocks: 0
; NumSGPRsForWavesPerEU: 1
; NumVGPRsForWavesPerEU: 1
; NamedBarCnt: 0
; Occupancy: 16
; WaveLimiterHint : 0
; COMPUTE_PGM_RSRC2:SCRATCH_EN: 0
; COMPUTE_PGM_RSRC2:USER_SGPR: 2
; COMPUTE_PGM_RSRC2:TRAP_HANDLER: 0
; COMPUTE_PGM_RSRC2:TGID_X_EN: 1
; COMPUTE_PGM_RSRC2:TGID_Y_EN: 0
; COMPUTE_PGM_RSRC2:TGID_Z_EN: 0
; COMPUTE_PGM_RSRC2:TIDIG_COMP_CNT: 0
	.section	.text._ZN7rocprim17ROCPRIM_400000_NS6detail17trampoline_kernelINS0_14default_configENS1_25partition_config_selectorILNS1_17partition_subalgoE8EN3c108BFloat16ENS0_10empty_typeEbEEZZNS1_14partition_implILS5_8ELb0ES3_jPKS7_PS8_PKS8_NS0_5tupleIJPS7_S8_EEENSG_IJSD_SD_EEENS0_18inequality_wrapperIN6hipcub16HIPCUB_304000_NS8EqualityEEEPlJS8_EEE10hipError_tPvRmT3_T4_T5_T6_T7_T9_mT8_P12ihipStream_tbDpT10_ENKUlT_T0_E_clISt17integral_constantIbLb1EES18_IbLb0EEEEDaS14_S15_EUlS14_E_NS1_11comp_targetILNS1_3genE3ELNS1_11target_archE908ELNS1_3gpuE7ELNS1_3repE0EEENS1_30default_config_static_selectorELNS0_4arch9wavefront6targetE0EEEvT1_,"axG",@progbits,_ZN7rocprim17ROCPRIM_400000_NS6detail17trampoline_kernelINS0_14default_configENS1_25partition_config_selectorILNS1_17partition_subalgoE8EN3c108BFloat16ENS0_10empty_typeEbEEZZNS1_14partition_implILS5_8ELb0ES3_jPKS7_PS8_PKS8_NS0_5tupleIJPS7_S8_EEENSG_IJSD_SD_EEENS0_18inequality_wrapperIN6hipcub16HIPCUB_304000_NS8EqualityEEEPlJS8_EEE10hipError_tPvRmT3_T4_T5_T6_T7_T9_mT8_P12ihipStream_tbDpT10_ENKUlT_T0_E_clISt17integral_constantIbLb1EES18_IbLb0EEEEDaS14_S15_EUlS14_E_NS1_11comp_targetILNS1_3genE3ELNS1_11target_archE908ELNS1_3gpuE7ELNS1_3repE0EEENS1_30default_config_static_selectorELNS0_4arch9wavefront6targetE0EEEvT1_,comdat
	.protected	_ZN7rocprim17ROCPRIM_400000_NS6detail17trampoline_kernelINS0_14default_configENS1_25partition_config_selectorILNS1_17partition_subalgoE8EN3c108BFloat16ENS0_10empty_typeEbEEZZNS1_14partition_implILS5_8ELb0ES3_jPKS7_PS8_PKS8_NS0_5tupleIJPS7_S8_EEENSG_IJSD_SD_EEENS0_18inequality_wrapperIN6hipcub16HIPCUB_304000_NS8EqualityEEEPlJS8_EEE10hipError_tPvRmT3_T4_T5_T6_T7_T9_mT8_P12ihipStream_tbDpT10_ENKUlT_T0_E_clISt17integral_constantIbLb1EES18_IbLb0EEEEDaS14_S15_EUlS14_E_NS1_11comp_targetILNS1_3genE3ELNS1_11target_archE908ELNS1_3gpuE7ELNS1_3repE0EEENS1_30default_config_static_selectorELNS0_4arch9wavefront6targetE0EEEvT1_ ; -- Begin function _ZN7rocprim17ROCPRIM_400000_NS6detail17trampoline_kernelINS0_14default_configENS1_25partition_config_selectorILNS1_17partition_subalgoE8EN3c108BFloat16ENS0_10empty_typeEbEEZZNS1_14partition_implILS5_8ELb0ES3_jPKS7_PS8_PKS8_NS0_5tupleIJPS7_S8_EEENSG_IJSD_SD_EEENS0_18inequality_wrapperIN6hipcub16HIPCUB_304000_NS8EqualityEEEPlJS8_EEE10hipError_tPvRmT3_T4_T5_T6_T7_T9_mT8_P12ihipStream_tbDpT10_ENKUlT_T0_E_clISt17integral_constantIbLb1EES18_IbLb0EEEEDaS14_S15_EUlS14_E_NS1_11comp_targetILNS1_3genE3ELNS1_11target_archE908ELNS1_3gpuE7ELNS1_3repE0EEENS1_30default_config_static_selectorELNS0_4arch9wavefront6targetE0EEEvT1_
	.globl	_ZN7rocprim17ROCPRIM_400000_NS6detail17trampoline_kernelINS0_14default_configENS1_25partition_config_selectorILNS1_17partition_subalgoE8EN3c108BFloat16ENS0_10empty_typeEbEEZZNS1_14partition_implILS5_8ELb0ES3_jPKS7_PS8_PKS8_NS0_5tupleIJPS7_S8_EEENSG_IJSD_SD_EEENS0_18inequality_wrapperIN6hipcub16HIPCUB_304000_NS8EqualityEEEPlJS8_EEE10hipError_tPvRmT3_T4_T5_T6_T7_T9_mT8_P12ihipStream_tbDpT10_ENKUlT_T0_E_clISt17integral_constantIbLb1EES18_IbLb0EEEEDaS14_S15_EUlS14_E_NS1_11comp_targetILNS1_3genE3ELNS1_11target_archE908ELNS1_3gpuE7ELNS1_3repE0EEENS1_30default_config_static_selectorELNS0_4arch9wavefront6targetE0EEEvT1_
	.p2align	8
	.type	_ZN7rocprim17ROCPRIM_400000_NS6detail17trampoline_kernelINS0_14default_configENS1_25partition_config_selectorILNS1_17partition_subalgoE8EN3c108BFloat16ENS0_10empty_typeEbEEZZNS1_14partition_implILS5_8ELb0ES3_jPKS7_PS8_PKS8_NS0_5tupleIJPS7_S8_EEENSG_IJSD_SD_EEENS0_18inequality_wrapperIN6hipcub16HIPCUB_304000_NS8EqualityEEEPlJS8_EEE10hipError_tPvRmT3_T4_T5_T6_T7_T9_mT8_P12ihipStream_tbDpT10_ENKUlT_T0_E_clISt17integral_constantIbLb1EES18_IbLb0EEEEDaS14_S15_EUlS14_E_NS1_11comp_targetILNS1_3genE3ELNS1_11target_archE908ELNS1_3gpuE7ELNS1_3repE0EEENS1_30default_config_static_selectorELNS0_4arch9wavefront6targetE0EEEvT1_,@function
_ZN7rocprim17ROCPRIM_400000_NS6detail17trampoline_kernelINS0_14default_configENS1_25partition_config_selectorILNS1_17partition_subalgoE8EN3c108BFloat16ENS0_10empty_typeEbEEZZNS1_14partition_implILS5_8ELb0ES3_jPKS7_PS8_PKS8_NS0_5tupleIJPS7_S8_EEENSG_IJSD_SD_EEENS0_18inequality_wrapperIN6hipcub16HIPCUB_304000_NS8EqualityEEEPlJS8_EEE10hipError_tPvRmT3_T4_T5_T6_T7_T9_mT8_P12ihipStream_tbDpT10_ENKUlT_T0_E_clISt17integral_constantIbLb1EES18_IbLb0EEEEDaS14_S15_EUlS14_E_NS1_11comp_targetILNS1_3genE3ELNS1_11target_archE908ELNS1_3gpuE7ELNS1_3repE0EEENS1_30default_config_static_selectorELNS0_4arch9wavefront6targetE0EEEvT1_: ; @_ZN7rocprim17ROCPRIM_400000_NS6detail17trampoline_kernelINS0_14default_configENS1_25partition_config_selectorILNS1_17partition_subalgoE8EN3c108BFloat16ENS0_10empty_typeEbEEZZNS1_14partition_implILS5_8ELb0ES3_jPKS7_PS8_PKS8_NS0_5tupleIJPS7_S8_EEENSG_IJSD_SD_EEENS0_18inequality_wrapperIN6hipcub16HIPCUB_304000_NS8EqualityEEEPlJS8_EEE10hipError_tPvRmT3_T4_T5_T6_T7_T9_mT8_P12ihipStream_tbDpT10_ENKUlT_T0_E_clISt17integral_constantIbLb1EES18_IbLb0EEEEDaS14_S15_EUlS14_E_NS1_11comp_targetILNS1_3genE3ELNS1_11target_archE908ELNS1_3gpuE7ELNS1_3repE0EEENS1_30default_config_static_selectorELNS0_4arch9wavefront6targetE0EEEvT1_
; %bb.0:
	.section	.rodata,"a",@progbits
	.p2align	6, 0x0
	.amdhsa_kernel _ZN7rocprim17ROCPRIM_400000_NS6detail17trampoline_kernelINS0_14default_configENS1_25partition_config_selectorILNS1_17partition_subalgoE8EN3c108BFloat16ENS0_10empty_typeEbEEZZNS1_14partition_implILS5_8ELb0ES3_jPKS7_PS8_PKS8_NS0_5tupleIJPS7_S8_EEENSG_IJSD_SD_EEENS0_18inequality_wrapperIN6hipcub16HIPCUB_304000_NS8EqualityEEEPlJS8_EEE10hipError_tPvRmT3_T4_T5_T6_T7_T9_mT8_P12ihipStream_tbDpT10_ENKUlT_T0_E_clISt17integral_constantIbLb1EES18_IbLb0EEEEDaS14_S15_EUlS14_E_NS1_11comp_targetILNS1_3genE3ELNS1_11target_archE908ELNS1_3gpuE7ELNS1_3repE0EEENS1_30default_config_static_selectorELNS0_4arch9wavefront6targetE0EEEvT1_
		.amdhsa_group_segment_fixed_size 0
		.amdhsa_private_segment_fixed_size 0
		.amdhsa_kernarg_size 112
		.amdhsa_user_sgpr_count 2
		.amdhsa_user_sgpr_dispatch_ptr 0
		.amdhsa_user_sgpr_queue_ptr 0
		.amdhsa_user_sgpr_kernarg_segment_ptr 1
		.amdhsa_user_sgpr_dispatch_id 0
		.amdhsa_user_sgpr_kernarg_preload_length 0
		.amdhsa_user_sgpr_kernarg_preload_offset 0
		.amdhsa_user_sgpr_private_segment_size 0
		.amdhsa_wavefront_size32 1
		.amdhsa_uses_dynamic_stack 0
		.amdhsa_enable_private_segment 0
		.amdhsa_system_sgpr_workgroup_id_x 1
		.amdhsa_system_sgpr_workgroup_id_y 0
		.amdhsa_system_sgpr_workgroup_id_z 0
		.amdhsa_system_sgpr_workgroup_info 0
		.amdhsa_system_vgpr_workitem_id 0
		.amdhsa_next_free_vgpr 1
		.amdhsa_next_free_sgpr 1
		.amdhsa_named_barrier_count 0
		.amdhsa_reserve_vcc 0
		.amdhsa_float_round_mode_32 0
		.amdhsa_float_round_mode_16_64 0
		.amdhsa_float_denorm_mode_32 3
		.amdhsa_float_denorm_mode_16_64 3
		.amdhsa_fp16_overflow 0
		.amdhsa_memory_ordered 1
		.amdhsa_forward_progress 1
		.amdhsa_inst_pref_size 0
		.amdhsa_round_robin_scheduling 0
		.amdhsa_exception_fp_ieee_invalid_op 0
		.amdhsa_exception_fp_denorm_src 0
		.amdhsa_exception_fp_ieee_div_zero 0
		.amdhsa_exception_fp_ieee_overflow 0
		.amdhsa_exception_fp_ieee_underflow 0
		.amdhsa_exception_fp_ieee_inexact 0
		.amdhsa_exception_int_div_zero 0
	.end_amdhsa_kernel
	.section	.text._ZN7rocprim17ROCPRIM_400000_NS6detail17trampoline_kernelINS0_14default_configENS1_25partition_config_selectorILNS1_17partition_subalgoE8EN3c108BFloat16ENS0_10empty_typeEbEEZZNS1_14partition_implILS5_8ELb0ES3_jPKS7_PS8_PKS8_NS0_5tupleIJPS7_S8_EEENSG_IJSD_SD_EEENS0_18inequality_wrapperIN6hipcub16HIPCUB_304000_NS8EqualityEEEPlJS8_EEE10hipError_tPvRmT3_T4_T5_T6_T7_T9_mT8_P12ihipStream_tbDpT10_ENKUlT_T0_E_clISt17integral_constantIbLb1EES18_IbLb0EEEEDaS14_S15_EUlS14_E_NS1_11comp_targetILNS1_3genE3ELNS1_11target_archE908ELNS1_3gpuE7ELNS1_3repE0EEENS1_30default_config_static_selectorELNS0_4arch9wavefront6targetE0EEEvT1_,"axG",@progbits,_ZN7rocprim17ROCPRIM_400000_NS6detail17trampoline_kernelINS0_14default_configENS1_25partition_config_selectorILNS1_17partition_subalgoE8EN3c108BFloat16ENS0_10empty_typeEbEEZZNS1_14partition_implILS5_8ELb0ES3_jPKS7_PS8_PKS8_NS0_5tupleIJPS7_S8_EEENSG_IJSD_SD_EEENS0_18inequality_wrapperIN6hipcub16HIPCUB_304000_NS8EqualityEEEPlJS8_EEE10hipError_tPvRmT3_T4_T5_T6_T7_T9_mT8_P12ihipStream_tbDpT10_ENKUlT_T0_E_clISt17integral_constantIbLb1EES18_IbLb0EEEEDaS14_S15_EUlS14_E_NS1_11comp_targetILNS1_3genE3ELNS1_11target_archE908ELNS1_3gpuE7ELNS1_3repE0EEENS1_30default_config_static_selectorELNS0_4arch9wavefront6targetE0EEEvT1_,comdat
.Lfunc_end843:
	.size	_ZN7rocprim17ROCPRIM_400000_NS6detail17trampoline_kernelINS0_14default_configENS1_25partition_config_selectorILNS1_17partition_subalgoE8EN3c108BFloat16ENS0_10empty_typeEbEEZZNS1_14partition_implILS5_8ELb0ES3_jPKS7_PS8_PKS8_NS0_5tupleIJPS7_S8_EEENSG_IJSD_SD_EEENS0_18inequality_wrapperIN6hipcub16HIPCUB_304000_NS8EqualityEEEPlJS8_EEE10hipError_tPvRmT3_T4_T5_T6_T7_T9_mT8_P12ihipStream_tbDpT10_ENKUlT_T0_E_clISt17integral_constantIbLb1EES18_IbLb0EEEEDaS14_S15_EUlS14_E_NS1_11comp_targetILNS1_3genE3ELNS1_11target_archE908ELNS1_3gpuE7ELNS1_3repE0EEENS1_30default_config_static_selectorELNS0_4arch9wavefront6targetE0EEEvT1_, .Lfunc_end843-_ZN7rocprim17ROCPRIM_400000_NS6detail17trampoline_kernelINS0_14default_configENS1_25partition_config_selectorILNS1_17partition_subalgoE8EN3c108BFloat16ENS0_10empty_typeEbEEZZNS1_14partition_implILS5_8ELb0ES3_jPKS7_PS8_PKS8_NS0_5tupleIJPS7_S8_EEENSG_IJSD_SD_EEENS0_18inequality_wrapperIN6hipcub16HIPCUB_304000_NS8EqualityEEEPlJS8_EEE10hipError_tPvRmT3_T4_T5_T6_T7_T9_mT8_P12ihipStream_tbDpT10_ENKUlT_T0_E_clISt17integral_constantIbLb1EES18_IbLb0EEEEDaS14_S15_EUlS14_E_NS1_11comp_targetILNS1_3genE3ELNS1_11target_archE908ELNS1_3gpuE7ELNS1_3repE0EEENS1_30default_config_static_selectorELNS0_4arch9wavefront6targetE0EEEvT1_
                                        ; -- End function
	.set _ZN7rocprim17ROCPRIM_400000_NS6detail17trampoline_kernelINS0_14default_configENS1_25partition_config_selectorILNS1_17partition_subalgoE8EN3c108BFloat16ENS0_10empty_typeEbEEZZNS1_14partition_implILS5_8ELb0ES3_jPKS7_PS8_PKS8_NS0_5tupleIJPS7_S8_EEENSG_IJSD_SD_EEENS0_18inequality_wrapperIN6hipcub16HIPCUB_304000_NS8EqualityEEEPlJS8_EEE10hipError_tPvRmT3_T4_T5_T6_T7_T9_mT8_P12ihipStream_tbDpT10_ENKUlT_T0_E_clISt17integral_constantIbLb1EES18_IbLb0EEEEDaS14_S15_EUlS14_E_NS1_11comp_targetILNS1_3genE3ELNS1_11target_archE908ELNS1_3gpuE7ELNS1_3repE0EEENS1_30default_config_static_selectorELNS0_4arch9wavefront6targetE0EEEvT1_.num_vgpr, 0
	.set _ZN7rocprim17ROCPRIM_400000_NS6detail17trampoline_kernelINS0_14default_configENS1_25partition_config_selectorILNS1_17partition_subalgoE8EN3c108BFloat16ENS0_10empty_typeEbEEZZNS1_14partition_implILS5_8ELb0ES3_jPKS7_PS8_PKS8_NS0_5tupleIJPS7_S8_EEENSG_IJSD_SD_EEENS0_18inequality_wrapperIN6hipcub16HIPCUB_304000_NS8EqualityEEEPlJS8_EEE10hipError_tPvRmT3_T4_T5_T6_T7_T9_mT8_P12ihipStream_tbDpT10_ENKUlT_T0_E_clISt17integral_constantIbLb1EES18_IbLb0EEEEDaS14_S15_EUlS14_E_NS1_11comp_targetILNS1_3genE3ELNS1_11target_archE908ELNS1_3gpuE7ELNS1_3repE0EEENS1_30default_config_static_selectorELNS0_4arch9wavefront6targetE0EEEvT1_.num_agpr, 0
	.set _ZN7rocprim17ROCPRIM_400000_NS6detail17trampoline_kernelINS0_14default_configENS1_25partition_config_selectorILNS1_17partition_subalgoE8EN3c108BFloat16ENS0_10empty_typeEbEEZZNS1_14partition_implILS5_8ELb0ES3_jPKS7_PS8_PKS8_NS0_5tupleIJPS7_S8_EEENSG_IJSD_SD_EEENS0_18inequality_wrapperIN6hipcub16HIPCUB_304000_NS8EqualityEEEPlJS8_EEE10hipError_tPvRmT3_T4_T5_T6_T7_T9_mT8_P12ihipStream_tbDpT10_ENKUlT_T0_E_clISt17integral_constantIbLb1EES18_IbLb0EEEEDaS14_S15_EUlS14_E_NS1_11comp_targetILNS1_3genE3ELNS1_11target_archE908ELNS1_3gpuE7ELNS1_3repE0EEENS1_30default_config_static_selectorELNS0_4arch9wavefront6targetE0EEEvT1_.numbered_sgpr, 0
	.set _ZN7rocprim17ROCPRIM_400000_NS6detail17trampoline_kernelINS0_14default_configENS1_25partition_config_selectorILNS1_17partition_subalgoE8EN3c108BFloat16ENS0_10empty_typeEbEEZZNS1_14partition_implILS5_8ELb0ES3_jPKS7_PS8_PKS8_NS0_5tupleIJPS7_S8_EEENSG_IJSD_SD_EEENS0_18inequality_wrapperIN6hipcub16HIPCUB_304000_NS8EqualityEEEPlJS8_EEE10hipError_tPvRmT3_T4_T5_T6_T7_T9_mT8_P12ihipStream_tbDpT10_ENKUlT_T0_E_clISt17integral_constantIbLb1EES18_IbLb0EEEEDaS14_S15_EUlS14_E_NS1_11comp_targetILNS1_3genE3ELNS1_11target_archE908ELNS1_3gpuE7ELNS1_3repE0EEENS1_30default_config_static_selectorELNS0_4arch9wavefront6targetE0EEEvT1_.num_named_barrier, 0
	.set _ZN7rocprim17ROCPRIM_400000_NS6detail17trampoline_kernelINS0_14default_configENS1_25partition_config_selectorILNS1_17partition_subalgoE8EN3c108BFloat16ENS0_10empty_typeEbEEZZNS1_14partition_implILS5_8ELb0ES3_jPKS7_PS8_PKS8_NS0_5tupleIJPS7_S8_EEENSG_IJSD_SD_EEENS0_18inequality_wrapperIN6hipcub16HIPCUB_304000_NS8EqualityEEEPlJS8_EEE10hipError_tPvRmT3_T4_T5_T6_T7_T9_mT8_P12ihipStream_tbDpT10_ENKUlT_T0_E_clISt17integral_constantIbLb1EES18_IbLb0EEEEDaS14_S15_EUlS14_E_NS1_11comp_targetILNS1_3genE3ELNS1_11target_archE908ELNS1_3gpuE7ELNS1_3repE0EEENS1_30default_config_static_selectorELNS0_4arch9wavefront6targetE0EEEvT1_.private_seg_size, 0
	.set _ZN7rocprim17ROCPRIM_400000_NS6detail17trampoline_kernelINS0_14default_configENS1_25partition_config_selectorILNS1_17partition_subalgoE8EN3c108BFloat16ENS0_10empty_typeEbEEZZNS1_14partition_implILS5_8ELb0ES3_jPKS7_PS8_PKS8_NS0_5tupleIJPS7_S8_EEENSG_IJSD_SD_EEENS0_18inequality_wrapperIN6hipcub16HIPCUB_304000_NS8EqualityEEEPlJS8_EEE10hipError_tPvRmT3_T4_T5_T6_T7_T9_mT8_P12ihipStream_tbDpT10_ENKUlT_T0_E_clISt17integral_constantIbLb1EES18_IbLb0EEEEDaS14_S15_EUlS14_E_NS1_11comp_targetILNS1_3genE3ELNS1_11target_archE908ELNS1_3gpuE7ELNS1_3repE0EEENS1_30default_config_static_selectorELNS0_4arch9wavefront6targetE0EEEvT1_.uses_vcc, 0
	.set _ZN7rocprim17ROCPRIM_400000_NS6detail17trampoline_kernelINS0_14default_configENS1_25partition_config_selectorILNS1_17partition_subalgoE8EN3c108BFloat16ENS0_10empty_typeEbEEZZNS1_14partition_implILS5_8ELb0ES3_jPKS7_PS8_PKS8_NS0_5tupleIJPS7_S8_EEENSG_IJSD_SD_EEENS0_18inequality_wrapperIN6hipcub16HIPCUB_304000_NS8EqualityEEEPlJS8_EEE10hipError_tPvRmT3_T4_T5_T6_T7_T9_mT8_P12ihipStream_tbDpT10_ENKUlT_T0_E_clISt17integral_constantIbLb1EES18_IbLb0EEEEDaS14_S15_EUlS14_E_NS1_11comp_targetILNS1_3genE3ELNS1_11target_archE908ELNS1_3gpuE7ELNS1_3repE0EEENS1_30default_config_static_selectorELNS0_4arch9wavefront6targetE0EEEvT1_.uses_flat_scratch, 0
	.set _ZN7rocprim17ROCPRIM_400000_NS6detail17trampoline_kernelINS0_14default_configENS1_25partition_config_selectorILNS1_17partition_subalgoE8EN3c108BFloat16ENS0_10empty_typeEbEEZZNS1_14partition_implILS5_8ELb0ES3_jPKS7_PS8_PKS8_NS0_5tupleIJPS7_S8_EEENSG_IJSD_SD_EEENS0_18inequality_wrapperIN6hipcub16HIPCUB_304000_NS8EqualityEEEPlJS8_EEE10hipError_tPvRmT3_T4_T5_T6_T7_T9_mT8_P12ihipStream_tbDpT10_ENKUlT_T0_E_clISt17integral_constantIbLb1EES18_IbLb0EEEEDaS14_S15_EUlS14_E_NS1_11comp_targetILNS1_3genE3ELNS1_11target_archE908ELNS1_3gpuE7ELNS1_3repE0EEENS1_30default_config_static_selectorELNS0_4arch9wavefront6targetE0EEEvT1_.has_dyn_sized_stack, 0
	.set _ZN7rocprim17ROCPRIM_400000_NS6detail17trampoline_kernelINS0_14default_configENS1_25partition_config_selectorILNS1_17partition_subalgoE8EN3c108BFloat16ENS0_10empty_typeEbEEZZNS1_14partition_implILS5_8ELb0ES3_jPKS7_PS8_PKS8_NS0_5tupleIJPS7_S8_EEENSG_IJSD_SD_EEENS0_18inequality_wrapperIN6hipcub16HIPCUB_304000_NS8EqualityEEEPlJS8_EEE10hipError_tPvRmT3_T4_T5_T6_T7_T9_mT8_P12ihipStream_tbDpT10_ENKUlT_T0_E_clISt17integral_constantIbLb1EES18_IbLb0EEEEDaS14_S15_EUlS14_E_NS1_11comp_targetILNS1_3genE3ELNS1_11target_archE908ELNS1_3gpuE7ELNS1_3repE0EEENS1_30default_config_static_selectorELNS0_4arch9wavefront6targetE0EEEvT1_.has_recursion, 0
	.set _ZN7rocprim17ROCPRIM_400000_NS6detail17trampoline_kernelINS0_14default_configENS1_25partition_config_selectorILNS1_17partition_subalgoE8EN3c108BFloat16ENS0_10empty_typeEbEEZZNS1_14partition_implILS5_8ELb0ES3_jPKS7_PS8_PKS8_NS0_5tupleIJPS7_S8_EEENSG_IJSD_SD_EEENS0_18inequality_wrapperIN6hipcub16HIPCUB_304000_NS8EqualityEEEPlJS8_EEE10hipError_tPvRmT3_T4_T5_T6_T7_T9_mT8_P12ihipStream_tbDpT10_ENKUlT_T0_E_clISt17integral_constantIbLb1EES18_IbLb0EEEEDaS14_S15_EUlS14_E_NS1_11comp_targetILNS1_3genE3ELNS1_11target_archE908ELNS1_3gpuE7ELNS1_3repE0EEENS1_30default_config_static_selectorELNS0_4arch9wavefront6targetE0EEEvT1_.has_indirect_call, 0
	.section	.AMDGPU.csdata,"",@progbits
; Kernel info:
; codeLenInByte = 0
; TotalNumSgprs: 0
; NumVgprs: 0
; ScratchSize: 0
; MemoryBound: 0
; FloatMode: 240
; IeeeMode: 1
; LDSByteSize: 0 bytes/workgroup (compile time only)
; SGPRBlocks: 0
; VGPRBlocks: 0
; NumSGPRsForWavesPerEU: 1
; NumVGPRsForWavesPerEU: 1
; NamedBarCnt: 0
; Occupancy: 16
; WaveLimiterHint : 0
; COMPUTE_PGM_RSRC2:SCRATCH_EN: 0
; COMPUTE_PGM_RSRC2:USER_SGPR: 2
; COMPUTE_PGM_RSRC2:TRAP_HANDLER: 0
; COMPUTE_PGM_RSRC2:TGID_X_EN: 1
; COMPUTE_PGM_RSRC2:TGID_Y_EN: 0
; COMPUTE_PGM_RSRC2:TGID_Z_EN: 0
; COMPUTE_PGM_RSRC2:TIDIG_COMP_CNT: 0
	.section	.text._ZN7rocprim17ROCPRIM_400000_NS6detail17trampoline_kernelINS0_14default_configENS1_25partition_config_selectorILNS1_17partition_subalgoE8EN3c108BFloat16ENS0_10empty_typeEbEEZZNS1_14partition_implILS5_8ELb0ES3_jPKS7_PS8_PKS8_NS0_5tupleIJPS7_S8_EEENSG_IJSD_SD_EEENS0_18inequality_wrapperIN6hipcub16HIPCUB_304000_NS8EqualityEEEPlJS8_EEE10hipError_tPvRmT3_T4_T5_T6_T7_T9_mT8_P12ihipStream_tbDpT10_ENKUlT_T0_E_clISt17integral_constantIbLb1EES18_IbLb0EEEEDaS14_S15_EUlS14_E_NS1_11comp_targetILNS1_3genE2ELNS1_11target_archE906ELNS1_3gpuE6ELNS1_3repE0EEENS1_30default_config_static_selectorELNS0_4arch9wavefront6targetE0EEEvT1_,"axG",@progbits,_ZN7rocprim17ROCPRIM_400000_NS6detail17trampoline_kernelINS0_14default_configENS1_25partition_config_selectorILNS1_17partition_subalgoE8EN3c108BFloat16ENS0_10empty_typeEbEEZZNS1_14partition_implILS5_8ELb0ES3_jPKS7_PS8_PKS8_NS0_5tupleIJPS7_S8_EEENSG_IJSD_SD_EEENS0_18inequality_wrapperIN6hipcub16HIPCUB_304000_NS8EqualityEEEPlJS8_EEE10hipError_tPvRmT3_T4_T5_T6_T7_T9_mT8_P12ihipStream_tbDpT10_ENKUlT_T0_E_clISt17integral_constantIbLb1EES18_IbLb0EEEEDaS14_S15_EUlS14_E_NS1_11comp_targetILNS1_3genE2ELNS1_11target_archE906ELNS1_3gpuE6ELNS1_3repE0EEENS1_30default_config_static_selectorELNS0_4arch9wavefront6targetE0EEEvT1_,comdat
	.protected	_ZN7rocprim17ROCPRIM_400000_NS6detail17trampoline_kernelINS0_14default_configENS1_25partition_config_selectorILNS1_17partition_subalgoE8EN3c108BFloat16ENS0_10empty_typeEbEEZZNS1_14partition_implILS5_8ELb0ES3_jPKS7_PS8_PKS8_NS0_5tupleIJPS7_S8_EEENSG_IJSD_SD_EEENS0_18inequality_wrapperIN6hipcub16HIPCUB_304000_NS8EqualityEEEPlJS8_EEE10hipError_tPvRmT3_T4_T5_T6_T7_T9_mT8_P12ihipStream_tbDpT10_ENKUlT_T0_E_clISt17integral_constantIbLb1EES18_IbLb0EEEEDaS14_S15_EUlS14_E_NS1_11comp_targetILNS1_3genE2ELNS1_11target_archE906ELNS1_3gpuE6ELNS1_3repE0EEENS1_30default_config_static_selectorELNS0_4arch9wavefront6targetE0EEEvT1_ ; -- Begin function _ZN7rocprim17ROCPRIM_400000_NS6detail17trampoline_kernelINS0_14default_configENS1_25partition_config_selectorILNS1_17partition_subalgoE8EN3c108BFloat16ENS0_10empty_typeEbEEZZNS1_14partition_implILS5_8ELb0ES3_jPKS7_PS8_PKS8_NS0_5tupleIJPS7_S8_EEENSG_IJSD_SD_EEENS0_18inequality_wrapperIN6hipcub16HIPCUB_304000_NS8EqualityEEEPlJS8_EEE10hipError_tPvRmT3_T4_T5_T6_T7_T9_mT8_P12ihipStream_tbDpT10_ENKUlT_T0_E_clISt17integral_constantIbLb1EES18_IbLb0EEEEDaS14_S15_EUlS14_E_NS1_11comp_targetILNS1_3genE2ELNS1_11target_archE906ELNS1_3gpuE6ELNS1_3repE0EEENS1_30default_config_static_selectorELNS0_4arch9wavefront6targetE0EEEvT1_
	.globl	_ZN7rocprim17ROCPRIM_400000_NS6detail17trampoline_kernelINS0_14default_configENS1_25partition_config_selectorILNS1_17partition_subalgoE8EN3c108BFloat16ENS0_10empty_typeEbEEZZNS1_14partition_implILS5_8ELb0ES3_jPKS7_PS8_PKS8_NS0_5tupleIJPS7_S8_EEENSG_IJSD_SD_EEENS0_18inequality_wrapperIN6hipcub16HIPCUB_304000_NS8EqualityEEEPlJS8_EEE10hipError_tPvRmT3_T4_T5_T6_T7_T9_mT8_P12ihipStream_tbDpT10_ENKUlT_T0_E_clISt17integral_constantIbLb1EES18_IbLb0EEEEDaS14_S15_EUlS14_E_NS1_11comp_targetILNS1_3genE2ELNS1_11target_archE906ELNS1_3gpuE6ELNS1_3repE0EEENS1_30default_config_static_selectorELNS0_4arch9wavefront6targetE0EEEvT1_
	.p2align	8
	.type	_ZN7rocprim17ROCPRIM_400000_NS6detail17trampoline_kernelINS0_14default_configENS1_25partition_config_selectorILNS1_17partition_subalgoE8EN3c108BFloat16ENS0_10empty_typeEbEEZZNS1_14partition_implILS5_8ELb0ES3_jPKS7_PS8_PKS8_NS0_5tupleIJPS7_S8_EEENSG_IJSD_SD_EEENS0_18inequality_wrapperIN6hipcub16HIPCUB_304000_NS8EqualityEEEPlJS8_EEE10hipError_tPvRmT3_T4_T5_T6_T7_T9_mT8_P12ihipStream_tbDpT10_ENKUlT_T0_E_clISt17integral_constantIbLb1EES18_IbLb0EEEEDaS14_S15_EUlS14_E_NS1_11comp_targetILNS1_3genE2ELNS1_11target_archE906ELNS1_3gpuE6ELNS1_3repE0EEENS1_30default_config_static_selectorELNS0_4arch9wavefront6targetE0EEEvT1_,@function
_ZN7rocprim17ROCPRIM_400000_NS6detail17trampoline_kernelINS0_14default_configENS1_25partition_config_selectorILNS1_17partition_subalgoE8EN3c108BFloat16ENS0_10empty_typeEbEEZZNS1_14partition_implILS5_8ELb0ES3_jPKS7_PS8_PKS8_NS0_5tupleIJPS7_S8_EEENSG_IJSD_SD_EEENS0_18inequality_wrapperIN6hipcub16HIPCUB_304000_NS8EqualityEEEPlJS8_EEE10hipError_tPvRmT3_T4_T5_T6_T7_T9_mT8_P12ihipStream_tbDpT10_ENKUlT_T0_E_clISt17integral_constantIbLb1EES18_IbLb0EEEEDaS14_S15_EUlS14_E_NS1_11comp_targetILNS1_3genE2ELNS1_11target_archE906ELNS1_3gpuE6ELNS1_3repE0EEENS1_30default_config_static_selectorELNS0_4arch9wavefront6targetE0EEEvT1_: ; @_ZN7rocprim17ROCPRIM_400000_NS6detail17trampoline_kernelINS0_14default_configENS1_25partition_config_selectorILNS1_17partition_subalgoE8EN3c108BFloat16ENS0_10empty_typeEbEEZZNS1_14partition_implILS5_8ELb0ES3_jPKS7_PS8_PKS8_NS0_5tupleIJPS7_S8_EEENSG_IJSD_SD_EEENS0_18inequality_wrapperIN6hipcub16HIPCUB_304000_NS8EqualityEEEPlJS8_EEE10hipError_tPvRmT3_T4_T5_T6_T7_T9_mT8_P12ihipStream_tbDpT10_ENKUlT_T0_E_clISt17integral_constantIbLb1EES18_IbLb0EEEEDaS14_S15_EUlS14_E_NS1_11comp_targetILNS1_3genE2ELNS1_11target_archE906ELNS1_3gpuE6ELNS1_3repE0EEENS1_30default_config_static_selectorELNS0_4arch9wavefront6targetE0EEEvT1_
; %bb.0:
	.section	.rodata,"a",@progbits
	.p2align	6, 0x0
	.amdhsa_kernel _ZN7rocprim17ROCPRIM_400000_NS6detail17trampoline_kernelINS0_14default_configENS1_25partition_config_selectorILNS1_17partition_subalgoE8EN3c108BFloat16ENS0_10empty_typeEbEEZZNS1_14partition_implILS5_8ELb0ES3_jPKS7_PS8_PKS8_NS0_5tupleIJPS7_S8_EEENSG_IJSD_SD_EEENS0_18inequality_wrapperIN6hipcub16HIPCUB_304000_NS8EqualityEEEPlJS8_EEE10hipError_tPvRmT3_T4_T5_T6_T7_T9_mT8_P12ihipStream_tbDpT10_ENKUlT_T0_E_clISt17integral_constantIbLb1EES18_IbLb0EEEEDaS14_S15_EUlS14_E_NS1_11comp_targetILNS1_3genE2ELNS1_11target_archE906ELNS1_3gpuE6ELNS1_3repE0EEENS1_30default_config_static_selectorELNS0_4arch9wavefront6targetE0EEEvT1_
		.amdhsa_group_segment_fixed_size 0
		.amdhsa_private_segment_fixed_size 0
		.amdhsa_kernarg_size 112
		.amdhsa_user_sgpr_count 2
		.amdhsa_user_sgpr_dispatch_ptr 0
		.amdhsa_user_sgpr_queue_ptr 0
		.amdhsa_user_sgpr_kernarg_segment_ptr 1
		.amdhsa_user_sgpr_dispatch_id 0
		.amdhsa_user_sgpr_kernarg_preload_length 0
		.amdhsa_user_sgpr_kernarg_preload_offset 0
		.amdhsa_user_sgpr_private_segment_size 0
		.amdhsa_wavefront_size32 1
		.amdhsa_uses_dynamic_stack 0
		.amdhsa_enable_private_segment 0
		.amdhsa_system_sgpr_workgroup_id_x 1
		.amdhsa_system_sgpr_workgroup_id_y 0
		.amdhsa_system_sgpr_workgroup_id_z 0
		.amdhsa_system_sgpr_workgroup_info 0
		.amdhsa_system_vgpr_workitem_id 0
		.amdhsa_next_free_vgpr 1
		.amdhsa_next_free_sgpr 1
		.amdhsa_named_barrier_count 0
		.amdhsa_reserve_vcc 0
		.amdhsa_float_round_mode_32 0
		.amdhsa_float_round_mode_16_64 0
		.amdhsa_float_denorm_mode_32 3
		.amdhsa_float_denorm_mode_16_64 3
		.amdhsa_fp16_overflow 0
		.amdhsa_memory_ordered 1
		.amdhsa_forward_progress 1
		.amdhsa_inst_pref_size 0
		.amdhsa_round_robin_scheduling 0
		.amdhsa_exception_fp_ieee_invalid_op 0
		.amdhsa_exception_fp_denorm_src 0
		.amdhsa_exception_fp_ieee_div_zero 0
		.amdhsa_exception_fp_ieee_overflow 0
		.amdhsa_exception_fp_ieee_underflow 0
		.amdhsa_exception_fp_ieee_inexact 0
		.amdhsa_exception_int_div_zero 0
	.end_amdhsa_kernel
	.section	.text._ZN7rocprim17ROCPRIM_400000_NS6detail17trampoline_kernelINS0_14default_configENS1_25partition_config_selectorILNS1_17partition_subalgoE8EN3c108BFloat16ENS0_10empty_typeEbEEZZNS1_14partition_implILS5_8ELb0ES3_jPKS7_PS8_PKS8_NS0_5tupleIJPS7_S8_EEENSG_IJSD_SD_EEENS0_18inequality_wrapperIN6hipcub16HIPCUB_304000_NS8EqualityEEEPlJS8_EEE10hipError_tPvRmT3_T4_T5_T6_T7_T9_mT8_P12ihipStream_tbDpT10_ENKUlT_T0_E_clISt17integral_constantIbLb1EES18_IbLb0EEEEDaS14_S15_EUlS14_E_NS1_11comp_targetILNS1_3genE2ELNS1_11target_archE906ELNS1_3gpuE6ELNS1_3repE0EEENS1_30default_config_static_selectorELNS0_4arch9wavefront6targetE0EEEvT1_,"axG",@progbits,_ZN7rocprim17ROCPRIM_400000_NS6detail17trampoline_kernelINS0_14default_configENS1_25partition_config_selectorILNS1_17partition_subalgoE8EN3c108BFloat16ENS0_10empty_typeEbEEZZNS1_14partition_implILS5_8ELb0ES3_jPKS7_PS8_PKS8_NS0_5tupleIJPS7_S8_EEENSG_IJSD_SD_EEENS0_18inequality_wrapperIN6hipcub16HIPCUB_304000_NS8EqualityEEEPlJS8_EEE10hipError_tPvRmT3_T4_T5_T6_T7_T9_mT8_P12ihipStream_tbDpT10_ENKUlT_T0_E_clISt17integral_constantIbLb1EES18_IbLb0EEEEDaS14_S15_EUlS14_E_NS1_11comp_targetILNS1_3genE2ELNS1_11target_archE906ELNS1_3gpuE6ELNS1_3repE0EEENS1_30default_config_static_selectorELNS0_4arch9wavefront6targetE0EEEvT1_,comdat
.Lfunc_end844:
	.size	_ZN7rocprim17ROCPRIM_400000_NS6detail17trampoline_kernelINS0_14default_configENS1_25partition_config_selectorILNS1_17partition_subalgoE8EN3c108BFloat16ENS0_10empty_typeEbEEZZNS1_14partition_implILS5_8ELb0ES3_jPKS7_PS8_PKS8_NS0_5tupleIJPS7_S8_EEENSG_IJSD_SD_EEENS0_18inequality_wrapperIN6hipcub16HIPCUB_304000_NS8EqualityEEEPlJS8_EEE10hipError_tPvRmT3_T4_T5_T6_T7_T9_mT8_P12ihipStream_tbDpT10_ENKUlT_T0_E_clISt17integral_constantIbLb1EES18_IbLb0EEEEDaS14_S15_EUlS14_E_NS1_11comp_targetILNS1_3genE2ELNS1_11target_archE906ELNS1_3gpuE6ELNS1_3repE0EEENS1_30default_config_static_selectorELNS0_4arch9wavefront6targetE0EEEvT1_, .Lfunc_end844-_ZN7rocprim17ROCPRIM_400000_NS6detail17trampoline_kernelINS0_14default_configENS1_25partition_config_selectorILNS1_17partition_subalgoE8EN3c108BFloat16ENS0_10empty_typeEbEEZZNS1_14partition_implILS5_8ELb0ES3_jPKS7_PS8_PKS8_NS0_5tupleIJPS7_S8_EEENSG_IJSD_SD_EEENS0_18inequality_wrapperIN6hipcub16HIPCUB_304000_NS8EqualityEEEPlJS8_EEE10hipError_tPvRmT3_T4_T5_T6_T7_T9_mT8_P12ihipStream_tbDpT10_ENKUlT_T0_E_clISt17integral_constantIbLb1EES18_IbLb0EEEEDaS14_S15_EUlS14_E_NS1_11comp_targetILNS1_3genE2ELNS1_11target_archE906ELNS1_3gpuE6ELNS1_3repE0EEENS1_30default_config_static_selectorELNS0_4arch9wavefront6targetE0EEEvT1_
                                        ; -- End function
	.set _ZN7rocprim17ROCPRIM_400000_NS6detail17trampoline_kernelINS0_14default_configENS1_25partition_config_selectorILNS1_17partition_subalgoE8EN3c108BFloat16ENS0_10empty_typeEbEEZZNS1_14partition_implILS5_8ELb0ES3_jPKS7_PS8_PKS8_NS0_5tupleIJPS7_S8_EEENSG_IJSD_SD_EEENS0_18inequality_wrapperIN6hipcub16HIPCUB_304000_NS8EqualityEEEPlJS8_EEE10hipError_tPvRmT3_T4_T5_T6_T7_T9_mT8_P12ihipStream_tbDpT10_ENKUlT_T0_E_clISt17integral_constantIbLb1EES18_IbLb0EEEEDaS14_S15_EUlS14_E_NS1_11comp_targetILNS1_3genE2ELNS1_11target_archE906ELNS1_3gpuE6ELNS1_3repE0EEENS1_30default_config_static_selectorELNS0_4arch9wavefront6targetE0EEEvT1_.num_vgpr, 0
	.set _ZN7rocprim17ROCPRIM_400000_NS6detail17trampoline_kernelINS0_14default_configENS1_25partition_config_selectorILNS1_17partition_subalgoE8EN3c108BFloat16ENS0_10empty_typeEbEEZZNS1_14partition_implILS5_8ELb0ES3_jPKS7_PS8_PKS8_NS0_5tupleIJPS7_S8_EEENSG_IJSD_SD_EEENS0_18inequality_wrapperIN6hipcub16HIPCUB_304000_NS8EqualityEEEPlJS8_EEE10hipError_tPvRmT3_T4_T5_T6_T7_T9_mT8_P12ihipStream_tbDpT10_ENKUlT_T0_E_clISt17integral_constantIbLb1EES18_IbLb0EEEEDaS14_S15_EUlS14_E_NS1_11comp_targetILNS1_3genE2ELNS1_11target_archE906ELNS1_3gpuE6ELNS1_3repE0EEENS1_30default_config_static_selectorELNS0_4arch9wavefront6targetE0EEEvT1_.num_agpr, 0
	.set _ZN7rocprim17ROCPRIM_400000_NS6detail17trampoline_kernelINS0_14default_configENS1_25partition_config_selectorILNS1_17partition_subalgoE8EN3c108BFloat16ENS0_10empty_typeEbEEZZNS1_14partition_implILS5_8ELb0ES3_jPKS7_PS8_PKS8_NS0_5tupleIJPS7_S8_EEENSG_IJSD_SD_EEENS0_18inequality_wrapperIN6hipcub16HIPCUB_304000_NS8EqualityEEEPlJS8_EEE10hipError_tPvRmT3_T4_T5_T6_T7_T9_mT8_P12ihipStream_tbDpT10_ENKUlT_T0_E_clISt17integral_constantIbLb1EES18_IbLb0EEEEDaS14_S15_EUlS14_E_NS1_11comp_targetILNS1_3genE2ELNS1_11target_archE906ELNS1_3gpuE6ELNS1_3repE0EEENS1_30default_config_static_selectorELNS0_4arch9wavefront6targetE0EEEvT1_.numbered_sgpr, 0
	.set _ZN7rocprim17ROCPRIM_400000_NS6detail17trampoline_kernelINS0_14default_configENS1_25partition_config_selectorILNS1_17partition_subalgoE8EN3c108BFloat16ENS0_10empty_typeEbEEZZNS1_14partition_implILS5_8ELb0ES3_jPKS7_PS8_PKS8_NS0_5tupleIJPS7_S8_EEENSG_IJSD_SD_EEENS0_18inequality_wrapperIN6hipcub16HIPCUB_304000_NS8EqualityEEEPlJS8_EEE10hipError_tPvRmT3_T4_T5_T6_T7_T9_mT8_P12ihipStream_tbDpT10_ENKUlT_T0_E_clISt17integral_constantIbLb1EES18_IbLb0EEEEDaS14_S15_EUlS14_E_NS1_11comp_targetILNS1_3genE2ELNS1_11target_archE906ELNS1_3gpuE6ELNS1_3repE0EEENS1_30default_config_static_selectorELNS0_4arch9wavefront6targetE0EEEvT1_.num_named_barrier, 0
	.set _ZN7rocprim17ROCPRIM_400000_NS6detail17trampoline_kernelINS0_14default_configENS1_25partition_config_selectorILNS1_17partition_subalgoE8EN3c108BFloat16ENS0_10empty_typeEbEEZZNS1_14partition_implILS5_8ELb0ES3_jPKS7_PS8_PKS8_NS0_5tupleIJPS7_S8_EEENSG_IJSD_SD_EEENS0_18inequality_wrapperIN6hipcub16HIPCUB_304000_NS8EqualityEEEPlJS8_EEE10hipError_tPvRmT3_T4_T5_T6_T7_T9_mT8_P12ihipStream_tbDpT10_ENKUlT_T0_E_clISt17integral_constantIbLb1EES18_IbLb0EEEEDaS14_S15_EUlS14_E_NS1_11comp_targetILNS1_3genE2ELNS1_11target_archE906ELNS1_3gpuE6ELNS1_3repE0EEENS1_30default_config_static_selectorELNS0_4arch9wavefront6targetE0EEEvT1_.private_seg_size, 0
	.set _ZN7rocprim17ROCPRIM_400000_NS6detail17trampoline_kernelINS0_14default_configENS1_25partition_config_selectorILNS1_17partition_subalgoE8EN3c108BFloat16ENS0_10empty_typeEbEEZZNS1_14partition_implILS5_8ELb0ES3_jPKS7_PS8_PKS8_NS0_5tupleIJPS7_S8_EEENSG_IJSD_SD_EEENS0_18inequality_wrapperIN6hipcub16HIPCUB_304000_NS8EqualityEEEPlJS8_EEE10hipError_tPvRmT3_T4_T5_T6_T7_T9_mT8_P12ihipStream_tbDpT10_ENKUlT_T0_E_clISt17integral_constantIbLb1EES18_IbLb0EEEEDaS14_S15_EUlS14_E_NS1_11comp_targetILNS1_3genE2ELNS1_11target_archE906ELNS1_3gpuE6ELNS1_3repE0EEENS1_30default_config_static_selectorELNS0_4arch9wavefront6targetE0EEEvT1_.uses_vcc, 0
	.set _ZN7rocprim17ROCPRIM_400000_NS6detail17trampoline_kernelINS0_14default_configENS1_25partition_config_selectorILNS1_17partition_subalgoE8EN3c108BFloat16ENS0_10empty_typeEbEEZZNS1_14partition_implILS5_8ELb0ES3_jPKS7_PS8_PKS8_NS0_5tupleIJPS7_S8_EEENSG_IJSD_SD_EEENS0_18inequality_wrapperIN6hipcub16HIPCUB_304000_NS8EqualityEEEPlJS8_EEE10hipError_tPvRmT3_T4_T5_T6_T7_T9_mT8_P12ihipStream_tbDpT10_ENKUlT_T0_E_clISt17integral_constantIbLb1EES18_IbLb0EEEEDaS14_S15_EUlS14_E_NS1_11comp_targetILNS1_3genE2ELNS1_11target_archE906ELNS1_3gpuE6ELNS1_3repE0EEENS1_30default_config_static_selectorELNS0_4arch9wavefront6targetE0EEEvT1_.uses_flat_scratch, 0
	.set _ZN7rocprim17ROCPRIM_400000_NS6detail17trampoline_kernelINS0_14default_configENS1_25partition_config_selectorILNS1_17partition_subalgoE8EN3c108BFloat16ENS0_10empty_typeEbEEZZNS1_14partition_implILS5_8ELb0ES3_jPKS7_PS8_PKS8_NS0_5tupleIJPS7_S8_EEENSG_IJSD_SD_EEENS0_18inequality_wrapperIN6hipcub16HIPCUB_304000_NS8EqualityEEEPlJS8_EEE10hipError_tPvRmT3_T4_T5_T6_T7_T9_mT8_P12ihipStream_tbDpT10_ENKUlT_T0_E_clISt17integral_constantIbLb1EES18_IbLb0EEEEDaS14_S15_EUlS14_E_NS1_11comp_targetILNS1_3genE2ELNS1_11target_archE906ELNS1_3gpuE6ELNS1_3repE0EEENS1_30default_config_static_selectorELNS0_4arch9wavefront6targetE0EEEvT1_.has_dyn_sized_stack, 0
	.set _ZN7rocprim17ROCPRIM_400000_NS6detail17trampoline_kernelINS0_14default_configENS1_25partition_config_selectorILNS1_17partition_subalgoE8EN3c108BFloat16ENS0_10empty_typeEbEEZZNS1_14partition_implILS5_8ELb0ES3_jPKS7_PS8_PKS8_NS0_5tupleIJPS7_S8_EEENSG_IJSD_SD_EEENS0_18inequality_wrapperIN6hipcub16HIPCUB_304000_NS8EqualityEEEPlJS8_EEE10hipError_tPvRmT3_T4_T5_T6_T7_T9_mT8_P12ihipStream_tbDpT10_ENKUlT_T0_E_clISt17integral_constantIbLb1EES18_IbLb0EEEEDaS14_S15_EUlS14_E_NS1_11comp_targetILNS1_3genE2ELNS1_11target_archE906ELNS1_3gpuE6ELNS1_3repE0EEENS1_30default_config_static_selectorELNS0_4arch9wavefront6targetE0EEEvT1_.has_recursion, 0
	.set _ZN7rocprim17ROCPRIM_400000_NS6detail17trampoline_kernelINS0_14default_configENS1_25partition_config_selectorILNS1_17partition_subalgoE8EN3c108BFloat16ENS0_10empty_typeEbEEZZNS1_14partition_implILS5_8ELb0ES3_jPKS7_PS8_PKS8_NS0_5tupleIJPS7_S8_EEENSG_IJSD_SD_EEENS0_18inequality_wrapperIN6hipcub16HIPCUB_304000_NS8EqualityEEEPlJS8_EEE10hipError_tPvRmT3_T4_T5_T6_T7_T9_mT8_P12ihipStream_tbDpT10_ENKUlT_T0_E_clISt17integral_constantIbLb1EES18_IbLb0EEEEDaS14_S15_EUlS14_E_NS1_11comp_targetILNS1_3genE2ELNS1_11target_archE906ELNS1_3gpuE6ELNS1_3repE0EEENS1_30default_config_static_selectorELNS0_4arch9wavefront6targetE0EEEvT1_.has_indirect_call, 0
	.section	.AMDGPU.csdata,"",@progbits
; Kernel info:
; codeLenInByte = 0
; TotalNumSgprs: 0
; NumVgprs: 0
; ScratchSize: 0
; MemoryBound: 0
; FloatMode: 240
; IeeeMode: 1
; LDSByteSize: 0 bytes/workgroup (compile time only)
; SGPRBlocks: 0
; VGPRBlocks: 0
; NumSGPRsForWavesPerEU: 1
; NumVGPRsForWavesPerEU: 1
; NamedBarCnt: 0
; Occupancy: 16
; WaveLimiterHint : 0
; COMPUTE_PGM_RSRC2:SCRATCH_EN: 0
; COMPUTE_PGM_RSRC2:USER_SGPR: 2
; COMPUTE_PGM_RSRC2:TRAP_HANDLER: 0
; COMPUTE_PGM_RSRC2:TGID_X_EN: 1
; COMPUTE_PGM_RSRC2:TGID_Y_EN: 0
; COMPUTE_PGM_RSRC2:TGID_Z_EN: 0
; COMPUTE_PGM_RSRC2:TIDIG_COMP_CNT: 0
	.section	.text._ZN7rocprim17ROCPRIM_400000_NS6detail17trampoline_kernelINS0_14default_configENS1_25partition_config_selectorILNS1_17partition_subalgoE8EN3c108BFloat16ENS0_10empty_typeEbEEZZNS1_14partition_implILS5_8ELb0ES3_jPKS7_PS8_PKS8_NS0_5tupleIJPS7_S8_EEENSG_IJSD_SD_EEENS0_18inequality_wrapperIN6hipcub16HIPCUB_304000_NS8EqualityEEEPlJS8_EEE10hipError_tPvRmT3_T4_T5_T6_T7_T9_mT8_P12ihipStream_tbDpT10_ENKUlT_T0_E_clISt17integral_constantIbLb1EES18_IbLb0EEEEDaS14_S15_EUlS14_E_NS1_11comp_targetILNS1_3genE10ELNS1_11target_archE1200ELNS1_3gpuE4ELNS1_3repE0EEENS1_30default_config_static_selectorELNS0_4arch9wavefront6targetE0EEEvT1_,"axG",@progbits,_ZN7rocprim17ROCPRIM_400000_NS6detail17trampoline_kernelINS0_14default_configENS1_25partition_config_selectorILNS1_17partition_subalgoE8EN3c108BFloat16ENS0_10empty_typeEbEEZZNS1_14partition_implILS5_8ELb0ES3_jPKS7_PS8_PKS8_NS0_5tupleIJPS7_S8_EEENSG_IJSD_SD_EEENS0_18inequality_wrapperIN6hipcub16HIPCUB_304000_NS8EqualityEEEPlJS8_EEE10hipError_tPvRmT3_T4_T5_T6_T7_T9_mT8_P12ihipStream_tbDpT10_ENKUlT_T0_E_clISt17integral_constantIbLb1EES18_IbLb0EEEEDaS14_S15_EUlS14_E_NS1_11comp_targetILNS1_3genE10ELNS1_11target_archE1200ELNS1_3gpuE4ELNS1_3repE0EEENS1_30default_config_static_selectorELNS0_4arch9wavefront6targetE0EEEvT1_,comdat
	.protected	_ZN7rocprim17ROCPRIM_400000_NS6detail17trampoline_kernelINS0_14default_configENS1_25partition_config_selectorILNS1_17partition_subalgoE8EN3c108BFloat16ENS0_10empty_typeEbEEZZNS1_14partition_implILS5_8ELb0ES3_jPKS7_PS8_PKS8_NS0_5tupleIJPS7_S8_EEENSG_IJSD_SD_EEENS0_18inequality_wrapperIN6hipcub16HIPCUB_304000_NS8EqualityEEEPlJS8_EEE10hipError_tPvRmT3_T4_T5_T6_T7_T9_mT8_P12ihipStream_tbDpT10_ENKUlT_T0_E_clISt17integral_constantIbLb1EES18_IbLb0EEEEDaS14_S15_EUlS14_E_NS1_11comp_targetILNS1_3genE10ELNS1_11target_archE1200ELNS1_3gpuE4ELNS1_3repE0EEENS1_30default_config_static_selectorELNS0_4arch9wavefront6targetE0EEEvT1_ ; -- Begin function _ZN7rocprim17ROCPRIM_400000_NS6detail17trampoline_kernelINS0_14default_configENS1_25partition_config_selectorILNS1_17partition_subalgoE8EN3c108BFloat16ENS0_10empty_typeEbEEZZNS1_14partition_implILS5_8ELb0ES3_jPKS7_PS8_PKS8_NS0_5tupleIJPS7_S8_EEENSG_IJSD_SD_EEENS0_18inequality_wrapperIN6hipcub16HIPCUB_304000_NS8EqualityEEEPlJS8_EEE10hipError_tPvRmT3_T4_T5_T6_T7_T9_mT8_P12ihipStream_tbDpT10_ENKUlT_T0_E_clISt17integral_constantIbLb1EES18_IbLb0EEEEDaS14_S15_EUlS14_E_NS1_11comp_targetILNS1_3genE10ELNS1_11target_archE1200ELNS1_3gpuE4ELNS1_3repE0EEENS1_30default_config_static_selectorELNS0_4arch9wavefront6targetE0EEEvT1_
	.globl	_ZN7rocprim17ROCPRIM_400000_NS6detail17trampoline_kernelINS0_14default_configENS1_25partition_config_selectorILNS1_17partition_subalgoE8EN3c108BFloat16ENS0_10empty_typeEbEEZZNS1_14partition_implILS5_8ELb0ES3_jPKS7_PS8_PKS8_NS0_5tupleIJPS7_S8_EEENSG_IJSD_SD_EEENS0_18inequality_wrapperIN6hipcub16HIPCUB_304000_NS8EqualityEEEPlJS8_EEE10hipError_tPvRmT3_T4_T5_T6_T7_T9_mT8_P12ihipStream_tbDpT10_ENKUlT_T0_E_clISt17integral_constantIbLb1EES18_IbLb0EEEEDaS14_S15_EUlS14_E_NS1_11comp_targetILNS1_3genE10ELNS1_11target_archE1200ELNS1_3gpuE4ELNS1_3repE0EEENS1_30default_config_static_selectorELNS0_4arch9wavefront6targetE0EEEvT1_
	.p2align	8
	.type	_ZN7rocprim17ROCPRIM_400000_NS6detail17trampoline_kernelINS0_14default_configENS1_25partition_config_selectorILNS1_17partition_subalgoE8EN3c108BFloat16ENS0_10empty_typeEbEEZZNS1_14partition_implILS5_8ELb0ES3_jPKS7_PS8_PKS8_NS0_5tupleIJPS7_S8_EEENSG_IJSD_SD_EEENS0_18inequality_wrapperIN6hipcub16HIPCUB_304000_NS8EqualityEEEPlJS8_EEE10hipError_tPvRmT3_T4_T5_T6_T7_T9_mT8_P12ihipStream_tbDpT10_ENKUlT_T0_E_clISt17integral_constantIbLb1EES18_IbLb0EEEEDaS14_S15_EUlS14_E_NS1_11comp_targetILNS1_3genE10ELNS1_11target_archE1200ELNS1_3gpuE4ELNS1_3repE0EEENS1_30default_config_static_selectorELNS0_4arch9wavefront6targetE0EEEvT1_,@function
_ZN7rocprim17ROCPRIM_400000_NS6detail17trampoline_kernelINS0_14default_configENS1_25partition_config_selectorILNS1_17partition_subalgoE8EN3c108BFloat16ENS0_10empty_typeEbEEZZNS1_14partition_implILS5_8ELb0ES3_jPKS7_PS8_PKS8_NS0_5tupleIJPS7_S8_EEENSG_IJSD_SD_EEENS0_18inequality_wrapperIN6hipcub16HIPCUB_304000_NS8EqualityEEEPlJS8_EEE10hipError_tPvRmT3_T4_T5_T6_T7_T9_mT8_P12ihipStream_tbDpT10_ENKUlT_T0_E_clISt17integral_constantIbLb1EES18_IbLb0EEEEDaS14_S15_EUlS14_E_NS1_11comp_targetILNS1_3genE10ELNS1_11target_archE1200ELNS1_3gpuE4ELNS1_3repE0EEENS1_30default_config_static_selectorELNS0_4arch9wavefront6targetE0EEEvT1_: ; @_ZN7rocprim17ROCPRIM_400000_NS6detail17trampoline_kernelINS0_14default_configENS1_25partition_config_selectorILNS1_17partition_subalgoE8EN3c108BFloat16ENS0_10empty_typeEbEEZZNS1_14partition_implILS5_8ELb0ES3_jPKS7_PS8_PKS8_NS0_5tupleIJPS7_S8_EEENSG_IJSD_SD_EEENS0_18inequality_wrapperIN6hipcub16HIPCUB_304000_NS8EqualityEEEPlJS8_EEE10hipError_tPvRmT3_T4_T5_T6_T7_T9_mT8_P12ihipStream_tbDpT10_ENKUlT_T0_E_clISt17integral_constantIbLb1EES18_IbLb0EEEEDaS14_S15_EUlS14_E_NS1_11comp_targetILNS1_3genE10ELNS1_11target_archE1200ELNS1_3gpuE4ELNS1_3repE0EEENS1_30default_config_static_selectorELNS0_4arch9wavefront6targetE0EEEvT1_
; %bb.0:
	.section	.rodata,"a",@progbits
	.p2align	6, 0x0
	.amdhsa_kernel _ZN7rocprim17ROCPRIM_400000_NS6detail17trampoline_kernelINS0_14default_configENS1_25partition_config_selectorILNS1_17partition_subalgoE8EN3c108BFloat16ENS0_10empty_typeEbEEZZNS1_14partition_implILS5_8ELb0ES3_jPKS7_PS8_PKS8_NS0_5tupleIJPS7_S8_EEENSG_IJSD_SD_EEENS0_18inequality_wrapperIN6hipcub16HIPCUB_304000_NS8EqualityEEEPlJS8_EEE10hipError_tPvRmT3_T4_T5_T6_T7_T9_mT8_P12ihipStream_tbDpT10_ENKUlT_T0_E_clISt17integral_constantIbLb1EES18_IbLb0EEEEDaS14_S15_EUlS14_E_NS1_11comp_targetILNS1_3genE10ELNS1_11target_archE1200ELNS1_3gpuE4ELNS1_3repE0EEENS1_30default_config_static_selectorELNS0_4arch9wavefront6targetE0EEEvT1_
		.amdhsa_group_segment_fixed_size 0
		.amdhsa_private_segment_fixed_size 0
		.amdhsa_kernarg_size 112
		.amdhsa_user_sgpr_count 2
		.amdhsa_user_sgpr_dispatch_ptr 0
		.amdhsa_user_sgpr_queue_ptr 0
		.amdhsa_user_sgpr_kernarg_segment_ptr 1
		.amdhsa_user_sgpr_dispatch_id 0
		.amdhsa_user_sgpr_kernarg_preload_length 0
		.amdhsa_user_sgpr_kernarg_preload_offset 0
		.amdhsa_user_sgpr_private_segment_size 0
		.amdhsa_wavefront_size32 1
		.amdhsa_uses_dynamic_stack 0
		.amdhsa_enable_private_segment 0
		.amdhsa_system_sgpr_workgroup_id_x 1
		.amdhsa_system_sgpr_workgroup_id_y 0
		.amdhsa_system_sgpr_workgroup_id_z 0
		.amdhsa_system_sgpr_workgroup_info 0
		.amdhsa_system_vgpr_workitem_id 0
		.amdhsa_next_free_vgpr 1
		.amdhsa_next_free_sgpr 1
		.amdhsa_named_barrier_count 0
		.amdhsa_reserve_vcc 0
		.amdhsa_float_round_mode_32 0
		.amdhsa_float_round_mode_16_64 0
		.amdhsa_float_denorm_mode_32 3
		.amdhsa_float_denorm_mode_16_64 3
		.amdhsa_fp16_overflow 0
		.amdhsa_memory_ordered 1
		.amdhsa_forward_progress 1
		.amdhsa_inst_pref_size 0
		.amdhsa_round_robin_scheduling 0
		.amdhsa_exception_fp_ieee_invalid_op 0
		.amdhsa_exception_fp_denorm_src 0
		.amdhsa_exception_fp_ieee_div_zero 0
		.amdhsa_exception_fp_ieee_overflow 0
		.amdhsa_exception_fp_ieee_underflow 0
		.amdhsa_exception_fp_ieee_inexact 0
		.amdhsa_exception_int_div_zero 0
	.end_amdhsa_kernel
	.section	.text._ZN7rocprim17ROCPRIM_400000_NS6detail17trampoline_kernelINS0_14default_configENS1_25partition_config_selectorILNS1_17partition_subalgoE8EN3c108BFloat16ENS0_10empty_typeEbEEZZNS1_14partition_implILS5_8ELb0ES3_jPKS7_PS8_PKS8_NS0_5tupleIJPS7_S8_EEENSG_IJSD_SD_EEENS0_18inequality_wrapperIN6hipcub16HIPCUB_304000_NS8EqualityEEEPlJS8_EEE10hipError_tPvRmT3_T4_T5_T6_T7_T9_mT8_P12ihipStream_tbDpT10_ENKUlT_T0_E_clISt17integral_constantIbLb1EES18_IbLb0EEEEDaS14_S15_EUlS14_E_NS1_11comp_targetILNS1_3genE10ELNS1_11target_archE1200ELNS1_3gpuE4ELNS1_3repE0EEENS1_30default_config_static_selectorELNS0_4arch9wavefront6targetE0EEEvT1_,"axG",@progbits,_ZN7rocprim17ROCPRIM_400000_NS6detail17trampoline_kernelINS0_14default_configENS1_25partition_config_selectorILNS1_17partition_subalgoE8EN3c108BFloat16ENS0_10empty_typeEbEEZZNS1_14partition_implILS5_8ELb0ES3_jPKS7_PS8_PKS8_NS0_5tupleIJPS7_S8_EEENSG_IJSD_SD_EEENS0_18inequality_wrapperIN6hipcub16HIPCUB_304000_NS8EqualityEEEPlJS8_EEE10hipError_tPvRmT3_T4_T5_T6_T7_T9_mT8_P12ihipStream_tbDpT10_ENKUlT_T0_E_clISt17integral_constantIbLb1EES18_IbLb0EEEEDaS14_S15_EUlS14_E_NS1_11comp_targetILNS1_3genE10ELNS1_11target_archE1200ELNS1_3gpuE4ELNS1_3repE0EEENS1_30default_config_static_selectorELNS0_4arch9wavefront6targetE0EEEvT1_,comdat
.Lfunc_end845:
	.size	_ZN7rocprim17ROCPRIM_400000_NS6detail17trampoline_kernelINS0_14default_configENS1_25partition_config_selectorILNS1_17partition_subalgoE8EN3c108BFloat16ENS0_10empty_typeEbEEZZNS1_14partition_implILS5_8ELb0ES3_jPKS7_PS8_PKS8_NS0_5tupleIJPS7_S8_EEENSG_IJSD_SD_EEENS0_18inequality_wrapperIN6hipcub16HIPCUB_304000_NS8EqualityEEEPlJS8_EEE10hipError_tPvRmT3_T4_T5_T6_T7_T9_mT8_P12ihipStream_tbDpT10_ENKUlT_T0_E_clISt17integral_constantIbLb1EES18_IbLb0EEEEDaS14_S15_EUlS14_E_NS1_11comp_targetILNS1_3genE10ELNS1_11target_archE1200ELNS1_3gpuE4ELNS1_3repE0EEENS1_30default_config_static_selectorELNS0_4arch9wavefront6targetE0EEEvT1_, .Lfunc_end845-_ZN7rocprim17ROCPRIM_400000_NS6detail17trampoline_kernelINS0_14default_configENS1_25partition_config_selectorILNS1_17partition_subalgoE8EN3c108BFloat16ENS0_10empty_typeEbEEZZNS1_14partition_implILS5_8ELb0ES3_jPKS7_PS8_PKS8_NS0_5tupleIJPS7_S8_EEENSG_IJSD_SD_EEENS0_18inequality_wrapperIN6hipcub16HIPCUB_304000_NS8EqualityEEEPlJS8_EEE10hipError_tPvRmT3_T4_T5_T6_T7_T9_mT8_P12ihipStream_tbDpT10_ENKUlT_T0_E_clISt17integral_constantIbLb1EES18_IbLb0EEEEDaS14_S15_EUlS14_E_NS1_11comp_targetILNS1_3genE10ELNS1_11target_archE1200ELNS1_3gpuE4ELNS1_3repE0EEENS1_30default_config_static_selectorELNS0_4arch9wavefront6targetE0EEEvT1_
                                        ; -- End function
	.set _ZN7rocprim17ROCPRIM_400000_NS6detail17trampoline_kernelINS0_14default_configENS1_25partition_config_selectorILNS1_17partition_subalgoE8EN3c108BFloat16ENS0_10empty_typeEbEEZZNS1_14partition_implILS5_8ELb0ES3_jPKS7_PS8_PKS8_NS0_5tupleIJPS7_S8_EEENSG_IJSD_SD_EEENS0_18inequality_wrapperIN6hipcub16HIPCUB_304000_NS8EqualityEEEPlJS8_EEE10hipError_tPvRmT3_T4_T5_T6_T7_T9_mT8_P12ihipStream_tbDpT10_ENKUlT_T0_E_clISt17integral_constantIbLb1EES18_IbLb0EEEEDaS14_S15_EUlS14_E_NS1_11comp_targetILNS1_3genE10ELNS1_11target_archE1200ELNS1_3gpuE4ELNS1_3repE0EEENS1_30default_config_static_selectorELNS0_4arch9wavefront6targetE0EEEvT1_.num_vgpr, 0
	.set _ZN7rocprim17ROCPRIM_400000_NS6detail17trampoline_kernelINS0_14default_configENS1_25partition_config_selectorILNS1_17partition_subalgoE8EN3c108BFloat16ENS0_10empty_typeEbEEZZNS1_14partition_implILS5_8ELb0ES3_jPKS7_PS8_PKS8_NS0_5tupleIJPS7_S8_EEENSG_IJSD_SD_EEENS0_18inequality_wrapperIN6hipcub16HIPCUB_304000_NS8EqualityEEEPlJS8_EEE10hipError_tPvRmT3_T4_T5_T6_T7_T9_mT8_P12ihipStream_tbDpT10_ENKUlT_T0_E_clISt17integral_constantIbLb1EES18_IbLb0EEEEDaS14_S15_EUlS14_E_NS1_11comp_targetILNS1_3genE10ELNS1_11target_archE1200ELNS1_3gpuE4ELNS1_3repE0EEENS1_30default_config_static_selectorELNS0_4arch9wavefront6targetE0EEEvT1_.num_agpr, 0
	.set _ZN7rocprim17ROCPRIM_400000_NS6detail17trampoline_kernelINS0_14default_configENS1_25partition_config_selectorILNS1_17partition_subalgoE8EN3c108BFloat16ENS0_10empty_typeEbEEZZNS1_14partition_implILS5_8ELb0ES3_jPKS7_PS8_PKS8_NS0_5tupleIJPS7_S8_EEENSG_IJSD_SD_EEENS0_18inequality_wrapperIN6hipcub16HIPCUB_304000_NS8EqualityEEEPlJS8_EEE10hipError_tPvRmT3_T4_T5_T6_T7_T9_mT8_P12ihipStream_tbDpT10_ENKUlT_T0_E_clISt17integral_constantIbLb1EES18_IbLb0EEEEDaS14_S15_EUlS14_E_NS1_11comp_targetILNS1_3genE10ELNS1_11target_archE1200ELNS1_3gpuE4ELNS1_3repE0EEENS1_30default_config_static_selectorELNS0_4arch9wavefront6targetE0EEEvT1_.numbered_sgpr, 0
	.set _ZN7rocprim17ROCPRIM_400000_NS6detail17trampoline_kernelINS0_14default_configENS1_25partition_config_selectorILNS1_17partition_subalgoE8EN3c108BFloat16ENS0_10empty_typeEbEEZZNS1_14partition_implILS5_8ELb0ES3_jPKS7_PS8_PKS8_NS0_5tupleIJPS7_S8_EEENSG_IJSD_SD_EEENS0_18inequality_wrapperIN6hipcub16HIPCUB_304000_NS8EqualityEEEPlJS8_EEE10hipError_tPvRmT3_T4_T5_T6_T7_T9_mT8_P12ihipStream_tbDpT10_ENKUlT_T0_E_clISt17integral_constantIbLb1EES18_IbLb0EEEEDaS14_S15_EUlS14_E_NS1_11comp_targetILNS1_3genE10ELNS1_11target_archE1200ELNS1_3gpuE4ELNS1_3repE0EEENS1_30default_config_static_selectorELNS0_4arch9wavefront6targetE0EEEvT1_.num_named_barrier, 0
	.set _ZN7rocprim17ROCPRIM_400000_NS6detail17trampoline_kernelINS0_14default_configENS1_25partition_config_selectorILNS1_17partition_subalgoE8EN3c108BFloat16ENS0_10empty_typeEbEEZZNS1_14partition_implILS5_8ELb0ES3_jPKS7_PS8_PKS8_NS0_5tupleIJPS7_S8_EEENSG_IJSD_SD_EEENS0_18inequality_wrapperIN6hipcub16HIPCUB_304000_NS8EqualityEEEPlJS8_EEE10hipError_tPvRmT3_T4_T5_T6_T7_T9_mT8_P12ihipStream_tbDpT10_ENKUlT_T0_E_clISt17integral_constantIbLb1EES18_IbLb0EEEEDaS14_S15_EUlS14_E_NS1_11comp_targetILNS1_3genE10ELNS1_11target_archE1200ELNS1_3gpuE4ELNS1_3repE0EEENS1_30default_config_static_selectorELNS0_4arch9wavefront6targetE0EEEvT1_.private_seg_size, 0
	.set _ZN7rocprim17ROCPRIM_400000_NS6detail17trampoline_kernelINS0_14default_configENS1_25partition_config_selectorILNS1_17partition_subalgoE8EN3c108BFloat16ENS0_10empty_typeEbEEZZNS1_14partition_implILS5_8ELb0ES3_jPKS7_PS8_PKS8_NS0_5tupleIJPS7_S8_EEENSG_IJSD_SD_EEENS0_18inequality_wrapperIN6hipcub16HIPCUB_304000_NS8EqualityEEEPlJS8_EEE10hipError_tPvRmT3_T4_T5_T6_T7_T9_mT8_P12ihipStream_tbDpT10_ENKUlT_T0_E_clISt17integral_constantIbLb1EES18_IbLb0EEEEDaS14_S15_EUlS14_E_NS1_11comp_targetILNS1_3genE10ELNS1_11target_archE1200ELNS1_3gpuE4ELNS1_3repE0EEENS1_30default_config_static_selectorELNS0_4arch9wavefront6targetE0EEEvT1_.uses_vcc, 0
	.set _ZN7rocprim17ROCPRIM_400000_NS6detail17trampoline_kernelINS0_14default_configENS1_25partition_config_selectorILNS1_17partition_subalgoE8EN3c108BFloat16ENS0_10empty_typeEbEEZZNS1_14partition_implILS5_8ELb0ES3_jPKS7_PS8_PKS8_NS0_5tupleIJPS7_S8_EEENSG_IJSD_SD_EEENS0_18inequality_wrapperIN6hipcub16HIPCUB_304000_NS8EqualityEEEPlJS8_EEE10hipError_tPvRmT3_T4_T5_T6_T7_T9_mT8_P12ihipStream_tbDpT10_ENKUlT_T0_E_clISt17integral_constantIbLb1EES18_IbLb0EEEEDaS14_S15_EUlS14_E_NS1_11comp_targetILNS1_3genE10ELNS1_11target_archE1200ELNS1_3gpuE4ELNS1_3repE0EEENS1_30default_config_static_selectorELNS0_4arch9wavefront6targetE0EEEvT1_.uses_flat_scratch, 0
	.set _ZN7rocprim17ROCPRIM_400000_NS6detail17trampoline_kernelINS0_14default_configENS1_25partition_config_selectorILNS1_17partition_subalgoE8EN3c108BFloat16ENS0_10empty_typeEbEEZZNS1_14partition_implILS5_8ELb0ES3_jPKS7_PS8_PKS8_NS0_5tupleIJPS7_S8_EEENSG_IJSD_SD_EEENS0_18inequality_wrapperIN6hipcub16HIPCUB_304000_NS8EqualityEEEPlJS8_EEE10hipError_tPvRmT3_T4_T5_T6_T7_T9_mT8_P12ihipStream_tbDpT10_ENKUlT_T0_E_clISt17integral_constantIbLb1EES18_IbLb0EEEEDaS14_S15_EUlS14_E_NS1_11comp_targetILNS1_3genE10ELNS1_11target_archE1200ELNS1_3gpuE4ELNS1_3repE0EEENS1_30default_config_static_selectorELNS0_4arch9wavefront6targetE0EEEvT1_.has_dyn_sized_stack, 0
	.set _ZN7rocprim17ROCPRIM_400000_NS6detail17trampoline_kernelINS0_14default_configENS1_25partition_config_selectorILNS1_17partition_subalgoE8EN3c108BFloat16ENS0_10empty_typeEbEEZZNS1_14partition_implILS5_8ELb0ES3_jPKS7_PS8_PKS8_NS0_5tupleIJPS7_S8_EEENSG_IJSD_SD_EEENS0_18inequality_wrapperIN6hipcub16HIPCUB_304000_NS8EqualityEEEPlJS8_EEE10hipError_tPvRmT3_T4_T5_T6_T7_T9_mT8_P12ihipStream_tbDpT10_ENKUlT_T0_E_clISt17integral_constantIbLb1EES18_IbLb0EEEEDaS14_S15_EUlS14_E_NS1_11comp_targetILNS1_3genE10ELNS1_11target_archE1200ELNS1_3gpuE4ELNS1_3repE0EEENS1_30default_config_static_selectorELNS0_4arch9wavefront6targetE0EEEvT1_.has_recursion, 0
	.set _ZN7rocprim17ROCPRIM_400000_NS6detail17trampoline_kernelINS0_14default_configENS1_25partition_config_selectorILNS1_17partition_subalgoE8EN3c108BFloat16ENS0_10empty_typeEbEEZZNS1_14partition_implILS5_8ELb0ES3_jPKS7_PS8_PKS8_NS0_5tupleIJPS7_S8_EEENSG_IJSD_SD_EEENS0_18inequality_wrapperIN6hipcub16HIPCUB_304000_NS8EqualityEEEPlJS8_EEE10hipError_tPvRmT3_T4_T5_T6_T7_T9_mT8_P12ihipStream_tbDpT10_ENKUlT_T0_E_clISt17integral_constantIbLb1EES18_IbLb0EEEEDaS14_S15_EUlS14_E_NS1_11comp_targetILNS1_3genE10ELNS1_11target_archE1200ELNS1_3gpuE4ELNS1_3repE0EEENS1_30default_config_static_selectorELNS0_4arch9wavefront6targetE0EEEvT1_.has_indirect_call, 0
	.section	.AMDGPU.csdata,"",@progbits
; Kernel info:
; codeLenInByte = 0
; TotalNumSgprs: 0
; NumVgprs: 0
; ScratchSize: 0
; MemoryBound: 0
; FloatMode: 240
; IeeeMode: 1
; LDSByteSize: 0 bytes/workgroup (compile time only)
; SGPRBlocks: 0
; VGPRBlocks: 0
; NumSGPRsForWavesPerEU: 1
; NumVGPRsForWavesPerEU: 1
; NamedBarCnt: 0
; Occupancy: 16
; WaveLimiterHint : 0
; COMPUTE_PGM_RSRC2:SCRATCH_EN: 0
; COMPUTE_PGM_RSRC2:USER_SGPR: 2
; COMPUTE_PGM_RSRC2:TRAP_HANDLER: 0
; COMPUTE_PGM_RSRC2:TGID_X_EN: 1
; COMPUTE_PGM_RSRC2:TGID_Y_EN: 0
; COMPUTE_PGM_RSRC2:TGID_Z_EN: 0
; COMPUTE_PGM_RSRC2:TIDIG_COMP_CNT: 0
	.section	.text._ZN7rocprim17ROCPRIM_400000_NS6detail17trampoline_kernelINS0_14default_configENS1_25partition_config_selectorILNS1_17partition_subalgoE8EN3c108BFloat16ENS0_10empty_typeEbEEZZNS1_14partition_implILS5_8ELb0ES3_jPKS7_PS8_PKS8_NS0_5tupleIJPS7_S8_EEENSG_IJSD_SD_EEENS0_18inequality_wrapperIN6hipcub16HIPCUB_304000_NS8EqualityEEEPlJS8_EEE10hipError_tPvRmT3_T4_T5_T6_T7_T9_mT8_P12ihipStream_tbDpT10_ENKUlT_T0_E_clISt17integral_constantIbLb1EES18_IbLb0EEEEDaS14_S15_EUlS14_E_NS1_11comp_targetILNS1_3genE9ELNS1_11target_archE1100ELNS1_3gpuE3ELNS1_3repE0EEENS1_30default_config_static_selectorELNS0_4arch9wavefront6targetE0EEEvT1_,"axG",@progbits,_ZN7rocprim17ROCPRIM_400000_NS6detail17trampoline_kernelINS0_14default_configENS1_25partition_config_selectorILNS1_17partition_subalgoE8EN3c108BFloat16ENS0_10empty_typeEbEEZZNS1_14partition_implILS5_8ELb0ES3_jPKS7_PS8_PKS8_NS0_5tupleIJPS7_S8_EEENSG_IJSD_SD_EEENS0_18inequality_wrapperIN6hipcub16HIPCUB_304000_NS8EqualityEEEPlJS8_EEE10hipError_tPvRmT3_T4_T5_T6_T7_T9_mT8_P12ihipStream_tbDpT10_ENKUlT_T0_E_clISt17integral_constantIbLb1EES18_IbLb0EEEEDaS14_S15_EUlS14_E_NS1_11comp_targetILNS1_3genE9ELNS1_11target_archE1100ELNS1_3gpuE3ELNS1_3repE0EEENS1_30default_config_static_selectorELNS0_4arch9wavefront6targetE0EEEvT1_,comdat
	.protected	_ZN7rocprim17ROCPRIM_400000_NS6detail17trampoline_kernelINS0_14default_configENS1_25partition_config_selectorILNS1_17partition_subalgoE8EN3c108BFloat16ENS0_10empty_typeEbEEZZNS1_14partition_implILS5_8ELb0ES3_jPKS7_PS8_PKS8_NS0_5tupleIJPS7_S8_EEENSG_IJSD_SD_EEENS0_18inequality_wrapperIN6hipcub16HIPCUB_304000_NS8EqualityEEEPlJS8_EEE10hipError_tPvRmT3_T4_T5_T6_T7_T9_mT8_P12ihipStream_tbDpT10_ENKUlT_T0_E_clISt17integral_constantIbLb1EES18_IbLb0EEEEDaS14_S15_EUlS14_E_NS1_11comp_targetILNS1_3genE9ELNS1_11target_archE1100ELNS1_3gpuE3ELNS1_3repE0EEENS1_30default_config_static_selectorELNS0_4arch9wavefront6targetE0EEEvT1_ ; -- Begin function _ZN7rocprim17ROCPRIM_400000_NS6detail17trampoline_kernelINS0_14default_configENS1_25partition_config_selectorILNS1_17partition_subalgoE8EN3c108BFloat16ENS0_10empty_typeEbEEZZNS1_14partition_implILS5_8ELb0ES3_jPKS7_PS8_PKS8_NS0_5tupleIJPS7_S8_EEENSG_IJSD_SD_EEENS0_18inequality_wrapperIN6hipcub16HIPCUB_304000_NS8EqualityEEEPlJS8_EEE10hipError_tPvRmT3_T4_T5_T6_T7_T9_mT8_P12ihipStream_tbDpT10_ENKUlT_T0_E_clISt17integral_constantIbLb1EES18_IbLb0EEEEDaS14_S15_EUlS14_E_NS1_11comp_targetILNS1_3genE9ELNS1_11target_archE1100ELNS1_3gpuE3ELNS1_3repE0EEENS1_30default_config_static_selectorELNS0_4arch9wavefront6targetE0EEEvT1_
	.globl	_ZN7rocprim17ROCPRIM_400000_NS6detail17trampoline_kernelINS0_14default_configENS1_25partition_config_selectorILNS1_17partition_subalgoE8EN3c108BFloat16ENS0_10empty_typeEbEEZZNS1_14partition_implILS5_8ELb0ES3_jPKS7_PS8_PKS8_NS0_5tupleIJPS7_S8_EEENSG_IJSD_SD_EEENS0_18inequality_wrapperIN6hipcub16HIPCUB_304000_NS8EqualityEEEPlJS8_EEE10hipError_tPvRmT3_T4_T5_T6_T7_T9_mT8_P12ihipStream_tbDpT10_ENKUlT_T0_E_clISt17integral_constantIbLb1EES18_IbLb0EEEEDaS14_S15_EUlS14_E_NS1_11comp_targetILNS1_3genE9ELNS1_11target_archE1100ELNS1_3gpuE3ELNS1_3repE0EEENS1_30default_config_static_selectorELNS0_4arch9wavefront6targetE0EEEvT1_
	.p2align	8
	.type	_ZN7rocprim17ROCPRIM_400000_NS6detail17trampoline_kernelINS0_14default_configENS1_25partition_config_selectorILNS1_17partition_subalgoE8EN3c108BFloat16ENS0_10empty_typeEbEEZZNS1_14partition_implILS5_8ELb0ES3_jPKS7_PS8_PKS8_NS0_5tupleIJPS7_S8_EEENSG_IJSD_SD_EEENS0_18inequality_wrapperIN6hipcub16HIPCUB_304000_NS8EqualityEEEPlJS8_EEE10hipError_tPvRmT3_T4_T5_T6_T7_T9_mT8_P12ihipStream_tbDpT10_ENKUlT_T0_E_clISt17integral_constantIbLb1EES18_IbLb0EEEEDaS14_S15_EUlS14_E_NS1_11comp_targetILNS1_3genE9ELNS1_11target_archE1100ELNS1_3gpuE3ELNS1_3repE0EEENS1_30default_config_static_selectorELNS0_4arch9wavefront6targetE0EEEvT1_,@function
_ZN7rocprim17ROCPRIM_400000_NS6detail17trampoline_kernelINS0_14default_configENS1_25partition_config_selectorILNS1_17partition_subalgoE8EN3c108BFloat16ENS0_10empty_typeEbEEZZNS1_14partition_implILS5_8ELb0ES3_jPKS7_PS8_PKS8_NS0_5tupleIJPS7_S8_EEENSG_IJSD_SD_EEENS0_18inequality_wrapperIN6hipcub16HIPCUB_304000_NS8EqualityEEEPlJS8_EEE10hipError_tPvRmT3_T4_T5_T6_T7_T9_mT8_P12ihipStream_tbDpT10_ENKUlT_T0_E_clISt17integral_constantIbLb1EES18_IbLb0EEEEDaS14_S15_EUlS14_E_NS1_11comp_targetILNS1_3genE9ELNS1_11target_archE1100ELNS1_3gpuE3ELNS1_3repE0EEENS1_30default_config_static_selectorELNS0_4arch9wavefront6targetE0EEEvT1_: ; @_ZN7rocprim17ROCPRIM_400000_NS6detail17trampoline_kernelINS0_14default_configENS1_25partition_config_selectorILNS1_17partition_subalgoE8EN3c108BFloat16ENS0_10empty_typeEbEEZZNS1_14partition_implILS5_8ELb0ES3_jPKS7_PS8_PKS8_NS0_5tupleIJPS7_S8_EEENSG_IJSD_SD_EEENS0_18inequality_wrapperIN6hipcub16HIPCUB_304000_NS8EqualityEEEPlJS8_EEE10hipError_tPvRmT3_T4_T5_T6_T7_T9_mT8_P12ihipStream_tbDpT10_ENKUlT_T0_E_clISt17integral_constantIbLb1EES18_IbLb0EEEEDaS14_S15_EUlS14_E_NS1_11comp_targetILNS1_3genE9ELNS1_11target_archE1100ELNS1_3gpuE3ELNS1_3repE0EEENS1_30default_config_static_selectorELNS0_4arch9wavefront6targetE0EEEvT1_
; %bb.0:
	.section	.rodata,"a",@progbits
	.p2align	6, 0x0
	.amdhsa_kernel _ZN7rocprim17ROCPRIM_400000_NS6detail17trampoline_kernelINS0_14default_configENS1_25partition_config_selectorILNS1_17partition_subalgoE8EN3c108BFloat16ENS0_10empty_typeEbEEZZNS1_14partition_implILS5_8ELb0ES3_jPKS7_PS8_PKS8_NS0_5tupleIJPS7_S8_EEENSG_IJSD_SD_EEENS0_18inequality_wrapperIN6hipcub16HIPCUB_304000_NS8EqualityEEEPlJS8_EEE10hipError_tPvRmT3_T4_T5_T6_T7_T9_mT8_P12ihipStream_tbDpT10_ENKUlT_T0_E_clISt17integral_constantIbLb1EES18_IbLb0EEEEDaS14_S15_EUlS14_E_NS1_11comp_targetILNS1_3genE9ELNS1_11target_archE1100ELNS1_3gpuE3ELNS1_3repE0EEENS1_30default_config_static_selectorELNS0_4arch9wavefront6targetE0EEEvT1_
		.amdhsa_group_segment_fixed_size 0
		.amdhsa_private_segment_fixed_size 0
		.amdhsa_kernarg_size 112
		.amdhsa_user_sgpr_count 2
		.amdhsa_user_sgpr_dispatch_ptr 0
		.amdhsa_user_sgpr_queue_ptr 0
		.amdhsa_user_sgpr_kernarg_segment_ptr 1
		.amdhsa_user_sgpr_dispatch_id 0
		.amdhsa_user_sgpr_kernarg_preload_length 0
		.amdhsa_user_sgpr_kernarg_preload_offset 0
		.amdhsa_user_sgpr_private_segment_size 0
		.amdhsa_wavefront_size32 1
		.amdhsa_uses_dynamic_stack 0
		.amdhsa_enable_private_segment 0
		.amdhsa_system_sgpr_workgroup_id_x 1
		.amdhsa_system_sgpr_workgroup_id_y 0
		.amdhsa_system_sgpr_workgroup_id_z 0
		.amdhsa_system_sgpr_workgroup_info 0
		.amdhsa_system_vgpr_workitem_id 0
		.amdhsa_next_free_vgpr 1
		.amdhsa_next_free_sgpr 1
		.amdhsa_named_barrier_count 0
		.amdhsa_reserve_vcc 0
		.amdhsa_float_round_mode_32 0
		.amdhsa_float_round_mode_16_64 0
		.amdhsa_float_denorm_mode_32 3
		.amdhsa_float_denorm_mode_16_64 3
		.amdhsa_fp16_overflow 0
		.amdhsa_memory_ordered 1
		.amdhsa_forward_progress 1
		.amdhsa_inst_pref_size 0
		.amdhsa_round_robin_scheduling 0
		.amdhsa_exception_fp_ieee_invalid_op 0
		.amdhsa_exception_fp_denorm_src 0
		.amdhsa_exception_fp_ieee_div_zero 0
		.amdhsa_exception_fp_ieee_overflow 0
		.amdhsa_exception_fp_ieee_underflow 0
		.amdhsa_exception_fp_ieee_inexact 0
		.amdhsa_exception_int_div_zero 0
	.end_amdhsa_kernel
	.section	.text._ZN7rocprim17ROCPRIM_400000_NS6detail17trampoline_kernelINS0_14default_configENS1_25partition_config_selectorILNS1_17partition_subalgoE8EN3c108BFloat16ENS0_10empty_typeEbEEZZNS1_14partition_implILS5_8ELb0ES3_jPKS7_PS8_PKS8_NS0_5tupleIJPS7_S8_EEENSG_IJSD_SD_EEENS0_18inequality_wrapperIN6hipcub16HIPCUB_304000_NS8EqualityEEEPlJS8_EEE10hipError_tPvRmT3_T4_T5_T6_T7_T9_mT8_P12ihipStream_tbDpT10_ENKUlT_T0_E_clISt17integral_constantIbLb1EES18_IbLb0EEEEDaS14_S15_EUlS14_E_NS1_11comp_targetILNS1_3genE9ELNS1_11target_archE1100ELNS1_3gpuE3ELNS1_3repE0EEENS1_30default_config_static_selectorELNS0_4arch9wavefront6targetE0EEEvT1_,"axG",@progbits,_ZN7rocprim17ROCPRIM_400000_NS6detail17trampoline_kernelINS0_14default_configENS1_25partition_config_selectorILNS1_17partition_subalgoE8EN3c108BFloat16ENS0_10empty_typeEbEEZZNS1_14partition_implILS5_8ELb0ES3_jPKS7_PS8_PKS8_NS0_5tupleIJPS7_S8_EEENSG_IJSD_SD_EEENS0_18inequality_wrapperIN6hipcub16HIPCUB_304000_NS8EqualityEEEPlJS8_EEE10hipError_tPvRmT3_T4_T5_T6_T7_T9_mT8_P12ihipStream_tbDpT10_ENKUlT_T0_E_clISt17integral_constantIbLb1EES18_IbLb0EEEEDaS14_S15_EUlS14_E_NS1_11comp_targetILNS1_3genE9ELNS1_11target_archE1100ELNS1_3gpuE3ELNS1_3repE0EEENS1_30default_config_static_selectorELNS0_4arch9wavefront6targetE0EEEvT1_,comdat
.Lfunc_end846:
	.size	_ZN7rocprim17ROCPRIM_400000_NS6detail17trampoline_kernelINS0_14default_configENS1_25partition_config_selectorILNS1_17partition_subalgoE8EN3c108BFloat16ENS0_10empty_typeEbEEZZNS1_14partition_implILS5_8ELb0ES3_jPKS7_PS8_PKS8_NS0_5tupleIJPS7_S8_EEENSG_IJSD_SD_EEENS0_18inequality_wrapperIN6hipcub16HIPCUB_304000_NS8EqualityEEEPlJS8_EEE10hipError_tPvRmT3_T4_T5_T6_T7_T9_mT8_P12ihipStream_tbDpT10_ENKUlT_T0_E_clISt17integral_constantIbLb1EES18_IbLb0EEEEDaS14_S15_EUlS14_E_NS1_11comp_targetILNS1_3genE9ELNS1_11target_archE1100ELNS1_3gpuE3ELNS1_3repE0EEENS1_30default_config_static_selectorELNS0_4arch9wavefront6targetE0EEEvT1_, .Lfunc_end846-_ZN7rocprim17ROCPRIM_400000_NS6detail17trampoline_kernelINS0_14default_configENS1_25partition_config_selectorILNS1_17partition_subalgoE8EN3c108BFloat16ENS0_10empty_typeEbEEZZNS1_14partition_implILS5_8ELb0ES3_jPKS7_PS8_PKS8_NS0_5tupleIJPS7_S8_EEENSG_IJSD_SD_EEENS0_18inequality_wrapperIN6hipcub16HIPCUB_304000_NS8EqualityEEEPlJS8_EEE10hipError_tPvRmT3_T4_T5_T6_T7_T9_mT8_P12ihipStream_tbDpT10_ENKUlT_T0_E_clISt17integral_constantIbLb1EES18_IbLb0EEEEDaS14_S15_EUlS14_E_NS1_11comp_targetILNS1_3genE9ELNS1_11target_archE1100ELNS1_3gpuE3ELNS1_3repE0EEENS1_30default_config_static_selectorELNS0_4arch9wavefront6targetE0EEEvT1_
                                        ; -- End function
	.set _ZN7rocprim17ROCPRIM_400000_NS6detail17trampoline_kernelINS0_14default_configENS1_25partition_config_selectorILNS1_17partition_subalgoE8EN3c108BFloat16ENS0_10empty_typeEbEEZZNS1_14partition_implILS5_8ELb0ES3_jPKS7_PS8_PKS8_NS0_5tupleIJPS7_S8_EEENSG_IJSD_SD_EEENS0_18inequality_wrapperIN6hipcub16HIPCUB_304000_NS8EqualityEEEPlJS8_EEE10hipError_tPvRmT3_T4_T5_T6_T7_T9_mT8_P12ihipStream_tbDpT10_ENKUlT_T0_E_clISt17integral_constantIbLb1EES18_IbLb0EEEEDaS14_S15_EUlS14_E_NS1_11comp_targetILNS1_3genE9ELNS1_11target_archE1100ELNS1_3gpuE3ELNS1_3repE0EEENS1_30default_config_static_selectorELNS0_4arch9wavefront6targetE0EEEvT1_.num_vgpr, 0
	.set _ZN7rocprim17ROCPRIM_400000_NS6detail17trampoline_kernelINS0_14default_configENS1_25partition_config_selectorILNS1_17partition_subalgoE8EN3c108BFloat16ENS0_10empty_typeEbEEZZNS1_14partition_implILS5_8ELb0ES3_jPKS7_PS8_PKS8_NS0_5tupleIJPS7_S8_EEENSG_IJSD_SD_EEENS0_18inequality_wrapperIN6hipcub16HIPCUB_304000_NS8EqualityEEEPlJS8_EEE10hipError_tPvRmT3_T4_T5_T6_T7_T9_mT8_P12ihipStream_tbDpT10_ENKUlT_T0_E_clISt17integral_constantIbLb1EES18_IbLb0EEEEDaS14_S15_EUlS14_E_NS1_11comp_targetILNS1_3genE9ELNS1_11target_archE1100ELNS1_3gpuE3ELNS1_3repE0EEENS1_30default_config_static_selectorELNS0_4arch9wavefront6targetE0EEEvT1_.num_agpr, 0
	.set _ZN7rocprim17ROCPRIM_400000_NS6detail17trampoline_kernelINS0_14default_configENS1_25partition_config_selectorILNS1_17partition_subalgoE8EN3c108BFloat16ENS0_10empty_typeEbEEZZNS1_14partition_implILS5_8ELb0ES3_jPKS7_PS8_PKS8_NS0_5tupleIJPS7_S8_EEENSG_IJSD_SD_EEENS0_18inequality_wrapperIN6hipcub16HIPCUB_304000_NS8EqualityEEEPlJS8_EEE10hipError_tPvRmT3_T4_T5_T6_T7_T9_mT8_P12ihipStream_tbDpT10_ENKUlT_T0_E_clISt17integral_constantIbLb1EES18_IbLb0EEEEDaS14_S15_EUlS14_E_NS1_11comp_targetILNS1_3genE9ELNS1_11target_archE1100ELNS1_3gpuE3ELNS1_3repE0EEENS1_30default_config_static_selectorELNS0_4arch9wavefront6targetE0EEEvT1_.numbered_sgpr, 0
	.set _ZN7rocprim17ROCPRIM_400000_NS6detail17trampoline_kernelINS0_14default_configENS1_25partition_config_selectorILNS1_17partition_subalgoE8EN3c108BFloat16ENS0_10empty_typeEbEEZZNS1_14partition_implILS5_8ELb0ES3_jPKS7_PS8_PKS8_NS0_5tupleIJPS7_S8_EEENSG_IJSD_SD_EEENS0_18inequality_wrapperIN6hipcub16HIPCUB_304000_NS8EqualityEEEPlJS8_EEE10hipError_tPvRmT3_T4_T5_T6_T7_T9_mT8_P12ihipStream_tbDpT10_ENKUlT_T0_E_clISt17integral_constantIbLb1EES18_IbLb0EEEEDaS14_S15_EUlS14_E_NS1_11comp_targetILNS1_3genE9ELNS1_11target_archE1100ELNS1_3gpuE3ELNS1_3repE0EEENS1_30default_config_static_selectorELNS0_4arch9wavefront6targetE0EEEvT1_.num_named_barrier, 0
	.set _ZN7rocprim17ROCPRIM_400000_NS6detail17trampoline_kernelINS0_14default_configENS1_25partition_config_selectorILNS1_17partition_subalgoE8EN3c108BFloat16ENS0_10empty_typeEbEEZZNS1_14partition_implILS5_8ELb0ES3_jPKS7_PS8_PKS8_NS0_5tupleIJPS7_S8_EEENSG_IJSD_SD_EEENS0_18inequality_wrapperIN6hipcub16HIPCUB_304000_NS8EqualityEEEPlJS8_EEE10hipError_tPvRmT3_T4_T5_T6_T7_T9_mT8_P12ihipStream_tbDpT10_ENKUlT_T0_E_clISt17integral_constantIbLb1EES18_IbLb0EEEEDaS14_S15_EUlS14_E_NS1_11comp_targetILNS1_3genE9ELNS1_11target_archE1100ELNS1_3gpuE3ELNS1_3repE0EEENS1_30default_config_static_selectorELNS0_4arch9wavefront6targetE0EEEvT1_.private_seg_size, 0
	.set _ZN7rocprim17ROCPRIM_400000_NS6detail17trampoline_kernelINS0_14default_configENS1_25partition_config_selectorILNS1_17partition_subalgoE8EN3c108BFloat16ENS0_10empty_typeEbEEZZNS1_14partition_implILS5_8ELb0ES3_jPKS7_PS8_PKS8_NS0_5tupleIJPS7_S8_EEENSG_IJSD_SD_EEENS0_18inequality_wrapperIN6hipcub16HIPCUB_304000_NS8EqualityEEEPlJS8_EEE10hipError_tPvRmT3_T4_T5_T6_T7_T9_mT8_P12ihipStream_tbDpT10_ENKUlT_T0_E_clISt17integral_constantIbLb1EES18_IbLb0EEEEDaS14_S15_EUlS14_E_NS1_11comp_targetILNS1_3genE9ELNS1_11target_archE1100ELNS1_3gpuE3ELNS1_3repE0EEENS1_30default_config_static_selectorELNS0_4arch9wavefront6targetE0EEEvT1_.uses_vcc, 0
	.set _ZN7rocprim17ROCPRIM_400000_NS6detail17trampoline_kernelINS0_14default_configENS1_25partition_config_selectorILNS1_17partition_subalgoE8EN3c108BFloat16ENS0_10empty_typeEbEEZZNS1_14partition_implILS5_8ELb0ES3_jPKS7_PS8_PKS8_NS0_5tupleIJPS7_S8_EEENSG_IJSD_SD_EEENS0_18inequality_wrapperIN6hipcub16HIPCUB_304000_NS8EqualityEEEPlJS8_EEE10hipError_tPvRmT3_T4_T5_T6_T7_T9_mT8_P12ihipStream_tbDpT10_ENKUlT_T0_E_clISt17integral_constantIbLb1EES18_IbLb0EEEEDaS14_S15_EUlS14_E_NS1_11comp_targetILNS1_3genE9ELNS1_11target_archE1100ELNS1_3gpuE3ELNS1_3repE0EEENS1_30default_config_static_selectorELNS0_4arch9wavefront6targetE0EEEvT1_.uses_flat_scratch, 0
	.set _ZN7rocprim17ROCPRIM_400000_NS6detail17trampoline_kernelINS0_14default_configENS1_25partition_config_selectorILNS1_17partition_subalgoE8EN3c108BFloat16ENS0_10empty_typeEbEEZZNS1_14partition_implILS5_8ELb0ES3_jPKS7_PS8_PKS8_NS0_5tupleIJPS7_S8_EEENSG_IJSD_SD_EEENS0_18inequality_wrapperIN6hipcub16HIPCUB_304000_NS8EqualityEEEPlJS8_EEE10hipError_tPvRmT3_T4_T5_T6_T7_T9_mT8_P12ihipStream_tbDpT10_ENKUlT_T0_E_clISt17integral_constantIbLb1EES18_IbLb0EEEEDaS14_S15_EUlS14_E_NS1_11comp_targetILNS1_3genE9ELNS1_11target_archE1100ELNS1_3gpuE3ELNS1_3repE0EEENS1_30default_config_static_selectorELNS0_4arch9wavefront6targetE0EEEvT1_.has_dyn_sized_stack, 0
	.set _ZN7rocprim17ROCPRIM_400000_NS6detail17trampoline_kernelINS0_14default_configENS1_25partition_config_selectorILNS1_17partition_subalgoE8EN3c108BFloat16ENS0_10empty_typeEbEEZZNS1_14partition_implILS5_8ELb0ES3_jPKS7_PS8_PKS8_NS0_5tupleIJPS7_S8_EEENSG_IJSD_SD_EEENS0_18inequality_wrapperIN6hipcub16HIPCUB_304000_NS8EqualityEEEPlJS8_EEE10hipError_tPvRmT3_T4_T5_T6_T7_T9_mT8_P12ihipStream_tbDpT10_ENKUlT_T0_E_clISt17integral_constantIbLb1EES18_IbLb0EEEEDaS14_S15_EUlS14_E_NS1_11comp_targetILNS1_3genE9ELNS1_11target_archE1100ELNS1_3gpuE3ELNS1_3repE0EEENS1_30default_config_static_selectorELNS0_4arch9wavefront6targetE0EEEvT1_.has_recursion, 0
	.set _ZN7rocprim17ROCPRIM_400000_NS6detail17trampoline_kernelINS0_14default_configENS1_25partition_config_selectorILNS1_17partition_subalgoE8EN3c108BFloat16ENS0_10empty_typeEbEEZZNS1_14partition_implILS5_8ELb0ES3_jPKS7_PS8_PKS8_NS0_5tupleIJPS7_S8_EEENSG_IJSD_SD_EEENS0_18inequality_wrapperIN6hipcub16HIPCUB_304000_NS8EqualityEEEPlJS8_EEE10hipError_tPvRmT3_T4_T5_T6_T7_T9_mT8_P12ihipStream_tbDpT10_ENKUlT_T0_E_clISt17integral_constantIbLb1EES18_IbLb0EEEEDaS14_S15_EUlS14_E_NS1_11comp_targetILNS1_3genE9ELNS1_11target_archE1100ELNS1_3gpuE3ELNS1_3repE0EEENS1_30default_config_static_selectorELNS0_4arch9wavefront6targetE0EEEvT1_.has_indirect_call, 0
	.section	.AMDGPU.csdata,"",@progbits
; Kernel info:
; codeLenInByte = 0
; TotalNumSgprs: 0
; NumVgprs: 0
; ScratchSize: 0
; MemoryBound: 0
; FloatMode: 240
; IeeeMode: 1
; LDSByteSize: 0 bytes/workgroup (compile time only)
; SGPRBlocks: 0
; VGPRBlocks: 0
; NumSGPRsForWavesPerEU: 1
; NumVGPRsForWavesPerEU: 1
; NamedBarCnt: 0
; Occupancy: 16
; WaveLimiterHint : 0
; COMPUTE_PGM_RSRC2:SCRATCH_EN: 0
; COMPUTE_PGM_RSRC2:USER_SGPR: 2
; COMPUTE_PGM_RSRC2:TRAP_HANDLER: 0
; COMPUTE_PGM_RSRC2:TGID_X_EN: 1
; COMPUTE_PGM_RSRC2:TGID_Y_EN: 0
; COMPUTE_PGM_RSRC2:TGID_Z_EN: 0
; COMPUTE_PGM_RSRC2:TIDIG_COMP_CNT: 0
	.section	.text._ZN7rocprim17ROCPRIM_400000_NS6detail17trampoline_kernelINS0_14default_configENS1_25partition_config_selectorILNS1_17partition_subalgoE8EN3c108BFloat16ENS0_10empty_typeEbEEZZNS1_14partition_implILS5_8ELb0ES3_jPKS7_PS8_PKS8_NS0_5tupleIJPS7_S8_EEENSG_IJSD_SD_EEENS0_18inequality_wrapperIN6hipcub16HIPCUB_304000_NS8EqualityEEEPlJS8_EEE10hipError_tPvRmT3_T4_T5_T6_T7_T9_mT8_P12ihipStream_tbDpT10_ENKUlT_T0_E_clISt17integral_constantIbLb1EES18_IbLb0EEEEDaS14_S15_EUlS14_E_NS1_11comp_targetILNS1_3genE8ELNS1_11target_archE1030ELNS1_3gpuE2ELNS1_3repE0EEENS1_30default_config_static_selectorELNS0_4arch9wavefront6targetE0EEEvT1_,"axG",@progbits,_ZN7rocprim17ROCPRIM_400000_NS6detail17trampoline_kernelINS0_14default_configENS1_25partition_config_selectorILNS1_17partition_subalgoE8EN3c108BFloat16ENS0_10empty_typeEbEEZZNS1_14partition_implILS5_8ELb0ES3_jPKS7_PS8_PKS8_NS0_5tupleIJPS7_S8_EEENSG_IJSD_SD_EEENS0_18inequality_wrapperIN6hipcub16HIPCUB_304000_NS8EqualityEEEPlJS8_EEE10hipError_tPvRmT3_T4_T5_T6_T7_T9_mT8_P12ihipStream_tbDpT10_ENKUlT_T0_E_clISt17integral_constantIbLb1EES18_IbLb0EEEEDaS14_S15_EUlS14_E_NS1_11comp_targetILNS1_3genE8ELNS1_11target_archE1030ELNS1_3gpuE2ELNS1_3repE0EEENS1_30default_config_static_selectorELNS0_4arch9wavefront6targetE0EEEvT1_,comdat
	.protected	_ZN7rocprim17ROCPRIM_400000_NS6detail17trampoline_kernelINS0_14default_configENS1_25partition_config_selectorILNS1_17partition_subalgoE8EN3c108BFloat16ENS0_10empty_typeEbEEZZNS1_14partition_implILS5_8ELb0ES3_jPKS7_PS8_PKS8_NS0_5tupleIJPS7_S8_EEENSG_IJSD_SD_EEENS0_18inequality_wrapperIN6hipcub16HIPCUB_304000_NS8EqualityEEEPlJS8_EEE10hipError_tPvRmT3_T4_T5_T6_T7_T9_mT8_P12ihipStream_tbDpT10_ENKUlT_T0_E_clISt17integral_constantIbLb1EES18_IbLb0EEEEDaS14_S15_EUlS14_E_NS1_11comp_targetILNS1_3genE8ELNS1_11target_archE1030ELNS1_3gpuE2ELNS1_3repE0EEENS1_30default_config_static_selectorELNS0_4arch9wavefront6targetE0EEEvT1_ ; -- Begin function _ZN7rocprim17ROCPRIM_400000_NS6detail17trampoline_kernelINS0_14default_configENS1_25partition_config_selectorILNS1_17partition_subalgoE8EN3c108BFloat16ENS0_10empty_typeEbEEZZNS1_14partition_implILS5_8ELb0ES3_jPKS7_PS8_PKS8_NS0_5tupleIJPS7_S8_EEENSG_IJSD_SD_EEENS0_18inequality_wrapperIN6hipcub16HIPCUB_304000_NS8EqualityEEEPlJS8_EEE10hipError_tPvRmT3_T4_T5_T6_T7_T9_mT8_P12ihipStream_tbDpT10_ENKUlT_T0_E_clISt17integral_constantIbLb1EES18_IbLb0EEEEDaS14_S15_EUlS14_E_NS1_11comp_targetILNS1_3genE8ELNS1_11target_archE1030ELNS1_3gpuE2ELNS1_3repE0EEENS1_30default_config_static_selectorELNS0_4arch9wavefront6targetE0EEEvT1_
	.globl	_ZN7rocprim17ROCPRIM_400000_NS6detail17trampoline_kernelINS0_14default_configENS1_25partition_config_selectorILNS1_17partition_subalgoE8EN3c108BFloat16ENS0_10empty_typeEbEEZZNS1_14partition_implILS5_8ELb0ES3_jPKS7_PS8_PKS8_NS0_5tupleIJPS7_S8_EEENSG_IJSD_SD_EEENS0_18inequality_wrapperIN6hipcub16HIPCUB_304000_NS8EqualityEEEPlJS8_EEE10hipError_tPvRmT3_T4_T5_T6_T7_T9_mT8_P12ihipStream_tbDpT10_ENKUlT_T0_E_clISt17integral_constantIbLb1EES18_IbLb0EEEEDaS14_S15_EUlS14_E_NS1_11comp_targetILNS1_3genE8ELNS1_11target_archE1030ELNS1_3gpuE2ELNS1_3repE0EEENS1_30default_config_static_selectorELNS0_4arch9wavefront6targetE0EEEvT1_
	.p2align	8
	.type	_ZN7rocprim17ROCPRIM_400000_NS6detail17trampoline_kernelINS0_14default_configENS1_25partition_config_selectorILNS1_17partition_subalgoE8EN3c108BFloat16ENS0_10empty_typeEbEEZZNS1_14partition_implILS5_8ELb0ES3_jPKS7_PS8_PKS8_NS0_5tupleIJPS7_S8_EEENSG_IJSD_SD_EEENS0_18inequality_wrapperIN6hipcub16HIPCUB_304000_NS8EqualityEEEPlJS8_EEE10hipError_tPvRmT3_T4_T5_T6_T7_T9_mT8_P12ihipStream_tbDpT10_ENKUlT_T0_E_clISt17integral_constantIbLb1EES18_IbLb0EEEEDaS14_S15_EUlS14_E_NS1_11comp_targetILNS1_3genE8ELNS1_11target_archE1030ELNS1_3gpuE2ELNS1_3repE0EEENS1_30default_config_static_selectorELNS0_4arch9wavefront6targetE0EEEvT1_,@function
_ZN7rocprim17ROCPRIM_400000_NS6detail17trampoline_kernelINS0_14default_configENS1_25partition_config_selectorILNS1_17partition_subalgoE8EN3c108BFloat16ENS0_10empty_typeEbEEZZNS1_14partition_implILS5_8ELb0ES3_jPKS7_PS8_PKS8_NS0_5tupleIJPS7_S8_EEENSG_IJSD_SD_EEENS0_18inequality_wrapperIN6hipcub16HIPCUB_304000_NS8EqualityEEEPlJS8_EEE10hipError_tPvRmT3_T4_T5_T6_T7_T9_mT8_P12ihipStream_tbDpT10_ENKUlT_T0_E_clISt17integral_constantIbLb1EES18_IbLb0EEEEDaS14_S15_EUlS14_E_NS1_11comp_targetILNS1_3genE8ELNS1_11target_archE1030ELNS1_3gpuE2ELNS1_3repE0EEENS1_30default_config_static_selectorELNS0_4arch9wavefront6targetE0EEEvT1_: ; @_ZN7rocprim17ROCPRIM_400000_NS6detail17trampoline_kernelINS0_14default_configENS1_25partition_config_selectorILNS1_17partition_subalgoE8EN3c108BFloat16ENS0_10empty_typeEbEEZZNS1_14partition_implILS5_8ELb0ES3_jPKS7_PS8_PKS8_NS0_5tupleIJPS7_S8_EEENSG_IJSD_SD_EEENS0_18inequality_wrapperIN6hipcub16HIPCUB_304000_NS8EqualityEEEPlJS8_EEE10hipError_tPvRmT3_T4_T5_T6_T7_T9_mT8_P12ihipStream_tbDpT10_ENKUlT_T0_E_clISt17integral_constantIbLb1EES18_IbLb0EEEEDaS14_S15_EUlS14_E_NS1_11comp_targetILNS1_3genE8ELNS1_11target_archE1030ELNS1_3gpuE2ELNS1_3repE0EEENS1_30default_config_static_selectorELNS0_4arch9wavefront6targetE0EEEvT1_
; %bb.0:
	.section	.rodata,"a",@progbits
	.p2align	6, 0x0
	.amdhsa_kernel _ZN7rocprim17ROCPRIM_400000_NS6detail17trampoline_kernelINS0_14default_configENS1_25partition_config_selectorILNS1_17partition_subalgoE8EN3c108BFloat16ENS0_10empty_typeEbEEZZNS1_14partition_implILS5_8ELb0ES3_jPKS7_PS8_PKS8_NS0_5tupleIJPS7_S8_EEENSG_IJSD_SD_EEENS0_18inequality_wrapperIN6hipcub16HIPCUB_304000_NS8EqualityEEEPlJS8_EEE10hipError_tPvRmT3_T4_T5_T6_T7_T9_mT8_P12ihipStream_tbDpT10_ENKUlT_T0_E_clISt17integral_constantIbLb1EES18_IbLb0EEEEDaS14_S15_EUlS14_E_NS1_11comp_targetILNS1_3genE8ELNS1_11target_archE1030ELNS1_3gpuE2ELNS1_3repE0EEENS1_30default_config_static_selectorELNS0_4arch9wavefront6targetE0EEEvT1_
		.amdhsa_group_segment_fixed_size 0
		.amdhsa_private_segment_fixed_size 0
		.amdhsa_kernarg_size 112
		.amdhsa_user_sgpr_count 2
		.amdhsa_user_sgpr_dispatch_ptr 0
		.amdhsa_user_sgpr_queue_ptr 0
		.amdhsa_user_sgpr_kernarg_segment_ptr 1
		.amdhsa_user_sgpr_dispatch_id 0
		.amdhsa_user_sgpr_kernarg_preload_length 0
		.amdhsa_user_sgpr_kernarg_preload_offset 0
		.amdhsa_user_sgpr_private_segment_size 0
		.amdhsa_wavefront_size32 1
		.amdhsa_uses_dynamic_stack 0
		.amdhsa_enable_private_segment 0
		.amdhsa_system_sgpr_workgroup_id_x 1
		.amdhsa_system_sgpr_workgroup_id_y 0
		.amdhsa_system_sgpr_workgroup_id_z 0
		.amdhsa_system_sgpr_workgroup_info 0
		.amdhsa_system_vgpr_workitem_id 0
		.amdhsa_next_free_vgpr 1
		.amdhsa_next_free_sgpr 1
		.amdhsa_named_barrier_count 0
		.amdhsa_reserve_vcc 0
		.amdhsa_float_round_mode_32 0
		.amdhsa_float_round_mode_16_64 0
		.amdhsa_float_denorm_mode_32 3
		.amdhsa_float_denorm_mode_16_64 3
		.amdhsa_fp16_overflow 0
		.amdhsa_memory_ordered 1
		.amdhsa_forward_progress 1
		.amdhsa_inst_pref_size 0
		.amdhsa_round_robin_scheduling 0
		.amdhsa_exception_fp_ieee_invalid_op 0
		.amdhsa_exception_fp_denorm_src 0
		.amdhsa_exception_fp_ieee_div_zero 0
		.amdhsa_exception_fp_ieee_overflow 0
		.amdhsa_exception_fp_ieee_underflow 0
		.amdhsa_exception_fp_ieee_inexact 0
		.amdhsa_exception_int_div_zero 0
	.end_amdhsa_kernel
	.section	.text._ZN7rocprim17ROCPRIM_400000_NS6detail17trampoline_kernelINS0_14default_configENS1_25partition_config_selectorILNS1_17partition_subalgoE8EN3c108BFloat16ENS0_10empty_typeEbEEZZNS1_14partition_implILS5_8ELb0ES3_jPKS7_PS8_PKS8_NS0_5tupleIJPS7_S8_EEENSG_IJSD_SD_EEENS0_18inequality_wrapperIN6hipcub16HIPCUB_304000_NS8EqualityEEEPlJS8_EEE10hipError_tPvRmT3_T4_T5_T6_T7_T9_mT8_P12ihipStream_tbDpT10_ENKUlT_T0_E_clISt17integral_constantIbLb1EES18_IbLb0EEEEDaS14_S15_EUlS14_E_NS1_11comp_targetILNS1_3genE8ELNS1_11target_archE1030ELNS1_3gpuE2ELNS1_3repE0EEENS1_30default_config_static_selectorELNS0_4arch9wavefront6targetE0EEEvT1_,"axG",@progbits,_ZN7rocprim17ROCPRIM_400000_NS6detail17trampoline_kernelINS0_14default_configENS1_25partition_config_selectorILNS1_17partition_subalgoE8EN3c108BFloat16ENS0_10empty_typeEbEEZZNS1_14partition_implILS5_8ELb0ES3_jPKS7_PS8_PKS8_NS0_5tupleIJPS7_S8_EEENSG_IJSD_SD_EEENS0_18inequality_wrapperIN6hipcub16HIPCUB_304000_NS8EqualityEEEPlJS8_EEE10hipError_tPvRmT3_T4_T5_T6_T7_T9_mT8_P12ihipStream_tbDpT10_ENKUlT_T0_E_clISt17integral_constantIbLb1EES18_IbLb0EEEEDaS14_S15_EUlS14_E_NS1_11comp_targetILNS1_3genE8ELNS1_11target_archE1030ELNS1_3gpuE2ELNS1_3repE0EEENS1_30default_config_static_selectorELNS0_4arch9wavefront6targetE0EEEvT1_,comdat
.Lfunc_end847:
	.size	_ZN7rocprim17ROCPRIM_400000_NS6detail17trampoline_kernelINS0_14default_configENS1_25partition_config_selectorILNS1_17partition_subalgoE8EN3c108BFloat16ENS0_10empty_typeEbEEZZNS1_14partition_implILS5_8ELb0ES3_jPKS7_PS8_PKS8_NS0_5tupleIJPS7_S8_EEENSG_IJSD_SD_EEENS0_18inequality_wrapperIN6hipcub16HIPCUB_304000_NS8EqualityEEEPlJS8_EEE10hipError_tPvRmT3_T4_T5_T6_T7_T9_mT8_P12ihipStream_tbDpT10_ENKUlT_T0_E_clISt17integral_constantIbLb1EES18_IbLb0EEEEDaS14_S15_EUlS14_E_NS1_11comp_targetILNS1_3genE8ELNS1_11target_archE1030ELNS1_3gpuE2ELNS1_3repE0EEENS1_30default_config_static_selectorELNS0_4arch9wavefront6targetE0EEEvT1_, .Lfunc_end847-_ZN7rocprim17ROCPRIM_400000_NS6detail17trampoline_kernelINS0_14default_configENS1_25partition_config_selectorILNS1_17partition_subalgoE8EN3c108BFloat16ENS0_10empty_typeEbEEZZNS1_14partition_implILS5_8ELb0ES3_jPKS7_PS8_PKS8_NS0_5tupleIJPS7_S8_EEENSG_IJSD_SD_EEENS0_18inequality_wrapperIN6hipcub16HIPCUB_304000_NS8EqualityEEEPlJS8_EEE10hipError_tPvRmT3_T4_T5_T6_T7_T9_mT8_P12ihipStream_tbDpT10_ENKUlT_T0_E_clISt17integral_constantIbLb1EES18_IbLb0EEEEDaS14_S15_EUlS14_E_NS1_11comp_targetILNS1_3genE8ELNS1_11target_archE1030ELNS1_3gpuE2ELNS1_3repE0EEENS1_30default_config_static_selectorELNS0_4arch9wavefront6targetE0EEEvT1_
                                        ; -- End function
	.set _ZN7rocprim17ROCPRIM_400000_NS6detail17trampoline_kernelINS0_14default_configENS1_25partition_config_selectorILNS1_17partition_subalgoE8EN3c108BFloat16ENS0_10empty_typeEbEEZZNS1_14partition_implILS5_8ELb0ES3_jPKS7_PS8_PKS8_NS0_5tupleIJPS7_S8_EEENSG_IJSD_SD_EEENS0_18inequality_wrapperIN6hipcub16HIPCUB_304000_NS8EqualityEEEPlJS8_EEE10hipError_tPvRmT3_T4_T5_T6_T7_T9_mT8_P12ihipStream_tbDpT10_ENKUlT_T0_E_clISt17integral_constantIbLb1EES18_IbLb0EEEEDaS14_S15_EUlS14_E_NS1_11comp_targetILNS1_3genE8ELNS1_11target_archE1030ELNS1_3gpuE2ELNS1_3repE0EEENS1_30default_config_static_selectorELNS0_4arch9wavefront6targetE0EEEvT1_.num_vgpr, 0
	.set _ZN7rocprim17ROCPRIM_400000_NS6detail17trampoline_kernelINS0_14default_configENS1_25partition_config_selectorILNS1_17partition_subalgoE8EN3c108BFloat16ENS0_10empty_typeEbEEZZNS1_14partition_implILS5_8ELb0ES3_jPKS7_PS8_PKS8_NS0_5tupleIJPS7_S8_EEENSG_IJSD_SD_EEENS0_18inequality_wrapperIN6hipcub16HIPCUB_304000_NS8EqualityEEEPlJS8_EEE10hipError_tPvRmT3_T4_T5_T6_T7_T9_mT8_P12ihipStream_tbDpT10_ENKUlT_T0_E_clISt17integral_constantIbLb1EES18_IbLb0EEEEDaS14_S15_EUlS14_E_NS1_11comp_targetILNS1_3genE8ELNS1_11target_archE1030ELNS1_3gpuE2ELNS1_3repE0EEENS1_30default_config_static_selectorELNS0_4arch9wavefront6targetE0EEEvT1_.num_agpr, 0
	.set _ZN7rocprim17ROCPRIM_400000_NS6detail17trampoline_kernelINS0_14default_configENS1_25partition_config_selectorILNS1_17partition_subalgoE8EN3c108BFloat16ENS0_10empty_typeEbEEZZNS1_14partition_implILS5_8ELb0ES3_jPKS7_PS8_PKS8_NS0_5tupleIJPS7_S8_EEENSG_IJSD_SD_EEENS0_18inequality_wrapperIN6hipcub16HIPCUB_304000_NS8EqualityEEEPlJS8_EEE10hipError_tPvRmT3_T4_T5_T6_T7_T9_mT8_P12ihipStream_tbDpT10_ENKUlT_T0_E_clISt17integral_constantIbLb1EES18_IbLb0EEEEDaS14_S15_EUlS14_E_NS1_11comp_targetILNS1_3genE8ELNS1_11target_archE1030ELNS1_3gpuE2ELNS1_3repE0EEENS1_30default_config_static_selectorELNS0_4arch9wavefront6targetE0EEEvT1_.numbered_sgpr, 0
	.set _ZN7rocprim17ROCPRIM_400000_NS6detail17trampoline_kernelINS0_14default_configENS1_25partition_config_selectorILNS1_17partition_subalgoE8EN3c108BFloat16ENS0_10empty_typeEbEEZZNS1_14partition_implILS5_8ELb0ES3_jPKS7_PS8_PKS8_NS0_5tupleIJPS7_S8_EEENSG_IJSD_SD_EEENS0_18inequality_wrapperIN6hipcub16HIPCUB_304000_NS8EqualityEEEPlJS8_EEE10hipError_tPvRmT3_T4_T5_T6_T7_T9_mT8_P12ihipStream_tbDpT10_ENKUlT_T0_E_clISt17integral_constantIbLb1EES18_IbLb0EEEEDaS14_S15_EUlS14_E_NS1_11comp_targetILNS1_3genE8ELNS1_11target_archE1030ELNS1_3gpuE2ELNS1_3repE0EEENS1_30default_config_static_selectorELNS0_4arch9wavefront6targetE0EEEvT1_.num_named_barrier, 0
	.set _ZN7rocprim17ROCPRIM_400000_NS6detail17trampoline_kernelINS0_14default_configENS1_25partition_config_selectorILNS1_17partition_subalgoE8EN3c108BFloat16ENS0_10empty_typeEbEEZZNS1_14partition_implILS5_8ELb0ES3_jPKS7_PS8_PKS8_NS0_5tupleIJPS7_S8_EEENSG_IJSD_SD_EEENS0_18inequality_wrapperIN6hipcub16HIPCUB_304000_NS8EqualityEEEPlJS8_EEE10hipError_tPvRmT3_T4_T5_T6_T7_T9_mT8_P12ihipStream_tbDpT10_ENKUlT_T0_E_clISt17integral_constantIbLb1EES18_IbLb0EEEEDaS14_S15_EUlS14_E_NS1_11comp_targetILNS1_3genE8ELNS1_11target_archE1030ELNS1_3gpuE2ELNS1_3repE0EEENS1_30default_config_static_selectorELNS0_4arch9wavefront6targetE0EEEvT1_.private_seg_size, 0
	.set _ZN7rocprim17ROCPRIM_400000_NS6detail17trampoline_kernelINS0_14default_configENS1_25partition_config_selectorILNS1_17partition_subalgoE8EN3c108BFloat16ENS0_10empty_typeEbEEZZNS1_14partition_implILS5_8ELb0ES3_jPKS7_PS8_PKS8_NS0_5tupleIJPS7_S8_EEENSG_IJSD_SD_EEENS0_18inequality_wrapperIN6hipcub16HIPCUB_304000_NS8EqualityEEEPlJS8_EEE10hipError_tPvRmT3_T4_T5_T6_T7_T9_mT8_P12ihipStream_tbDpT10_ENKUlT_T0_E_clISt17integral_constantIbLb1EES18_IbLb0EEEEDaS14_S15_EUlS14_E_NS1_11comp_targetILNS1_3genE8ELNS1_11target_archE1030ELNS1_3gpuE2ELNS1_3repE0EEENS1_30default_config_static_selectorELNS0_4arch9wavefront6targetE0EEEvT1_.uses_vcc, 0
	.set _ZN7rocprim17ROCPRIM_400000_NS6detail17trampoline_kernelINS0_14default_configENS1_25partition_config_selectorILNS1_17partition_subalgoE8EN3c108BFloat16ENS0_10empty_typeEbEEZZNS1_14partition_implILS5_8ELb0ES3_jPKS7_PS8_PKS8_NS0_5tupleIJPS7_S8_EEENSG_IJSD_SD_EEENS0_18inequality_wrapperIN6hipcub16HIPCUB_304000_NS8EqualityEEEPlJS8_EEE10hipError_tPvRmT3_T4_T5_T6_T7_T9_mT8_P12ihipStream_tbDpT10_ENKUlT_T0_E_clISt17integral_constantIbLb1EES18_IbLb0EEEEDaS14_S15_EUlS14_E_NS1_11comp_targetILNS1_3genE8ELNS1_11target_archE1030ELNS1_3gpuE2ELNS1_3repE0EEENS1_30default_config_static_selectorELNS0_4arch9wavefront6targetE0EEEvT1_.uses_flat_scratch, 0
	.set _ZN7rocprim17ROCPRIM_400000_NS6detail17trampoline_kernelINS0_14default_configENS1_25partition_config_selectorILNS1_17partition_subalgoE8EN3c108BFloat16ENS0_10empty_typeEbEEZZNS1_14partition_implILS5_8ELb0ES3_jPKS7_PS8_PKS8_NS0_5tupleIJPS7_S8_EEENSG_IJSD_SD_EEENS0_18inequality_wrapperIN6hipcub16HIPCUB_304000_NS8EqualityEEEPlJS8_EEE10hipError_tPvRmT3_T4_T5_T6_T7_T9_mT8_P12ihipStream_tbDpT10_ENKUlT_T0_E_clISt17integral_constantIbLb1EES18_IbLb0EEEEDaS14_S15_EUlS14_E_NS1_11comp_targetILNS1_3genE8ELNS1_11target_archE1030ELNS1_3gpuE2ELNS1_3repE0EEENS1_30default_config_static_selectorELNS0_4arch9wavefront6targetE0EEEvT1_.has_dyn_sized_stack, 0
	.set _ZN7rocprim17ROCPRIM_400000_NS6detail17trampoline_kernelINS0_14default_configENS1_25partition_config_selectorILNS1_17partition_subalgoE8EN3c108BFloat16ENS0_10empty_typeEbEEZZNS1_14partition_implILS5_8ELb0ES3_jPKS7_PS8_PKS8_NS0_5tupleIJPS7_S8_EEENSG_IJSD_SD_EEENS0_18inequality_wrapperIN6hipcub16HIPCUB_304000_NS8EqualityEEEPlJS8_EEE10hipError_tPvRmT3_T4_T5_T6_T7_T9_mT8_P12ihipStream_tbDpT10_ENKUlT_T0_E_clISt17integral_constantIbLb1EES18_IbLb0EEEEDaS14_S15_EUlS14_E_NS1_11comp_targetILNS1_3genE8ELNS1_11target_archE1030ELNS1_3gpuE2ELNS1_3repE0EEENS1_30default_config_static_selectorELNS0_4arch9wavefront6targetE0EEEvT1_.has_recursion, 0
	.set _ZN7rocprim17ROCPRIM_400000_NS6detail17trampoline_kernelINS0_14default_configENS1_25partition_config_selectorILNS1_17partition_subalgoE8EN3c108BFloat16ENS0_10empty_typeEbEEZZNS1_14partition_implILS5_8ELb0ES3_jPKS7_PS8_PKS8_NS0_5tupleIJPS7_S8_EEENSG_IJSD_SD_EEENS0_18inequality_wrapperIN6hipcub16HIPCUB_304000_NS8EqualityEEEPlJS8_EEE10hipError_tPvRmT3_T4_T5_T6_T7_T9_mT8_P12ihipStream_tbDpT10_ENKUlT_T0_E_clISt17integral_constantIbLb1EES18_IbLb0EEEEDaS14_S15_EUlS14_E_NS1_11comp_targetILNS1_3genE8ELNS1_11target_archE1030ELNS1_3gpuE2ELNS1_3repE0EEENS1_30default_config_static_selectorELNS0_4arch9wavefront6targetE0EEEvT1_.has_indirect_call, 0
	.section	.AMDGPU.csdata,"",@progbits
; Kernel info:
; codeLenInByte = 0
; TotalNumSgprs: 0
; NumVgprs: 0
; ScratchSize: 0
; MemoryBound: 0
; FloatMode: 240
; IeeeMode: 1
; LDSByteSize: 0 bytes/workgroup (compile time only)
; SGPRBlocks: 0
; VGPRBlocks: 0
; NumSGPRsForWavesPerEU: 1
; NumVGPRsForWavesPerEU: 1
; NamedBarCnt: 0
; Occupancy: 16
; WaveLimiterHint : 0
; COMPUTE_PGM_RSRC2:SCRATCH_EN: 0
; COMPUTE_PGM_RSRC2:USER_SGPR: 2
; COMPUTE_PGM_RSRC2:TRAP_HANDLER: 0
; COMPUTE_PGM_RSRC2:TGID_X_EN: 1
; COMPUTE_PGM_RSRC2:TGID_Y_EN: 0
; COMPUTE_PGM_RSRC2:TGID_Z_EN: 0
; COMPUTE_PGM_RSRC2:TIDIG_COMP_CNT: 0
	.section	.text._ZN7rocprim17ROCPRIM_400000_NS6detail17trampoline_kernelINS0_14default_configENS1_25partition_config_selectorILNS1_17partition_subalgoE8EN3c108BFloat16ENS0_10empty_typeEbEEZZNS1_14partition_implILS5_8ELb0ES3_jPKS7_PS8_PKS8_NS0_5tupleIJPS7_S8_EEENSG_IJSD_SD_EEENS0_18inequality_wrapperIN6hipcub16HIPCUB_304000_NS8EqualityEEEPlJS8_EEE10hipError_tPvRmT3_T4_T5_T6_T7_T9_mT8_P12ihipStream_tbDpT10_ENKUlT_T0_E_clISt17integral_constantIbLb0EES18_IbLb1EEEEDaS14_S15_EUlS14_E_NS1_11comp_targetILNS1_3genE0ELNS1_11target_archE4294967295ELNS1_3gpuE0ELNS1_3repE0EEENS1_30default_config_static_selectorELNS0_4arch9wavefront6targetE0EEEvT1_,"axG",@progbits,_ZN7rocprim17ROCPRIM_400000_NS6detail17trampoline_kernelINS0_14default_configENS1_25partition_config_selectorILNS1_17partition_subalgoE8EN3c108BFloat16ENS0_10empty_typeEbEEZZNS1_14partition_implILS5_8ELb0ES3_jPKS7_PS8_PKS8_NS0_5tupleIJPS7_S8_EEENSG_IJSD_SD_EEENS0_18inequality_wrapperIN6hipcub16HIPCUB_304000_NS8EqualityEEEPlJS8_EEE10hipError_tPvRmT3_T4_T5_T6_T7_T9_mT8_P12ihipStream_tbDpT10_ENKUlT_T0_E_clISt17integral_constantIbLb0EES18_IbLb1EEEEDaS14_S15_EUlS14_E_NS1_11comp_targetILNS1_3genE0ELNS1_11target_archE4294967295ELNS1_3gpuE0ELNS1_3repE0EEENS1_30default_config_static_selectorELNS0_4arch9wavefront6targetE0EEEvT1_,comdat
	.protected	_ZN7rocprim17ROCPRIM_400000_NS6detail17trampoline_kernelINS0_14default_configENS1_25partition_config_selectorILNS1_17partition_subalgoE8EN3c108BFloat16ENS0_10empty_typeEbEEZZNS1_14partition_implILS5_8ELb0ES3_jPKS7_PS8_PKS8_NS0_5tupleIJPS7_S8_EEENSG_IJSD_SD_EEENS0_18inequality_wrapperIN6hipcub16HIPCUB_304000_NS8EqualityEEEPlJS8_EEE10hipError_tPvRmT3_T4_T5_T6_T7_T9_mT8_P12ihipStream_tbDpT10_ENKUlT_T0_E_clISt17integral_constantIbLb0EES18_IbLb1EEEEDaS14_S15_EUlS14_E_NS1_11comp_targetILNS1_3genE0ELNS1_11target_archE4294967295ELNS1_3gpuE0ELNS1_3repE0EEENS1_30default_config_static_selectorELNS0_4arch9wavefront6targetE0EEEvT1_ ; -- Begin function _ZN7rocprim17ROCPRIM_400000_NS6detail17trampoline_kernelINS0_14default_configENS1_25partition_config_selectorILNS1_17partition_subalgoE8EN3c108BFloat16ENS0_10empty_typeEbEEZZNS1_14partition_implILS5_8ELb0ES3_jPKS7_PS8_PKS8_NS0_5tupleIJPS7_S8_EEENSG_IJSD_SD_EEENS0_18inequality_wrapperIN6hipcub16HIPCUB_304000_NS8EqualityEEEPlJS8_EEE10hipError_tPvRmT3_T4_T5_T6_T7_T9_mT8_P12ihipStream_tbDpT10_ENKUlT_T0_E_clISt17integral_constantIbLb0EES18_IbLb1EEEEDaS14_S15_EUlS14_E_NS1_11comp_targetILNS1_3genE0ELNS1_11target_archE4294967295ELNS1_3gpuE0ELNS1_3repE0EEENS1_30default_config_static_selectorELNS0_4arch9wavefront6targetE0EEEvT1_
	.globl	_ZN7rocprim17ROCPRIM_400000_NS6detail17trampoline_kernelINS0_14default_configENS1_25partition_config_selectorILNS1_17partition_subalgoE8EN3c108BFloat16ENS0_10empty_typeEbEEZZNS1_14partition_implILS5_8ELb0ES3_jPKS7_PS8_PKS8_NS0_5tupleIJPS7_S8_EEENSG_IJSD_SD_EEENS0_18inequality_wrapperIN6hipcub16HIPCUB_304000_NS8EqualityEEEPlJS8_EEE10hipError_tPvRmT3_T4_T5_T6_T7_T9_mT8_P12ihipStream_tbDpT10_ENKUlT_T0_E_clISt17integral_constantIbLb0EES18_IbLb1EEEEDaS14_S15_EUlS14_E_NS1_11comp_targetILNS1_3genE0ELNS1_11target_archE4294967295ELNS1_3gpuE0ELNS1_3repE0EEENS1_30default_config_static_selectorELNS0_4arch9wavefront6targetE0EEEvT1_
	.p2align	8
	.type	_ZN7rocprim17ROCPRIM_400000_NS6detail17trampoline_kernelINS0_14default_configENS1_25partition_config_selectorILNS1_17partition_subalgoE8EN3c108BFloat16ENS0_10empty_typeEbEEZZNS1_14partition_implILS5_8ELb0ES3_jPKS7_PS8_PKS8_NS0_5tupleIJPS7_S8_EEENSG_IJSD_SD_EEENS0_18inequality_wrapperIN6hipcub16HIPCUB_304000_NS8EqualityEEEPlJS8_EEE10hipError_tPvRmT3_T4_T5_T6_T7_T9_mT8_P12ihipStream_tbDpT10_ENKUlT_T0_E_clISt17integral_constantIbLb0EES18_IbLb1EEEEDaS14_S15_EUlS14_E_NS1_11comp_targetILNS1_3genE0ELNS1_11target_archE4294967295ELNS1_3gpuE0ELNS1_3repE0EEENS1_30default_config_static_selectorELNS0_4arch9wavefront6targetE0EEEvT1_,@function
_ZN7rocprim17ROCPRIM_400000_NS6detail17trampoline_kernelINS0_14default_configENS1_25partition_config_selectorILNS1_17partition_subalgoE8EN3c108BFloat16ENS0_10empty_typeEbEEZZNS1_14partition_implILS5_8ELb0ES3_jPKS7_PS8_PKS8_NS0_5tupleIJPS7_S8_EEENSG_IJSD_SD_EEENS0_18inequality_wrapperIN6hipcub16HIPCUB_304000_NS8EqualityEEEPlJS8_EEE10hipError_tPvRmT3_T4_T5_T6_T7_T9_mT8_P12ihipStream_tbDpT10_ENKUlT_T0_E_clISt17integral_constantIbLb0EES18_IbLb1EEEEDaS14_S15_EUlS14_E_NS1_11comp_targetILNS1_3genE0ELNS1_11target_archE4294967295ELNS1_3gpuE0ELNS1_3repE0EEENS1_30default_config_static_selectorELNS0_4arch9wavefront6targetE0EEEvT1_: ; @_ZN7rocprim17ROCPRIM_400000_NS6detail17trampoline_kernelINS0_14default_configENS1_25partition_config_selectorILNS1_17partition_subalgoE8EN3c108BFloat16ENS0_10empty_typeEbEEZZNS1_14partition_implILS5_8ELb0ES3_jPKS7_PS8_PKS8_NS0_5tupleIJPS7_S8_EEENSG_IJSD_SD_EEENS0_18inequality_wrapperIN6hipcub16HIPCUB_304000_NS8EqualityEEEPlJS8_EEE10hipError_tPvRmT3_T4_T5_T6_T7_T9_mT8_P12ihipStream_tbDpT10_ENKUlT_T0_E_clISt17integral_constantIbLb0EES18_IbLb1EEEEDaS14_S15_EUlS14_E_NS1_11comp_targetILNS1_3genE0ELNS1_11target_archE4294967295ELNS1_3gpuE0ELNS1_3repE0EEENS1_30default_config_static_selectorELNS0_4arch9wavefront6targetE0EEEvT1_
; %bb.0:
	s_clause 0x2
	s_load_b128 s[36:39], s[0:1], 0x40
	s_load_b64 s[8:9], s[0:1], 0x50
	s_load_b64 s[34:35], s[0:1], 0x60
	v_cmp_ne_u32_e64 s3, 0, v0
	v_cmp_eq_u32_e64 s2, 0, v0
	s_and_saveexec_b32 s4, s2
	s_cbranch_execz .LBB848_4
; %bb.1:
	s_mov_b32 s6, exec_lo
	s_mov_b32 s5, exec_lo
	v_mbcnt_lo_u32_b32 v1, s6, 0
                                        ; implicit-def: $vgpr2
	s_delay_alu instid0(VALU_DEP_1)
	v_cmpx_eq_u32_e32 0, v1
	s_cbranch_execz .LBB848_3
; %bb.2:
	s_load_b64 s[10:11], s[0:1], 0x70
	s_bcnt1_i32_b32 s6, s6
	s_delay_alu instid0(SALU_CYCLE_1)
	v_dual_mov_b32 v2, 0 :: v_dual_mov_b32 v3, s6
	s_wait_xcnt 0x0
	s_wait_kmcnt 0x0
	global_atomic_add_u32 v2, v2, v3, s[10:11] th:TH_ATOMIC_RETURN scope:SCOPE_DEV
.LBB848_3:
	s_wait_xcnt 0x0
	s_or_b32 exec_lo, exec_lo, s5
	s_wait_loadcnt 0x0
	v_readfirstlane_b32 s5, v2
	s_delay_alu instid0(VALU_DEP_1)
	v_dual_mov_b32 v2, 0 :: v_dual_add_nc_u32 v1, s5, v1
	ds_store_b32 v2, v1
.LBB848_4:
	s_or_b32 exec_lo, exec_lo, s4
	v_mov_b32_e32 v3, 0
	s_clause 0x2
	s_load_b128 s[4:7], s[0:1], 0x8
	s_load_b64 s[30:31], s[0:1], 0x28
	s_load_b32 s10, s[0:1], 0x68
	s_wait_dscnt 0x0
	s_barrier_signal -1
	s_barrier_wait -1
	ds_load_b32 v1, v3
	s_wait_dscnt 0x0
	s_barrier_signal -1
	s_barrier_wait -1
	s_wait_kmcnt 0x0
	global_load_b64 v[34:35], v3, s[38:39]
	s_mov_b32 s13, 0
	s_lshl_b64 s[0:1], s[6:7], 1
	s_mul_i32 s12, s10, 0x1e00
	s_add_co_i32 s14, s10, -1
	s_add_nc_u64 s[10:11], s[6:7], s[12:13]
	s_add_co_i32 s12, s12, s6
	v_cmp_le_u64_e64 s9, s[8:9], s[10:11]
	v_mul_lo_u32 v2, 0x1e00, v1
	s_wait_xcnt 0x0
	v_readfirstlane_b32 s39, v1
	s_sub_co_i32 s40, s8, s12
	s_add_nc_u64 s[0:1], s[4:5], s[0:1]
	s_cmp_eq_u32 s39, s14
	s_cselect_b32 s33, -1, 0
	s_delay_alu instid0(SALU_CYCLE_1) | instskip(SKIP_2) | instid1(SALU_CYCLE_1)
	s_and_b32 s41, s9, s33
	v_lshlrev_b64_e32 v[2:3], 1, v[2:3]
	s_xor_b32 s38, s41, -1
	s_and_b32 vcc_lo, exec_lo, s38
	s_delay_alu instid0(VALU_DEP_1)
	v_add_nc_u64_e32 v[2:3], s[0:1], v[2:3]
	s_mov_b32 s0, -1
	s_cbranch_vccz .LBB848_6
; %bb.5:
	s_delay_alu instid0(VALU_DEP_1) | instskip(NEXT) | instid1(VALU_DEP_2)
	v_readfirstlane_b32 s0, v2
	v_readfirstlane_b32 s1, v3
	v_lshlrev_b32_e32 v33, 1, v0
	s_clause 0x1d
	global_load_u16 v1, v0, s[0:1] scale_offset
	global_load_u16 v4, v0, s[0:1] offset:512 scale_offset
	global_load_u16 v5, v0, s[0:1] offset:1024 scale_offset
	;; [unrolled: 1-line block ×29, first 2 shown]
	s_wait_xcnt 0x0
	s_mov_b32 s0, 0
	s_wait_loadcnt 0x1d
	ds_store_b16 v33, v1
	s_wait_loadcnt 0x1c
	ds_store_b16 v33, v4 offset:512
	s_wait_loadcnt 0x1b
	ds_store_b16 v33, v5 offset:1024
	;; [unrolled: 2-line block ×29, first 2 shown]
	s_wait_dscnt 0x0
	s_barrier_signal -1
	s_barrier_wait -1
.LBB848_6:
	s_and_not1_b32 vcc_lo, exec_lo, s0
	s_addk_co_i32 s40, 0x1e00
	s_cbranch_vccnz .LBB848_68
; %bb.7:
	s_mov_b32 s0, exec_lo
                                        ; implicit-def: $vgpr1
	v_cmpx_gt_u32_e64 s40, v0
	s_cbranch_execz .LBB848_9
; %bb.8:
	v_readfirstlane_b32 s4, v2
	v_readfirstlane_b32 s5, v3
	global_load_u16 v1, v0, s[4:5] scale_offset
.LBB848_9:
	s_wait_xcnt 0x0
	s_or_b32 exec_lo, exec_lo, s0
	v_or_b32_e32 v4, 0x100, v0
	s_delay_alu instid0(VALU_DEP_1)
	v_cmp_gt_u32_e32 vcc_lo, s40, v4
                                        ; implicit-def: $vgpr4
	s_and_saveexec_b32 s0, vcc_lo
	s_cbranch_execz .LBB848_11
; %bb.10:
	v_readfirstlane_b32 s4, v2
	v_readfirstlane_b32 s5, v3
	global_load_u16 v4, v0, s[4:5] offset:512 scale_offset
.LBB848_11:
	s_wait_xcnt 0x0
	s_or_b32 exec_lo, exec_lo, s0
	v_or_b32_e32 v5, 0x200, v0
	s_delay_alu instid0(VALU_DEP_1)
	v_cmp_gt_u32_e32 vcc_lo, s40, v5
                                        ; implicit-def: $vgpr5
	s_and_saveexec_b32 s0, vcc_lo
	s_cbranch_execz .LBB848_13
; %bb.12:
	v_readfirstlane_b32 s4, v2
	v_readfirstlane_b32 s5, v3
	global_load_u16 v5, v0, s[4:5] offset:1024 scale_offset
.LBB848_13:
	s_wait_xcnt 0x0
	s_or_b32 exec_lo, exec_lo, s0
	v_or_b32_e32 v6, 0x300, v0
	s_delay_alu instid0(VALU_DEP_1)
	v_cmp_gt_u32_e32 vcc_lo, s40, v6
                                        ; implicit-def: $vgpr6
	s_and_saveexec_b32 s0, vcc_lo
	s_cbranch_execz .LBB848_15
; %bb.14:
	v_readfirstlane_b32 s4, v2
	v_readfirstlane_b32 s5, v3
	global_load_u16 v6, v0, s[4:5] offset:1536 scale_offset
.LBB848_15:
	s_wait_xcnt 0x0
	s_or_b32 exec_lo, exec_lo, s0
	v_or_b32_e32 v7, 0x400, v0
	s_delay_alu instid0(VALU_DEP_1)
	v_cmp_gt_u32_e32 vcc_lo, s40, v7
                                        ; implicit-def: $vgpr7
	s_and_saveexec_b32 s0, vcc_lo
	s_cbranch_execz .LBB848_17
; %bb.16:
	v_readfirstlane_b32 s4, v2
	v_readfirstlane_b32 s5, v3
	global_load_u16 v7, v0, s[4:5] offset:2048 scale_offset
.LBB848_17:
	s_wait_xcnt 0x0
	s_or_b32 exec_lo, exec_lo, s0
	v_or_b32_e32 v8, 0x500, v0
	s_delay_alu instid0(VALU_DEP_1)
	v_cmp_gt_u32_e32 vcc_lo, s40, v8
                                        ; implicit-def: $vgpr8
	s_and_saveexec_b32 s0, vcc_lo
	s_cbranch_execz .LBB848_19
; %bb.18:
	v_readfirstlane_b32 s4, v2
	v_readfirstlane_b32 s5, v3
	global_load_u16 v8, v0, s[4:5] offset:2560 scale_offset
.LBB848_19:
	s_wait_xcnt 0x0
	s_or_b32 exec_lo, exec_lo, s0
	v_or_b32_e32 v9, 0x600, v0
	s_delay_alu instid0(VALU_DEP_1)
	v_cmp_gt_u32_e32 vcc_lo, s40, v9
                                        ; implicit-def: $vgpr9
	s_and_saveexec_b32 s0, vcc_lo
	s_cbranch_execz .LBB848_21
; %bb.20:
	v_readfirstlane_b32 s4, v2
	v_readfirstlane_b32 s5, v3
	global_load_u16 v9, v0, s[4:5] offset:3072 scale_offset
.LBB848_21:
	s_wait_xcnt 0x0
	s_or_b32 exec_lo, exec_lo, s0
	v_or_b32_e32 v10, 0x700, v0
	s_delay_alu instid0(VALU_DEP_1)
	v_cmp_gt_u32_e32 vcc_lo, s40, v10
                                        ; implicit-def: $vgpr10
	s_and_saveexec_b32 s0, vcc_lo
	s_cbranch_execz .LBB848_23
; %bb.22:
	v_readfirstlane_b32 s4, v2
	v_readfirstlane_b32 s5, v3
	global_load_u16 v10, v0, s[4:5] offset:3584 scale_offset
.LBB848_23:
	s_wait_xcnt 0x0
	s_or_b32 exec_lo, exec_lo, s0
	v_or_b32_e32 v11, 0x800, v0
	s_delay_alu instid0(VALU_DEP_1)
	v_cmp_gt_u32_e32 vcc_lo, s40, v11
                                        ; implicit-def: $vgpr11
	s_and_saveexec_b32 s0, vcc_lo
	s_cbranch_execz .LBB848_25
; %bb.24:
	v_readfirstlane_b32 s4, v2
	v_readfirstlane_b32 s5, v3
	global_load_u16 v11, v0, s[4:5] offset:4096 scale_offset
.LBB848_25:
	s_wait_xcnt 0x0
	s_or_b32 exec_lo, exec_lo, s0
	v_or_b32_e32 v12, 0x900, v0
	s_delay_alu instid0(VALU_DEP_1)
	v_cmp_gt_u32_e32 vcc_lo, s40, v12
                                        ; implicit-def: $vgpr12
	s_and_saveexec_b32 s0, vcc_lo
	s_cbranch_execz .LBB848_27
; %bb.26:
	v_readfirstlane_b32 s4, v2
	v_readfirstlane_b32 s5, v3
	global_load_u16 v12, v0, s[4:5] offset:4608 scale_offset
.LBB848_27:
	s_wait_xcnt 0x0
	s_or_b32 exec_lo, exec_lo, s0
	v_or_b32_e32 v13, 0xa00, v0
	s_delay_alu instid0(VALU_DEP_1)
	v_cmp_gt_u32_e32 vcc_lo, s40, v13
                                        ; implicit-def: $vgpr13
	s_and_saveexec_b32 s0, vcc_lo
	s_cbranch_execz .LBB848_29
; %bb.28:
	v_readfirstlane_b32 s4, v2
	v_readfirstlane_b32 s5, v3
	global_load_u16 v13, v0, s[4:5] offset:5120 scale_offset
.LBB848_29:
	s_wait_xcnt 0x0
	s_or_b32 exec_lo, exec_lo, s0
	v_or_b32_e32 v14, 0xb00, v0
	s_delay_alu instid0(VALU_DEP_1)
	v_cmp_gt_u32_e32 vcc_lo, s40, v14
                                        ; implicit-def: $vgpr14
	s_and_saveexec_b32 s0, vcc_lo
	s_cbranch_execz .LBB848_31
; %bb.30:
	v_readfirstlane_b32 s4, v2
	v_readfirstlane_b32 s5, v3
	global_load_u16 v14, v0, s[4:5] offset:5632 scale_offset
.LBB848_31:
	s_wait_xcnt 0x0
	s_or_b32 exec_lo, exec_lo, s0
	v_or_b32_e32 v15, 0xc00, v0
	s_delay_alu instid0(VALU_DEP_1)
	v_cmp_gt_u32_e32 vcc_lo, s40, v15
                                        ; implicit-def: $vgpr15
	s_and_saveexec_b32 s0, vcc_lo
	s_cbranch_execz .LBB848_33
; %bb.32:
	v_readfirstlane_b32 s4, v2
	v_readfirstlane_b32 s5, v3
	global_load_u16 v15, v0, s[4:5] offset:6144 scale_offset
.LBB848_33:
	s_wait_xcnt 0x0
	s_or_b32 exec_lo, exec_lo, s0
	v_or_b32_e32 v16, 0xd00, v0
	s_delay_alu instid0(VALU_DEP_1)
	v_cmp_gt_u32_e32 vcc_lo, s40, v16
                                        ; implicit-def: $vgpr16
	s_and_saveexec_b32 s0, vcc_lo
	s_cbranch_execz .LBB848_35
; %bb.34:
	v_readfirstlane_b32 s4, v2
	v_readfirstlane_b32 s5, v3
	global_load_u16 v16, v0, s[4:5] offset:6656 scale_offset
.LBB848_35:
	s_wait_xcnt 0x0
	s_or_b32 exec_lo, exec_lo, s0
	v_or_b32_e32 v17, 0xe00, v0
	s_delay_alu instid0(VALU_DEP_1)
	v_cmp_gt_u32_e32 vcc_lo, s40, v17
                                        ; implicit-def: $vgpr17
	s_and_saveexec_b32 s0, vcc_lo
	s_cbranch_execz .LBB848_37
; %bb.36:
	v_readfirstlane_b32 s4, v2
	v_readfirstlane_b32 s5, v3
	global_load_u16 v17, v0, s[4:5] offset:7168 scale_offset
.LBB848_37:
	s_wait_xcnt 0x0
	s_or_b32 exec_lo, exec_lo, s0
	v_or_b32_e32 v18, 0xf00, v0
	s_delay_alu instid0(VALU_DEP_1)
	v_cmp_gt_u32_e32 vcc_lo, s40, v18
                                        ; implicit-def: $vgpr18
	s_and_saveexec_b32 s0, vcc_lo
	s_cbranch_execz .LBB848_39
; %bb.38:
	v_readfirstlane_b32 s4, v2
	v_readfirstlane_b32 s5, v3
	global_load_u16 v18, v0, s[4:5] offset:7680 scale_offset
.LBB848_39:
	s_wait_xcnt 0x0
	s_or_b32 exec_lo, exec_lo, s0
	v_or_b32_e32 v19, 0x1000, v0
	s_delay_alu instid0(VALU_DEP_1)
	v_cmp_gt_u32_e32 vcc_lo, s40, v19
                                        ; implicit-def: $vgpr19
	s_and_saveexec_b32 s0, vcc_lo
	s_cbranch_execz .LBB848_41
; %bb.40:
	v_readfirstlane_b32 s4, v2
	v_readfirstlane_b32 s5, v3
	global_load_u16 v19, v0, s[4:5] offset:8192 scale_offset
.LBB848_41:
	s_wait_xcnt 0x0
	s_or_b32 exec_lo, exec_lo, s0
	v_or_b32_e32 v20, 0x1100, v0
	s_delay_alu instid0(VALU_DEP_1)
	v_cmp_gt_u32_e32 vcc_lo, s40, v20
                                        ; implicit-def: $vgpr20
	s_and_saveexec_b32 s0, vcc_lo
	s_cbranch_execz .LBB848_43
; %bb.42:
	v_readfirstlane_b32 s4, v2
	v_readfirstlane_b32 s5, v3
	global_load_u16 v20, v0, s[4:5] offset:8704 scale_offset
.LBB848_43:
	s_wait_xcnt 0x0
	s_or_b32 exec_lo, exec_lo, s0
	v_or_b32_e32 v21, 0x1200, v0
	s_delay_alu instid0(VALU_DEP_1)
	v_cmp_gt_u32_e32 vcc_lo, s40, v21
                                        ; implicit-def: $vgpr21
	s_and_saveexec_b32 s0, vcc_lo
	s_cbranch_execz .LBB848_45
; %bb.44:
	v_readfirstlane_b32 s4, v2
	v_readfirstlane_b32 s5, v3
	global_load_u16 v21, v0, s[4:5] offset:9216 scale_offset
.LBB848_45:
	s_wait_xcnt 0x0
	s_or_b32 exec_lo, exec_lo, s0
	v_or_b32_e32 v22, 0x1300, v0
	s_delay_alu instid0(VALU_DEP_1)
	v_cmp_gt_u32_e32 vcc_lo, s40, v22
                                        ; implicit-def: $vgpr22
	s_and_saveexec_b32 s0, vcc_lo
	s_cbranch_execz .LBB848_47
; %bb.46:
	v_readfirstlane_b32 s4, v2
	v_readfirstlane_b32 s5, v3
	global_load_u16 v22, v0, s[4:5] offset:9728 scale_offset
.LBB848_47:
	s_wait_xcnt 0x0
	s_or_b32 exec_lo, exec_lo, s0
	v_or_b32_e32 v23, 0x1400, v0
	s_delay_alu instid0(VALU_DEP_1)
	v_cmp_gt_u32_e32 vcc_lo, s40, v23
                                        ; implicit-def: $vgpr23
	s_and_saveexec_b32 s0, vcc_lo
	s_cbranch_execz .LBB848_49
; %bb.48:
	v_readfirstlane_b32 s4, v2
	v_readfirstlane_b32 s5, v3
	global_load_u16 v23, v0, s[4:5] offset:10240 scale_offset
.LBB848_49:
	s_wait_xcnt 0x0
	s_or_b32 exec_lo, exec_lo, s0
	v_or_b32_e32 v24, 0x1500, v0
	s_delay_alu instid0(VALU_DEP_1)
	v_cmp_gt_u32_e32 vcc_lo, s40, v24
                                        ; implicit-def: $vgpr24
	s_and_saveexec_b32 s0, vcc_lo
	s_cbranch_execz .LBB848_51
; %bb.50:
	v_readfirstlane_b32 s4, v2
	v_readfirstlane_b32 s5, v3
	global_load_u16 v24, v0, s[4:5] offset:10752 scale_offset
.LBB848_51:
	s_wait_xcnt 0x0
	s_or_b32 exec_lo, exec_lo, s0
	v_or_b32_e32 v25, 0x1600, v0
	s_delay_alu instid0(VALU_DEP_1)
	v_cmp_gt_u32_e32 vcc_lo, s40, v25
                                        ; implicit-def: $vgpr25
	s_and_saveexec_b32 s0, vcc_lo
	s_cbranch_execz .LBB848_53
; %bb.52:
	v_readfirstlane_b32 s4, v2
	v_readfirstlane_b32 s5, v3
	global_load_u16 v25, v0, s[4:5] offset:11264 scale_offset
.LBB848_53:
	s_wait_xcnt 0x0
	s_or_b32 exec_lo, exec_lo, s0
	v_or_b32_e32 v26, 0x1700, v0
	s_delay_alu instid0(VALU_DEP_1)
	v_cmp_gt_u32_e32 vcc_lo, s40, v26
                                        ; implicit-def: $vgpr26
	s_and_saveexec_b32 s0, vcc_lo
	s_cbranch_execz .LBB848_55
; %bb.54:
	v_readfirstlane_b32 s4, v2
	v_readfirstlane_b32 s5, v3
	global_load_u16 v26, v0, s[4:5] offset:11776 scale_offset
.LBB848_55:
	s_wait_xcnt 0x0
	s_or_b32 exec_lo, exec_lo, s0
	v_or_b32_e32 v27, 0x1800, v0
	s_delay_alu instid0(VALU_DEP_1)
	v_cmp_gt_u32_e32 vcc_lo, s40, v27
                                        ; implicit-def: $vgpr27
	s_and_saveexec_b32 s0, vcc_lo
	s_cbranch_execz .LBB848_57
; %bb.56:
	v_readfirstlane_b32 s4, v2
	v_readfirstlane_b32 s5, v3
	global_load_u16 v27, v0, s[4:5] offset:12288 scale_offset
.LBB848_57:
	s_wait_xcnt 0x0
	s_or_b32 exec_lo, exec_lo, s0
	v_or_b32_e32 v28, 0x1900, v0
	s_delay_alu instid0(VALU_DEP_1)
	v_cmp_gt_u32_e32 vcc_lo, s40, v28
                                        ; implicit-def: $vgpr28
	s_and_saveexec_b32 s0, vcc_lo
	s_cbranch_execz .LBB848_59
; %bb.58:
	v_readfirstlane_b32 s4, v2
	v_readfirstlane_b32 s5, v3
	global_load_u16 v28, v0, s[4:5] offset:12800 scale_offset
.LBB848_59:
	s_wait_xcnt 0x0
	s_or_b32 exec_lo, exec_lo, s0
	v_or_b32_e32 v29, 0x1a00, v0
	s_delay_alu instid0(VALU_DEP_1)
	v_cmp_gt_u32_e32 vcc_lo, s40, v29
                                        ; implicit-def: $vgpr29
	s_and_saveexec_b32 s0, vcc_lo
	s_cbranch_execz .LBB848_61
; %bb.60:
	v_readfirstlane_b32 s4, v2
	v_readfirstlane_b32 s5, v3
	global_load_u16 v29, v0, s[4:5] offset:13312 scale_offset
.LBB848_61:
	s_wait_xcnt 0x0
	s_or_b32 exec_lo, exec_lo, s0
	v_or_b32_e32 v30, 0x1b00, v0
	s_delay_alu instid0(VALU_DEP_1)
	v_cmp_gt_u32_e32 vcc_lo, s40, v30
                                        ; implicit-def: $vgpr30
	s_and_saveexec_b32 s0, vcc_lo
	s_cbranch_execz .LBB848_63
; %bb.62:
	v_readfirstlane_b32 s4, v2
	v_readfirstlane_b32 s5, v3
	global_load_u16 v30, v0, s[4:5] offset:13824 scale_offset
.LBB848_63:
	s_wait_xcnt 0x0
	s_or_b32 exec_lo, exec_lo, s0
	v_or_b32_e32 v31, 0x1c00, v0
	s_delay_alu instid0(VALU_DEP_1)
	v_cmp_gt_u32_e32 vcc_lo, s40, v31
                                        ; implicit-def: $vgpr31
	s_and_saveexec_b32 s0, vcc_lo
	s_cbranch_execz .LBB848_65
; %bb.64:
	v_readfirstlane_b32 s4, v2
	v_readfirstlane_b32 s5, v3
	global_load_u16 v31, v0, s[4:5] offset:14336 scale_offset
.LBB848_65:
	s_wait_xcnt 0x0
	s_or_b32 exec_lo, exec_lo, s0
	v_or_b32_e32 v32, 0x1d00, v0
	s_delay_alu instid0(VALU_DEP_1)
	v_cmp_gt_u32_e32 vcc_lo, s40, v32
                                        ; implicit-def: $vgpr32
	s_and_saveexec_b32 s0, vcc_lo
	s_cbranch_execz .LBB848_67
; %bb.66:
	v_readfirstlane_b32 s4, v2
	v_readfirstlane_b32 s5, v3
	global_load_u16 v32, v0, s[4:5] offset:14848 scale_offset
.LBB848_67:
	s_wait_xcnt 0x0
	s_or_b32 exec_lo, exec_lo, s0
	v_lshlrev_b32_e32 v33, 1, v0
	s_wait_loadcnt 0x0
	ds_store_b16 v33, v1
	ds_store_b16 v33, v4 offset:512
	ds_store_b16 v33, v5 offset:1024
	;; [unrolled: 1-line block ×29, first 2 shown]
	s_wait_dscnt 0x0
	s_barrier_signal -1
	s_barrier_wait -1
.LBB848_68:
	v_mul_u32_u24_e32 v4, 30, v0
	s_wait_loadcnt 0x0
	s_cmp_lg_u32 s39, 0
	s_mov_b32 s43, 0
	s_cselect_b32 s42, -1, 0
	v_lshlrev_b32_e32 v5, 1, v4
	s_cmp_lg_u64 s[6:7], 0
	ds_load_2addr_b32 v[48:49], v5 offset1:1
	ds_load_2addr_b32 v[46:47], v5 offset0:2 offset1:3
	ds_load_2addr_b32 v[44:45], v5 offset0:4 offset1:5
	;; [unrolled: 1-line block ×3, first 2 shown]
	ds_load_b32 v1, v5 offset:56
	ds_load_2addr_b32 v[36:37], v5 offset0:12 offset1:13
	ds_load_2addr_b32 v[38:39], v5 offset0:10 offset1:11
	;; [unrolled: 1-line block ×3, first 2 shown]
	s_cselect_b32 s0, -1, 0
	s_wait_dscnt 0x0
	s_or_b32 s0, s0, s42
	s_barrier_signal -1
	s_and_b32 vcc_lo, exec_lo, s0
	s_barrier_wait -1
	s_cbranch_vccz .LBB848_73
; %bb.69:
	global_load_u16 v2, v[2:3], off offset:-2
	s_wait_xcnt 0x0
	v_lshlrev_b32_e32 v3, 1, v0
	s_and_b32 vcc_lo, exec_lo, s38
	ds_store_b16_d16_hi v3, v1
	s_cbranch_vccz .LBB848_74
; %bb.70:
	s_wait_loadcnt 0x0
	v_mov_b32_e32 v6, v2
	s_wait_dscnt 0x0
	s_barrier_signal -1
	s_barrier_wait -1
	s_and_saveexec_b32 s0, s3
; %bb.71:
	v_add_nc_u32_e32 v6, -2, v3
	ds_load_u16 v6, v6
; %bb.72:
	s_or_b32 exec_lo, exec_lo, s0
	v_and_b32_e32 v7, 0xffff0000, v1
	v_lshlrev_b32_e32 v8, 16, v1
	v_and_b32_e32 v9, 0xffff0000, v37
	v_lshlrev_b32_e32 v10, 16, v37
	s_wait_dscnt 0x0
	v_lshlrev_b32_e32 v6, 16, v6
	v_cmp_neq_f32_e32 vcc_lo, v8, v7
	v_and_b32_e32 v7, 0xffff0000, v36
	v_cndmask_b32_e64 v53, 0, 1, vcc_lo
	v_cmp_neq_f32_e32 vcc_lo, v9, v8
	v_lshlrev_b32_e32 v8, 16, v36
	v_cndmask_b32_e64 v56, 0, 1, vcc_lo
	v_cmp_neq_f32_e32 vcc_lo, v10, v9
	v_and_b32_e32 v9, 0xffff0000, v39
	v_cndmask_b32_e64 v57, 0, 1, vcc_lo
	v_cmp_neq_f32_e32 vcc_lo, v7, v10
	v_lshlrev_b32_e32 v10, 16, v38
	v_cndmask_b32_e64 v58, 0, 1, vcc_lo
	v_cmp_neq_f32_e32 vcc_lo, v8, v7
	v_lshlrev_b32_e32 v7, 16, v39
	v_cndmask_b32_e64 v59, 0, 1, vcc_lo
	v_cmp_neq_f32_e32 vcc_lo, v9, v8
	v_and_b32_e32 v8, 0xffff0000, v38
	v_cndmask_b32_e64 v60, 0, 1, vcc_lo
	v_cmp_neq_f32_e32 vcc_lo, v7, v9
	v_and_b32_e32 v9, 0xffff0000, v41
	v_cndmask_b32_e64 v61, 0, 1, vcc_lo
	v_cmp_neq_f32_e32 vcc_lo, v8, v7
	v_lshlrev_b32_e32 v7, 16, v41
	v_cndmask_b32_e64 v62, 0, 1, vcc_lo
	v_cmp_neq_f32_e32 vcc_lo, v10, v8
	v_and_b32_e32 v8, 0xffff0000, v40
	v_cndmask_b32_e64 v63, 0, 1, vcc_lo
	v_cmp_neq_f32_e32 vcc_lo, v9, v10
	v_lshlrev_b32_e32 v10, 16, v40
	;; [unrolled: 6-line block ×10, first 2 shown]
	v_cndmask_b32_e64 v80, 0, 1, vcc_lo
	v_cmp_neq_f32_e32 vcc_lo, v7, v9
	s_delay_alu instid0(VALU_DEP_3)
	v_cmp_neq_f32_e64 s44, v10, v6
	v_cndmask_b32_e64 v81, 0, 1, vcc_lo
	v_cmp_neq_f32_e32 vcc_lo, v8, v7
	v_cndmask_b32_e64 v82, 0, 1, vcc_lo
	v_cmp_neq_f32_e32 vcc_lo, v10, v8
	v_cndmask_b32_e64 v83, 0, 1, vcc_lo
	s_branch .LBB848_78
.LBB848_73:
                                        ; implicit-def: $sgpr44
                                        ; implicit-def: $vgpr83
                                        ; implicit-def: $vgpr82
                                        ; implicit-def: $vgpr81
                                        ; implicit-def: $vgpr80
                                        ; implicit-def: $vgpr79
                                        ; implicit-def: $vgpr78
                                        ; implicit-def: $vgpr77
                                        ; implicit-def: $vgpr76
                                        ; implicit-def: $vgpr75
                                        ; implicit-def: $vgpr74
                                        ; implicit-def: $vgpr73
                                        ; implicit-def: $vgpr72
                                        ; implicit-def: $vgpr71
                                        ; implicit-def: $vgpr70
                                        ; implicit-def: $vgpr69
                                        ; implicit-def: $vgpr68
                                        ; implicit-def: $vgpr67
                                        ; implicit-def: $vgpr66
                                        ; implicit-def: $vgpr65
                                        ; implicit-def: $vgpr64
                                        ; implicit-def: $vgpr63
                                        ; implicit-def: $vgpr62
                                        ; implicit-def: $vgpr61
                                        ; implicit-def: $vgpr60
                                        ; implicit-def: $vgpr59
                                        ; implicit-def: $vgpr58
                                        ; implicit-def: $vgpr57
                                        ; implicit-def: $vgpr56
                                        ; implicit-def: $vgpr53
	s_branch .LBB848_79
.LBB848_74:
                                        ; implicit-def: $sgpr44
                                        ; implicit-def: $vgpr83
                                        ; implicit-def: $vgpr82
                                        ; implicit-def: $vgpr81
                                        ; implicit-def: $vgpr80
                                        ; implicit-def: $vgpr79
                                        ; implicit-def: $vgpr78
                                        ; implicit-def: $vgpr77
                                        ; implicit-def: $vgpr76
                                        ; implicit-def: $vgpr75
                                        ; implicit-def: $vgpr74
                                        ; implicit-def: $vgpr73
                                        ; implicit-def: $vgpr72
                                        ; implicit-def: $vgpr71
                                        ; implicit-def: $vgpr70
                                        ; implicit-def: $vgpr69
                                        ; implicit-def: $vgpr68
                                        ; implicit-def: $vgpr67
                                        ; implicit-def: $vgpr66
                                        ; implicit-def: $vgpr65
                                        ; implicit-def: $vgpr64
                                        ; implicit-def: $vgpr63
                                        ; implicit-def: $vgpr62
                                        ; implicit-def: $vgpr61
                                        ; implicit-def: $vgpr60
                                        ; implicit-def: $vgpr59
                                        ; implicit-def: $vgpr58
                                        ; implicit-def: $vgpr57
                                        ; implicit-def: $vgpr56
                                        ; implicit-def: $vgpr53
	s_cbranch_execz .LBB848_78
; %bb.75:
	s_wait_loadcnt_dscnt 0x0
	s_barrier_signal -1
	s_barrier_wait -1
	s_and_saveexec_b32 s0, s3
; %bb.76:
	v_add_nc_u32_e32 v2, -2, v3
	ds_load_u16 v2, v2
; %bb.77:
	s_or_b32 exec_lo, exec_lo, s0
	v_dual_add_nc_u32 v3, 29, v4 :: v_dual_lshlrev_b32 v7, 16, v1
	v_and_b32_e32 v6, 0xffff0000, v1
	v_add_nc_u32_e32 v8, 28, v4
	v_and_b32_e32 v9, 0xffff0000, v37
	s_delay_alu instid0(VALU_DEP_4)
	v_cmp_gt_u32_e32 vcc_lo, s40, v3
	v_add_nc_u32_e32 v3, 27, v4
	v_cmp_neq_f32_e64 s0, v7, v6
	v_cmp_gt_u32_e64 s1, s40, v8
	v_cmp_neq_f32_e64 s4, v9, v7
	v_lshlrev_b32_e32 v6, 16, v37
	v_and_b32_e32 v8, 0xffff0000, v36
	s_and_b32 s0, vcc_lo, s0
	v_cmp_gt_u32_e32 vcc_lo, s40, v3
	v_cndmask_b32_e64 v53, 0, 1, s0
	s_and_b32 s0, s1, s4
	v_add_nc_u32_e32 v3, 26, v4
	v_cndmask_b32_e64 v56, 0, 1, s0
	v_cmp_neq_f32_e64 s0, v6, v9
	v_add_nc_u32_e32 v7, 25, v4
	s_wait_dscnt 0x0
	v_dual_lshlrev_b32 v9, 16, v36 :: v_dual_lshlrev_b32 v2, 16, v2
	s_and_b32 s0, vcc_lo, s0
	v_cmp_gt_u32_e32 vcc_lo, s40, v3
	v_cndmask_b32_e64 v57, 0, 1, s0
	v_cmp_neq_f32_e64 s0, v8, v6
	v_add_nc_u32_e32 v3, 24, v4
	v_and_b32_e32 v6, 0xffff0000, v39
	v_cmp_gt_u32_e64 s1, s40, v7
	v_add_nc_u32_e32 v7, 23, v4
	s_and_b32 s0, vcc_lo, s0
	v_cmp_gt_u32_e32 vcc_lo, s40, v3
	v_lshlrev_b32_e32 v3, 16, v39
	v_cmp_neq_f32_e64 s4, v9, v8
	v_cndmask_b32_e64 v58, 0, 1, s0
	v_cmp_neq_f32_e64 s0, v6, v9
	v_and_b32_e32 v8, 0xffff0000, v38
	v_lshlrev_b32_e32 v9, 16, v43
	s_and_b32 s1, s1, s4
	s_delay_alu instid0(SALU_CYCLE_1)
	v_cndmask_b32_e64 v59, 0, 1, s1
	s_and_b32 s0, vcc_lo, s0
	v_cmp_neq_f32_e32 vcc_lo, v3, v6
	v_add_nc_u32_e32 v6, 21, v4
	v_cmp_gt_u32_e64 s1, s40, v7
	v_add_nc_u32_e32 v7, 22, v4
	v_cndmask_b32_e64 v60, 0, 1, s0
	v_cmp_neq_f32_e64 s4, v8, v3
	v_add_nc_u32_e32 v3, 20, v4
	s_and_b32 s1, s1, vcc_lo
	v_cmp_gt_u32_e64 s0, s40, v7
	v_lshlrev_b32_e32 v7, 16, v38
	v_cndmask_b32_e64 v61, 0, 1, s1
	v_cmp_gt_u32_e32 vcc_lo, s40, v6
	v_and_b32_e32 v6, 0xffff0000, v41
	s_and_b32 s0, s0, s4
	v_cmp_neq_f32_e64 s1, v7, v8
	v_add_nc_u32_e32 v8, 19, v4
	v_cndmask_b32_e64 v62, 0, 1, s0
	s_and_b32 s0, vcc_lo, s1
	v_cmp_gt_u32_e32 vcc_lo, s40, v3
	v_cndmask_b32_e64 v63, 0, 1, s0
	v_cmp_neq_f32_e64 s0, v6, v7
	v_cmp_gt_u32_e64 s1, s40, v8
	v_dual_lshlrev_b32 v3, 16, v41 :: v_dual_add_nc_u32 v7, 18, v4
	v_and_b32_e32 v8, 0xffff0000, v40
	s_and_b32 s0, vcc_lo, s0
	s_delay_alu instid0(SALU_CYCLE_1) | instskip(NEXT) | instid1(VALU_DEP_3)
	v_cndmask_b32_e64 v64, 0, 1, s0
	v_cmp_gt_u32_e64 s0, s40, v7
	s_delay_alu instid0(VALU_DEP_3)
	v_cmp_neq_f32_e64 s4, v8, v3
	v_cmp_neq_f32_e32 vcc_lo, v3, v6
	v_dual_add_nc_u32 v6, 17, v4 :: v_dual_add_nc_u32 v7, 15, v4
	v_lshlrev_b32_e32 v3, 16, v40
	s_and_b32 s0, s0, s4
	s_and_b32 s1, s1, vcc_lo
	s_delay_alu instid0(VALU_DEP_2)
	v_cmp_gt_u32_e32 vcc_lo, s40, v6
	v_cndmask_b32_e64 v66, 0, 1, s0
	v_cmp_neq_f32_e64 s0, v3, v8
	v_add_nc_u32_e32 v6, 16, v4
	v_and_b32_e32 v8, 0xffff0000, v43
	v_cndmask_b32_e64 v65, 0, 1, s1
	v_cmp_gt_u32_e64 s1, s40, v7
	s_and_b32 s0, vcc_lo, s0
	v_add_nc_u32_e32 v7, 13, v4
	v_cndmask_b32_e64 v67, 0, 1, s0
	v_cmp_neq_f32_e64 s0, v8, v3
	v_add_nc_u32_e32 v3, 14, v4
	v_cmp_gt_u32_e32 vcc_lo, s40, v6
	v_cmp_neq_f32_e64 s4, v9, v8
	v_and_b32_e32 v6, 0xffff0000, v42
	v_and_b32_e32 v8, 0xffff0000, v45
	s_and_b32 s0, vcc_lo, s0
	v_cmp_gt_u32_e32 vcc_lo, s40, v3
	v_cndmask_b32_e64 v68, 0, 1, s0
	v_cmp_neq_f32_e64 s0, v6, v9
	s_and_b32 s1, s1, s4
	v_lshlrev_b32_e32 v3, 16, v42
	v_cndmask_b32_e64 v69, 0, 1, s1
	v_cmp_gt_u32_e64 s1, s40, v7
	v_add_nc_u32_e32 v7, 12, v4
	s_and_b32 s0, vcc_lo, s0
	v_cmp_neq_f32_e32 vcc_lo, v3, v6
	v_cndmask_b32_e64 v70, 0, 1, s0
	v_add_nc_u32_e32 v6, 11, v4
	v_cmp_gt_u32_e64 s0, s40, v7
	v_lshlrev_b32_e32 v7, 16, v45
	v_cmp_neq_f32_e64 s4, v8, v3
	s_and_b32 s1, s1, vcc_lo
	v_cmp_gt_u32_e32 vcc_lo, s40, v6
	v_cndmask_b32_e64 v71, 0, 1, s1
	v_add_nc_u32_e32 v3, 10, v4
	v_cmp_neq_f32_e64 s1, v7, v8
	v_and_b32_e32 v6, 0xffff0000, v44
	s_and_b32 s0, s0, s4
	v_add_nc_u32_e32 v8, 9, v4
	v_cndmask_b32_e64 v72, 0, 1, s0
	s_and_b32 s0, vcc_lo, s1
	v_cmp_gt_u32_e32 vcc_lo, s40, v3
	v_cndmask_b32_e64 v73, 0, 1, s0
	v_cmp_neq_f32_e64 s0, v6, v7
	v_dual_lshlrev_b32 v3, 16, v44 :: v_dual_lshlrev_b32 v9, 16, v46
	v_add_nc_u32_e32 v7, 8, v4
	v_cmp_gt_u32_e64 s1, s40, v8
	v_and_b32_e32 v8, 0xffff0000, v47
	s_and_b32 s0, vcc_lo, s0
	v_cmp_neq_f32_e32 vcc_lo, v3, v6
	v_cndmask_b32_e64 v74, 0, 1, s0
	v_cmp_gt_u32_e64 s0, s40, v7
	v_cmp_neq_f32_e64 s4, v8, v3
	v_dual_add_nc_u32 v6, 7, v4 :: v_dual_lshlrev_b32 v3, 16, v47
	s_and_b32 s1, s1, vcc_lo
	v_add_nc_u32_e32 v7, 5, v4
	s_and_b32 s0, s0, s4
	s_delay_alu instid0(VALU_DEP_2)
	v_cmp_gt_u32_e32 vcc_lo, s40, v6
	v_cndmask_b32_e64 v76, 0, 1, s0
	v_cmp_neq_f32_e64 s0, v3, v8
	v_add_nc_u32_e32 v6, 6, v4
	v_and_b32_e32 v8, 0xffff0000, v46
	v_cndmask_b32_e64 v75, 0, 1, s1
	v_cmp_gt_u32_e64 s1, s40, v7
	s_and_b32 s0, vcc_lo, s0
	v_cmp_gt_u32_e32 vcc_lo, s40, v6
	v_cndmask_b32_e64 v77, 0, 1, s0
	v_cmp_neq_f32_e64 s0, v8, v3
	v_cmp_neq_f32_e64 s4, v9, v8
	v_dual_add_nc_u32 v3, 4, v4 :: v_dual_add_nc_u32 v7, 3, v4
	v_and_b32_e32 v6, 0xffff0000, v49
	s_and_b32 s0, vcc_lo, s0
	s_and_b32 s1, s1, s4
	v_cndmask_b32_e64 v78, 0, 1, s0
	v_cmp_gt_u32_e32 vcc_lo, s40, v3
	v_cmp_neq_f32_e64 s0, v6, v9
	v_lshlrev_b32_e32 v3, 16, v49
	v_cndmask_b32_e64 v79, 0, 1, s1
	v_cmp_gt_u32_e64 s1, s40, v7
	v_add_nc_u32_e32 v7, 2, v4
	s_and_b32 s0, vcc_lo, s0
	v_and_b32_e32 v8, 0xffff0000, v48
	v_cmp_neq_f32_e32 vcc_lo, v3, v6
	v_cndmask_b32_e64 v80, 0, 1, s0
	v_cmp_gt_u32_e64 s0, s40, v7
	v_or_b32_e32 v6, 1, v4
	v_lshlrev_b32_e32 v7, 16, v48
	v_cmp_neq_f32_e64 s4, v8, v3
	s_and_b32 s1, s1, vcc_lo
	s_delay_alu instid0(SALU_CYCLE_1)
	v_cndmask_b32_e64 v81, 0, 1, s1
	v_cmp_gt_u32_e32 vcc_lo, s40, v6
	v_cmp_neq_f32_e64 s1, v7, v8
	s_and_b32 s0, s0, s4
	v_cmp_neq_f32_e64 s4, v7, v2
	v_cndmask_b32_e64 v82, 0, 1, s0
	v_cmp_gt_u32_e64 s0, s40, v4
	s_and_b32 s1, vcc_lo, s1
	s_delay_alu instid0(SALU_CYCLE_1)
	v_cndmask_b32_e64 v83, 0, 1, s1
	s_and_b32 s44, s0, s4
.LBB848_78:
	s_mov_b32 s43, -1
	s_cbranch_execnz .LBB848_87
.LBB848_79:
	s_wait_loadcnt 0x0
	v_mad_i32_i24 v2, 0xffffffc6, v0, v5
	v_and_b32_e32 v33, 0xffff0000, v1
	v_dual_lshlrev_b32 v32, 16, v1 :: v_dual_lshlrev_b32 v28, 16, v36
	v_and_b32_e32 v31, 0xffff0000, v37
	v_dual_lshlrev_b32 v30, 16, v37 :: v_dual_lshlrev_b32 v26, 16, v39
	v_and_b32_e32 v29, 0xffff0000, v36
	v_and_b32_e32 v27, 0xffff0000, v39
	v_and_b32_e32 v25, 0xffff0000, v38
	v_dual_lshlrev_b32 v24, 16, v38 :: v_dual_lshlrev_b32 v21, 16, v41
	v_and_b32_e32 v23, 0xffff0000, v41
	v_and_b32_e32 v22, 0xffff0000, v40
	v_dual_lshlrev_b32 v20, 16, v40 :: v_dual_lshlrev_b32 v18, 16, v43
	v_and_b32_e32 v19, 0xffff0000, v43
	v_and_b32_e32 v17, 0xffff0000, v42
	;; [unrolled: 3-line block ×5, first 2 shown]
	v_lshlrev_b32_e32 v3, 16, v48
	s_and_b32 vcc_lo, exec_lo, s38
	ds_store_b16_d16_hi v2, v1
	s_cbranch_vccz .LBB848_83
; %bb.80:
	v_cmp_neq_f32_e64 s0, v31, v32
	v_cmp_neq_f32_e64 s1, v30, v31
	v_cmp_neq_f32_e64 s4, v29, v30
	v_cmp_neq_f32_e64 s5, v28, v29
	v_cmp_neq_f32_e64 s6, v27, v28
	v_cmp_neq_f32_e64 s7, v26, v27
	v_cmp_neq_f32_e64 s8, v25, v26
	v_cmp_neq_f32_e64 s9, v24, v25
	v_cmp_neq_f32_e64 s10, v23, v24
	v_cmp_neq_f32_e64 s11, v21, v23
	v_cmp_neq_f32_e64 s12, v22, v21
	v_cmp_neq_f32_e64 s13, v20, v22
	v_cmp_neq_f32_e64 s14, v19, v20
	v_cmp_neq_f32_e64 s15, v18, v19
	v_cmp_neq_f32_e64 s16, v17, v18
	v_cmp_neq_f32_e64 s17, v16, v17
	v_cmp_neq_f32_e64 s18, v15, v16
	v_cmp_neq_f32_e64 s19, v14, v15
	v_cmp_neq_f32_e64 s20, v13, v14
	v_cmp_neq_f32_e64 s21, v11, v13
	v_cmp_neq_f32_e64 s22, v12, v11
	v_cmp_neq_f32_e64 s23, v10, v12
	v_cmp_neq_f32_e64 s24, v9, v10
	v_cmp_neq_f32_e64 s25, v7, v9
	v_cmp_neq_f32_e64 s26, v8, v7
	v_cmp_neq_f32_e64 s27, v6, v8
	v_cmp_neq_f32_e64 s28, v5, v6
	v_cmp_neq_f32_e64 s29, v3, v5
	v_cmp_neq_f32_e32 vcc_lo, v32, v33
	s_wait_dscnt 0x0
	s_barrier_signal -1
	s_barrier_wait -1
                                        ; implicit-def: $sgpr44
	s_and_saveexec_b32 s45, s3
	s_delay_alu instid0(SALU_CYCLE_1)
	s_xor_b32 s45, exec_lo, s45
	s_cbranch_execz .LBB848_82
; %bb.81:
	v_add_nc_u32_e32 v50, -2, v2
	s_or_b32 s43, s43, exec_lo
	ds_load_u16 v50, v50
	s_wait_dscnt 0x0
	v_lshlrev_b32_e32 v50, 16, v50
	s_delay_alu instid0(VALU_DEP_1)
	v_cmp_neq_f32_e64 s44, v3, v50
.LBB848_82:
	s_or_b32 exec_lo, exec_lo, s45
	v_cndmask_b32_e64 v53, 0, 1, vcc_lo
	v_cndmask_b32_e64 v56, 0, 1, s0
	v_cndmask_b32_e64 v57, 0, 1, s1
	;; [unrolled: 1-line block ×28, first 2 shown]
	s_branch .LBB848_87
.LBB848_83:
                                        ; implicit-def: $sgpr44
                                        ; implicit-def: $vgpr83
                                        ; implicit-def: $vgpr82
                                        ; implicit-def: $vgpr81
                                        ; implicit-def: $vgpr80
                                        ; implicit-def: $vgpr79
                                        ; implicit-def: $vgpr78
                                        ; implicit-def: $vgpr77
                                        ; implicit-def: $vgpr76
                                        ; implicit-def: $vgpr75
                                        ; implicit-def: $vgpr74
                                        ; implicit-def: $vgpr73
                                        ; implicit-def: $vgpr72
                                        ; implicit-def: $vgpr71
                                        ; implicit-def: $vgpr70
                                        ; implicit-def: $vgpr69
                                        ; implicit-def: $vgpr68
                                        ; implicit-def: $vgpr67
                                        ; implicit-def: $vgpr66
                                        ; implicit-def: $vgpr65
                                        ; implicit-def: $vgpr64
                                        ; implicit-def: $vgpr63
                                        ; implicit-def: $vgpr62
                                        ; implicit-def: $vgpr61
                                        ; implicit-def: $vgpr60
                                        ; implicit-def: $vgpr59
                                        ; implicit-def: $vgpr58
                                        ; implicit-def: $vgpr57
                                        ; implicit-def: $vgpr56
                                        ; implicit-def: $vgpr53
	s_cbranch_execz .LBB848_87
; %bb.84:
	v_add_nc_u32_e32 v50, 29, v4
	v_cmp_neq_f32_e32 vcc_lo, v32, v33
	v_dual_add_nc_u32 v33, 28, v4 :: v_dual_add_nc_u32 v51, 27, v4
	v_cmp_neq_f32_e64 s0, v31, v32
	s_delay_alu instid0(VALU_DEP_4)
	v_cmp_gt_u32_e64 s1, s40, v50
	v_add_nc_u32_e32 v32, 26, v4
	v_cmp_neq_f32_e64 s4, v30, v31
	v_cmp_gt_u32_e64 s5, s40, v33
	v_cmp_gt_u32_e64 s6, s40, v51
	s_and_b32 s11, s1, vcc_lo
	v_cmp_gt_u32_e32 vcc_lo, s40, v32
	v_add_nc_u32_e32 v31, 25, v4
	v_cmp_neq_f32_e64 s1, v29, v30
	v_add_nc_u32_e32 v30, 24, v4
	s_and_b32 s12, s5, s0
	s_and_b32 s13, s6, s4
	v_cmp_gt_u32_e64 s0, s40, v31
	s_and_b32 s14, vcc_lo, s1
	v_cmp_neq_f32_e32 vcc_lo, v28, v29
	v_add_nc_u32_e32 v29, 23, v4
	v_cmp_gt_u32_e64 s1, s40, v30
	v_cmp_neq_f32_e64 s4, v27, v28
	v_add_nc_u32_e32 v28, 22, v4
	s_and_b32 s15, s0, vcc_lo
	v_cmp_gt_u32_e32 vcc_lo, s40, v29
	v_cmp_neq_f32_e64 s0, v26, v27
	s_and_b32 s16, s1, s4
	v_cmp_gt_u32_e64 s1, s40, v28
	v_add_nc_u32_e32 v27, 21, v4
	v_cmp_neq_f32_e64 s4, v25, v26
	v_dual_add_nc_u32 v26, 20, v4 :: v_dual_add_nc_u32 v28, 19, v4
	s_and_b32 s17, vcc_lo, s0
	v_cmp_gt_u32_e32 vcc_lo, s40, v27
	s_and_b32 s18, s1, s4
	v_cmp_neq_f32_e64 s0, v24, v25
	v_cmp_gt_u32_e64 s1, s40, v26
	v_cmp_neq_f32_e64 s5, v23, v24
	v_cmp_neq_f32_e64 s6, v21, v23
	v_add_nc_u32_e32 v23, 18, v4
	v_cmp_gt_u32_e64 s4, s40, v28
	v_dual_add_nc_u32 v24, 17, v4 :: v_dual_add_nc_u32 v25, 16, v4
	s_and_b32 s19, vcc_lo, s0
	s_and_b32 s20, s1, s5
	s_and_b32 s21, s4, s6
	v_cmp_gt_u32_e32 vcc_lo, s40, v23
	v_cmp_gt_u32_e64 s0, s40, v24
	v_cmp_neq_f32_e64 s1, v22, v21
	v_cmp_neq_f32_e64 s4, v20, v22
	v_add_nc_u32_e32 v21, 15, v4
	v_cmp_neq_f32_e64 s6, v19, v20
	v_add_nc_u32_e32 v20, 14, v4
	s_and_b32 s22, vcc_lo, s1
	s_and_b32 s23, s0, s4
	v_cmp_gt_u32_e32 vcc_lo, s40, v21
	v_cmp_neq_f32_e64 s0, v18, v19
	v_add_nc_u32_e32 v19, 13, v4
	v_cmp_gt_u32_e64 s1, s40, v20
	v_cmp_neq_f32_e64 s4, v17, v18
	v_add_nc_u32_e32 v18, 12, v4
	v_cmp_gt_u32_e64 s5, s40, v25
	s_and_b32 s25, vcc_lo, s0
	v_cmp_gt_u32_e32 vcc_lo, s40, v19
	v_cmp_neq_f32_e64 s0, v16, v17
	s_and_b32 s26, s1, s4
	v_cmp_gt_u32_e64 s1, s40, v18
	v_add_nc_u32_e32 v17, 11, v4
	v_cmp_neq_f32_e64 s4, v15, v16
	v_dual_add_nc_u32 v16, 10, v4 :: v_dual_add_nc_u32 v18, 9, v4
	s_and_b32 s24, s5, s6
	s_and_b32 s27, vcc_lo, s0
	v_cmp_gt_u32_e32 vcc_lo, s40, v17
	s_and_b32 s28, s1, s4
	v_cmp_neq_f32_e64 s0, v14, v15
	v_cmp_gt_u32_e64 s1, s40, v16
	v_cmp_neq_f32_e64 s5, v13, v14
	v_cmp_neq_f32_e64 s6, v11, v13
	v_add_nc_u32_e32 v13, 8, v4
	v_cmp_gt_u32_e64 s4, s40, v18
	v_dual_add_nc_u32 v14, 7, v4 :: v_dual_add_nc_u32 v15, 6, v4
	s_and_b32 s29, vcc_lo, s0
	s_and_b32 s45, s1, s5
	s_and_b32 s46, s4, s6
	v_cmp_gt_u32_e32 vcc_lo, s40, v13
	v_cmp_gt_u32_e64 s0, s40, v14
	v_cmp_neq_f32_e64 s1, v12, v11
	v_cmp_neq_f32_e64 s4, v10, v12
	v_add_nc_u32_e32 v11, 5, v4
	v_cmp_neq_f32_e64 s6, v9, v10
	v_add_nc_u32_e32 v10, 4, v4
	v_cmp_gt_u32_e64 s5, s40, v15
	s_and_b32 s47, vcc_lo, s1
	s_and_b32 s48, s0, s4
	v_cmp_gt_u32_e32 vcc_lo, s40, v11
	v_add_nc_u32_e32 v11, 3, v4
	v_cmp_neq_f32_e64 s0, v7, v9
	v_cmp_gt_u32_e64 s1, s40, v10
	v_dual_add_nc_u32 v9, 2, v4 :: v_dual_bitop2_b32 v10, 1, v4 bitop3:0x54
	s_and_b32 s49, s5, s6
	v_cmp_gt_u32_e64 s4, s40, v11
	v_cmp_neq_f32_e64 s5, v8, v7
	v_cmp_neq_f32_e64 s6, v6, v8
	v_cmp_gt_u32_e64 s7, s40, v9
	v_cmp_gt_u32_e64 s8, s40, v10
	v_cmp_neq_f32_e64 s9, v5, v6
	v_cmp_neq_f32_e64 s10, v3, v5
	s_and_b32 s50, vcc_lo, s0
	s_and_b32 s1, s1, s5
	s_and_b32 s4, s4, s6
	;; [unrolled: 1-line block ×4, first 2 shown]
	s_wait_dscnt 0x0
	s_barrier_signal -1
	s_barrier_wait -1
                                        ; implicit-def: $sgpr44
	s_and_saveexec_b32 s7, s3
	s_cbranch_execz .LBB848_86
; %bb.85:
	v_add_nc_u32_e32 v2, -2, v2
	v_cmp_gt_u32_e32 vcc_lo, s40, v4
	s_or_b32 s43, s43, exec_lo
	ds_load_u16 v2, v2
	s_wait_dscnt 0x0
	v_lshlrev_b32_e32 v2, 16, v2
	s_delay_alu instid0(VALU_DEP_1)
	v_cmp_neq_f32_e64 s0, v3, v2
	s_and_b32 s44, vcc_lo, s0
.LBB848_86:
	s_or_b32 exec_lo, exec_lo, s7
	v_cndmask_b32_e64 v53, 0, 1, s11
	v_cndmask_b32_e64 v56, 0, 1, s12
	;; [unrolled: 1-line block ×29, first 2 shown]
.LBB848_87:
	v_mov_b32_e32 v54, 1
	s_and_saveexec_b32 s0, s43
; %bb.88:
	v_cndmask_b32_e64 v54, 0, 1, s44
; %bb.89:
	s_or_b32 exec_lo, exec_lo, s0
	s_delay_alu instid0(SALU_CYCLE_1)
	s_and_not1_b32 vcc_lo, exec_lo, s41
	s_cbranch_vccnz .LBB848_91
; %bb.90:
	v_cmp_gt_u32_e32 vcc_lo, s40, v4
	s_wait_loadcnt 0x0
	v_dual_add_nc_u32 v5, 4, v4 :: v_dual_bitop2_b32 v2, 1, v4 bitop3:0x54
	v_cndmask_b32_e32 v54, 0, v54, vcc_lo
	s_delay_alu instid0(VALU_DEP_2) | instskip(SKIP_2) | instid1(VALU_DEP_2)
	v_cmp_gt_u32_e32 vcc_lo, s40, v2
	v_dual_add_nc_u32 v3, 2, v4 :: v_dual_add_nc_u32 v2, 3, v4
	v_cndmask_b32_e32 v83, 0, v83, vcc_lo
	v_cmp_gt_u32_e32 vcc_lo, s40, v3
	v_dual_cndmask_b32 v82, 0, v82 :: v_dual_add_nc_u32 v3, 5, v4
	s_delay_alu instid0(VALU_DEP_4)
	v_cmp_gt_u32_e32 vcc_lo, s40, v2
	v_cndmask_b32_e32 v81, 0, v81, vcc_lo
	v_cmp_gt_u32_e32 vcc_lo, s40, v5
	v_add_nc_u32_e32 v5, 8, v4
	v_cndmask_b32_e32 v80, 0, v80, vcc_lo
	v_cmp_gt_u32_e32 vcc_lo, s40, v3
	v_dual_add_nc_u32 v2, 6, v4 :: v_dual_add_nc_u32 v3, 7, v4
	v_cndmask_b32_e32 v79, 0, v79, vcc_lo
	s_delay_alu instid0(VALU_DEP_2) | instskip(SKIP_1) | instid1(VALU_DEP_4)
	v_cmp_gt_u32_e32 vcc_lo, s40, v2
	v_dual_add_nc_u32 v2, 9, v4 :: v_dual_cndmask_b32 v78, 0, v78, vcc_lo
	v_cmp_gt_u32_e32 vcc_lo, s40, v3
	v_cndmask_b32_e32 v77, 0, v77, vcc_lo
	v_cmp_gt_u32_e32 vcc_lo, s40, v5
	v_add_nc_u32_e32 v5, 12, v4
	v_cndmask_b32_e32 v76, 0, v76, vcc_lo
	v_cmp_gt_u32_e32 vcc_lo, s40, v2
	v_dual_add_nc_u32 v3, 10, v4 :: v_dual_add_nc_u32 v2, 11, v4
	v_cndmask_b32_e32 v75, 0, v75, vcc_lo
	s_delay_alu instid0(VALU_DEP_2) | instskip(SKIP_1) | instid1(VALU_DEP_4)
	v_cmp_gt_u32_e32 vcc_lo, s40, v3
	v_dual_cndmask_b32 v74, 0, v74 :: v_dual_add_nc_u32 v3, 13, v4
	v_cmp_gt_u32_e32 vcc_lo, s40, v2
	v_cndmask_b32_e32 v73, 0, v73, vcc_lo
	v_cmp_gt_u32_e32 vcc_lo, s40, v5
	v_add_nc_u32_e32 v5, 16, v4
	v_cndmask_b32_e32 v72, 0, v72, vcc_lo
	v_cmp_gt_u32_e32 vcc_lo, s40, v3
	v_dual_add_nc_u32 v2, 14, v4 :: v_dual_add_nc_u32 v3, 15, v4
	v_cndmask_b32_e32 v71, 0, v71, vcc_lo
	s_delay_alu instid0(VALU_DEP_2) | instskip(SKIP_1) | instid1(VALU_DEP_4)
	v_cmp_gt_u32_e32 vcc_lo, s40, v2
	v_dual_add_nc_u32 v2, 17, v4 :: v_dual_cndmask_b32 v70, 0, v70, vcc_lo
	v_cmp_gt_u32_e32 vcc_lo, s40, v3
	v_cndmask_b32_e32 v69, 0, v69, vcc_lo
	v_cmp_gt_u32_e32 vcc_lo, s40, v5
	v_add_nc_u32_e32 v5, 20, v4
	v_cndmask_b32_e32 v68, 0, v68, vcc_lo
	v_cmp_gt_u32_e32 vcc_lo, s40, v2
	v_dual_add_nc_u32 v3, 18, v4 :: v_dual_add_nc_u32 v2, 19, v4
	v_cndmask_b32_e32 v67, 0, v67, vcc_lo
	s_delay_alu instid0(VALU_DEP_2) | instskip(SKIP_1) | instid1(VALU_DEP_4)
	v_cmp_gt_u32_e32 vcc_lo, s40, v3
	v_dual_cndmask_b32 v66, 0, v66 :: v_dual_add_nc_u32 v3, 21, v4
	;; [unrolled: 22-line block ×3, first 2 shown]
	v_cmp_gt_u32_e32 vcc_lo, s40, v2
	v_cndmask_b32_e32 v57, 0, v57, vcc_lo
	v_cmp_gt_u32_e32 vcc_lo, s40, v5
	v_cndmask_b32_e32 v56, 0, v56, vcc_lo
	;; [unrolled: 2-line block ×3, first 2 shown]
.LBB848_91:
	s_delay_alu instid0(VALU_DEP_3) | instskip(SKIP_1) | instid1(VALU_DEP_2)
	v_and_b32_e32 v55, 0xff, v56
	s_wait_loadcnt 0x0
	v_and_b32_e32 v2, 0xff, v53
	v_and_b32_e32 v84, 0xff, v58
	;; [unrolled: 1-line block ×5, first 2 shown]
	v_dual_add_nc_u32 v2, v55, v2 :: v_dual_bitop2_b32 v3, 31, v0 bitop3:0x54
	v_and_b32_e32 v88, 0xff, v62
	v_and_b32_e32 v89, 0xff, v61
	;; [unrolled: 1-line block ×3, first 2 shown]
	s_delay_alu instid0(VALU_DEP_4)
	v_add3_u32 v2, v2, v85, v84
	v_and_b32_e32 v91, 0xff, v63
	v_and_b32_e32 v92, 0xff, v66
	v_and_b32_e32 v93, 0xff, v65
	v_and_b32_e32 v94, 0xff, v68
	v_add3_u32 v2, v2, v87, v86
	v_and_b32_e32 v95, 0xff, v67
	v_and_b32_e32 v96, 0xff, v70
	v_and_b32_e32 v97, 0xff, v69
	v_and_b32_e32 v98, 0xff, v72
	v_add3_u32 v2, v2, v89, v88
	v_and_b32_e32 v99, 0xff, v71
	v_and_b32_e32 v100, 0xff, v74
	v_and_b32_e32 v101, 0xff, v73
	v_and_b32_e32 v102, 0xff, v76
	v_add3_u32 v2, v2, v91, v90
	v_and_b32_e32 v103, 0xff, v75
	v_and_b32_e32 v104, 0xff, v78
	v_and_b32_e32 v105, 0xff, v77
	v_and_b32_e32 v107, 0xff, v80
	v_add3_u32 v2, v2, v93, v92
	v_and_b32_e32 v108, 0xff, v79
	v_mbcnt_lo_u32_b32 v112, -1, 0
	v_and_b32_e32 v110, 0xff, v82
	v_and_b32_e32 v111, 0xff, v81
	v_add3_u32 v2, v2, v95, v94
	v_and_b32_e32 v106, 0xffff, v54
	v_and_b32_e32 v109, 0xff, v83
	;; [unrolled: 1-line block ×4, first 2 shown]
	v_add3_u32 v2, v2, v97, v96
	v_lshrrev_b32_e32 v113, 5, v0
	v_cmp_eq_u32_e64 s0, v0, v3
	v_cmp_eq_u32_e64 s6, 0, v4
	v_cmp_lt_u32_e64 s5, 1, v4
	v_add3_u32 v2, v2, v99, v98
	v_cmp_lt_u32_e64 s4, 3, v4
	v_cmp_lt_u32_e64 s3, 7, v4
	v_cmp_eq_u32_e64 s1, 0, v5
	s_and_b32 vcc_lo, exec_lo, s42
	v_add3_u32 v2, v2, v101, v100
	s_mov_b32 s7, -1
	s_wait_dscnt 0x0
	s_barrier_signal -1
	s_barrier_wait -1
	v_add3_u32 v2, v2, v103, v102
	s_delay_alu instid0(VALU_DEP_1) | instskip(NEXT) | instid1(VALU_DEP_1)
	v_add3_u32 v2, v2, v105, v104
	v_add3_u32 v2, v2, v108, v107
	s_delay_alu instid0(VALU_DEP_1) | instskip(NEXT) | instid1(VALU_DEP_1)
	v_add3_u32 v2, v2, v111, v110
	v_add3_u32 v114, v2, v109, v106
	s_cbranch_vccz .LBB848_113
; %bb.92:
	s_delay_alu instid0(VALU_DEP_1) | instskip(NEXT) | instid1(VALU_DEP_1)
	v_mov_b32_dpp v2, v114 row_shr:1 row_mask:0xf bank_mask:0xf
	v_cndmask_b32_e64 v2, v2, 0, s6
	s_delay_alu instid0(VALU_DEP_1) | instskip(NEXT) | instid1(VALU_DEP_1)
	v_add_nc_u32_e32 v2, v2, v114
	v_mov_b32_dpp v3, v2 row_shr:2 row_mask:0xf bank_mask:0xf
	s_delay_alu instid0(VALU_DEP_1) | instskip(NEXT) | instid1(VALU_DEP_1)
	v_cndmask_b32_e64 v3, 0, v3, s5
	v_add_nc_u32_e32 v2, v2, v3
	s_delay_alu instid0(VALU_DEP_1) | instskip(NEXT) | instid1(VALU_DEP_1)
	v_mov_b32_dpp v3, v2 row_shr:4 row_mask:0xf bank_mask:0xf
	v_cndmask_b32_e64 v3, 0, v3, s4
	s_delay_alu instid0(VALU_DEP_1) | instskip(NEXT) | instid1(VALU_DEP_1)
	v_add_nc_u32_e32 v2, v2, v3
	v_mov_b32_dpp v3, v2 row_shr:8 row_mask:0xf bank_mask:0xf
	s_delay_alu instid0(VALU_DEP_1) | instskip(NEXT) | instid1(VALU_DEP_1)
	v_cndmask_b32_e64 v3, 0, v3, s3
	v_add_nc_u32_e32 v2, v2, v3
	ds_swizzle_b32 v3, v2 offset:swizzle(BROADCAST,32,15)
	s_wait_dscnt 0x0
	v_cndmask_b32_e64 v3, v3, 0, s1
	s_delay_alu instid0(VALU_DEP_1)
	v_add_nc_u32_e32 v2, v2, v3
	s_and_saveexec_b32 s7, s0
; %bb.93:
	v_lshlrev_b32_e32 v3, 2, v113
	ds_store_b32 v3, v2
; %bb.94:
	s_or_b32 exec_lo, exec_lo, s7
	s_delay_alu instid0(SALU_CYCLE_1)
	s_mov_b32 s7, exec_lo
	s_wait_dscnt 0x0
	s_barrier_signal -1
	s_barrier_wait -1
	v_cmpx_gt_u32_e32 8, v0
	s_cbranch_execz .LBB848_96
; %bb.95:
	v_and_b32_e32 v5, 7, v112
	s_delay_alu instid0(VALU_DEP_1) | instskip(SKIP_4) | instid1(VALU_DEP_1)
	v_cmp_ne_u32_e32 vcc_lo, 0, v5
	v_lshlrev_b32_e32 v3, 2, v0
	ds_load_b32 v4, v3
	s_wait_dscnt 0x0
	v_mov_b32_dpp v6, v4 row_shr:1 row_mask:0xf bank_mask:0xf
	v_cndmask_b32_e32 v6, 0, v6, vcc_lo
	v_cmp_lt_u32_e32 vcc_lo, 1, v5
	s_delay_alu instid0(VALU_DEP_2) | instskip(NEXT) | instid1(VALU_DEP_1)
	v_add_nc_u32_e32 v4, v6, v4
	v_mov_b32_dpp v6, v4 row_shr:2 row_mask:0xf bank_mask:0xf
	s_delay_alu instid0(VALU_DEP_1) | instskip(SKIP_1) | instid1(VALU_DEP_2)
	v_cndmask_b32_e32 v6, 0, v6, vcc_lo
	v_cmp_lt_u32_e32 vcc_lo, 3, v5
	v_add_nc_u32_e32 v4, v4, v6
	s_delay_alu instid0(VALU_DEP_1) | instskip(NEXT) | instid1(VALU_DEP_1)
	v_mov_b32_dpp v6, v4 row_shr:4 row_mask:0xf bank_mask:0xf
	v_cndmask_b32_e32 v5, 0, v6, vcc_lo
	s_delay_alu instid0(VALU_DEP_1)
	v_add_nc_u32_e32 v4, v4, v5
	ds_store_b32 v3, v4
.LBB848_96:
	s_or_b32 exec_lo, exec_lo, s7
	s_delay_alu instid0(SALU_CYCLE_1)
	s_mov_b32 s8, exec_lo
	v_cmp_gt_u32_e32 vcc_lo, 32, v0
	s_wait_dscnt 0x0
	s_barrier_signal -1
	s_barrier_wait -1
                                        ; implicit-def: $vgpr10
	v_cmpx_lt_u32_e32 31, v0
	s_cbranch_execz .LBB848_98
; %bb.97:
	v_lshl_add_u32 v3, v113, 2, -4
	ds_load_b32 v10, v3
	s_wait_dscnt 0x0
	v_add_nc_u32_e32 v2, v10, v2
.LBB848_98:
	s_or_b32 exec_lo, exec_lo, s8
	v_sub_co_u32 v3, s7, v112, 1
	s_delay_alu instid0(VALU_DEP_1) | instskip(NEXT) | instid1(VALU_DEP_1)
	v_cmp_gt_i32_e64 s8, 0, v3
	v_cndmask_b32_e64 v3, v3, v112, s8
	s_delay_alu instid0(VALU_DEP_1)
	v_lshlrev_b32_e32 v3, 2, v3
	ds_bpermute_b32 v11, v3, v2
	s_and_saveexec_b32 s8, vcc_lo
	s_cbranch_execz .LBB848_118
; %bb.99:
	v_mov_b32_e32 v9, 0
	ds_load_b32 v2, v9 offset:28
	s_and_saveexec_b32 s9, s7
	s_cbranch_execz .LBB848_101
; %bb.100:
	s_add_co_i32 s10, s39, 32
	s_delay_alu instid0(SALU_CYCLE_1)
	v_dual_mov_b32 v3, 1 :: v_dual_mov_b32 v4, s10
	s_wait_dscnt 0x0
	global_store_b64 v4, v[2:3], s[34:35] scale_offset scope:SCOPE_DEV
.LBB848_101:
	s_wait_xcnt 0x0
	s_or_b32 exec_lo, exec_lo, s9
	v_xad_u32 v4, v112, -1, s39
	s_mov_b32 s10, 0
	s_mov_b32 s9, exec_lo
	s_delay_alu instid0(VALU_DEP_1) | instskip(SKIP_4) | instid1(VALU_DEP_1)
	v_add_nc_u32_e32 v8, 32, v4
	global_load_b64 v[6:7], v8, s[34:35] scale_offset scope:SCOPE_DEV
	s_wait_loadcnt 0x0
	v_and_b32_e32 v3, 0xff, v7
	s_wait_xcnt 0x0
	v_cmpx_eq_u16_e32 0, v3
	s_cbranch_execz .LBB848_105
; %bb.102:
	v_lshl_add_u64 v[8:9], v[8:9], 3, s[34:35]
.LBB848_103:                            ; =>This Inner Loop Header: Depth=1
	global_load_b64 v[6:7], v[8:9], off scope:SCOPE_DEV
	s_wait_loadcnt 0x0
	v_and_b32_e32 v3, 0xff, v7
	s_delay_alu instid0(VALU_DEP_1)
	v_cmp_ne_u16_e32 vcc_lo, 0, v3
	s_or_b32 s10, vcc_lo, s10
	s_wait_xcnt 0x0
	s_and_not1_b32 exec_lo, exec_lo, s10
	s_cbranch_execnz .LBB848_103
; %bb.104:
	s_or_b32 exec_lo, exec_lo, s10
.LBB848_105:
	s_delay_alu instid0(SALU_CYCLE_1)
	s_or_b32 exec_lo, exec_lo, s9
	v_cmp_ne_u32_e32 vcc_lo, 31, v112
	v_lshlrev_b32_e64 v13, v112, -1
	v_lshl_or_b32 v20, v112, 2, 64
	v_dual_add_nc_u32 v15, 2, v112 :: v_dual_add_nc_u32 v17, 4, v112
	v_add_co_ci_u32_e64 v3, null, 0, v112, vcc_lo
	v_dual_add_nc_u32 v19, 8, v112 :: v_dual_add_nc_u32 v21, 16, v112
	s_delay_alu instid0(VALU_DEP_2)
	v_lshlrev_b32_e32 v12, 2, v3
	v_and_b32_e32 v3, 0xff, v7
	ds_bpermute_b32 v5, v12, v6
	v_cmp_eq_u16_e32 vcc_lo, 2, v3
	v_and_or_b32 v3, vcc_lo, v13, 0x80000000
	v_cmp_gt_u32_e32 vcc_lo, 30, v112
	s_delay_alu instid0(VALU_DEP_2) | instskip(SKIP_1) | instid1(VALU_DEP_2)
	v_ctz_i32_b32_e32 v3, v3
	v_cndmask_b32_e64 v8, 0, 2, vcc_lo
	v_cmp_lt_u32_e32 vcc_lo, v112, v3
	s_delay_alu instid0(VALU_DEP_2) | instskip(SKIP_3) | instid1(VALU_DEP_2)
	v_add_lshl_u32 v14, v8, v112, 2
	s_wait_dscnt 0x0
	v_cndmask_b32_e32 v5, 0, v5, vcc_lo
	v_cmp_gt_u32_e32 vcc_lo, 28, v112
	v_add_nc_u32_e32 v5, v5, v6
	v_cndmask_b32_e64 v8, 0, 4, vcc_lo
	v_cmp_le_u32_e32 vcc_lo, v15, v3
	ds_bpermute_b32 v6, v14, v5
	v_add_lshl_u32 v16, v8, v112, 2
	s_wait_dscnt 0x0
	v_cndmask_b32_e32 v6, 0, v6, vcc_lo
	v_cmp_gt_u32_e32 vcc_lo, 24, v112
	v_cndmask_b32_e64 v8, 0, 8, vcc_lo
	v_cmp_le_u32_e32 vcc_lo, v17, v3
	s_delay_alu instid0(VALU_DEP_4) | instskip(NEXT) | instid1(VALU_DEP_3)
	v_add_nc_u32_e32 v5, v5, v6
	v_add_lshl_u32 v18, v8, v112, 2
	ds_bpermute_b32 v6, v16, v5
	s_wait_dscnt 0x0
	v_cndmask_b32_e32 v6, 0, v6, vcc_lo
	v_cmp_le_u32_e32 vcc_lo, v19, v3
	s_delay_alu instid0(VALU_DEP_2) | instskip(SKIP_4) | instid1(VALU_DEP_2)
	v_add_nc_u32_e32 v5, v5, v6
	ds_bpermute_b32 v6, v18, v5
	s_wait_dscnt 0x0
	v_cndmask_b32_e32 v6, 0, v6, vcc_lo
	v_cmp_le_u32_e32 vcc_lo, v21, v3
	v_add_nc_u32_e32 v5, v5, v6
	ds_bpermute_b32 v6, v20, v5
	s_wait_dscnt 0x0
	v_cndmask_b32_e32 v3, 0, v6, vcc_lo
	s_delay_alu instid0(VALU_DEP_1)
	v_dual_mov_b32 v5, 0 :: v_dual_add_nc_u32 v6, v5, v3
	s_branch .LBB848_108
.LBB848_106:                            ;   in Loop: Header=BB848_108 Depth=1
	s_or_b32 exec_lo, exec_lo, s9
	v_and_b32_e32 v8, 0xff, v7
	ds_bpermute_b32 v9, v12, v6
	v_subrev_nc_u32_e32 v4, 32, v4
	s_mov_b32 s9, 0
	v_cmp_eq_u16_e32 vcc_lo, 2, v8
	v_and_or_b32 v8, vcc_lo, v13, 0x80000000
	s_delay_alu instid0(VALU_DEP_1) | instskip(NEXT) | instid1(VALU_DEP_1)
	v_ctz_i32_b32_e32 v8, v8
	v_cmp_lt_u32_e32 vcc_lo, v112, v8
	s_wait_dscnt 0x0
	v_cndmask_b32_e32 v9, 0, v9, vcc_lo
	v_cmp_le_u32_e32 vcc_lo, v15, v8
	s_delay_alu instid0(VALU_DEP_2) | instskip(SKIP_4) | instid1(VALU_DEP_2)
	v_add_nc_u32_e32 v6, v9, v6
	ds_bpermute_b32 v9, v14, v6
	s_wait_dscnt 0x0
	v_cndmask_b32_e32 v9, 0, v9, vcc_lo
	v_cmp_le_u32_e32 vcc_lo, v17, v8
	v_add_nc_u32_e32 v6, v6, v9
	ds_bpermute_b32 v9, v16, v6
	s_wait_dscnt 0x0
	v_cndmask_b32_e32 v9, 0, v9, vcc_lo
	v_cmp_le_u32_e32 vcc_lo, v19, v8
	s_delay_alu instid0(VALU_DEP_2) | instskip(SKIP_4) | instid1(VALU_DEP_2)
	v_add_nc_u32_e32 v6, v6, v9
	ds_bpermute_b32 v9, v18, v6
	s_wait_dscnt 0x0
	v_cndmask_b32_e32 v9, 0, v9, vcc_lo
	v_cmp_le_u32_e32 vcc_lo, v21, v8
	v_add_nc_u32_e32 v6, v6, v9
	ds_bpermute_b32 v9, v20, v6
	s_wait_dscnt 0x0
	v_cndmask_b32_e32 v8, 0, v9, vcc_lo
	s_delay_alu instid0(VALU_DEP_1)
	v_add3_u32 v6, v8, v3, v6
.LBB848_107:                            ;   in Loop: Header=BB848_108 Depth=1
	s_and_b32 vcc_lo, exec_lo, s9
	s_cbranch_vccnz .LBB848_114
.LBB848_108:                            ; =>This Loop Header: Depth=1
                                        ;     Child Loop BB848_111 Depth 2
	v_and_b32_e32 v3, 0xff, v7
	s_mov_b32 s9, -1
                                        ; implicit-def: $vgpr7
	s_delay_alu instid0(VALU_DEP_1)
	v_cmp_ne_u16_e32 vcc_lo, 2, v3
	v_mov_b32_e32 v3, v6
                                        ; implicit-def: $vgpr6
	s_cmp_lg_u32 vcc_lo, exec_lo
	s_cbranch_scc1 .LBB848_107
; %bb.109:                              ;   in Loop: Header=BB848_108 Depth=1
	global_load_b64 v[6:7], v4, s[34:35] scale_offset scope:SCOPE_DEV
	s_mov_b32 s9, exec_lo
	s_wait_loadcnt 0x0
	v_and_b32_e32 v8, 0xff, v7
	s_wait_xcnt 0x0
	s_delay_alu instid0(VALU_DEP_1)
	v_cmpx_eq_u16_e32 0, v8
	s_cbranch_execz .LBB848_106
; %bb.110:                              ;   in Loop: Header=BB848_108 Depth=1
	v_lshl_add_u64 v[8:9], v[4:5], 3, s[34:35]
	s_mov_b32 s10, 0
.LBB848_111:                            ;   Parent Loop BB848_108 Depth=1
                                        ; =>  This Inner Loop Header: Depth=2
	global_load_b64 v[6:7], v[8:9], off scope:SCOPE_DEV
	s_wait_loadcnt 0x0
	v_and_b32_e32 v22, 0xff, v7
	s_delay_alu instid0(VALU_DEP_1)
	v_cmp_ne_u16_e32 vcc_lo, 0, v22
	s_or_b32 s10, vcc_lo, s10
	s_wait_xcnt 0x0
	s_and_not1_b32 exec_lo, exec_lo, s10
	s_cbranch_execnz .LBB848_111
; %bb.112:                              ;   in Loop: Header=BB848_108 Depth=1
	s_or_b32 exec_lo, exec_lo, s10
	s_branch .LBB848_106
.LBB848_113:
                                        ; implicit-def: $vgpr52
                                        ; implicit-def: $vgpr50
                                        ; implicit-def: $vgpr2_vgpr3_vgpr4_vgpr5_vgpr6_vgpr7_vgpr8_vgpr9_vgpr10_vgpr11_vgpr12_vgpr13_vgpr14_vgpr15_vgpr16_vgpr17_vgpr18_vgpr19_vgpr20_vgpr21_vgpr22_vgpr23_vgpr24_vgpr25_vgpr26_vgpr27_vgpr28_vgpr29_vgpr30_vgpr31_vgpr32_vgpr33
	s_and_b32 vcc_lo, exec_lo, s7
	s_cbranch_vccnz .LBB848_119
	s_branch .LBB848_128
.LBB848_114:
	s_and_saveexec_b32 s9, s7
	s_cbranch_execz .LBB848_116
; %bb.115:
	s_add_co_i32 s10, s39, 32
	v_dual_mov_b32 v5, 2 :: v_dual_add_nc_u32 v4, v3, v2
	v_dual_mov_b32 v6, s10 :: v_dual_mov_b32 v7, 0
	global_store_b64 v6, v[4:5], s[34:35] scale_offset scope:SCOPE_DEV
	ds_store_b64 v7, v[2:3] offset:15360
.LBB848_116:
	s_wait_xcnt 0x0
	s_or_b32 exec_lo, exec_lo, s9
	s_delay_alu instid0(SALU_CYCLE_1)
	s_and_b32 exec_lo, exec_lo, s2
; %bb.117:
	v_mov_b32_e32 v2, 0
	ds_store_b32 v2, v3 offset:28
.LBB848_118:
	s_or_b32 exec_lo, exec_lo, s8
	s_wait_dscnt 0x0
	v_dual_mov_b32 v28, 0 :: v_dual_cndmask_b32 v3, v11, v10, s7
	s_wait_storecnt 0x0
	s_barrier_signal -1
	s_barrier_wait -1
	ds_load_b32 v2, v28 offset:28
	v_cndmask_b32_e64 v3, v3, 0, s2
	s_wait_dscnt 0x0
	s_barrier_signal -1
	s_barrier_wait -1
	ds_load_b64 v[50:51], v28 offset:15360
	v_add_nc_u32_e32 v2, v2, v3
	s_wait_dscnt 0x0
	s_delay_alu instid0(VALU_DEP_1) | instskip(NEXT) | instid1(VALU_DEP_1)
	v_dual_mov_b32 v52, v51 :: v_dual_add_nc_u32 v3, v2, v106
	v_add_nc_u32_e32 v4, v3, v109
	s_delay_alu instid0(VALU_DEP_1) | instskip(NEXT) | instid1(VALU_DEP_1)
	v_add_nc_u32_e32 v5, v4, v110
	v_add_nc_u32_e32 v6, v5, v111
	s_delay_alu instid0(VALU_DEP_1) | instskip(NEXT) | instid1(VALU_DEP_1)
	v_add_nc_u32_e32 v7, v6, v107
	;; [unrolled: 3-line block ×13, first 2 shown]
	v_add_nc_u32_e32 v30, v29, v85
	s_delay_alu instid0(VALU_DEP_1)
	v_add_nc_u32_e32 v31, v30, v55
	s_branch .LBB848_128
.LBB848_119:
	v_mov_b32_dpp v2, v114 row_shr:1 row_mask:0xf bank_mask:0xf
	s_delay_alu instid0(VALU_DEP_1) | instskip(NEXT) | instid1(VALU_DEP_1)
	v_cndmask_b32_e64 v2, v2, 0, s6
	v_add_nc_u32_e32 v2, v2, v114
	s_delay_alu instid0(VALU_DEP_1) | instskip(NEXT) | instid1(VALU_DEP_1)
	v_mov_b32_dpp v3, v2 row_shr:2 row_mask:0xf bank_mask:0xf
	v_cndmask_b32_e64 v3, 0, v3, s5
	s_delay_alu instid0(VALU_DEP_1) | instskip(NEXT) | instid1(VALU_DEP_1)
	v_add_nc_u32_e32 v2, v2, v3
	v_mov_b32_dpp v3, v2 row_shr:4 row_mask:0xf bank_mask:0xf
	s_delay_alu instid0(VALU_DEP_1) | instskip(NEXT) | instid1(VALU_DEP_1)
	v_cndmask_b32_e64 v3, 0, v3, s4
	v_add_nc_u32_e32 v2, v2, v3
	s_delay_alu instid0(VALU_DEP_1) | instskip(NEXT) | instid1(VALU_DEP_1)
	v_mov_b32_dpp v3, v2 row_shr:8 row_mask:0xf bank_mask:0xf
	v_cndmask_b32_e64 v3, 0, v3, s3
	s_delay_alu instid0(VALU_DEP_1) | instskip(SKIP_3) | instid1(VALU_DEP_1)
	v_add_nc_u32_e32 v2, v2, v3
	ds_swizzle_b32 v3, v2 offset:swizzle(BROADCAST,32,15)
	s_wait_dscnt 0x0
	v_cndmask_b32_e64 v3, v3, 0, s1
	v_add_nc_u32_e32 v2, v2, v3
	s_and_saveexec_b32 s1, s0
; %bb.120:
	v_lshlrev_b32_e32 v3, 2, v113
	ds_store_b32 v3, v2
; %bb.121:
	s_or_b32 exec_lo, exec_lo, s1
	s_delay_alu instid0(SALU_CYCLE_1)
	s_mov_b32 s0, exec_lo
	s_wait_dscnt 0x0
	s_barrier_signal -1
	s_barrier_wait -1
	v_cmpx_gt_u32_e32 8, v0
	s_cbranch_execz .LBB848_123
; %bb.122:
	v_and_b32_e32 v5, 7, v112
	s_delay_alu instid0(VALU_DEP_1) | instskip(SKIP_4) | instid1(VALU_DEP_1)
	v_cmp_ne_u32_e32 vcc_lo, 0, v5
	v_lshlrev_b32_e32 v3, 2, v0
	ds_load_b32 v4, v3
	s_wait_dscnt 0x0
	v_mov_b32_dpp v6, v4 row_shr:1 row_mask:0xf bank_mask:0xf
	v_cndmask_b32_e32 v6, 0, v6, vcc_lo
	v_cmp_lt_u32_e32 vcc_lo, 1, v5
	s_delay_alu instid0(VALU_DEP_2) | instskip(NEXT) | instid1(VALU_DEP_1)
	v_add_nc_u32_e32 v4, v6, v4
	v_mov_b32_dpp v6, v4 row_shr:2 row_mask:0xf bank_mask:0xf
	s_delay_alu instid0(VALU_DEP_1) | instskip(SKIP_1) | instid1(VALU_DEP_2)
	v_cndmask_b32_e32 v6, 0, v6, vcc_lo
	v_cmp_lt_u32_e32 vcc_lo, 3, v5
	v_add_nc_u32_e32 v4, v4, v6
	s_delay_alu instid0(VALU_DEP_1) | instskip(NEXT) | instid1(VALU_DEP_1)
	v_mov_b32_dpp v6, v4 row_shr:4 row_mask:0xf bank_mask:0xf
	v_cndmask_b32_e32 v5, 0, v6, vcc_lo
	s_delay_alu instid0(VALU_DEP_1)
	v_add_nc_u32_e32 v4, v4, v5
	ds_store_b32 v3, v4
.LBB848_123:
	s_or_b32 exec_lo, exec_lo, s0
	v_dual_mov_b32 v4, 0 :: v_dual_mov_b32 v3, 0
	s_mov_b32 s0, exec_lo
	s_wait_dscnt 0x0
	s_barrier_signal -1
	s_barrier_wait -1
	v_cmpx_lt_u32_e32 31, v0
; %bb.124:
	v_lshl_add_u32 v3, v113, 2, -4
	ds_load_b32 v3, v3
; %bb.125:
	s_or_b32 exec_lo, exec_lo, s0
	v_sub_co_u32 v5, vcc_lo, v112, 1
	ds_load_b32 v50, v4 offset:28
	s_wait_dscnt 0x1
	v_add_nc_u32_e32 v2, v3, v2
	v_cmp_gt_i32_e64 s0, 0, v5
	s_delay_alu instid0(VALU_DEP_1) | instskip(NEXT) | instid1(VALU_DEP_1)
	v_cndmask_b32_e64 v5, v5, v112, s0
	v_lshlrev_b32_e32 v5, 2, v5
	ds_bpermute_b32 v2, v5, v2
	s_and_saveexec_b32 s0, s2
	s_cbranch_execz .LBB848_127
; %bb.126:
	v_dual_mov_b32 v4, 0 :: v_dual_mov_b32 v51, 2
	s_wait_dscnt 0x1
	global_store_b64 v4, v[50:51], s[34:35] offset:256 scope:SCOPE_DEV
.LBB848_127:
	s_wait_xcnt 0x0
	s_or_b32 exec_lo, exec_lo, s0
	s_wait_dscnt 0x0
	v_dual_cndmask_b32 v2, v2, v3, vcc_lo :: v_dual_mov_b32 v52, 0
	s_wait_storecnt 0x0
	s_barrier_signal -1
	s_barrier_wait -1
	s_delay_alu instid0(VALU_DEP_1) | instskip(NEXT) | instid1(VALU_DEP_1)
	v_cndmask_b32_e64 v2, v2, 0, s2
	v_add_nc_u32_e32 v3, v2, v106
	s_delay_alu instid0(VALU_DEP_1) | instskip(NEXT) | instid1(VALU_DEP_1)
	v_add_nc_u32_e32 v4, v3, v109
	v_add_nc_u32_e32 v5, v4, v110
	s_delay_alu instid0(VALU_DEP_1) | instskip(NEXT) | instid1(VALU_DEP_1)
	v_add_nc_u32_e32 v6, v5, v111
	;; [unrolled: 3-line block ×14, first 2 shown]
	v_add_nc_u32_e32 v31, v30, v55
.LBB848_128:
	v_cmp_gt_u32_e32 vcc_lo, 0x101, v50
	v_lshlrev_b64_e32 v[32:33], 1, v[34:35]
	v_and_b32_e32 v51, 1, v54
	s_mov_b32 s0, -1
	s_cbranch_vccnz .LBB848_132
; %bb.129:
	s_and_b32 vcc_lo, exec_lo, s0
	s_cbranch_vccnz .LBB848_193
.LBB848_130:
	s_and_b32 s0, s2, s33
	s_delay_alu instid0(SALU_CYCLE_1)
	s_and_saveexec_b32 s1, s0
	s_cbranch_execnz .LBB848_268
.LBB848_131:
	s_sendmsg sendmsg(MSG_DEALLOC_VGPRS)
	s_endpgm
.LBB848_132:
	v_add_nc_u32_e32 v84, v52, v50
	s_delay_alu instid0(VALU_DEP_3) | instskip(SKIP_1) | instid1(VALU_DEP_3)
	v_add_nc_u64_e32 v[54:55], s[30:31], v[32:33]
	v_cmp_eq_u32_e64 s0, 1, v51
	v_cmp_lt_u32_e32 vcc_lo, v2, v84
	s_or_b32 s1, s38, vcc_lo
	s_delay_alu instid0(SALU_CYCLE_1) | instskip(NEXT) | instid1(SALU_CYCLE_1)
	s_and_b32 s1, s1, s0
	s_and_saveexec_b32 s0, s1
	s_cbranch_execz .LBB848_134
; %bb.133:
	v_readfirstlane_b32 s4, v54
	v_readfirstlane_b32 s5, v55
	global_store_b16 v2, v48, s[4:5] scale_offset
.LBB848_134:
	s_wait_xcnt 0x0
	s_or_b32 exec_lo, exec_lo, s0
	v_and_b32_e32 v85, 1, v83
	v_cmp_lt_u32_e32 vcc_lo, v3, v84
	s_delay_alu instid0(VALU_DEP_2) | instskip(SKIP_1) | instid1(SALU_CYCLE_1)
	v_cmp_eq_u32_e64 s0, 1, v85
	s_or_b32 s1, s38, vcc_lo
	s_and_b32 s1, s1, s0
	s_delay_alu instid0(SALU_CYCLE_1)
	s_and_saveexec_b32 s0, s1
	s_cbranch_execz .LBB848_136
; %bb.135:
	v_readfirstlane_b32 s4, v54
	v_readfirstlane_b32 s5, v55
	global_store_d16_hi_b16 v3, v48, s[4:5] scale_offset
.LBB848_136:
	s_wait_xcnt 0x0
	s_or_b32 exec_lo, exec_lo, s0
	v_and_b32_e32 v85, 1, v82
	v_cmp_lt_u32_e32 vcc_lo, v4, v84
	s_delay_alu instid0(VALU_DEP_2) | instskip(SKIP_1) | instid1(SALU_CYCLE_1)
	v_cmp_eq_u32_e64 s0, 1, v85
	s_or_b32 s1, s38, vcc_lo
	s_and_b32 s1, s1, s0
	s_delay_alu instid0(SALU_CYCLE_1)
	s_and_saveexec_b32 s0, s1
	s_cbranch_execz .LBB848_138
; %bb.137:
	v_readfirstlane_b32 s4, v54
	v_readfirstlane_b32 s5, v55
	global_store_b16 v4, v49, s[4:5] scale_offset
.LBB848_138:
	s_wait_xcnt 0x0
	s_or_b32 exec_lo, exec_lo, s0
	v_and_b32_e32 v85, 1, v81
	v_cmp_lt_u32_e32 vcc_lo, v5, v84
	s_delay_alu instid0(VALU_DEP_2) | instskip(SKIP_1) | instid1(SALU_CYCLE_1)
	v_cmp_eq_u32_e64 s0, 1, v85
	s_or_b32 s1, s38, vcc_lo
	s_and_b32 s1, s1, s0
	s_delay_alu instid0(SALU_CYCLE_1)
	s_and_saveexec_b32 s0, s1
	s_cbranch_execz .LBB848_140
; %bb.139:
	v_readfirstlane_b32 s4, v54
	v_readfirstlane_b32 s5, v55
	global_store_d16_hi_b16 v5, v49, s[4:5] scale_offset
.LBB848_140:
	s_wait_xcnt 0x0
	s_or_b32 exec_lo, exec_lo, s0
	v_and_b32_e32 v85, 1, v80
	v_cmp_lt_u32_e32 vcc_lo, v6, v84
	s_delay_alu instid0(VALU_DEP_2) | instskip(SKIP_1) | instid1(SALU_CYCLE_1)
	v_cmp_eq_u32_e64 s0, 1, v85
	s_or_b32 s1, s38, vcc_lo
	s_and_b32 s1, s1, s0
	s_delay_alu instid0(SALU_CYCLE_1)
	;; [unrolled: 32-line block ×14, first 2 shown]
	s_and_saveexec_b32 s0, s1
	s_cbranch_execz .LBB848_190
; %bb.189:
	v_readfirstlane_b32 s4, v54
	v_readfirstlane_b32 s5, v55
	global_store_b16 v30, v1, s[4:5] scale_offset
.LBB848_190:
	s_wait_xcnt 0x0
	s_or_b32 exec_lo, exec_lo, s0
	v_and_b32_e32 v85, 1, v53
	v_cmp_lt_u32_e32 vcc_lo, v31, v84
	s_delay_alu instid0(VALU_DEP_2) | instskip(SKIP_1) | instid1(SALU_CYCLE_1)
	v_cmp_eq_u32_e64 s0, 1, v85
	s_or_b32 s1, s38, vcc_lo
	s_and_b32 s1, s1, s0
	s_delay_alu instid0(SALU_CYCLE_1)
	s_and_saveexec_b32 s0, s1
	s_cbranch_execz .LBB848_192
; %bb.191:
	v_readfirstlane_b32 s4, v54
	v_readfirstlane_b32 s5, v55
	global_store_d16_hi_b16 v31, v1, s[4:5] scale_offset
.LBB848_192:
	s_wait_xcnt 0x0
	s_or_b32 exec_lo, exec_lo, s0
	s_branch .LBB848_130
.LBB848_193:
	s_mov_b32 s0, exec_lo
	v_cmpx_eq_u32_e32 1, v51
; %bb.194:
	v_sub_nc_u32_e32 v2, v2, v52
	s_delay_alu instid0(VALU_DEP_1)
	v_lshlrev_b32_e32 v2, 1, v2
	ds_store_b16 v2, v48
; %bb.195:
	s_or_b32 exec_lo, exec_lo, s0
	v_and_b32_e32 v2, 1, v83
	s_mov_b32 s0, exec_lo
	s_delay_alu instid0(VALU_DEP_1)
	v_cmpx_eq_u32_e32 1, v2
; %bb.196:
	v_sub_nc_u32_e32 v2, v3, v52
	s_delay_alu instid0(VALU_DEP_1)
	v_lshlrev_b32_e32 v2, 1, v2
	ds_store_b16_d16_hi v2, v48
; %bb.197:
	s_or_b32 exec_lo, exec_lo, s0
	v_and_b32_e32 v2, 1, v82
	s_mov_b32 s0, exec_lo
	s_delay_alu instid0(VALU_DEP_1)
	v_cmpx_eq_u32_e32 1, v2
; %bb.198:
	v_sub_nc_u32_e32 v2, v4, v52
	s_delay_alu instid0(VALU_DEP_1)
	v_lshlrev_b32_e32 v2, 1, v2
	ds_store_b16 v2, v49
; %bb.199:
	s_or_b32 exec_lo, exec_lo, s0
	v_and_b32_e32 v2, 1, v81
	s_mov_b32 s0, exec_lo
	s_delay_alu instid0(VALU_DEP_1)
	v_cmpx_eq_u32_e32 1, v2
; %bb.200:
	v_sub_nc_u32_e32 v2, v5, v52
	s_delay_alu instid0(VALU_DEP_1)
	v_lshlrev_b32_e32 v2, 1, v2
	ds_store_b16_d16_hi v2, v49
; %bb.201:
	s_or_b32 exec_lo, exec_lo, s0
	v_and_b32_e32 v2, 1, v80
	s_mov_b32 s0, exec_lo
	s_delay_alu instid0(VALU_DEP_1)
	;; [unrolled: 22-line block ×14, first 2 shown]
	v_cmpx_eq_u32_e32 1, v2
; %bb.250:
	v_sub_nc_u32_e32 v2, v30, v52
	s_delay_alu instid0(VALU_DEP_1)
	v_lshlrev_b32_e32 v2, 1, v2
	ds_store_b16 v2, v1
; %bb.251:
	s_or_b32 exec_lo, exec_lo, s0
	v_and_b32_e32 v2, 1, v53
	s_mov_b32 s0, exec_lo
	s_delay_alu instid0(VALU_DEP_1)
	v_cmpx_eq_u32_e32 1, v2
; %bb.252:
	v_sub_nc_u32_e32 v2, v31, v52
	s_delay_alu instid0(VALU_DEP_1)
	v_lshlrev_b32_e32 v2, 1, v2
	ds_store_b16_d16_hi v2, v1
; %bb.253:
	s_or_b32 exec_lo, exec_lo, s0
	v_or_b32_e32 v1, 0x100, v0
	v_mov_b32_e32 v53, 0
	v_add_nc_u64_e32 v[4:5], s[30:31], v[32:33]
	s_mov_b32 s4, -1
	s_mov_b32 s1, exec_lo
	v_max_u32_e32 v3, v50, v1
	v_lshlrev_b64_e32 v[6:7], 1, v[52:53]
	s_wait_storecnt_dscnt 0x0
	s_barrier_signal -1
	s_barrier_wait -1
	v_xad_u32 v2, v0, -1, v3
	s_delay_alu instid0(VALU_DEP_2) | instskip(NEXT) | instid1(VALU_DEP_2)
	v_add_nc_u64_e32 v[8:9], v[4:5], v[6:7]
	v_cmp_gt_u32_e64 s0, 0x1b00, v2
	v_cmpx_lt_u32_e32 0x1aff, v2
	s_cbranch_execz .LBB848_264
; %bb.254:
	v_sub_nc_u32_e32 v3, v0, v3
	s_mov_b32 s3, exec_lo
	s_delay_alu instid0(VALU_DEP_1) | instskip(NEXT) | instid1(VALU_DEP_1)
	v_or_b32_e32 v3, 0xff, v3
	v_cmpx_ge_u32_e64 v3, v0
	s_cbranch_execz .LBB848_263
; %bb.255:
	v_lshrrev_b32_e32 v12, 8, v2
	v_or_b32_e32 v3, 0x300, v0
	v_or_b32_e32 v2, 0x200, v0
	s_delay_alu instid0(VALU_DEP_3) | instskip(NEXT) | instid1(VALU_DEP_1)
	v_dual_mov_b32 v17, 0 :: v_dual_add_nc_u32 v4, -3, v12
	v_lshrrev_b32_e32 v5, 2, v4
	v_lshlrev_b32_e32 v13, 1, v0
	v_cmp_lt_u32_e32 vcc_lo, 11, v4
	s_delay_alu instid0(VALU_DEP_3)
	v_add_nc_u32_e32 v14, 1, v5
	v_mov_b64_e32 v[6:7], v[2:3]
	v_mov_b64_e32 v[4:5], v[0:1]
	s_and_saveexec_b32 s4, vcc_lo
	s_cbranch_execz .LBB848_259
; %bb.256:
	v_mov_b64_e32 v[6:7], v[2:3]
	v_mov_b64_e32 v[4:5], v[0:1]
	v_and_b32_e32 v15, 0x7ffffffc, v14
	v_dual_mov_b32 v11, 0 :: v_dual_mov_b32 v16, v13
	s_mov_b32 s5, 0
	s_mov_b32 s6, 0
.LBB848_257:                            ; =>This Inner Loop Header: Depth=1
	s_delay_alu instid0(VALU_DEP_1) | instskip(SKIP_2) | instid1(VALU_DEP_3)
	v_dual_mov_b32 v10, v4 :: v_dual_mov_b32 v21, v11
	v_add_nc_u32_e32 v15, -4, v15
	v_dual_mov_b32 v27, v11 :: v_dual_add_nc_u32 v20, 0x400, v5
	v_lshl_add_u64 v[36:37], v[10:11], 1, v[8:9]
	v_mov_b32_e32 v10, v5
	ds_load_u16 v1, v16
	ds_load_u16 v44, v16 offset:512
	ds_load_u16 v45, v16 offset:1024
	;; [unrolled: 1-line block ×7, first 2 shown]
	v_dual_mov_b32 v33, v11 :: v_dual_add_nc_u32 v26, 0x800, v5
	s_add_co_i32 s6, s6, 16
	s_delay_alu instid0(SALU_CYCLE_1)
	v_dual_mov_b32 v17, s6 :: v_dual_add_nc_u32 v32, 0xc00, v5
	v_add_nc_u32_e32 v5, 0x1000, v5
	v_lshl_add_u64 v[38:39], v[10:11], 1, v[8:9]
	v_mov_b32_e32 v10, v6
	ds_load_u16 v53, v16 offset:4096
	ds_load_u16 v54, v16 offset:4608
	;; [unrolled: 1-line block ×8, first 2 shown]
	v_dual_mov_b32 v19, v11 :: v_dual_add_nc_u32 v2, 0x400, v7
	v_dual_mov_b32 v25, v11 :: v_dual_add_nc_u32 v22, 0x800, v7
	v_lshl_add_u64 v[40:41], v[10:11], 1, v[8:9]
	v_mov_b32_e32 v10, v7
	v_dual_mov_b32 v31, v11 :: v_dual_add_nc_u32 v28, 0xc00, v7
	v_add_nc_u32_e32 v7, 0x1000, v7
	s_wait_dscnt 0xf
	global_store_b16 v[36:37], v1, off
	s_wait_dscnt 0xe
	global_store_b16 v[38:39], v44, off
	;; [unrolled: 2-line block ×3, first 2 shown]
	v_lshl_add_u64 v[42:43], v[10:11], 1, v[8:9]
	v_add_nc_u32_e32 v10, 0x400, v4
	v_dual_mov_b32 v3, v11 :: v_dual_add_nc_u32 v18, 0x400, v6
	v_dual_mov_b32 v23, v11 :: v_dual_add_nc_u32 v24, 0x800, v6
	s_wait_xcnt 0x2
	s_delay_alu instid0(VALU_DEP_3)
	v_lshl_add_u64 v[36:37], v[10:11], 1, v[8:9]
	v_add_nc_u32_e32 v10, 0x800, v4
	v_cmp_eq_u32_e32 vcc_lo, 0, v15
	v_lshl_add_u64 v[20:21], v[20:21], 1, v[8:9]
	s_wait_dscnt 0xc
	global_store_b16 v[42:43], v46, off
	s_wait_dscnt 0xb
	global_store_b16 v[36:37], v47, off
	v_dual_mov_b32 v29, v11 :: v_dual_add_nc_u32 v30, 0xc00, v6
	s_wait_xcnt 0x0
	v_lshl_add_u64 v[36:37], v[10:11], 1, v[8:9]
	v_add_nc_u32_e32 v10, 0xc00, v4
	v_add_nc_u32_e32 v16, 0x2000, v16
	v_lshl_add_u64 v[18:19], v[18:19], 1, v[8:9]
	v_add_nc_u32_e32 v6, 0x1000, v6
	v_add_nc_u32_e32 v4, 0x1000, v4
	v_lshl_add_u64 v[2:3], v[2:3], 1, v[8:9]
	v_lshl_add_u64 v[26:27], v[26:27], 1, v[8:9]
	;; [unrolled: 1-line block ×4, first 2 shown]
	s_or_b32 s5, vcc_lo, s5
	s_wait_dscnt 0xa
	global_store_b16 v[20:21], v48, off
	s_wait_dscnt 0x9
	global_store_b16 v[18:19], v49, off
	;; [unrolled: 2-line block ×3, first 2 shown]
	s_wait_xcnt 0x0
	v_lshl_add_u64 v[2:3], v[10:11], 1, v[8:9]
	v_lshl_add_u64 v[32:33], v[32:33], 1, v[8:9]
	;; [unrolled: 1-line block ×4, first 2 shown]
	s_wait_dscnt 0x7
	global_store_b16 v[36:37], v53, off
	s_wait_dscnt 0x6
	global_store_b16 v[26:27], v54, off
	;; [unrolled: 2-line block ×8, first 2 shown]
	s_wait_xcnt 0x0
	s_and_not1_b32 exec_lo, exec_lo, s5
	s_cbranch_execnz .LBB848_257
; %bb.258:
	s_or_b32 exec_lo, exec_lo, s5
.LBB848_259:
	s_delay_alu instid0(SALU_CYCLE_1) | instskip(SKIP_3) | instid1(VALU_DEP_1)
	s_or_b32 exec_lo, exec_lo, s4
	v_and_b32_e32 v1, 3, v14
	s_mov_b32 s5, 0
	s_mov_b32 s4, exec_lo
	v_cmpx_ne_u32_e32 0, v1
	s_cbranch_execz .LBB848_262
; %bb.260:
	v_lshl_or_b32 v10, v17, 9, v13
	v_mov_b32_e32 v3, 0
.LBB848_261:                            ; =>This Inner Loop Header: Depth=1
	v_dual_mov_b32 v2, v4 :: v_dual_add_nc_u32 v1, -1, v1
	ds_load_u16 v11, v10
	ds_load_u16 v13, v10 offset:512
	ds_load_u16 v22, v10 offset:1024
	;; [unrolled: 1-line block ×3, first 2 shown]
	v_add_nc_u32_e32 v4, 0x400, v4
	v_add_nc_u32_e32 v10, 0x800, v10
	v_lshl_add_u64 v[14:15], v[2:3], 1, v[8:9]
	v_dual_mov_b32 v2, v5 :: v_dual_add_nc_u32 v5, 0x400, v5
	v_cmp_eq_u32_e32 vcc_lo, 0, v1
	s_delay_alu instid0(VALU_DEP_2) | instskip(SKIP_3) | instid1(VALU_DEP_2)
	v_lshl_add_u64 v[16:17], v[2:3], 1, v[8:9]
	v_mov_b32_e32 v2, v6
	v_add_nc_u32_e32 v6, 0x400, v6
	s_or_b32 s5, vcc_lo, s5
	v_lshl_add_u64 v[18:19], v[2:3], 1, v[8:9]
	v_dual_mov_b32 v2, v7 :: v_dual_add_nc_u32 v7, 0x400, v7
	s_delay_alu instid0(VALU_DEP_1)
	v_lshl_add_u64 v[20:21], v[2:3], 1, v[8:9]
	s_wait_dscnt 0x3
	global_store_b16 v[14:15], v11, off
	s_wait_dscnt 0x2
	global_store_b16 v[16:17], v13, off
	;; [unrolled: 2-line block ×4, first 2 shown]
	s_wait_xcnt 0x0
	s_and_not1_b32 exec_lo, exec_lo, s5
	s_cbranch_execnz .LBB848_261
.LBB848_262:
	s_or_b32 exec_lo, exec_lo, s4
	v_add_nc_u32_e32 v1, 1, v12
	s_delay_alu instid0(VALU_DEP_1) | instskip(NEXT) | instid1(VALU_DEP_1)
	v_and_b32_e32 v2, 0x1fffffc, v1
	v_cmp_ne_u32_e32 vcc_lo, v1, v2
	v_lshl_or_b32 v0, v2, 8, v0
	s_or_not1_b32 s4, vcc_lo, exec_lo
.LBB848_263:
	s_or_b32 exec_lo, exec_lo, s3
	s_delay_alu instid0(SALU_CYCLE_1) | instskip(SKIP_1) | instid1(SALU_CYCLE_1)
	s_and_not1_b32 s0, s0, exec_lo
	s_and_b32 s3, s4, exec_lo
	s_or_b32 s0, s0, s3
.LBB848_264:
	s_or_b32 exec_lo, exec_lo, s1
	s_and_saveexec_b32 s1, s0
	s_cbranch_execz .LBB848_267
; %bb.265:
	v_lshlrev_b32_e32 v1, 1, v0
	s_mov_b32 s0, 0
.LBB848_266:                            ; =>This Inner Loop Header: Depth=1
	ds_load_u16 v2, v1
	v_readfirstlane_b32 s4, v8
	v_readfirstlane_b32 s5, v9
	v_add_nc_u32_e32 v1, 0x200, v1
	s_wait_dscnt 0x0
	global_store_b16 v0, v2, s[4:5] scale_offset
	s_wait_xcnt 0x0
	v_add_nc_u32_e32 v0, 0x100, v0
	s_delay_alu instid0(VALU_DEP_1) | instskip(SKIP_1) | instid1(SALU_CYCLE_1)
	v_cmp_ge_u32_e32 vcc_lo, v0, v50
	s_or_b32 s0, vcc_lo, s0
	s_and_not1_b32 exec_lo, exec_lo, s0
	s_cbranch_execnz .LBB848_266
.LBB848_267:
	s_or_b32 exec_lo, exec_lo, s1
	s_and_b32 s0, s2, s33
	s_delay_alu instid0(SALU_CYCLE_1)
	s_and_saveexec_b32 s1, s0
	s_cbranch_execz .LBB848_131
.LBB848_268:
	v_mov_b32_e32 v51, 0
	s_delay_alu instid0(VALU_DEP_1) | instskip(SKIP_1) | instid1(VALU_DEP_1)
	v_add_nc_u64_e32 v[0:1], v[34:35], v[50:51]
	v_mov_b32_e32 v53, v51
	v_add_nc_u64_e32 v[0:1], v[0:1], v[52:53]
	global_store_b64 v51, v[0:1], s[36:37]
	s_sendmsg sendmsg(MSG_DEALLOC_VGPRS)
	s_endpgm
	.section	.rodata,"a",@progbits
	.p2align	6, 0x0
	.amdhsa_kernel _ZN7rocprim17ROCPRIM_400000_NS6detail17trampoline_kernelINS0_14default_configENS1_25partition_config_selectorILNS1_17partition_subalgoE8EN3c108BFloat16ENS0_10empty_typeEbEEZZNS1_14partition_implILS5_8ELb0ES3_jPKS7_PS8_PKS8_NS0_5tupleIJPS7_S8_EEENSG_IJSD_SD_EEENS0_18inequality_wrapperIN6hipcub16HIPCUB_304000_NS8EqualityEEEPlJS8_EEE10hipError_tPvRmT3_T4_T5_T6_T7_T9_mT8_P12ihipStream_tbDpT10_ENKUlT_T0_E_clISt17integral_constantIbLb0EES18_IbLb1EEEEDaS14_S15_EUlS14_E_NS1_11comp_targetILNS1_3genE0ELNS1_11target_archE4294967295ELNS1_3gpuE0ELNS1_3repE0EEENS1_30default_config_static_selectorELNS0_4arch9wavefront6targetE0EEEvT1_
		.amdhsa_group_segment_fixed_size 15368
		.amdhsa_private_segment_fixed_size 0
		.amdhsa_kernarg_size 128
		.amdhsa_user_sgpr_count 2
		.amdhsa_user_sgpr_dispatch_ptr 0
		.amdhsa_user_sgpr_queue_ptr 0
		.amdhsa_user_sgpr_kernarg_segment_ptr 1
		.amdhsa_user_sgpr_dispatch_id 0
		.amdhsa_user_sgpr_kernarg_preload_length 0
		.amdhsa_user_sgpr_kernarg_preload_offset 0
		.amdhsa_user_sgpr_private_segment_size 0
		.amdhsa_wavefront_size32 1
		.amdhsa_uses_dynamic_stack 0
		.amdhsa_enable_private_segment 0
		.amdhsa_system_sgpr_workgroup_id_x 1
		.amdhsa_system_sgpr_workgroup_id_y 0
		.amdhsa_system_sgpr_workgroup_id_z 0
		.amdhsa_system_sgpr_workgroup_info 0
		.amdhsa_system_vgpr_workitem_id 0
		.amdhsa_next_free_vgpr 115
		.amdhsa_next_free_sgpr 51
		.amdhsa_named_barrier_count 0
		.amdhsa_reserve_vcc 1
		.amdhsa_float_round_mode_32 0
		.amdhsa_float_round_mode_16_64 0
		.amdhsa_float_denorm_mode_32 3
		.amdhsa_float_denorm_mode_16_64 3
		.amdhsa_fp16_overflow 0
		.amdhsa_memory_ordered 1
		.amdhsa_forward_progress 1
		.amdhsa_inst_pref_size 114
		.amdhsa_round_robin_scheduling 0
		.amdhsa_exception_fp_ieee_invalid_op 0
		.amdhsa_exception_fp_denorm_src 0
		.amdhsa_exception_fp_ieee_div_zero 0
		.amdhsa_exception_fp_ieee_overflow 0
		.amdhsa_exception_fp_ieee_underflow 0
		.amdhsa_exception_fp_ieee_inexact 0
		.amdhsa_exception_int_div_zero 0
	.end_amdhsa_kernel
	.section	.text._ZN7rocprim17ROCPRIM_400000_NS6detail17trampoline_kernelINS0_14default_configENS1_25partition_config_selectorILNS1_17partition_subalgoE8EN3c108BFloat16ENS0_10empty_typeEbEEZZNS1_14partition_implILS5_8ELb0ES3_jPKS7_PS8_PKS8_NS0_5tupleIJPS7_S8_EEENSG_IJSD_SD_EEENS0_18inequality_wrapperIN6hipcub16HIPCUB_304000_NS8EqualityEEEPlJS8_EEE10hipError_tPvRmT3_T4_T5_T6_T7_T9_mT8_P12ihipStream_tbDpT10_ENKUlT_T0_E_clISt17integral_constantIbLb0EES18_IbLb1EEEEDaS14_S15_EUlS14_E_NS1_11comp_targetILNS1_3genE0ELNS1_11target_archE4294967295ELNS1_3gpuE0ELNS1_3repE0EEENS1_30default_config_static_selectorELNS0_4arch9wavefront6targetE0EEEvT1_,"axG",@progbits,_ZN7rocprim17ROCPRIM_400000_NS6detail17trampoline_kernelINS0_14default_configENS1_25partition_config_selectorILNS1_17partition_subalgoE8EN3c108BFloat16ENS0_10empty_typeEbEEZZNS1_14partition_implILS5_8ELb0ES3_jPKS7_PS8_PKS8_NS0_5tupleIJPS7_S8_EEENSG_IJSD_SD_EEENS0_18inequality_wrapperIN6hipcub16HIPCUB_304000_NS8EqualityEEEPlJS8_EEE10hipError_tPvRmT3_T4_T5_T6_T7_T9_mT8_P12ihipStream_tbDpT10_ENKUlT_T0_E_clISt17integral_constantIbLb0EES18_IbLb1EEEEDaS14_S15_EUlS14_E_NS1_11comp_targetILNS1_3genE0ELNS1_11target_archE4294967295ELNS1_3gpuE0ELNS1_3repE0EEENS1_30default_config_static_selectorELNS0_4arch9wavefront6targetE0EEEvT1_,comdat
.Lfunc_end848:
	.size	_ZN7rocprim17ROCPRIM_400000_NS6detail17trampoline_kernelINS0_14default_configENS1_25partition_config_selectorILNS1_17partition_subalgoE8EN3c108BFloat16ENS0_10empty_typeEbEEZZNS1_14partition_implILS5_8ELb0ES3_jPKS7_PS8_PKS8_NS0_5tupleIJPS7_S8_EEENSG_IJSD_SD_EEENS0_18inequality_wrapperIN6hipcub16HIPCUB_304000_NS8EqualityEEEPlJS8_EEE10hipError_tPvRmT3_T4_T5_T6_T7_T9_mT8_P12ihipStream_tbDpT10_ENKUlT_T0_E_clISt17integral_constantIbLb0EES18_IbLb1EEEEDaS14_S15_EUlS14_E_NS1_11comp_targetILNS1_3genE0ELNS1_11target_archE4294967295ELNS1_3gpuE0ELNS1_3repE0EEENS1_30default_config_static_selectorELNS0_4arch9wavefront6targetE0EEEvT1_, .Lfunc_end848-_ZN7rocprim17ROCPRIM_400000_NS6detail17trampoline_kernelINS0_14default_configENS1_25partition_config_selectorILNS1_17partition_subalgoE8EN3c108BFloat16ENS0_10empty_typeEbEEZZNS1_14partition_implILS5_8ELb0ES3_jPKS7_PS8_PKS8_NS0_5tupleIJPS7_S8_EEENSG_IJSD_SD_EEENS0_18inequality_wrapperIN6hipcub16HIPCUB_304000_NS8EqualityEEEPlJS8_EEE10hipError_tPvRmT3_T4_T5_T6_T7_T9_mT8_P12ihipStream_tbDpT10_ENKUlT_T0_E_clISt17integral_constantIbLb0EES18_IbLb1EEEEDaS14_S15_EUlS14_E_NS1_11comp_targetILNS1_3genE0ELNS1_11target_archE4294967295ELNS1_3gpuE0ELNS1_3repE0EEENS1_30default_config_static_selectorELNS0_4arch9wavefront6targetE0EEEvT1_
                                        ; -- End function
	.set _ZN7rocprim17ROCPRIM_400000_NS6detail17trampoline_kernelINS0_14default_configENS1_25partition_config_selectorILNS1_17partition_subalgoE8EN3c108BFloat16ENS0_10empty_typeEbEEZZNS1_14partition_implILS5_8ELb0ES3_jPKS7_PS8_PKS8_NS0_5tupleIJPS7_S8_EEENSG_IJSD_SD_EEENS0_18inequality_wrapperIN6hipcub16HIPCUB_304000_NS8EqualityEEEPlJS8_EEE10hipError_tPvRmT3_T4_T5_T6_T7_T9_mT8_P12ihipStream_tbDpT10_ENKUlT_T0_E_clISt17integral_constantIbLb0EES18_IbLb1EEEEDaS14_S15_EUlS14_E_NS1_11comp_targetILNS1_3genE0ELNS1_11target_archE4294967295ELNS1_3gpuE0ELNS1_3repE0EEENS1_30default_config_static_selectorELNS0_4arch9wavefront6targetE0EEEvT1_.num_vgpr, 115
	.set _ZN7rocprim17ROCPRIM_400000_NS6detail17trampoline_kernelINS0_14default_configENS1_25partition_config_selectorILNS1_17partition_subalgoE8EN3c108BFloat16ENS0_10empty_typeEbEEZZNS1_14partition_implILS5_8ELb0ES3_jPKS7_PS8_PKS8_NS0_5tupleIJPS7_S8_EEENSG_IJSD_SD_EEENS0_18inequality_wrapperIN6hipcub16HIPCUB_304000_NS8EqualityEEEPlJS8_EEE10hipError_tPvRmT3_T4_T5_T6_T7_T9_mT8_P12ihipStream_tbDpT10_ENKUlT_T0_E_clISt17integral_constantIbLb0EES18_IbLb1EEEEDaS14_S15_EUlS14_E_NS1_11comp_targetILNS1_3genE0ELNS1_11target_archE4294967295ELNS1_3gpuE0ELNS1_3repE0EEENS1_30default_config_static_selectorELNS0_4arch9wavefront6targetE0EEEvT1_.num_agpr, 0
	.set _ZN7rocprim17ROCPRIM_400000_NS6detail17trampoline_kernelINS0_14default_configENS1_25partition_config_selectorILNS1_17partition_subalgoE8EN3c108BFloat16ENS0_10empty_typeEbEEZZNS1_14partition_implILS5_8ELb0ES3_jPKS7_PS8_PKS8_NS0_5tupleIJPS7_S8_EEENSG_IJSD_SD_EEENS0_18inequality_wrapperIN6hipcub16HIPCUB_304000_NS8EqualityEEEPlJS8_EEE10hipError_tPvRmT3_T4_T5_T6_T7_T9_mT8_P12ihipStream_tbDpT10_ENKUlT_T0_E_clISt17integral_constantIbLb0EES18_IbLb1EEEEDaS14_S15_EUlS14_E_NS1_11comp_targetILNS1_3genE0ELNS1_11target_archE4294967295ELNS1_3gpuE0ELNS1_3repE0EEENS1_30default_config_static_selectorELNS0_4arch9wavefront6targetE0EEEvT1_.numbered_sgpr, 51
	.set _ZN7rocprim17ROCPRIM_400000_NS6detail17trampoline_kernelINS0_14default_configENS1_25partition_config_selectorILNS1_17partition_subalgoE8EN3c108BFloat16ENS0_10empty_typeEbEEZZNS1_14partition_implILS5_8ELb0ES3_jPKS7_PS8_PKS8_NS0_5tupleIJPS7_S8_EEENSG_IJSD_SD_EEENS0_18inequality_wrapperIN6hipcub16HIPCUB_304000_NS8EqualityEEEPlJS8_EEE10hipError_tPvRmT3_T4_T5_T6_T7_T9_mT8_P12ihipStream_tbDpT10_ENKUlT_T0_E_clISt17integral_constantIbLb0EES18_IbLb1EEEEDaS14_S15_EUlS14_E_NS1_11comp_targetILNS1_3genE0ELNS1_11target_archE4294967295ELNS1_3gpuE0ELNS1_3repE0EEENS1_30default_config_static_selectorELNS0_4arch9wavefront6targetE0EEEvT1_.num_named_barrier, 0
	.set _ZN7rocprim17ROCPRIM_400000_NS6detail17trampoline_kernelINS0_14default_configENS1_25partition_config_selectorILNS1_17partition_subalgoE8EN3c108BFloat16ENS0_10empty_typeEbEEZZNS1_14partition_implILS5_8ELb0ES3_jPKS7_PS8_PKS8_NS0_5tupleIJPS7_S8_EEENSG_IJSD_SD_EEENS0_18inequality_wrapperIN6hipcub16HIPCUB_304000_NS8EqualityEEEPlJS8_EEE10hipError_tPvRmT3_T4_T5_T6_T7_T9_mT8_P12ihipStream_tbDpT10_ENKUlT_T0_E_clISt17integral_constantIbLb0EES18_IbLb1EEEEDaS14_S15_EUlS14_E_NS1_11comp_targetILNS1_3genE0ELNS1_11target_archE4294967295ELNS1_3gpuE0ELNS1_3repE0EEENS1_30default_config_static_selectorELNS0_4arch9wavefront6targetE0EEEvT1_.private_seg_size, 0
	.set _ZN7rocprim17ROCPRIM_400000_NS6detail17trampoline_kernelINS0_14default_configENS1_25partition_config_selectorILNS1_17partition_subalgoE8EN3c108BFloat16ENS0_10empty_typeEbEEZZNS1_14partition_implILS5_8ELb0ES3_jPKS7_PS8_PKS8_NS0_5tupleIJPS7_S8_EEENSG_IJSD_SD_EEENS0_18inequality_wrapperIN6hipcub16HIPCUB_304000_NS8EqualityEEEPlJS8_EEE10hipError_tPvRmT3_T4_T5_T6_T7_T9_mT8_P12ihipStream_tbDpT10_ENKUlT_T0_E_clISt17integral_constantIbLb0EES18_IbLb1EEEEDaS14_S15_EUlS14_E_NS1_11comp_targetILNS1_3genE0ELNS1_11target_archE4294967295ELNS1_3gpuE0ELNS1_3repE0EEENS1_30default_config_static_selectorELNS0_4arch9wavefront6targetE0EEEvT1_.uses_vcc, 1
	.set _ZN7rocprim17ROCPRIM_400000_NS6detail17trampoline_kernelINS0_14default_configENS1_25partition_config_selectorILNS1_17partition_subalgoE8EN3c108BFloat16ENS0_10empty_typeEbEEZZNS1_14partition_implILS5_8ELb0ES3_jPKS7_PS8_PKS8_NS0_5tupleIJPS7_S8_EEENSG_IJSD_SD_EEENS0_18inequality_wrapperIN6hipcub16HIPCUB_304000_NS8EqualityEEEPlJS8_EEE10hipError_tPvRmT3_T4_T5_T6_T7_T9_mT8_P12ihipStream_tbDpT10_ENKUlT_T0_E_clISt17integral_constantIbLb0EES18_IbLb1EEEEDaS14_S15_EUlS14_E_NS1_11comp_targetILNS1_3genE0ELNS1_11target_archE4294967295ELNS1_3gpuE0ELNS1_3repE0EEENS1_30default_config_static_selectorELNS0_4arch9wavefront6targetE0EEEvT1_.uses_flat_scratch, 0
	.set _ZN7rocprim17ROCPRIM_400000_NS6detail17trampoline_kernelINS0_14default_configENS1_25partition_config_selectorILNS1_17partition_subalgoE8EN3c108BFloat16ENS0_10empty_typeEbEEZZNS1_14partition_implILS5_8ELb0ES3_jPKS7_PS8_PKS8_NS0_5tupleIJPS7_S8_EEENSG_IJSD_SD_EEENS0_18inequality_wrapperIN6hipcub16HIPCUB_304000_NS8EqualityEEEPlJS8_EEE10hipError_tPvRmT3_T4_T5_T6_T7_T9_mT8_P12ihipStream_tbDpT10_ENKUlT_T0_E_clISt17integral_constantIbLb0EES18_IbLb1EEEEDaS14_S15_EUlS14_E_NS1_11comp_targetILNS1_3genE0ELNS1_11target_archE4294967295ELNS1_3gpuE0ELNS1_3repE0EEENS1_30default_config_static_selectorELNS0_4arch9wavefront6targetE0EEEvT1_.has_dyn_sized_stack, 0
	.set _ZN7rocprim17ROCPRIM_400000_NS6detail17trampoline_kernelINS0_14default_configENS1_25partition_config_selectorILNS1_17partition_subalgoE8EN3c108BFloat16ENS0_10empty_typeEbEEZZNS1_14partition_implILS5_8ELb0ES3_jPKS7_PS8_PKS8_NS0_5tupleIJPS7_S8_EEENSG_IJSD_SD_EEENS0_18inequality_wrapperIN6hipcub16HIPCUB_304000_NS8EqualityEEEPlJS8_EEE10hipError_tPvRmT3_T4_T5_T6_T7_T9_mT8_P12ihipStream_tbDpT10_ENKUlT_T0_E_clISt17integral_constantIbLb0EES18_IbLb1EEEEDaS14_S15_EUlS14_E_NS1_11comp_targetILNS1_3genE0ELNS1_11target_archE4294967295ELNS1_3gpuE0ELNS1_3repE0EEENS1_30default_config_static_selectorELNS0_4arch9wavefront6targetE0EEEvT1_.has_recursion, 0
	.set _ZN7rocprim17ROCPRIM_400000_NS6detail17trampoline_kernelINS0_14default_configENS1_25partition_config_selectorILNS1_17partition_subalgoE8EN3c108BFloat16ENS0_10empty_typeEbEEZZNS1_14partition_implILS5_8ELb0ES3_jPKS7_PS8_PKS8_NS0_5tupleIJPS7_S8_EEENSG_IJSD_SD_EEENS0_18inequality_wrapperIN6hipcub16HIPCUB_304000_NS8EqualityEEEPlJS8_EEE10hipError_tPvRmT3_T4_T5_T6_T7_T9_mT8_P12ihipStream_tbDpT10_ENKUlT_T0_E_clISt17integral_constantIbLb0EES18_IbLb1EEEEDaS14_S15_EUlS14_E_NS1_11comp_targetILNS1_3genE0ELNS1_11target_archE4294967295ELNS1_3gpuE0ELNS1_3repE0EEENS1_30default_config_static_selectorELNS0_4arch9wavefront6targetE0EEEvT1_.has_indirect_call, 0
	.section	.AMDGPU.csdata,"",@progbits
; Kernel info:
; codeLenInByte = 14496
; TotalNumSgprs: 53
; NumVgprs: 115
; ScratchSize: 0
; MemoryBound: 0
; FloatMode: 240
; IeeeMode: 1
; LDSByteSize: 15368 bytes/workgroup (compile time only)
; SGPRBlocks: 0
; VGPRBlocks: 7
; NumSGPRsForWavesPerEU: 53
; NumVGPRsForWavesPerEU: 115
; NamedBarCnt: 0
; Occupancy: 8
; WaveLimiterHint : 1
; COMPUTE_PGM_RSRC2:SCRATCH_EN: 0
; COMPUTE_PGM_RSRC2:USER_SGPR: 2
; COMPUTE_PGM_RSRC2:TRAP_HANDLER: 0
; COMPUTE_PGM_RSRC2:TGID_X_EN: 1
; COMPUTE_PGM_RSRC2:TGID_Y_EN: 0
; COMPUTE_PGM_RSRC2:TGID_Z_EN: 0
; COMPUTE_PGM_RSRC2:TIDIG_COMP_CNT: 0
	.section	.text._ZN7rocprim17ROCPRIM_400000_NS6detail17trampoline_kernelINS0_14default_configENS1_25partition_config_selectorILNS1_17partition_subalgoE8EN3c108BFloat16ENS0_10empty_typeEbEEZZNS1_14partition_implILS5_8ELb0ES3_jPKS7_PS8_PKS8_NS0_5tupleIJPS7_S8_EEENSG_IJSD_SD_EEENS0_18inequality_wrapperIN6hipcub16HIPCUB_304000_NS8EqualityEEEPlJS8_EEE10hipError_tPvRmT3_T4_T5_T6_T7_T9_mT8_P12ihipStream_tbDpT10_ENKUlT_T0_E_clISt17integral_constantIbLb0EES18_IbLb1EEEEDaS14_S15_EUlS14_E_NS1_11comp_targetILNS1_3genE5ELNS1_11target_archE942ELNS1_3gpuE9ELNS1_3repE0EEENS1_30default_config_static_selectorELNS0_4arch9wavefront6targetE0EEEvT1_,"axG",@progbits,_ZN7rocprim17ROCPRIM_400000_NS6detail17trampoline_kernelINS0_14default_configENS1_25partition_config_selectorILNS1_17partition_subalgoE8EN3c108BFloat16ENS0_10empty_typeEbEEZZNS1_14partition_implILS5_8ELb0ES3_jPKS7_PS8_PKS8_NS0_5tupleIJPS7_S8_EEENSG_IJSD_SD_EEENS0_18inequality_wrapperIN6hipcub16HIPCUB_304000_NS8EqualityEEEPlJS8_EEE10hipError_tPvRmT3_T4_T5_T6_T7_T9_mT8_P12ihipStream_tbDpT10_ENKUlT_T0_E_clISt17integral_constantIbLb0EES18_IbLb1EEEEDaS14_S15_EUlS14_E_NS1_11comp_targetILNS1_3genE5ELNS1_11target_archE942ELNS1_3gpuE9ELNS1_3repE0EEENS1_30default_config_static_selectorELNS0_4arch9wavefront6targetE0EEEvT1_,comdat
	.protected	_ZN7rocprim17ROCPRIM_400000_NS6detail17trampoline_kernelINS0_14default_configENS1_25partition_config_selectorILNS1_17partition_subalgoE8EN3c108BFloat16ENS0_10empty_typeEbEEZZNS1_14partition_implILS5_8ELb0ES3_jPKS7_PS8_PKS8_NS0_5tupleIJPS7_S8_EEENSG_IJSD_SD_EEENS0_18inequality_wrapperIN6hipcub16HIPCUB_304000_NS8EqualityEEEPlJS8_EEE10hipError_tPvRmT3_T4_T5_T6_T7_T9_mT8_P12ihipStream_tbDpT10_ENKUlT_T0_E_clISt17integral_constantIbLb0EES18_IbLb1EEEEDaS14_S15_EUlS14_E_NS1_11comp_targetILNS1_3genE5ELNS1_11target_archE942ELNS1_3gpuE9ELNS1_3repE0EEENS1_30default_config_static_selectorELNS0_4arch9wavefront6targetE0EEEvT1_ ; -- Begin function _ZN7rocprim17ROCPRIM_400000_NS6detail17trampoline_kernelINS0_14default_configENS1_25partition_config_selectorILNS1_17partition_subalgoE8EN3c108BFloat16ENS0_10empty_typeEbEEZZNS1_14partition_implILS5_8ELb0ES3_jPKS7_PS8_PKS8_NS0_5tupleIJPS7_S8_EEENSG_IJSD_SD_EEENS0_18inequality_wrapperIN6hipcub16HIPCUB_304000_NS8EqualityEEEPlJS8_EEE10hipError_tPvRmT3_T4_T5_T6_T7_T9_mT8_P12ihipStream_tbDpT10_ENKUlT_T0_E_clISt17integral_constantIbLb0EES18_IbLb1EEEEDaS14_S15_EUlS14_E_NS1_11comp_targetILNS1_3genE5ELNS1_11target_archE942ELNS1_3gpuE9ELNS1_3repE0EEENS1_30default_config_static_selectorELNS0_4arch9wavefront6targetE0EEEvT1_
	.globl	_ZN7rocprim17ROCPRIM_400000_NS6detail17trampoline_kernelINS0_14default_configENS1_25partition_config_selectorILNS1_17partition_subalgoE8EN3c108BFloat16ENS0_10empty_typeEbEEZZNS1_14partition_implILS5_8ELb0ES3_jPKS7_PS8_PKS8_NS0_5tupleIJPS7_S8_EEENSG_IJSD_SD_EEENS0_18inequality_wrapperIN6hipcub16HIPCUB_304000_NS8EqualityEEEPlJS8_EEE10hipError_tPvRmT3_T4_T5_T6_T7_T9_mT8_P12ihipStream_tbDpT10_ENKUlT_T0_E_clISt17integral_constantIbLb0EES18_IbLb1EEEEDaS14_S15_EUlS14_E_NS1_11comp_targetILNS1_3genE5ELNS1_11target_archE942ELNS1_3gpuE9ELNS1_3repE0EEENS1_30default_config_static_selectorELNS0_4arch9wavefront6targetE0EEEvT1_
	.p2align	8
	.type	_ZN7rocprim17ROCPRIM_400000_NS6detail17trampoline_kernelINS0_14default_configENS1_25partition_config_selectorILNS1_17partition_subalgoE8EN3c108BFloat16ENS0_10empty_typeEbEEZZNS1_14partition_implILS5_8ELb0ES3_jPKS7_PS8_PKS8_NS0_5tupleIJPS7_S8_EEENSG_IJSD_SD_EEENS0_18inequality_wrapperIN6hipcub16HIPCUB_304000_NS8EqualityEEEPlJS8_EEE10hipError_tPvRmT3_T4_T5_T6_T7_T9_mT8_P12ihipStream_tbDpT10_ENKUlT_T0_E_clISt17integral_constantIbLb0EES18_IbLb1EEEEDaS14_S15_EUlS14_E_NS1_11comp_targetILNS1_3genE5ELNS1_11target_archE942ELNS1_3gpuE9ELNS1_3repE0EEENS1_30default_config_static_selectorELNS0_4arch9wavefront6targetE0EEEvT1_,@function
_ZN7rocprim17ROCPRIM_400000_NS6detail17trampoline_kernelINS0_14default_configENS1_25partition_config_selectorILNS1_17partition_subalgoE8EN3c108BFloat16ENS0_10empty_typeEbEEZZNS1_14partition_implILS5_8ELb0ES3_jPKS7_PS8_PKS8_NS0_5tupleIJPS7_S8_EEENSG_IJSD_SD_EEENS0_18inequality_wrapperIN6hipcub16HIPCUB_304000_NS8EqualityEEEPlJS8_EEE10hipError_tPvRmT3_T4_T5_T6_T7_T9_mT8_P12ihipStream_tbDpT10_ENKUlT_T0_E_clISt17integral_constantIbLb0EES18_IbLb1EEEEDaS14_S15_EUlS14_E_NS1_11comp_targetILNS1_3genE5ELNS1_11target_archE942ELNS1_3gpuE9ELNS1_3repE0EEENS1_30default_config_static_selectorELNS0_4arch9wavefront6targetE0EEEvT1_: ; @_ZN7rocprim17ROCPRIM_400000_NS6detail17trampoline_kernelINS0_14default_configENS1_25partition_config_selectorILNS1_17partition_subalgoE8EN3c108BFloat16ENS0_10empty_typeEbEEZZNS1_14partition_implILS5_8ELb0ES3_jPKS7_PS8_PKS8_NS0_5tupleIJPS7_S8_EEENSG_IJSD_SD_EEENS0_18inequality_wrapperIN6hipcub16HIPCUB_304000_NS8EqualityEEEPlJS8_EEE10hipError_tPvRmT3_T4_T5_T6_T7_T9_mT8_P12ihipStream_tbDpT10_ENKUlT_T0_E_clISt17integral_constantIbLb0EES18_IbLb1EEEEDaS14_S15_EUlS14_E_NS1_11comp_targetILNS1_3genE5ELNS1_11target_archE942ELNS1_3gpuE9ELNS1_3repE0EEENS1_30default_config_static_selectorELNS0_4arch9wavefront6targetE0EEEvT1_
; %bb.0:
	.section	.rodata,"a",@progbits
	.p2align	6, 0x0
	.amdhsa_kernel _ZN7rocprim17ROCPRIM_400000_NS6detail17trampoline_kernelINS0_14default_configENS1_25partition_config_selectorILNS1_17partition_subalgoE8EN3c108BFloat16ENS0_10empty_typeEbEEZZNS1_14partition_implILS5_8ELb0ES3_jPKS7_PS8_PKS8_NS0_5tupleIJPS7_S8_EEENSG_IJSD_SD_EEENS0_18inequality_wrapperIN6hipcub16HIPCUB_304000_NS8EqualityEEEPlJS8_EEE10hipError_tPvRmT3_T4_T5_T6_T7_T9_mT8_P12ihipStream_tbDpT10_ENKUlT_T0_E_clISt17integral_constantIbLb0EES18_IbLb1EEEEDaS14_S15_EUlS14_E_NS1_11comp_targetILNS1_3genE5ELNS1_11target_archE942ELNS1_3gpuE9ELNS1_3repE0EEENS1_30default_config_static_selectorELNS0_4arch9wavefront6targetE0EEEvT1_
		.amdhsa_group_segment_fixed_size 0
		.amdhsa_private_segment_fixed_size 0
		.amdhsa_kernarg_size 128
		.amdhsa_user_sgpr_count 2
		.amdhsa_user_sgpr_dispatch_ptr 0
		.amdhsa_user_sgpr_queue_ptr 0
		.amdhsa_user_sgpr_kernarg_segment_ptr 1
		.amdhsa_user_sgpr_dispatch_id 0
		.amdhsa_user_sgpr_kernarg_preload_length 0
		.amdhsa_user_sgpr_kernarg_preload_offset 0
		.amdhsa_user_sgpr_private_segment_size 0
		.amdhsa_wavefront_size32 1
		.amdhsa_uses_dynamic_stack 0
		.amdhsa_enable_private_segment 0
		.amdhsa_system_sgpr_workgroup_id_x 1
		.amdhsa_system_sgpr_workgroup_id_y 0
		.amdhsa_system_sgpr_workgroup_id_z 0
		.amdhsa_system_sgpr_workgroup_info 0
		.amdhsa_system_vgpr_workitem_id 0
		.amdhsa_next_free_vgpr 1
		.amdhsa_next_free_sgpr 1
		.amdhsa_named_barrier_count 0
		.amdhsa_reserve_vcc 0
		.amdhsa_float_round_mode_32 0
		.amdhsa_float_round_mode_16_64 0
		.amdhsa_float_denorm_mode_32 3
		.amdhsa_float_denorm_mode_16_64 3
		.amdhsa_fp16_overflow 0
		.amdhsa_memory_ordered 1
		.amdhsa_forward_progress 1
		.amdhsa_inst_pref_size 0
		.amdhsa_round_robin_scheduling 0
		.amdhsa_exception_fp_ieee_invalid_op 0
		.amdhsa_exception_fp_denorm_src 0
		.amdhsa_exception_fp_ieee_div_zero 0
		.amdhsa_exception_fp_ieee_overflow 0
		.amdhsa_exception_fp_ieee_underflow 0
		.amdhsa_exception_fp_ieee_inexact 0
		.amdhsa_exception_int_div_zero 0
	.end_amdhsa_kernel
	.section	.text._ZN7rocprim17ROCPRIM_400000_NS6detail17trampoline_kernelINS0_14default_configENS1_25partition_config_selectorILNS1_17partition_subalgoE8EN3c108BFloat16ENS0_10empty_typeEbEEZZNS1_14partition_implILS5_8ELb0ES3_jPKS7_PS8_PKS8_NS0_5tupleIJPS7_S8_EEENSG_IJSD_SD_EEENS0_18inequality_wrapperIN6hipcub16HIPCUB_304000_NS8EqualityEEEPlJS8_EEE10hipError_tPvRmT3_T4_T5_T6_T7_T9_mT8_P12ihipStream_tbDpT10_ENKUlT_T0_E_clISt17integral_constantIbLb0EES18_IbLb1EEEEDaS14_S15_EUlS14_E_NS1_11comp_targetILNS1_3genE5ELNS1_11target_archE942ELNS1_3gpuE9ELNS1_3repE0EEENS1_30default_config_static_selectorELNS0_4arch9wavefront6targetE0EEEvT1_,"axG",@progbits,_ZN7rocprim17ROCPRIM_400000_NS6detail17trampoline_kernelINS0_14default_configENS1_25partition_config_selectorILNS1_17partition_subalgoE8EN3c108BFloat16ENS0_10empty_typeEbEEZZNS1_14partition_implILS5_8ELb0ES3_jPKS7_PS8_PKS8_NS0_5tupleIJPS7_S8_EEENSG_IJSD_SD_EEENS0_18inequality_wrapperIN6hipcub16HIPCUB_304000_NS8EqualityEEEPlJS8_EEE10hipError_tPvRmT3_T4_T5_T6_T7_T9_mT8_P12ihipStream_tbDpT10_ENKUlT_T0_E_clISt17integral_constantIbLb0EES18_IbLb1EEEEDaS14_S15_EUlS14_E_NS1_11comp_targetILNS1_3genE5ELNS1_11target_archE942ELNS1_3gpuE9ELNS1_3repE0EEENS1_30default_config_static_selectorELNS0_4arch9wavefront6targetE0EEEvT1_,comdat
.Lfunc_end849:
	.size	_ZN7rocprim17ROCPRIM_400000_NS6detail17trampoline_kernelINS0_14default_configENS1_25partition_config_selectorILNS1_17partition_subalgoE8EN3c108BFloat16ENS0_10empty_typeEbEEZZNS1_14partition_implILS5_8ELb0ES3_jPKS7_PS8_PKS8_NS0_5tupleIJPS7_S8_EEENSG_IJSD_SD_EEENS0_18inequality_wrapperIN6hipcub16HIPCUB_304000_NS8EqualityEEEPlJS8_EEE10hipError_tPvRmT3_T4_T5_T6_T7_T9_mT8_P12ihipStream_tbDpT10_ENKUlT_T0_E_clISt17integral_constantIbLb0EES18_IbLb1EEEEDaS14_S15_EUlS14_E_NS1_11comp_targetILNS1_3genE5ELNS1_11target_archE942ELNS1_3gpuE9ELNS1_3repE0EEENS1_30default_config_static_selectorELNS0_4arch9wavefront6targetE0EEEvT1_, .Lfunc_end849-_ZN7rocprim17ROCPRIM_400000_NS6detail17trampoline_kernelINS0_14default_configENS1_25partition_config_selectorILNS1_17partition_subalgoE8EN3c108BFloat16ENS0_10empty_typeEbEEZZNS1_14partition_implILS5_8ELb0ES3_jPKS7_PS8_PKS8_NS0_5tupleIJPS7_S8_EEENSG_IJSD_SD_EEENS0_18inequality_wrapperIN6hipcub16HIPCUB_304000_NS8EqualityEEEPlJS8_EEE10hipError_tPvRmT3_T4_T5_T6_T7_T9_mT8_P12ihipStream_tbDpT10_ENKUlT_T0_E_clISt17integral_constantIbLb0EES18_IbLb1EEEEDaS14_S15_EUlS14_E_NS1_11comp_targetILNS1_3genE5ELNS1_11target_archE942ELNS1_3gpuE9ELNS1_3repE0EEENS1_30default_config_static_selectorELNS0_4arch9wavefront6targetE0EEEvT1_
                                        ; -- End function
	.set _ZN7rocprim17ROCPRIM_400000_NS6detail17trampoline_kernelINS0_14default_configENS1_25partition_config_selectorILNS1_17partition_subalgoE8EN3c108BFloat16ENS0_10empty_typeEbEEZZNS1_14partition_implILS5_8ELb0ES3_jPKS7_PS8_PKS8_NS0_5tupleIJPS7_S8_EEENSG_IJSD_SD_EEENS0_18inequality_wrapperIN6hipcub16HIPCUB_304000_NS8EqualityEEEPlJS8_EEE10hipError_tPvRmT3_T4_T5_T6_T7_T9_mT8_P12ihipStream_tbDpT10_ENKUlT_T0_E_clISt17integral_constantIbLb0EES18_IbLb1EEEEDaS14_S15_EUlS14_E_NS1_11comp_targetILNS1_3genE5ELNS1_11target_archE942ELNS1_3gpuE9ELNS1_3repE0EEENS1_30default_config_static_selectorELNS0_4arch9wavefront6targetE0EEEvT1_.num_vgpr, 0
	.set _ZN7rocprim17ROCPRIM_400000_NS6detail17trampoline_kernelINS0_14default_configENS1_25partition_config_selectorILNS1_17partition_subalgoE8EN3c108BFloat16ENS0_10empty_typeEbEEZZNS1_14partition_implILS5_8ELb0ES3_jPKS7_PS8_PKS8_NS0_5tupleIJPS7_S8_EEENSG_IJSD_SD_EEENS0_18inequality_wrapperIN6hipcub16HIPCUB_304000_NS8EqualityEEEPlJS8_EEE10hipError_tPvRmT3_T4_T5_T6_T7_T9_mT8_P12ihipStream_tbDpT10_ENKUlT_T0_E_clISt17integral_constantIbLb0EES18_IbLb1EEEEDaS14_S15_EUlS14_E_NS1_11comp_targetILNS1_3genE5ELNS1_11target_archE942ELNS1_3gpuE9ELNS1_3repE0EEENS1_30default_config_static_selectorELNS0_4arch9wavefront6targetE0EEEvT1_.num_agpr, 0
	.set _ZN7rocprim17ROCPRIM_400000_NS6detail17trampoline_kernelINS0_14default_configENS1_25partition_config_selectorILNS1_17partition_subalgoE8EN3c108BFloat16ENS0_10empty_typeEbEEZZNS1_14partition_implILS5_8ELb0ES3_jPKS7_PS8_PKS8_NS0_5tupleIJPS7_S8_EEENSG_IJSD_SD_EEENS0_18inequality_wrapperIN6hipcub16HIPCUB_304000_NS8EqualityEEEPlJS8_EEE10hipError_tPvRmT3_T4_T5_T6_T7_T9_mT8_P12ihipStream_tbDpT10_ENKUlT_T0_E_clISt17integral_constantIbLb0EES18_IbLb1EEEEDaS14_S15_EUlS14_E_NS1_11comp_targetILNS1_3genE5ELNS1_11target_archE942ELNS1_3gpuE9ELNS1_3repE0EEENS1_30default_config_static_selectorELNS0_4arch9wavefront6targetE0EEEvT1_.numbered_sgpr, 0
	.set _ZN7rocprim17ROCPRIM_400000_NS6detail17trampoline_kernelINS0_14default_configENS1_25partition_config_selectorILNS1_17partition_subalgoE8EN3c108BFloat16ENS0_10empty_typeEbEEZZNS1_14partition_implILS5_8ELb0ES3_jPKS7_PS8_PKS8_NS0_5tupleIJPS7_S8_EEENSG_IJSD_SD_EEENS0_18inequality_wrapperIN6hipcub16HIPCUB_304000_NS8EqualityEEEPlJS8_EEE10hipError_tPvRmT3_T4_T5_T6_T7_T9_mT8_P12ihipStream_tbDpT10_ENKUlT_T0_E_clISt17integral_constantIbLb0EES18_IbLb1EEEEDaS14_S15_EUlS14_E_NS1_11comp_targetILNS1_3genE5ELNS1_11target_archE942ELNS1_3gpuE9ELNS1_3repE0EEENS1_30default_config_static_selectorELNS0_4arch9wavefront6targetE0EEEvT1_.num_named_barrier, 0
	.set _ZN7rocprim17ROCPRIM_400000_NS6detail17trampoline_kernelINS0_14default_configENS1_25partition_config_selectorILNS1_17partition_subalgoE8EN3c108BFloat16ENS0_10empty_typeEbEEZZNS1_14partition_implILS5_8ELb0ES3_jPKS7_PS8_PKS8_NS0_5tupleIJPS7_S8_EEENSG_IJSD_SD_EEENS0_18inequality_wrapperIN6hipcub16HIPCUB_304000_NS8EqualityEEEPlJS8_EEE10hipError_tPvRmT3_T4_T5_T6_T7_T9_mT8_P12ihipStream_tbDpT10_ENKUlT_T0_E_clISt17integral_constantIbLb0EES18_IbLb1EEEEDaS14_S15_EUlS14_E_NS1_11comp_targetILNS1_3genE5ELNS1_11target_archE942ELNS1_3gpuE9ELNS1_3repE0EEENS1_30default_config_static_selectorELNS0_4arch9wavefront6targetE0EEEvT1_.private_seg_size, 0
	.set _ZN7rocprim17ROCPRIM_400000_NS6detail17trampoline_kernelINS0_14default_configENS1_25partition_config_selectorILNS1_17partition_subalgoE8EN3c108BFloat16ENS0_10empty_typeEbEEZZNS1_14partition_implILS5_8ELb0ES3_jPKS7_PS8_PKS8_NS0_5tupleIJPS7_S8_EEENSG_IJSD_SD_EEENS0_18inequality_wrapperIN6hipcub16HIPCUB_304000_NS8EqualityEEEPlJS8_EEE10hipError_tPvRmT3_T4_T5_T6_T7_T9_mT8_P12ihipStream_tbDpT10_ENKUlT_T0_E_clISt17integral_constantIbLb0EES18_IbLb1EEEEDaS14_S15_EUlS14_E_NS1_11comp_targetILNS1_3genE5ELNS1_11target_archE942ELNS1_3gpuE9ELNS1_3repE0EEENS1_30default_config_static_selectorELNS0_4arch9wavefront6targetE0EEEvT1_.uses_vcc, 0
	.set _ZN7rocprim17ROCPRIM_400000_NS6detail17trampoline_kernelINS0_14default_configENS1_25partition_config_selectorILNS1_17partition_subalgoE8EN3c108BFloat16ENS0_10empty_typeEbEEZZNS1_14partition_implILS5_8ELb0ES3_jPKS7_PS8_PKS8_NS0_5tupleIJPS7_S8_EEENSG_IJSD_SD_EEENS0_18inequality_wrapperIN6hipcub16HIPCUB_304000_NS8EqualityEEEPlJS8_EEE10hipError_tPvRmT3_T4_T5_T6_T7_T9_mT8_P12ihipStream_tbDpT10_ENKUlT_T0_E_clISt17integral_constantIbLb0EES18_IbLb1EEEEDaS14_S15_EUlS14_E_NS1_11comp_targetILNS1_3genE5ELNS1_11target_archE942ELNS1_3gpuE9ELNS1_3repE0EEENS1_30default_config_static_selectorELNS0_4arch9wavefront6targetE0EEEvT1_.uses_flat_scratch, 0
	.set _ZN7rocprim17ROCPRIM_400000_NS6detail17trampoline_kernelINS0_14default_configENS1_25partition_config_selectorILNS1_17partition_subalgoE8EN3c108BFloat16ENS0_10empty_typeEbEEZZNS1_14partition_implILS5_8ELb0ES3_jPKS7_PS8_PKS8_NS0_5tupleIJPS7_S8_EEENSG_IJSD_SD_EEENS0_18inequality_wrapperIN6hipcub16HIPCUB_304000_NS8EqualityEEEPlJS8_EEE10hipError_tPvRmT3_T4_T5_T6_T7_T9_mT8_P12ihipStream_tbDpT10_ENKUlT_T0_E_clISt17integral_constantIbLb0EES18_IbLb1EEEEDaS14_S15_EUlS14_E_NS1_11comp_targetILNS1_3genE5ELNS1_11target_archE942ELNS1_3gpuE9ELNS1_3repE0EEENS1_30default_config_static_selectorELNS0_4arch9wavefront6targetE0EEEvT1_.has_dyn_sized_stack, 0
	.set _ZN7rocprim17ROCPRIM_400000_NS6detail17trampoline_kernelINS0_14default_configENS1_25partition_config_selectorILNS1_17partition_subalgoE8EN3c108BFloat16ENS0_10empty_typeEbEEZZNS1_14partition_implILS5_8ELb0ES3_jPKS7_PS8_PKS8_NS0_5tupleIJPS7_S8_EEENSG_IJSD_SD_EEENS0_18inequality_wrapperIN6hipcub16HIPCUB_304000_NS8EqualityEEEPlJS8_EEE10hipError_tPvRmT3_T4_T5_T6_T7_T9_mT8_P12ihipStream_tbDpT10_ENKUlT_T0_E_clISt17integral_constantIbLb0EES18_IbLb1EEEEDaS14_S15_EUlS14_E_NS1_11comp_targetILNS1_3genE5ELNS1_11target_archE942ELNS1_3gpuE9ELNS1_3repE0EEENS1_30default_config_static_selectorELNS0_4arch9wavefront6targetE0EEEvT1_.has_recursion, 0
	.set _ZN7rocprim17ROCPRIM_400000_NS6detail17trampoline_kernelINS0_14default_configENS1_25partition_config_selectorILNS1_17partition_subalgoE8EN3c108BFloat16ENS0_10empty_typeEbEEZZNS1_14partition_implILS5_8ELb0ES3_jPKS7_PS8_PKS8_NS0_5tupleIJPS7_S8_EEENSG_IJSD_SD_EEENS0_18inequality_wrapperIN6hipcub16HIPCUB_304000_NS8EqualityEEEPlJS8_EEE10hipError_tPvRmT3_T4_T5_T6_T7_T9_mT8_P12ihipStream_tbDpT10_ENKUlT_T0_E_clISt17integral_constantIbLb0EES18_IbLb1EEEEDaS14_S15_EUlS14_E_NS1_11comp_targetILNS1_3genE5ELNS1_11target_archE942ELNS1_3gpuE9ELNS1_3repE0EEENS1_30default_config_static_selectorELNS0_4arch9wavefront6targetE0EEEvT1_.has_indirect_call, 0
	.section	.AMDGPU.csdata,"",@progbits
; Kernel info:
; codeLenInByte = 0
; TotalNumSgprs: 0
; NumVgprs: 0
; ScratchSize: 0
; MemoryBound: 0
; FloatMode: 240
; IeeeMode: 1
; LDSByteSize: 0 bytes/workgroup (compile time only)
; SGPRBlocks: 0
; VGPRBlocks: 0
; NumSGPRsForWavesPerEU: 1
; NumVGPRsForWavesPerEU: 1
; NamedBarCnt: 0
; Occupancy: 16
; WaveLimiterHint : 0
; COMPUTE_PGM_RSRC2:SCRATCH_EN: 0
; COMPUTE_PGM_RSRC2:USER_SGPR: 2
; COMPUTE_PGM_RSRC2:TRAP_HANDLER: 0
; COMPUTE_PGM_RSRC2:TGID_X_EN: 1
; COMPUTE_PGM_RSRC2:TGID_Y_EN: 0
; COMPUTE_PGM_RSRC2:TGID_Z_EN: 0
; COMPUTE_PGM_RSRC2:TIDIG_COMP_CNT: 0
	.section	.text._ZN7rocprim17ROCPRIM_400000_NS6detail17trampoline_kernelINS0_14default_configENS1_25partition_config_selectorILNS1_17partition_subalgoE8EN3c108BFloat16ENS0_10empty_typeEbEEZZNS1_14partition_implILS5_8ELb0ES3_jPKS7_PS8_PKS8_NS0_5tupleIJPS7_S8_EEENSG_IJSD_SD_EEENS0_18inequality_wrapperIN6hipcub16HIPCUB_304000_NS8EqualityEEEPlJS8_EEE10hipError_tPvRmT3_T4_T5_T6_T7_T9_mT8_P12ihipStream_tbDpT10_ENKUlT_T0_E_clISt17integral_constantIbLb0EES18_IbLb1EEEEDaS14_S15_EUlS14_E_NS1_11comp_targetILNS1_3genE4ELNS1_11target_archE910ELNS1_3gpuE8ELNS1_3repE0EEENS1_30default_config_static_selectorELNS0_4arch9wavefront6targetE0EEEvT1_,"axG",@progbits,_ZN7rocprim17ROCPRIM_400000_NS6detail17trampoline_kernelINS0_14default_configENS1_25partition_config_selectorILNS1_17partition_subalgoE8EN3c108BFloat16ENS0_10empty_typeEbEEZZNS1_14partition_implILS5_8ELb0ES3_jPKS7_PS8_PKS8_NS0_5tupleIJPS7_S8_EEENSG_IJSD_SD_EEENS0_18inequality_wrapperIN6hipcub16HIPCUB_304000_NS8EqualityEEEPlJS8_EEE10hipError_tPvRmT3_T4_T5_T6_T7_T9_mT8_P12ihipStream_tbDpT10_ENKUlT_T0_E_clISt17integral_constantIbLb0EES18_IbLb1EEEEDaS14_S15_EUlS14_E_NS1_11comp_targetILNS1_3genE4ELNS1_11target_archE910ELNS1_3gpuE8ELNS1_3repE0EEENS1_30default_config_static_selectorELNS0_4arch9wavefront6targetE0EEEvT1_,comdat
	.protected	_ZN7rocprim17ROCPRIM_400000_NS6detail17trampoline_kernelINS0_14default_configENS1_25partition_config_selectorILNS1_17partition_subalgoE8EN3c108BFloat16ENS0_10empty_typeEbEEZZNS1_14partition_implILS5_8ELb0ES3_jPKS7_PS8_PKS8_NS0_5tupleIJPS7_S8_EEENSG_IJSD_SD_EEENS0_18inequality_wrapperIN6hipcub16HIPCUB_304000_NS8EqualityEEEPlJS8_EEE10hipError_tPvRmT3_T4_T5_T6_T7_T9_mT8_P12ihipStream_tbDpT10_ENKUlT_T0_E_clISt17integral_constantIbLb0EES18_IbLb1EEEEDaS14_S15_EUlS14_E_NS1_11comp_targetILNS1_3genE4ELNS1_11target_archE910ELNS1_3gpuE8ELNS1_3repE0EEENS1_30default_config_static_selectorELNS0_4arch9wavefront6targetE0EEEvT1_ ; -- Begin function _ZN7rocprim17ROCPRIM_400000_NS6detail17trampoline_kernelINS0_14default_configENS1_25partition_config_selectorILNS1_17partition_subalgoE8EN3c108BFloat16ENS0_10empty_typeEbEEZZNS1_14partition_implILS5_8ELb0ES3_jPKS7_PS8_PKS8_NS0_5tupleIJPS7_S8_EEENSG_IJSD_SD_EEENS0_18inequality_wrapperIN6hipcub16HIPCUB_304000_NS8EqualityEEEPlJS8_EEE10hipError_tPvRmT3_T4_T5_T6_T7_T9_mT8_P12ihipStream_tbDpT10_ENKUlT_T0_E_clISt17integral_constantIbLb0EES18_IbLb1EEEEDaS14_S15_EUlS14_E_NS1_11comp_targetILNS1_3genE4ELNS1_11target_archE910ELNS1_3gpuE8ELNS1_3repE0EEENS1_30default_config_static_selectorELNS0_4arch9wavefront6targetE0EEEvT1_
	.globl	_ZN7rocprim17ROCPRIM_400000_NS6detail17trampoline_kernelINS0_14default_configENS1_25partition_config_selectorILNS1_17partition_subalgoE8EN3c108BFloat16ENS0_10empty_typeEbEEZZNS1_14partition_implILS5_8ELb0ES3_jPKS7_PS8_PKS8_NS0_5tupleIJPS7_S8_EEENSG_IJSD_SD_EEENS0_18inequality_wrapperIN6hipcub16HIPCUB_304000_NS8EqualityEEEPlJS8_EEE10hipError_tPvRmT3_T4_T5_T6_T7_T9_mT8_P12ihipStream_tbDpT10_ENKUlT_T0_E_clISt17integral_constantIbLb0EES18_IbLb1EEEEDaS14_S15_EUlS14_E_NS1_11comp_targetILNS1_3genE4ELNS1_11target_archE910ELNS1_3gpuE8ELNS1_3repE0EEENS1_30default_config_static_selectorELNS0_4arch9wavefront6targetE0EEEvT1_
	.p2align	8
	.type	_ZN7rocprim17ROCPRIM_400000_NS6detail17trampoline_kernelINS0_14default_configENS1_25partition_config_selectorILNS1_17partition_subalgoE8EN3c108BFloat16ENS0_10empty_typeEbEEZZNS1_14partition_implILS5_8ELb0ES3_jPKS7_PS8_PKS8_NS0_5tupleIJPS7_S8_EEENSG_IJSD_SD_EEENS0_18inequality_wrapperIN6hipcub16HIPCUB_304000_NS8EqualityEEEPlJS8_EEE10hipError_tPvRmT3_T4_T5_T6_T7_T9_mT8_P12ihipStream_tbDpT10_ENKUlT_T0_E_clISt17integral_constantIbLb0EES18_IbLb1EEEEDaS14_S15_EUlS14_E_NS1_11comp_targetILNS1_3genE4ELNS1_11target_archE910ELNS1_3gpuE8ELNS1_3repE0EEENS1_30default_config_static_selectorELNS0_4arch9wavefront6targetE0EEEvT1_,@function
_ZN7rocprim17ROCPRIM_400000_NS6detail17trampoline_kernelINS0_14default_configENS1_25partition_config_selectorILNS1_17partition_subalgoE8EN3c108BFloat16ENS0_10empty_typeEbEEZZNS1_14partition_implILS5_8ELb0ES3_jPKS7_PS8_PKS8_NS0_5tupleIJPS7_S8_EEENSG_IJSD_SD_EEENS0_18inequality_wrapperIN6hipcub16HIPCUB_304000_NS8EqualityEEEPlJS8_EEE10hipError_tPvRmT3_T4_T5_T6_T7_T9_mT8_P12ihipStream_tbDpT10_ENKUlT_T0_E_clISt17integral_constantIbLb0EES18_IbLb1EEEEDaS14_S15_EUlS14_E_NS1_11comp_targetILNS1_3genE4ELNS1_11target_archE910ELNS1_3gpuE8ELNS1_3repE0EEENS1_30default_config_static_selectorELNS0_4arch9wavefront6targetE0EEEvT1_: ; @_ZN7rocprim17ROCPRIM_400000_NS6detail17trampoline_kernelINS0_14default_configENS1_25partition_config_selectorILNS1_17partition_subalgoE8EN3c108BFloat16ENS0_10empty_typeEbEEZZNS1_14partition_implILS5_8ELb0ES3_jPKS7_PS8_PKS8_NS0_5tupleIJPS7_S8_EEENSG_IJSD_SD_EEENS0_18inequality_wrapperIN6hipcub16HIPCUB_304000_NS8EqualityEEEPlJS8_EEE10hipError_tPvRmT3_T4_T5_T6_T7_T9_mT8_P12ihipStream_tbDpT10_ENKUlT_T0_E_clISt17integral_constantIbLb0EES18_IbLb1EEEEDaS14_S15_EUlS14_E_NS1_11comp_targetILNS1_3genE4ELNS1_11target_archE910ELNS1_3gpuE8ELNS1_3repE0EEENS1_30default_config_static_selectorELNS0_4arch9wavefront6targetE0EEEvT1_
; %bb.0:
	.section	.rodata,"a",@progbits
	.p2align	6, 0x0
	.amdhsa_kernel _ZN7rocprim17ROCPRIM_400000_NS6detail17trampoline_kernelINS0_14default_configENS1_25partition_config_selectorILNS1_17partition_subalgoE8EN3c108BFloat16ENS0_10empty_typeEbEEZZNS1_14partition_implILS5_8ELb0ES3_jPKS7_PS8_PKS8_NS0_5tupleIJPS7_S8_EEENSG_IJSD_SD_EEENS0_18inequality_wrapperIN6hipcub16HIPCUB_304000_NS8EqualityEEEPlJS8_EEE10hipError_tPvRmT3_T4_T5_T6_T7_T9_mT8_P12ihipStream_tbDpT10_ENKUlT_T0_E_clISt17integral_constantIbLb0EES18_IbLb1EEEEDaS14_S15_EUlS14_E_NS1_11comp_targetILNS1_3genE4ELNS1_11target_archE910ELNS1_3gpuE8ELNS1_3repE0EEENS1_30default_config_static_selectorELNS0_4arch9wavefront6targetE0EEEvT1_
		.amdhsa_group_segment_fixed_size 0
		.amdhsa_private_segment_fixed_size 0
		.amdhsa_kernarg_size 128
		.amdhsa_user_sgpr_count 2
		.amdhsa_user_sgpr_dispatch_ptr 0
		.amdhsa_user_sgpr_queue_ptr 0
		.amdhsa_user_sgpr_kernarg_segment_ptr 1
		.amdhsa_user_sgpr_dispatch_id 0
		.amdhsa_user_sgpr_kernarg_preload_length 0
		.amdhsa_user_sgpr_kernarg_preload_offset 0
		.amdhsa_user_sgpr_private_segment_size 0
		.amdhsa_wavefront_size32 1
		.amdhsa_uses_dynamic_stack 0
		.amdhsa_enable_private_segment 0
		.amdhsa_system_sgpr_workgroup_id_x 1
		.amdhsa_system_sgpr_workgroup_id_y 0
		.amdhsa_system_sgpr_workgroup_id_z 0
		.amdhsa_system_sgpr_workgroup_info 0
		.amdhsa_system_vgpr_workitem_id 0
		.amdhsa_next_free_vgpr 1
		.amdhsa_next_free_sgpr 1
		.amdhsa_named_barrier_count 0
		.amdhsa_reserve_vcc 0
		.amdhsa_float_round_mode_32 0
		.amdhsa_float_round_mode_16_64 0
		.amdhsa_float_denorm_mode_32 3
		.amdhsa_float_denorm_mode_16_64 3
		.amdhsa_fp16_overflow 0
		.amdhsa_memory_ordered 1
		.amdhsa_forward_progress 1
		.amdhsa_inst_pref_size 0
		.amdhsa_round_robin_scheduling 0
		.amdhsa_exception_fp_ieee_invalid_op 0
		.amdhsa_exception_fp_denorm_src 0
		.amdhsa_exception_fp_ieee_div_zero 0
		.amdhsa_exception_fp_ieee_overflow 0
		.amdhsa_exception_fp_ieee_underflow 0
		.amdhsa_exception_fp_ieee_inexact 0
		.amdhsa_exception_int_div_zero 0
	.end_amdhsa_kernel
	.section	.text._ZN7rocprim17ROCPRIM_400000_NS6detail17trampoline_kernelINS0_14default_configENS1_25partition_config_selectorILNS1_17partition_subalgoE8EN3c108BFloat16ENS0_10empty_typeEbEEZZNS1_14partition_implILS5_8ELb0ES3_jPKS7_PS8_PKS8_NS0_5tupleIJPS7_S8_EEENSG_IJSD_SD_EEENS0_18inequality_wrapperIN6hipcub16HIPCUB_304000_NS8EqualityEEEPlJS8_EEE10hipError_tPvRmT3_T4_T5_T6_T7_T9_mT8_P12ihipStream_tbDpT10_ENKUlT_T0_E_clISt17integral_constantIbLb0EES18_IbLb1EEEEDaS14_S15_EUlS14_E_NS1_11comp_targetILNS1_3genE4ELNS1_11target_archE910ELNS1_3gpuE8ELNS1_3repE0EEENS1_30default_config_static_selectorELNS0_4arch9wavefront6targetE0EEEvT1_,"axG",@progbits,_ZN7rocprim17ROCPRIM_400000_NS6detail17trampoline_kernelINS0_14default_configENS1_25partition_config_selectorILNS1_17partition_subalgoE8EN3c108BFloat16ENS0_10empty_typeEbEEZZNS1_14partition_implILS5_8ELb0ES3_jPKS7_PS8_PKS8_NS0_5tupleIJPS7_S8_EEENSG_IJSD_SD_EEENS0_18inequality_wrapperIN6hipcub16HIPCUB_304000_NS8EqualityEEEPlJS8_EEE10hipError_tPvRmT3_T4_T5_T6_T7_T9_mT8_P12ihipStream_tbDpT10_ENKUlT_T0_E_clISt17integral_constantIbLb0EES18_IbLb1EEEEDaS14_S15_EUlS14_E_NS1_11comp_targetILNS1_3genE4ELNS1_11target_archE910ELNS1_3gpuE8ELNS1_3repE0EEENS1_30default_config_static_selectorELNS0_4arch9wavefront6targetE0EEEvT1_,comdat
.Lfunc_end850:
	.size	_ZN7rocprim17ROCPRIM_400000_NS6detail17trampoline_kernelINS0_14default_configENS1_25partition_config_selectorILNS1_17partition_subalgoE8EN3c108BFloat16ENS0_10empty_typeEbEEZZNS1_14partition_implILS5_8ELb0ES3_jPKS7_PS8_PKS8_NS0_5tupleIJPS7_S8_EEENSG_IJSD_SD_EEENS0_18inequality_wrapperIN6hipcub16HIPCUB_304000_NS8EqualityEEEPlJS8_EEE10hipError_tPvRmT3_T4_T5_T6_T7_T9_mT8_P12ihipStream_tbDpT10_ENKUlT_T0_E_clISt17integral_constantIbLb0EES18_IbLb1EEEEDaS14_S15_EUlS14_E_NS1_11comp_targetILNS1_3genE4ELNS1_11target_archE910ELNS1_3gpuE8ELNS1_3repE0EEENS1_30default_config_static_selectorELNS0_4arch9wavefront6targetE0EEEvT1_, .Lfunc_end850-_ZN7rocprim17ROCPRIM_400000_NS6detail17trampoline_kernelINS0_14default_configENS1_25partition_config_selectorILNS1_17partition_subalgoE8EN3c108BFloat16ENS0_10empty_typeEbEEZZNS1_14partition_implILS5_8ELb0ES3_jPKS7_PS8_PKS8_NS0_5tupleIJPS7_S8_EEENSG_IJSD_SD_EEENS0_18inequality_wrapperIN6hipcub16HIPCUB_304000_NS8EqualityEEEPlJS8_EEE10hipError_tPvRmT3_T4_T5_T6_T7_T9_mT8_P12ihipStream_tbDpT10_ENKUlT_T0_E_clISt17integral_constantIbLb0EES18_IbLb1EEEEDaS14_S15_EUlS14_E_NS1_11comp_targetILNS1_3genE4ELNS1_11target_archE910ELNS1_3gpuE8ELNS1_3repE0EEENS1_30default_config_static_selectorELNS0_4arch9wavefront6targetE0EEEvT1_
                                        ; -- End function
	.set _ZN7rocprim17ROCPRIM_400000_NS6detail17trampoline_kernelINS0_14default_configENS1_25partition_config_selectorILNS1_17partition_subalgoE8EN3c108BFloat16ENS0_10empty_typeEbEEZZNS1_14partition_implILS5_8ELb0ES3_jPKS7_PS8_PKS8_NS0_5tupleIJPS7_S8_EEENSG_IJSD_SD_EEENS0_18inequality_wrapperIN6hipcub16HIPCUB_304000_NS8EqualityEEEPlJS8_EEE10hipError_tPvRmT3_T4_T5_T6_T7_T9_mT8_P12ihipStream_tbDpT10_ENKUlT_T0_E_clISt17integral_constantIbLb0EES18_IbLb1EEEEDaS14_S15_EUlS14_E_NS1_11comp_targetILNS1_3genE4ELNS1_11target_archE910ELNS1_3gpuE8ELNS1_3repE0EEENS1_30default_config_static_selectorELNS0_4arch9wavefront6targetE0EEEvT1_.num_vgpr, 0
	.set _ZN7rocprim17ROCPRIM_400000_NS6detail17trampoline_kernelINS0_14default_configENS1_25partition_config_selectorILNS1_17partition_subalgoE8EN3c108BFloat16ENS0_10empty_typeEbEEZZNS1_14partition_implILS5_8ELb0ES3_jPKS7_PS8_PKS8_NS0_5tupleIJPS7_S8_EEENSG_IJSD_SD_EEENS0_18inequality_wrapperIN6hipcub16HIPCUB_304000_NS8EqualityEEEPlJS8_EEE10hipError_tPvRmT3_T4_T5_T6_T7_T9_mT8_P12ihipStream_tbDpT10_ENKUlT_T0_E_clISt17integral_constantIbLb0EES18_IbLb1EEEEDaS14_S15_EUlS14_E_NS1_11comp_targetILNS1_3genE4ELNS1_11target_archE910ELNS1_3gpuE8ELNS1_3repE0EEENS1_30default_config_static_selectorELNS0_4arch9wavefront6targetE0EEEvT1_.num_agpr, 0
	.set _ZN7rocprim17ROCPRIM_400000_NS6detail17trampoline_kernelINS0_14default_configENS1_25partition_config_selectorILNS1_17partition_subalgoE8EN3c108BFloat16ENS0_10empty_typeEbEEZZNS1_14partition_implILS5_8ELb0ES3_jPKS7_PS8_PKS8_NS0_5tupleIJPS7_S8_EEENSG_IJSD_SD_EEENS0_18inequality_wrapperIN6hipcub16HIPCUB_304000_NS8EqualityEEEPlJS8_EEE10hipError_tPvRmT3_T4_T5_T6_T7_T9_mT8_P12ihipStream_tbDpT10_ENKUlT_T0_E_clISt17integral_constantIbLb0EES18_IbLb1EEEEDaS14_S15_EUlS14_E_NS1_11comp_targetILNS1_3genE4ELNS1_11target_archE910ELNS1_3gpuE8ELNS1_3repE0EEENS1_30default_config_static_selectorELNS0_4arch9wavefront6targetE0EEEvT1_.numbered_sgpr, 0
	.set _ZN7rocprim17ROCPRIM_400000_NS6detail17trampoline_kernelINS0_14default_configENS1_25partition_config_selectorILNS1_17partition_subalgoE8EN3c108BFloat16ENS0_10empty_typeEbEEZZNS1_14partition_implILS5_8ELb0ES3_jPKS7_PS8_PKS8_NS0_5tupleIJPS7_S8_EEENSG_IJSD_SD_EEENS0_18inequality_wrapperIN6hipcub16HIPCUB_304000_NS8EqualityEEEPlJS8_EEE10hipError_tPvRmT3_T4_T5_T6_T7_T9_mT8_P12ihipStream_tbDpT10_ENKUlT_T0_E_clISt17integral_constantIbLb0EES18_IbLb1EEEEDaS14_S15_EUlS14_E_NS1_11comp_targetILNS1_3genE4ELNS1_11target_archE910ELNS1_3gpuE8ELNS1_3repE0EEENS1_30default_config_static_selectorELNS0_4arch9wavefront6targetE0EEEvT1_.num_named_barrier, 0
	.set _ZN7rocprim17ROCPRIM_400000_NS6detail17trampoline_kernelINS0_14default_configENS1_25partition_config_selectorILNS1_17partition_subalgoE8EN3c108BFloat16ENS0_10empty_typeEbEEZZNS1_14partition_implILS5_8ELb0ES3_jPKS7_PS8_PKS8_NS0_5tupleIJPS7_S8_EEENSG_IJSD_SD_EEENS0_18inequality_wrapperIN6hipcub16HIPCUB_304000_NS8EqualityEEEPlJS8_EEE10hipError_tPvRmT3_T4_T5_T6_T7_T9_mT8_P12ihipStream_tbDpT10_ENKUlT_T0_E_clISt17integral_constantIbLb0EES18_IbLb1EEEEDaS14_S15_EUlS14_E_NS1_11comp_targetILNS1_3genE4ELNS1_11target_archE910ELNS1_3gpuE8ELNS1_3repE0EEENS1_30default_config_static_selectorELNS0_4arch9wavefront6targetE0EEEvT1_.private_seg_size, 0
	.set _ZN7rocprim17ROCPRIM_400000_NS6detail17trampoline_kernelINS0_14default_configENS1_25partition_config_selectorILNS1_17partition_subalgoE8EN3c108BFloat16ENS0_10empty_typeEbEEZZNS1_14partition_implILS5_8ELb0ES3_jPKS7_PS8_PKS8_NS0_5tupleIJPS7_S8_EEENSG_IJSD_SD_EEENS0_18inequality_wrapperIN6hipcub16HIPCUB_304000_NS8EqualityEEEPlJS8_EEE10hipError_tPvRmT3_T4_T5_T6_T7_T9_mT8_P12ihipStream_tbDpT10_ENKUlT_T0_E_clISt17integral_constantIbLb0EES18_IbLb1EEEEDaS14_S15_EUlS14_E_NS1_11comp_targetILNS1_3genE4ELNS1_11target_archE910ELNS1_3gpuE8ELNS1_3repE0EEENS1_30default_config_static_selectorELNS0_4arch9wavefront6targetE0EEEvT1_.uses_vcc, 0
	.set _ZN7rocprim17ROCPRIM_400000_NS6detail17trampoline_kernelINS0_14default_configENS1_25partition_config_selectorILNS1_17partition_subalgoE8EN3c108BFloat16ENS0_10empty_typeEbEEZZNS1_14partition_implILS5_8ELb0ES3_jPKS7_PS8_PKS8_NS0_5tupleIJPS7_S8_EEENSG_IJSD_SD_EEENS0_18inequality_wrapperIN6hipcub16HIPCUB_304000_NS8EqualityEEEPlJS8_EEE10hipError_tPvRmT3_T4_T5_T6_T7_T9_mT8_P12ihipStream_tbDpT10_ENKUlT_T0_E_clISt17integral_constantIbLb0EES18_IbLb1EEEEDaS14_S15_EUlS14_E_NS1_11comp_targetILNS1_3genE4ELNS1_11target_archE910ELNS1_3gpuE8ELNS1_3repE0EEENS1_30default_config_static_selectorELNS0_4arch9wavefront6targetE0EEEvT1_.uses_flat_scratch, 0
	.set _ZN7rocprim17ROCPRIM_400000_NS6detail17trampoline_kernelINS0_14default_configENS1_25partition_config_selectorILNS1_17partition_subalgoE8EN3c108BFloat16ENS0_10empty_typeEbEEZZNS1_14partition_implILS5_8ELb0ES3_jPKS7_PS8_PKS8_NS0_5tupleIJPS7_S8_EEENSG_IJSD_SD_EEENS0_18inequality_wrapperIN6hipcub16HIPCUB_304000_NS8EqualityEEEPlJS8_EEE10hipError_tPvRmT3_T4_T5_T6_T7_T9_mT8_P12ihipStream_tbDpT10_ENKUlT_T0_E_clISt17integral_constantIbLb0EES18_IbLb1EEEEDaS14_S15_EUlS14_E_NS1_11comp_targetILNS1_3genE4ELNS1_11target_archE910ELNS1_3gpuE8ELNS1_3repE0EEENS1_30default_config_static_selectorELNS0_4arch9wavefront6targetE0EEEvT1_.has_dyn_sized_stack, 0
	.set _ZN7rocprim17ROCPRIM_400000_NS6detail17trampoline_kernelINS0_14default_configENS1_25partition_config_selectorILNS1_17partition_subalgoE8EN3c108BFloat16ENS0_10empty_typeEbEEZZNS1_14partition_implILS5_8ELb0ES3_jPKS7_PS8_PKS8_NS0_5tupleIJPS7_S8_EEENSG_IJSD_SD_EEENS0_18inequality_wrapperIN6hipcub16HIPCUB_304000_NS8EqualityEEEPlJS8_EEE10hipError_tPvRmT3_T4_T5_T6_T7_T9_mT8_P12ihipStream_tbDpT10_ENKUlT_T0_E_clISt17integral_constantIbLb0EES18_IbLb1EEEEDaS14_S15_EUlS14_E_NS1_11comp_targetILNS1_3genE4ELNS1_11target_archE910ELNS1_3gpuE8ELNS1_3repE0EEENS1_30default_config_static_selectorELNS0_4arch9wavefront6targetE0EEEvT1_.has_recursion, 0
	.set _ZN7rocprim17ROCPRIM_400000_NS6detail17trampoline_kernelINS0_14default_configENS1_25partition_config_selectorILNS1_17partition_subalgoE8EN3c108BFloat16ENS0_10empty_typeEbEEZZNS1_14partition_implILS5_8ELb0ES3_jPKS7_PS8_PKS8_NS0_5tupleIJPS7_S8_EEENSG_IJSD_SD_EEENS0_18inequality_wrapperIN6hipcub16HIPCUB_304000_NS8EqualityEEEPlJS8_EEE10hipError_tPvRmT3_T4_T5_T6_T7_T9_mT8_P12ihipStream_tbDpT10_ENKUlT_T0_E_clISt17integral_constantIbLb0EES18_IbLb1EEEEDaS14_S15_EUlS14_E_NS1_11comp_targetILNS1_3genE4ELNS1_11target_archE910ELNS1_3gpuE8ELNS1_3repE0EEENS1_30default_config_static_selectorELNS0_4arch9wavefront6targetE0EEEvT1_.has_indirect_call, 0
	.section	.AMDGPU.csdata,"",@progbits
; Kernel info:
; codeLenInByte = 0
; TotalNumSgprs: 0
; NumVgprs: 0
; ScratchSize: 0
; MemoryBound: 0
; FloatMode: 240
; IeeeMode: 1
; LDSByteSize: 0 bytes/workgroup (compile time only)
; SGPRBlocks: 0
; VGPRBlocks: 0
; NumSGPRsForWavesPerEU: 1
; NumVGPRsForWavesPerEU: 1
; NamedBarCnt: 0
; Occupancy: 16
; WaveLimiterHint : 0
; COMPUTE_PGM_RSRC2:SCRATCH_EN: 0
; COMPUTE_PGM_RSRC2:USER_SGPR: 2
; COMPUTE_PGM_RSRC2:TRAP_HANDLER: 0
; COMPUTE_PGM_RSRC2:TGID_X_EN: 1
; COMPUTE_PGM_RSRC2:TGID_Y_EN: 0
; COMPUTE_PGM_RSRC2:TGID_Z_EN: 0
; COMPUTE_PGM_RSRC2:TIDIG_COMP_CNT: 0
	.section	.text._ZN7rocprim17ROCPRIM_400000_NS6detail17trampoline_kernelINS0_14default_configENS1_25partition_config_selectorILNS1_17partition_subalgoE8EN3c108BFloat16ENS0_10empty_typeEbEEZZNS1_14partition_implILS5_8ELb0ES3_jPKS7_PS8_PKS8_NS0_5tupleIJPS7_S8_EEENSG_IJSD_SD_EEENS0_18inequality_wrapperIN6hipcub16HIPCUB_304000_NS8EqualityEEEPlJS8_EEE10hipError_tPvRmT3_T4_T5_T6_T7_T9_mT8_P12ihipStream_tbDpT10_ENKUlT_T0_E_clISt17integral_constantIbLb0EES18_IbLb1EEEEDaS14_S15_EUlS14_E_NS1_11comp_targetILNS1_3genE3ELNS1_11target_archE908ELNS1_3gpuE7ELNS1_3repE0EEENS1_30default_config_static_selectorELNS0_4arch9wavefront6targetE0EEEvT1_,"axG",@progbits,_ZN7rocprim17ROCPRIM_400000_NS6detail17trampoline_kernelINS0_14default_configENS1_25partition_config_selectorILNS1_17partition_subalgoE8EN3c108BFloat16ENS0_10empty_typeEbEEZZNS1_14partition_implILS5_8ELb0ES3_jPKS7_PS8_PKS8_NS0_5tupleIJPS7_S8_EEENSG_IJSD_SD_EEENS0_18inequality_wrapperIN6hipcub16HIPCUB_304000_NS8EqualityEEEPlJS8_EEE10hipError_tPvRmT3_T4_T5_T6_T7_T9_mT8_P12ihipStream_tbDpT10_ENKUlT_T0_E_clISt17integral_constantIbLb0EES18_IbLb1EEEEDaS14_S15_EUlS14_E_NS1_11comp_targetILNS1_3genE3ELNS1_11target_archE908ELNS1_3gpuE7ELNS1_3repE0EEENS1_30default_config_static_selectorELNS0_4arch9wavefront6targetE0EEEvT1_,comdat
	.protected	_ZN7rocprim17ROCPRIM_400000_NS6detail17trampoline_kernelINS0_14default_configENS1_25partition_config_selectorILNS1_17partition_subalgoE8EN3c108BFloat16ENS0_10empty_typeEbEEZZNS1_14partition_implILS5_8ELb0ES3_jPKS7_PS8_PKS8_NS0_5tupleIJPS7_S8_EEENSG_IJSD_SD_EEENS0_18inequality_wrapperIN6hipcub16HIPCUB_304000_NS8EqualityEEEPlJS8_EEE10hipError_tPvRmT3_T4_T5_T6_T7_T9_mT8_P12ihipStream_tbDpT10_ENKUlT_T0_E_clISt17integral_constantIbLb0EES18_IbLb1EEEEDaS14_S15_EUlS14_E_NS1_11comp_targetILNS1_3genE3ELNS1_11target_archE908ELNS1_3gpuE7ELNS1_3repE0EEENS1_30default_config_static_selectorELNS0_4arch9wavefront6targetE0EEEvT1_ ; -- Begin function _ZN7rocprim17ROCPRIM_400000_NS6detail17trampoline_kernelINS0_14default_configENS1_25partition_config_selectorILNS1_17partition_subalgoE8EN3c108BFloat16ENS0_10empty_typeEbEEZZNS1_14partition_implILS5_8ELb0ES3_jPKS7_PS8_PKS8_NS0_5tupleIJPS7_S8_EEENSG_IJSD_SD_EEENS0_18inequality_wrapperIN6hipcub16HIPCUB_304000_NS8EqualityEEEPlJS8_EEE10hipError_tPvRmT3_T4_T5_T6_T7_T9_mT8_P12ihipStream_tbDpT10_ENKUlT_T0_E_clISt17integral_constantIbLb0EES18_IbLb1EEEEDaS14_S15_EUlS14_E_NS1_11comp_targetILNS1_3genE3ELNS1_11target_archE908ELNS1_3gpuE7ELNS1_3repE0EEENS1_30default_config_static_selectorELNS0_4arch9wavefront6targetE0EEEvT1_
	.globl	_ZN7rocprim17ROCPRIM_400000_NS6detail17trampoline_kernelINS0_14default_configENS1_25partition_config_selectorILNS1_17partition_subalgoE8EN3c108BFloat16ENS0_10empty_typeEbEEZZNS1_14partition_implILS5_8ELb0ES3_jPKS7_PS8_PKS8_NS0_5tupleIJPS7_S8_EEENSG_IJSD_SD_EEENS0_18inequality_wrapperIN6hipcub16HIPCUB_304000_NS8EqualityEEEPlJS8_EEE10hipError_tPvRmT3_T4_T5_T6_T7_T9_mT8_P12ihipStream_tbDpT10_ENKUlT_T0_E_clISt17integral_constantIbLb0EES18_IbLb1EEEEDaS14_S15_EUlS14_E_NS1_11comp_targetILNS1_3genE3ELNS1_11target_archE908ELNS1_3gpuE7ELNS1_3repE0EEENS1_30default_config_static_selectorELNS0_4arch9wavefront6targetE0EEEvT1_
	.p2align	8
	.type	_ZN7rocprim17ROCPRIM_400000_NS6detail17trampoline_kernelINS0_14default_configENS1_25partition_config_selectorILNS1_17partition_subalgoE8EN3c108BFloat16ENS0_10empty_typeEbEEZZNS1_14partition_implILS5_8ELb0ES3_jPKS7_PS8_PKS8_NS0_5tupleIJPS7_S8_EEENSG_IJSD_SD_EEENS0_18inequality_wrapperIN6hipcub16HIPCUB_304000_NS8EqualityEEEPlJS8_EEE10hipError_tPvRmT3_T4_T5_T6_T7_T9_mT8_P12ihipStream_tbDpT10_ENKUlT_T0_E_clISt17integral_constantIbLb0EES18_IbLb1EEEEDaS14_S15_EUlS14_E_NS1_11comp_targetILNS1_3genE3ELNS1_11target_archE908ELNS1_3gpuE7ELNS1_3repE0EEENS1_30default_config_static_selectorELNS0_4arch9wavefront6targetE0EEEvT1_,@function
_ZN7rocprim17ROCPRIM_400000_NS6detail17trampoline_kernelINS0_14default_configENS1_25partition_config_selectorILNS1_17partition_subalgoE8EN3c108BFloat16ENS0_10empty_typeEbEEZZNS1_14partition_implILS5_8ELb0ES3_jPKS7_PS8_PKS8_NS0_5tupleIJPS7_S8_EEENSG_IJSD_SD_EEENS0_18inequality_wrapperIN6hipcub16HIPCUB_304000_NS8EqualityEEEPlJS8_EEE10hipError_tPvRmT3_T4_T5_T6_T7_T9_mT8_P12ihipStream_tbDpT10_ENKUlT_T0_E_clISt17integral_constantIbLb0EES18_IbLb1EEEEDaS14_S15_EUlS14_E_NS1_11comp_targetILNS1_3genE3ELNS1_11target_archE908ELNS1_3gpuE7ELNS1_3repE0EEENS1_30default_config_static_selectorELNS0_4arch9wavefront6targetE0EEEvT1_: ; @_ZN7rocprim17ROCPRIM_400000_NS6detail17trampoline_kernelINS0_14default_configENS1_25partition_config_selectorILNS1_17partition_subalgoE8EN3c108BFloat16ENS0_10empty_typeEbEEZZNS1_14partition_implILS5_8ELb0ES3_jPKS7_PS8_PKS8_NS0_5tupleIJPS7_S8_EEENSG_IJSD_SD_EEENS0_18inequality_wrapperIN6hipcub16HIPCUB_304000_NS8EqualityEEEPlJS8_EEE10hipError_tPvRmT3_T4_T5_T6_T7_T9_mT8_P12ihipStream_tbDpT10_ENKUlT_T0_E_clISt17integral_constantIbLb0EES18_IbLb1EEEEDaS14_S15_EUlS14_E_NS1_11comp_targetILNS1_3genE3ELNS1_11target_archE908ELNS1_3gpuE7ELNS1_3repE0EEENS1_30default_config_static_selectorELNS0_4arch9wavefront6targetE0EEEvT1_
; %bb.0:
	.section	.rodata,"a",@progbits
	.p2align	6, 0x0
	.amdhsa_kernel _ZN7rocprim17ROCPRIM_400000_NS6detail17trampoline_kernelINS0_14default_configENS1_25partition_config_selectorILNS1_17partition_subalgoE8EN3c108BFloat16ENS0_10empty_typeEbEEZZNS1_14partition_implILS5_8ELb0ES3_jPKS7_PS8_PKS8_NS0_5tupleIJPS7_S8_EEENSG_IJSD_SD_EEENS0_18inequality_wrapperIN6hipcub16HIPCUB_304000_NS8EqualityEEEPlJS8_EEE10hipError_tPvRmT3_T4_T5_T6_T7_T9_mT8_P12ihipStream_tbDpT10_ENKUlT_T0_E_clISt17integral_constantIbLb0EES18_IbLb1EEEEDaS14_S15_EUlS14_E_NS1_11comp_targetILNS1_3genE3ELNS1_11target_archE908ELNS1_3gpuE7ELNS1_3repE0EEENS1_30default_config_static_selectorELNS0_4arch9wavefront6targetE0EEEvT1_
		.amdhsa_group_segment_fixed_size 0
		.amdhsa_private_segment_fixed_size 0
		.amdhsa_kernarg_size 128
		.amdhsa_user_sgpr_count 2
		.amdhsa_user_sgpr_dispatch_ptr 0
		.amdhsa_user_sgpr_queue_ptr 0
		.amdhsa_user_sgpr_kernarg_segment_ptr 1
		.amdhsa_user_sgpr_dispatch_id 0
		.amdhsa_user_sgpr_kernarg_preload_length 0
		.amdhsa_user_sgpr_kernarg_preload_offset 0
		.amdhsa_user_sgpr_private_segment_size 0
		.amdhsa_wavefront_size32 1
		.amdhsa_uses_dynamic_stack 0
		.amdhsa_enable_private_segment 0
		.amdhsa_system_sgpr_workgroup_id_x 1
		.amdhsa_system_sgpr_workgroup_id_y 0
		.amdhsa_system_sgpr_workgroup_id_z 0
		.amdhsa_system_sgpr_workgroup_info 0
		.amdhsa_system_vgpr_workitem_id 0
		.amdhsa_next_free_vgpr 1
		.amdhsa_next_free_sgpr 1
		.amdhsa_named_barrier_count 0
		.amdhsa_reserve_vcc 0
		.amdhsa_float_round_mode_32 0
		.amdhsa_float_round_mode_16_64 0
		.amdhsa_float_denorm_mode_32 3
		.amdhsa_float_denorm_mode_16_64 3
		.amdhsa_fp16_overflow 0
		.amdhsa_memory_ordered 1
		.amdhsa_forward_progress 1
		.amdhsa_inst_pref_size 0
		.amdhsa_round_robin_scheduling 0
		.amdhsa_exception_fp_ieee_invalid_op 0
		.amdhsa_exception_fp_denorm_src 0
		.amdhsa_exception_fp_ieee_div_zero 0
		.amdhsa_exception_fp_ieee_overflow 0
		.amdhsa_exception_fp_ieee_underflow 0
		.amdhsa_exception_fp_ieee_inexact 0
		.amdhsa_exception_int_div_zero 0
	.end_amdhsa_kernel
	.section	.text._ZN7rocprim17ROCPRIM_400000_NS6detail17trampoline_kernelINS0_14default_configENS1_25partition_config_selectorILNS1_17partition_subalgoE8EN3c108BFloat16ENS0_10empty_typeEbEEZZNS1_14partition_implILS5_8ELb0ES3_jPKS7_PS8_PKS8_NS0_5tupleIJPS7_S8_EEENSG_IJSD_SD_EEENS0_18inequality_wrapperIN6hipcub16HIPCUB_304000_NS8EqualityEEEPlJS8_EEE10hipError_tPvRmT3_T4_T5_T6_T7_T9_mT8_P12ihipStream_tbDpT10_ENKUlT_T0_E_clISt17integral_constantIbLb0EES18_IbLb1EEEEDaS14_S15_EUlS14_E_NS1_11comp_targetILNS1_3genE3ELNS1_11target_archE908ELNS1_3gpuE7ELNS1_3repE0EEENS1_30default_config_static_selectorELNS0_4arch9wavefront6targetE0EEEvT1_,"axG",@progbits,_ZN7rocprim17ROCPRIM_400000_NS6detail17trampoline_kernelINS0_14default_configENS1_25partition_config_selectorILNS1_17partition_subalgoE8EN3c108BFloat16ENS0_10empty_typeEbEEZZNS1_14partition_implILS5_8ELb0ES3_jPKS7_PS8_PKS8_NS0_5tupleIJPS7_S8_EEENSG_IJSD_SD_EEENS0_18inequality_wrapperIN6hipcub16HIPCUB_304000_NS8EqualityEEEPlJS8_EEE10hipError_tPvRmT3_T4_T5_T6_T7_T9_mT8_P12ihipStream_tbDpT10_ENKUlT_T0_E_clISt17integral_constantIbLb0EES18_IbLb1EEEEDaS14_S15_EUlS14_E_NS1_11comp_targetILNS1_3genE3ELNS1_11target_archE908ELNS1_3gpuE7ELNS1_3repE0EEENS1_30default_config_static_selectorELNS0_4arch9wavefront6targetE0EEEvT1_,comdat
.Lfunc_end851:
	.size	_ZN7rocprim17ROCPRIM_400000_NS6detail17trampoline_kernelINS0_14default_configENS1_25partition_config_selectorILNS1_17partition_subalgoE8EN3c108BFloat16ENS0_10empty_typeEbEEZZNS1_14partition_implILS5_8ELb0ES3_jPKS7_PS8_PKS8_NS0_5tupleIJPS7_S8_EEENSG_IJSD_SD_EEENS0_18inequality_wrapperIN6hipcub16HIPCUB_304000_NS8EqualityEEEPlJS8_EEE10hipError_tPvRmT3_T4_T5_T6_T7_T9_mT8_P12ihipStream_tbDpT10_ENKUlT_T0_E_clISt17integral_constantIbLb0EES18_IbLb1EEEEDaS14_S15_EUlS14_E_NS1_11comp_targetILNS1_3genE3ELNS1_11target_archE908ELNS1_3gpuE7ELNS1_3repE0EEENS1_30default_config_static_selectorELNS0_4arch9wavefront6targetE0EEEvT1_, .Lfunc_end851-_ZN7rocprim17ROCPRIM_400000_NS6detail17trampoline_kernelINS0_14default_configENS1_25partition_config_selectorILNS1_17partition_subalgoE8EN3c108BFloat16ENS0_10empty_typeEbEEZZNS1_14partition_implILS5_8ELb0ES3_jPKS7_PS8_PKS8_NS0_5tupleIJPS7_S8_EEENSG_IJSD_SD_EEENS0_18inequality_wrapperIN6hipcub16HIPCUB_304000_NS8EqualityEEEPlJS8_EEE10hipError_tPvRmT3_T4_T5_T6_T7_T9_mT8_P12ihipStream_tbDpT10_ENKUlT_T0_E_clISt17integral_constantIbLb0EES18_IbLb1EEEEDaS14_S15_EUlS14_E_NS1_11comp_targetILNS1_3genE3ELNS1_11target_archE908ELNS1_3gpuE7ELNS1_3repE0EEENS1_30default_config_static_selectorELNS0_4arch9wavefront6targetE0EEEvT1_
                                        ; -- End function
	.set _ZN7rocprim17ROCPRIM_400000_NS6detail17trampoline_kernelINS0_14default_configENS1_25partition_config_selectorILNS1_17partition_subalgoE8EN3c108BFloat16ENS0_10empty_typeEbEEZZNS1_14partition_implILS5_8ELb0ES3_jPKS7_PS8_PKS8_NS0_5tupleIJPS7_S8_EEENSG_IJSD_SD_EEENS0_18inequality_wrapperIN6hipcub16HIPCUB_304000_NS8EqualityEEEPlJS8_EEE10hipError_tPvRmT3_T4_T5_T6_T7_T9_mT8_P12ihipStream_tbDpT10_ENKUlT_T0_E_clISt17integral_constantIbLb0EES18_IbLb1EEEEDaS14_S15_EUlS14_E_NS1_11comp_targetILNS1_3genE3ELNS1_11target_archE908ELNS1_3gpuE7ELNS1_3repE0EEENS1_30default_config_static_selectorELNS0_4arch9wavefront6targetE0EEEvT1_.num_vgpr, 0
	.set _ZN7rocprim17ROCPRIM_400000_NS6detail17trampoline_kernelINS0_14default_configENS1_25partition_config_selectorILNS1_17partition_subalgoE8EN3c108BFloat16ENS0_10empty_typeEbEEZZNS1_14partition_implILS5_8ELb0ES3_jPKS7_PS8_PKS8_NS0_5tupleIJPS7_S8_EEENSG_IJSD_SD_EEENS0_18inequality_wrapperIN6hipcub16HIPCUB_304000_NS8EqualityEEEPlJS8_EEE10hipError_tPvRmT3_T4_T5_T6_T7_T9_mT8_P12ihipStream_tbDpT10_ENKUlT_T0_E_clISt17integral_constantIbLb0EES18_IbLb1EEEEDaS14_S15_EUlS14_E_NS1_11comp_targetILNS1_3genE3ELNS1_11target_archE908ELNS1_3gpuE7ELNS1_3repE0EEENS1_30default_config_static_selectorELNS0_4arch9wavefront6targetE0EEEvT1_.num_agpr, 0
	.set _ZN7rocprim17ROCPRIM_400000_NS6detail17trampoline_kernelINS0_14default_configENS1_25partition_config_selectorILNS1_17partition_subalgoE8EN3c108BFloat16ENS0_10empty_typeEbEEZZNS1_14partition_implILS5_8ELb0ES3_jPKS7_PS8_PKS8_NS0_5tupleIJPS7_S8_EEENSG_IJSD_SD_EEENS0_18inequality_wrapperIN6hipcub16HIPCUB_304000_NS8EqualityEEEPlJS8_EEE10hipError_tPvRmT3_T4_T5_T6_T7_T9_mT8_P12ihipStream_tbDpT10_ENKUlT_T0_E_clISt17integral_constantIbLb0EES18_IbLb1EEEEDaS14_S15_EUlS14_E_NS1_11comp_targetILNS1_3genE3ELNS1_11target_archE908ELNS1_3gpuE7ELNS1_3repE0EEENS1_30default_config_static_selectorELNS0_4arch9wavefront6targetE0EEEvT1_.numbered_sgpr, 0
	.set _ZN7rocprim17ROCPRIM_400000_NS6detail17trampoline_kernelINS0_14default_configENS1_25partition_config_selectorILNS1_17partition_subalgoE8EN3c108BFloat16ENS0_10empty_typeEbEEZZNS1_14partition_implILS5_8ELb0ES3_jPKS7_PS8_PKS8_NS0_5tupleIJPS7_S8_EEENSG_IJSD_SD_EEENS0_18inequality_wrapperIN6hipcub16HIPCUB_304000_NS8EqualityEEEPlJS8_EEE10hipError_tPvRmT3_T4_T5_T6_T7_T9_mT8_P12ihipStream_tbDpT10_ENKUlT_T0_E_clISt17integral_constantIbLb0EES18_IbLb1EEEEDaS14_S15_EUlS14_E_NS1_11comp_targetILNS1_3genE3ELNS1_11target_archE908ELNS1_3gpuE7ELNS1_3repE0EEENS1_30default_config_static_selectorELNS0_4arch9wavefront6targetE0EEEvT1_.num_named_barrier, 0
	.set _ZN7rocprim17ROCPRIM_400000_NS6detail17trampoline_kernelINS0_14default_configENS1_25partition_config_selectorILNS1_17partition_subalgoE8EN3c108BFloat16ENS0_10empty_typeEbEEZZNS1_14partition_implILS5_8ELb0ES3_jPKS7_PS8_PKS8_NS0_5tupleIJPS7_S8_EEENSG_IJSD_SD_EEENS0_18inequality_wrapperIN6hipcub16HIPCUB_304000_NS8EqualityEEEPlJS8_EEE10hipError_tPvRmT3_T4_T5_T6_T7_T9_mT8_P12ihipStream_tbDpT10_ENKUlT_T0_E_clISt17integral_constantIbLb0EES18_IbLb1EEEEDaS14_S15_EUlS14_E_NS1_11comp_targetILNS1_3genE3ELNS1_11target_archE908ELNS1_3gpuE7ELNS1_3repE0EEENS1_30default_config_static_selectorELNS0_4arch9wavefront6targetE0EEEvT1_.private_seg_size, 0
	.set _ZN7rocprim17ROCPRIM_400000_NS6detail17trampoline_kernelINS0_14default_configENS1_25partition_config_selectorILNS1_17partition_subalgoE8EN3c108BFloat16ENS0_10empty_typeEbEEZZNS1_14partition_implILS5_8ELb0ES3_jPKS7_PS8_PKS8_NS0_5tupleIJPS7_S8_EEENSG_IJSD_SD_EEENS0_18inequality_wrapperIN6hipcub16HIPCUB_304000_NS8EqualityEEEPlJS8_EEE10hipError_tPvRmT3_T4_T5_T6_T7_T9_mT8_P12ihipStream_tbDpT10_ENKUlT_T0_E_clISt17integral_constantIbLb0EES18_IbLb1EEEEDaS14_S15_EUlS14_E_NS1_11comp_targetILNS1_3genE3ELNS1_11target_archE908ELNS1_3gpuE7ELNS1_3repE0EEENS1_30default_config_static_selectorELNS0_4arch9wavefront6targetE0EEEvT1_.uses_vcc, 0
	.set _ZN7rocprim17ROCPRIM_400000_NS6detail17trampoline_kernelINS0_14default_configENS1_25partition_config_selectorILNS1_17partition_subalgoE8EN3c108BFloat16ENS0_10empty_typeEbEEZZNS1_14partition_implILS5_8ELb0ES3_jPKS7_PS8_PKS8_NS0_5tupleIJPS7_S8_EEENSG_IJSD_SD_EEENS0_18inequality_wrapperIN6hipcub16HIPCUB_304000_NS8EqualityEEEPlJS8_EEE10hipError_tPvRmT3_T4_T5_T6_T7_T9_mT8_P12ihipStream_tbDpT10_ENKUlT_T0_E_clISt17integral_constantIbLb0EES18_IbLb1EEEEDaS14_S15_EUlS14_E_NS1_11comp_targetILNS1_3genE3ELNS1_11target_archE908ELNS1_3gpuE7ELNS1_3repE0EEENS1_30default_config_static_selectorELNS0_4arch9wavefront6targetE0EEEvT1_.uses_flat_scratch, 0
	.set _ZN7rocprim17ROCPRIM_400000_NS6detail17trampoline_kernelINS0_14default_configENS1_25partition_config_selectorILNS1_17partition_subalgoE8EN3c108BFloat16ENS0_10empty_typeEbEEZZNS1_14partition_implILS5_8ELb0ES3_jPKS7_PS8_PKS8_NS0_5tupleIJPS7_S8_EEENSG_IJSD_SD_EEENS0_18inequality_wrapperIN6hipcub16HIPCUB_304000_NS8EqualityEEEPlJS8_EEE10hipError_tPvRmT3_T4_T5_T6_T7_T9_mT8_P12ihipStream_tbDpT10_ENKUlT_T0_E_clISt17integral_constantIbLb0EES18_IbLb1EEEEDaS14_S15_EUlS14_E_NS1_11comp_targetILNS1_3genE3ELNS1_11target_archE908ELNS1_3gpuE7ELNS1_3repE0EEENS1_30default_config_static_selectorELNS0_4arch9wavefront6targetE0EEEvT1_.has_dyn_sized_stack, 0
	.set _ZN7rocprim17ROCPRIM_400000_NS6detail17trampoline_kernelINS0_14default_configENS1_25partition_config_selectorILNS1_17partition_subalgoE8EN3c108BFloat16ENS0_10empty_typeEbEEZZNS1_14partition_implILS5_8ELb0ES3_jPKS7_PS8_PKS8_NS0_5tupleIJPS7_S8_EEENSG_IJSD_SD_EEENS0_18inequality_wrapperIN6hipcub16HIPCUB_304000_NS8EqualityEEEPlJS8_EEE10hipError_tPvRmT3_T4_T5_T6_T7_T9_mT8_P12ihipStream_tbDpT10_ENKUlT_T0_E_clISt17integral_constantIbLb0EES18_IbLb1EEEEDaS14_S15_EUlS14_E_NS1_11comp_targetILNS1_3genE3ELNS1_11target_archE908ELNS1_3gpuE7ELNS1_3repE0EEENS1_30default_config_static_selectorELNS0_4arch9wavefront6targetE0EEEvT1_.has_recursion, 0
	.set _ZN7rocprim17ROCPRIM_400000_NS6detail17trampoline_kernelINS0_14default_configENS1_25partition_config_selectorILNS1_17partition_subalgoE8EN3c108BFloat16ENS0_10empty_typeEbEEZZNS1_14partition_implILS5_8ELb0ES3_jPKS7_PS8_PKS8_NS0_5tupleIJPS7_S8_EEENSG_IJSD_SD_EEENS0_18inequality_wrapperIN6hipcub16HIPCUB_304000_NS8EqualityEEEPlJS8_EEE10hipError_tPvRmT3_T4_T5_T6_T7_T9_mT8_P12ihipStream_tbDpT10_ENKUlT_T0_E_clISt17integral_constantIbLb0EES18_IbLb1EEEEDaS14_S15_EUlS14_E_NS1_11comp_targetILNS1_3genE3ELNS1_11target_archE908ELNS1_3gpuE7ELNS1_3repE0EEENS1_30default_config_static_selectorELNS0_4arch9wavefront6targetE0EEEvT1_.has_indirect_call, 0
	.section	.AMDGPU.csdata,"",@progbits
; Kernel info:
; codeLenInByte = 0
; TotalNumSgprs: 0
; NumVgprs: 0
; ScratchSize: 0
; MemoryBound: 0
; FloatMode: 240
; IeeeMode: 1
; LDSByteSize: 0 bytes/workgroup (compile time only)
; SGPRBlocks: 0
; VGPRBlocks: 0
; NumSGPRsForWavesPerEU: 1
; NumVGPRsForWavesPerEU: 1
; NamedBarCnt: 0
; Occupancy: 16
; WaveLimiterHint : 0
; COMPUTE_PGM_RSRC2:SCRATCH_EN: 0
; COMPUTE_PGM_RSRC2:USER_SGPR: 2
; COMPUTE_PGM_RSRC2:TRAP_HANDLER: 0
; COMPUTE_PGM_RSRC2:TGID_X_EN: 1
; COMPUTE_PGM_RSRC2:TGID_Y_EN: 0
; COMPUTE_PGM_RSRC2:TGID_Z_EN: 0
; COMPUTE_PGM_RSRC2:TIDIG_COMP_CNT: 0
	.section	.text._ZN7rocprim17ROCPRIM_400000_NS6detail17trampoline_kernelINS0_14default_configENS1_25partition_config_selectorILNS1_17partition_subalgoE8EN3c108BFloat16ENS0_10empty_typeEbEEZZNS1_14partition_implILS5_8ELb0ES3_jPKS7_PS8_PKS8_NS0_5tupleIJPS7_S8_EEENSG_IJSD_SD_EEENS0_18inequality_wrapperIN6hipcub16HIPCUB_304000_NS8EqualityEEEPlJS8_EEE10hipError_tPvRmT3_T4_T5_T6_T7_T9_mT8_P12ihipStream_tbDpT10_ENKUlT_T0_E_clISt17integral_constantIbLb0EES18_IbLb1EEEEDaS14_S15_EUlS14_E_NS1_11comp_targetILNS1_3genE2ELNS1_11target_archE906ELNS1_3gpuE6ELNS1_3repE0EEENS1_30default_config_static_selectorELNS0_4arch9wavefront6targetE0EEEvT1_,"axG",@progbits,_ZN7rocprim17ROCPRIM_400000_NS6detail17trampoline_kernelINS0_14default_configENS1_25partition_config_selectorILNS1_17partition_subalgoE8EN3c108BFloat16ENS0_10empty_typeEbEEZZNS1_14partition_implILS5_8ELb0ES3_jPKS7_PS8_PKS8_NS0_5tupleIJPS7_S8_EEENSG_IJSD_SD_EEENS0_18inequality_wrapperIN6hipcub16HIPCUB_304000_NS8EqualityEEEPlJS8_EEE10hipError_tPvRmT3_T4_T5_T6_T7_T9_mT8_P12ihipStream_tbDpT10_ENKUlT_T0_E_clISt17integral_constantIbLb0EES18_IbLb1EEEEDaS14_S15_EUlS14_E_NS1_11comp_targetILNS1_3genE2ELNS1_11target_archE906ELNS1_3gpuE6ELNS1_3repE0EEENS1_30default_config_static_selectorELNS0_4arch9wavefront6targetE0EEEvT1_,comdat
	.protected	_ZN7rocprim17ROCPRIM_400000_NS6detail17trampoline_kernelINS0_14default_configENS1_25partition_config_selectorILNS1_17partition_subalgoE8EN3c108BFloat16ENS0_10empty_typeEbEEZZNS1_14partition_implILS5_8ELb0ES3_jPKS7_PS8_PKS8_NS0_5tupleIJPS7_S8_EEENSG_IJSD_SD_EEENS0_18inequality_wrapperIN6hipcub16HIPCUB_304000_NS8EqualityEEEPlJS8_EEE10hipError_tPvRmT3_T4_T5_T6_T7_T9_mT8_P12ihipStream_tbDpT10_ENKUlT_T0_E_clISt17integral_constantIbLb0EES18_IbLb1EEEEDaS14_S15_EUlS14_E_NS1_11comp_targetILNS1_3genE2ELNS1_11target_archE906ELNS1_3gpuE6ELNS1_3repE0EEENS1_30default_config_static_selectorELNS0_4arch9wavefront6targetE0EEEvT1_ ; -- Begin function _ZN7rocprim17ROCPRIM_400000_NS6detail17trampoline_kernelINS0_14default_configENS1_25partition_config_selectorILNS1_17partition_subalgoE8EN3c108BFloat16ENS0_10empty_typeEbEEZZNS1_14partition_implILS5_8ELb0ES3_jPKS7_PS8_PKS8_NS0_5tupleIJPS7_S8_EEENSG_IJSD_SD_EEENS0_18inequality_wrapperIN6hipcub16HIPCUB_304000_NS8EqualityEEEPlJS8_EEE10hipError_tPvRmT3_T4_T5_T6_T7_T9_mT8_P12ihipStream_tbDpT10_ENKUlT_T0_E_clISt17integral_constantIbLb0EES18_IbLb1EEEEDaS14_S15_EUlS14_E_NS1_11comp_targetILNS1_3genE2ELNS1_11target_archE906ELNS1_3gpuE6ELNS1_3repE0EEENS1_30default_config_static_selectorELNS0_4arch9wavefront6targetE0EEEvT1_
	.globl	_ZN7rocprim17ROCPRIM_400000_NS6detail17trampoline_kernelINS0_14default_configENS1_25partition_config_selectorILNS1_17partition_subalgoE8EN3c108BFloat16ENS0_10empty_typeEbEEZZNS1_14partition_implILS5_8ELb0ES3_jPKS7_PS8_PKS8_NS0_5tupleIJPS7_S8_EEENSG_IJSD_SD_EEENS0_18inequality_wrapperIN6hipcub16HIPCUB_304000_NS8EqualityEEEPlJS8_EEE10hipError_tPvRmT3_T4_T5_T6_T7_T9_mT8_P12ihipStream_tbDpT10_ENKUlT_T0_E_clISt17integral_constantIbLb0EES18_IbLb1EEEEDaS14_S15_EUlS14_E_NS1_11comp_targetILNS1_3genE2ELNS1_11target_archE906ELNS1_3gpuE6ELNS1_3repE0EEENS1_30default_config_static_selectorELNS0_4arch9wavefront6targetE0EEEvT1_
	.p2align	8
	.type	_ZN7rocprim17ROCPRIM_400000_NS6detail17trampoline_kernelINS0_14default_configENS1_25partition_config_selectorILNS1_17partition_subalgoE8EN3c108BFloat16ENS0_10empty_typeEbEEZZNS1_14partition_implILS5_8ELb0ES3_jPKS7_PS8_PKS8_NS0_5tupleIJPS7_S8_EEENSG_IJSD_SD_EEENS0_18inequality_wrapperIN6hipcub16HIPCUB_304000_NS8EqualityEEEPlJS8_EEE10hipError_tPvRmT3_T4_T5_T6_T7_T9_mT8_P12ihipStream_tbDpT10_ENKUlT_T0_E_clISt17integral_constantIbLb0EES18_IbLb1EEEEDaS14_S15_EUlS14_E_NS1_11comp_targetILNS1_3genE2ELNS1_11target_archE906ELNS1_3gpuE6ELNS1_3repE0EEENS1_30default_config_static_selectorELNS0_4arch9wavefront6targetE0EEEvT1_,@function
_ZN7rocprim17ROCPRIM_400000_NS6detail17trampoline_kernelINS0_14default_configENS1_25partition_config_selectorILNS1_17partition_subalgoE8EN3c108BFloat16ENS0_10empty_typeEbEEZZNS1_14partition_implILS5_8ELb0ES3_jPKS7_PS8_PKS8_NS0_5tupleIJPS7_S8_EEENSG_IJSD_SD_EEENS0_18inequality_wrapperIN6hipcub16HIPCUB_304000_NS8EqualityEEEPlJS8_EEE10hipError_tPvRmT3_T4_T5_T6_T7_T9_mT8_P12ihipStream_tbDpT10_ENKUlT_T0_E_clISt17integral_constantIbLb0EES18_IbLb1EEEEDaS14_S15_EUlS14_E_NS1_11comp_targetILNS1_3genE2ELNS1_11target_archE906ELNS1_3gpuE6ELNS1_3repE0EEENS1_30default_config_static_selectorELNS0_4arch9wavefront6targetE0EEEvT1_: ; @_ZN7rocprim17ROCPRIM_400000_NS6detail17trampoline_kernelINS0_14default_configENS1_25partition_config_selectorILNS1_17partition_subalgoE8EN3c108BFloat16ENS0_10empty_typeEbEEZZNS1_14partition_implILS5_8ELb0ES3_jPKS7_PS8_PKS8_NS0_5tupleIJPS7_S8_EEENSG_IJSD_SD_EEENS0_18inequality_wrapperIN6hipcub16HIPCUB_304000_NS8EqualityEEEPlJS8_EEE10hipError_tPvRmT3_T4_T5_T6_T7_T9_mT8_P12ihipStream_tbDpT10_ENKUlT_T0_E_clISt17integral_constantIbLb0EES18_IbLb1EEEEDaS14_S15_EUlS14_E_NS1_11comp_targetILNS1_3genE2ELNS1_11target_archE906ELNS1_3gpuE6ELNS1_3repE0EEENS1_30default_config_static_selectorELNS0_4arch9wavefront6targetE0EEEvT1_
; %bb.0:
	.section	.rodata,"a",@progbits
	.p2align	6, 0x0
	.amdhsa_kernel _ZN7rocprim17ROCPRIM_400000_NS6detail17trampoline_kernelINS0_14default_configENS1_25partition_config_selectorILNS1_17partition_subalgoE8EN3c108BFloat16ENS0_10empty_typeEbEEZZNS1_14partition_implILS5_8ELb0ES3_jPKS7_PS8_PKS8_NS0_5tupleIJPS7_S8_EEENSG_IJSD_SD_EEENS0_18inequality_wrapperIN6hipcub16HIPCUB_304000_NS8EqualityEEEPlJS8_EEE10hipError_tPvRmT3_T4_T5_T6_T7_T9_mT8_P12ihipStream_tbDpT10_ENKUlT_T0_E_clISt17integral_constantIbLb0EES18_IbLb1EEEEDaS14_S15_EUlS14_E_NS1_11comp_targetILNS1_3genE2ELNS1_11target_archE906ELNS1_3gpuE6ELNS1_3repE0EEENS1_30default_config_static_selectorELNS0_4arch9wavefront6targetE0EEEvT1_
		.amdhsa_group_segment_fixed_size 0
		.amdhsa_private_segment_fixed_size 0
		.amdhsa_kernarg_size 128
		.amdhsa_user_sgpr_count 2
		.amdhsa_user_sgpr_dispatch_ptr 0
		.amdhsa_user_sgpr_queue_ptr 0
		.amdhsa_user_sgpr_kernarg_segment_ptr 1
		.amdhsa_user_sgpr_dispatch_id 0
		.amdhsa_user_sgpr_kernarg_preload_length 0
		.amdhsa_user_sgpr_kernarg_preload_offset 0
		.amdhsa_user_sgpr_private_segment_size 0
		.amdhsa_wavefront_size32 1
		.amdhsa_uses_dynamic_stack 0
		.amdhsa_enable_private_segment 0
		.amdhsa_system_sgpr_workgroup_id_x 1
		.amdhsa_system_sgpr_workgroup_id_y 0
		.amdhsa_system_sgpr_workgroup_id_z 0
		.amdhsa_system_sgpr_workgroup_info 0
		.amdhsa_system_vgpr_workitem_id 0
		.amdhsa_next_free_vgpr 1
		.amdhsa_next_free_sgpr 1
		.amdhsa_named_barrier_count 0
		.amdhsa_reserve_vcc 0
		.amdhsa_float_round_mode_32 0
		.amdhsa_float_round_mode_16_64 0
		.amdhsa_float_denorm_mode_32 3
		.amdhsa_float_denorm_mode_16_64 3
		.amdhsa_fp16_overflow 0
		.amdhsa_memory_ordered 1
		.amdhsa_forward_progress 1
		.amdhsa_inst_pref_size 0
		.amdhsa_round_robin_scheduling 0
		.amdhsa_exception_fp_ieee_invalid_op 0
		.amdhsa_exception_fp_denorm_src 0
		.amdhsa_exception_fp_ieee_div_zero 0
		.amdhsa_exception_fp_ieee_overflow 0
		.amdhsa_exception_fp_ieee_underflow 0
		.amdhsa_exception_fp_ieee_inexact 0
		.amdhsa_exception_int_div_zero 0
	.end_amdhsa_kernel
	.section	.text._ZN7rocprim17ROCPRIM_400000_NS6detail17trampoline_kernelINS0_14default_configENS1_25partition_config_selectorILNS1_17partition_subalgoE8EN3c108BFloat16ENS0_10empty_typeEbEEZZNS1_14partition_implILS5_8ELb0ES3_jPKS7_PS8_PKS8_NS0_5tupleIJPS7_S8_EEENSG_IJSD_SD_EEENS0_18inequality_wrapperIN6hipcub16HIPCUB_304000_NS8EqualityEEEPlJS8_EEE10hipError_tPvRmT3_T4_T5_T6_T7_T9_mT8_P12ihipStream_tbDpT10_ENKUlT_T0_E_clISt17integral_constantIbLb0EES18_IbLb1EEEEDaS14_S15_EUlS14_E_NS1_11comp_targetILNS1_3genE2ELNS1_11target_archE906ELNS1_3gpuE6ELNS1_3repE0EEENS1_30default_config_static_selectorELNS0_4arch9wavefront6targetE0EEEvT1_,"axG",@progbits,_ZN7rocprim17ROCPRIM_400000_NS6detail17trampoline_kernelINS0_14default_configENS1_25partition_config_selectorILNS1_17partition_subalgoE8EN3c108BFloat16ENS0_10empty_typeEbEEZZNS1_14partition_implILS5_8ELb0ES3_jPKS7_PS8_PKS8_NS0_5tupleIJPS7_S8_EEENSG_IJSD_SD_EEENS0_18inequality_wrapperIN6hipcub16HIPCUB_304000_NS8EqualityEEEPlJS8_EEE10hipError_tPvRmT3_T4_T5_T6_T7_T9_mT8_P12ihipStream_tbDpT10_ENKUlT_T0_E_clISt17integral_constantIbLb0EES18_IbLb1EEEEDaS14_S15_EUlS14_E_NS1_11comp_targetILNS1_3genE2ELNS1_11target_archE906ELNS1_3gpuE6ELNS1_3repE0EEENS1_30default_config_static_selectorELNS0_4arch9wavefront6targetE0EEEvT1_,comdat
.Lfunc_end852:
	.size	_ZN7rocprim17ROCPRIM_400000_NS6detail17trampoline_kernelINS0_14default_configENS1_25partition_config_selectorILNS1_17partition_subalgoE8EN3c108BFloat16ENS0_10empty_typeEbEEZZNS1_14partition_implILS5_8ELb0ES3_jPKS7_PS8_PKS8_NS0_5tupleIJPS7_S8_EEENSG_IJSD_SD_EEENS0_18inequality_wrapperIN6hipcub16HIPCUB_304000_NS8EqualityEEEPlJS8_EEE10hipError_tPvRmT3_T4_T5_T6_T7_T9_mT8_P12ihipStream_tbDpT10_ENKUlT_T0_E_clISt17integral_constantIbLb0EES18_IbLb1EEEEDaS14_S15_EUlS14_E_NS1_11comp_targetILNS1_3genE2ELNS1_11target_archE906ELNS1_3gpuE6ELNS1_3repE0EEENS1_30default_config_static_selectorELNS0_4arch9wavefront6targetE0EEEvT1_, .Lfunc_end852-_ZN7rocprim17ROCPRIM_400000_NS6detail17trampoline_kernelINS0_14default_configENS1_25partition_config_selectorILNS1_17partition_subalgoE8EN3c108BFloat16ENS0_10empty_typeEbEEZZNS1_14partition_implILS5_8ELb0ES3_jPKS7_PS8_PKS8_NS0_5tupleIJPS7_S8_EEENSG_IJSD_SD_EEENS0_18inequality_wrapperIN6hipcub16HIPCUB_304000_NS8EqualityEEEPlJS8_EEE10hipError_tPvRmT3_T4_T5_T6_T7_T9_mT8_P12ihipStream_tbDpT10_ENKUlT_T0_E_clISt17integral_constantIbLb0EES18_IbLb1EEEEDaS14_S15_EUlS14_E_NS1_11comp_targetILNS1_3genE2ELNS1_11target_archE906ELNS1_3gpuE6ELNS1_3repE0EEENS1_30default_config_static_selectorELNS0_4arch9wavefront6targetE0EEEvT1_
                                        ; -- End function
	.set _ZN7rocprim17ROCPRIM_400000_NS6detail17trampoline_kernelINS0_14default_configENS1_25partition_config_selectorILNS1_17partition_subalgoE8EN3c108BFloat16ENS0_10empty_typeEbEEZZNS1_14partition_implILS5_8ELb0ES3_jPKS7_PS8_PKS8_NS0_5tupleIJPS7_S8_EEENSG_IJSD_SD_EEENS0_18inequality_wrapperIN6hipcub16HIPCUB_304000_NS8EqualityEEEPlJS8_EEE10hipError_tPvRmT3_T4_T5_T6_T7_T9_mT8_P12ihipStream_tbDpT10_ENKUlT_T0_E_clISt17integral_constantIbLb0EES18_IbLb1EEEEDaS14_S15_EUlS14_E_NS1_11comp_targetILNS1_3genE2ELNS1_11target_archE906ELNS1_3gpuE6ELNS1_3repE0EEENS1_30default_config_static_selectorELNS0_4arch9wavefront6targetE0EEEvT1_.num_vgpr, 0
	.set _ZN7rocprim17ROCPRIM_400000_NS6detail17trampoline_kernelINS0_14default_configENS1_25partition_config_selectorILNS1_17partition_subalgoE8EN3c108BFloat16ENS0_10empty_typeEbEEZZNS1_14partition_implILS5_8ELb0ES3_jPKS7_PS8_PKS8_NS0_5tupleIJPS7_S8_EEENSG_IJSD_SD_EEENS0_18inequality_wrapperIN6hipcub16HIPCUB_304000_NS8EqualityEEEPlJS8_EEE10hipError_tPvRmT3_T4_T5_T6_T7_T9_mT8_P12ihipStream_tbDpT10_ENKUlT_T0_E_clISt17integral_constantIbLb0EES18_IbLb1EEEEDaS14_S15_EUlS14_E_NS1_11comp_targetILNS1_3genE2ELNS1_11target_archE906ELNS1_3gpuE6ELNS1_3repE0EEENS1_30default_config_static_selectorELNS0_4arch9wavefront6targetE0EEEvT1_.num_agpr, 0
	.set _ZN7rocprim17ROCPRIM_400000_NS6detail17trampoline_kernelINS0_14default_configENS1_25partition_config_selectorILNS1_17partition_subalgoE8EN3c108BFloat16ENS0_10empty_typeEbEEZZNS1_14partition_implILS5_8ELb0ES3_jPKS7_PS8_PKS8_NS0_5tupleIJPS7_S8_EEENSG_IJSD_SD_EEENS0_18inequality_wrapperIN6hipcub16HIPCUB_304000_NS8EqualityEEEPlJS8_EEE10hipError_tPvRmT3_T4_T5_T6_T7_T9_mT8_P12ihipStream_tbDpT10_ENKUlT_T0_E_clISt17integral_constantIbLb0EES18_IbLb1EEEEDaS14_S15_EUlS14_E_NS1_11comp_targetILNS1_3genE2ELNS1_11target_archE906ELNS1_3gpuE6ELNS1_3repE0EEENS1_30default_config_static_selectorELNS0_4arch9wavefront6targetE0EEEvT1_.numbered_sgpr, 0
	.set _ZN7rocprim17ROCPRIM_400000_NS6detail17trampoline_kernelINS0_14default_configENS1_25partition_config_selectorILNS1_17partition_subalgoE8EN3c108BFloat16ENS0_10empty_typeEbEEZZNS1_14partition_implILS5_8ELb0ES3_jPKS7_PS8_PKS8_NS0_5tupleIJPS7_S8_EEENSG_IJSD_SD_EEENS0_18inequality_wrapperIN6hipcub16HIPCUB_304000_NS8EqualityEEEPlJS8_EEE10hipError_tPvRmT3_T4_T5_T6_T7_T9_mT8_P12ihipStream_tbDpT10_ENKUlT_T0_E_clISt17integral_constantIbLb0EES18_IbLb1EEEEDaS14_S15_EUlS14_E_NS1_11comp_targetILNS1_3genE2ELNS1_11target_archE906ELNS1_3gpuE6ELNS1_3repE0EEENS1_30default_config_static_selectorELNS0_4arch9wavefront6targetE0EEEvT1_.num_named_barrier, 0
	.set _ZN7rocprim17ROCPRIM_400000_NS6detail17trampoline_kernelINS0_14default_configENS1_25partition_config_selectorILNS1_17partition_subalgoE8EN3c108BFloat16ENS0_10empty_typeEbEEZZNS1_14partition_implILS5_8ELb0ES3_jPKS7_PS8_PKS8_NS0_5tupleIJPS7_S8_EEENSG_IJSD_SD_EEENS0_18inequality_wrapperIN6hipcub16HIPCUB_304000_NS8EqualityEEEPlJS8_EEE10hipError_tPvRmT3_T4_T5_T6_T7_T9_mT8_P12ihipStream_tbDpT10_ENKUlT_T0_E_clISt17integral_constantIbLb0EES18_IbLb1EEEEDaS14_S15_EUlS14_E_NS1_11comp_targetILNS1_3genE2ELNS1_11target_archE906ELNS1_3gpuE6ELNS1_3repE0EEENS1_30default_config_static_selectorELNS0_4arch9wavefront6targetE0EEEvT1_.private_seg_size, 0
	.set _ZN7rocprim17ROCPRIM_400000_NS6detail17trampoline_kernelINS0_14default_configENS1_25partition_config_selectorILNS1_17partition_subalgoE8EN3c108BFloat16ENS0_10empty_typeEbEEZZNS1_14partition_implILS5_8ELb0ES3_jPKS7_PS8_PKS8_NS0_5tupleIJPS7_S8_EEENSG_IJSD_SD_EEENS0_18inequality_wrapperIN6hipcub16HIPCUB_304000_NS8EqualityEEEPlJS8_EEE10hipError_tPvRmT3_T4_T5_T6_T7_T9_mT8_P12ihipStream_tbDpT10_ENKUlT_T0_E_clISt17integral_constantIbLb0EES18_IbLb1EEEEDaS14_S15_EUlS14_E_NS1_11comp_targetILNS1_3genE2ELNS1_11target_archE906ELNS1_3gpuE6ELNS1_3repE0EEENS1_30default_config_static_selectorELNS0_4arch9wavefront6targetE0EEEvT1_.uses_vcc, 0
	.set _ZN7rocprim17ROCPRIM_400000_NS6detail17trampoline_kernelINS0_14default_configENS1_25partition_config_selectorILNS1_17partition_subalgoE8EN3c108BFloat16ENS0_10empty_typeEbEEZZNS1_14partition_implILS5_8ELb0ES3_jPKS7_PS8_PKS8_NS0_5tupleIJPS7_S8_EEENSG_IJSD_SD_EEENS0_18inequality_wrapperIN6hipcub16HIPCUB_304000_NS8EqualityEEEPlJS8_EEE10hipError_tPvRmT3_T4_T5_T6_T7_T9_mT8_P12ihipStream_tbDpT10_ENKUlT_T0_E_clISt17integral_constantIbLb0EES18_IbLb1EEEEDaS14_S15_EUlS14_E_NS1_11comp_targetILNS1_3genE2ELNS1_11target_archE906ELNS1_3gpuE6ELNS1_3repE0EEENS1_30default_config_static_selectorELNS0_4arch9wavefront6targetE0EEEvT1_.uses_flat_scratch, 0
	.set _ZN7rocprim17ROCPRIM_400000_NS6detail17trampoline_kernelINS0_14default_configENS1_25partition_config_selectorILNS1_17partition_subalgoE8EN3c108BFloat16ENS0_10empty_typeEbEEZZNS1_14partition_implILS5_8ELb0ES3_jPKS7_PS8_PKS8_NS0_5tupleIJPS7_S8_EEENSG_IJSD_SD_EEENS0_18inequality_wrapperIN6hipcub16HIPCUB_304000_NS8EqualityEEEPlJS8_EEE10hipError_tPvRmT3_T4_T5_T6_T7_T9_mT8_P12ihipStream_tbDpT10_ENKUlT_T0_E_clISt17integral_constantIbLb0EES18_IbLb1EEEEDaS14_S15_EUlS14_E_NS1_11comp_targetILNS1_3genE2ELNS1_11target_archE906ELNS1_3gpuE6ELNS1_3repE0EEENS1_30default_config_static_selectorELNS0_4arch9wavefront6targetE0EEEvT1_.has_dyn_sized_stack, 0
	.set _ZN7rocprim17ROCPRIM_400000_NS6detail17trampoline_kernelINS0_14default_configENS1_25partition_config_selectorILNS1_17partition_subalgoE8EN3c108BFloat16ENS0_10empty_typeEbEEZZNS1_14partition_implILS5_8ELb0ES3_jPKS7_PS8_PKS8_NS0_5tupleIJPS7_S8_EEENSG_IJSD_SD_EEENS0_18inequality_wrapperIN6hipcub16HIPCUB_304000_NS8EqualityEEEPlJS8_EEE10hipError_tPvRmT3_T4_T5_T6_T7_T9_mT8_P12ihipStream_tbDpT10_ENKUlT_T0_E_clISt17integral_constantIbLb0EES18_IbLb1EEEEDaS14_S15_EUlS14_E_NS1_11comp_targetILNS1_3genE2ELNS1_11target_archE906ELNS1_3gpuE6ELNS1_3repE0EEENS1_30default_config_static_selectorELNS0_4arch9wavefront6targetE0EEEvT1_.has_recursion, 0
	.set _ZN7rocprim17ROCPRIM_400000_NS6detail17trampoline_kernelINS0_14default_configENS1_25partition_config_selectorILNS1_17partition_subalgoE8EN3c108BFloat16ENS0_10empty_typeEbEEZZNS1_14partition_implILS5_8ELb0ES3_jPKS7_PS8_PKS8_NS0_5tupleIJPS7_S8_EEENSG_IJSD_SD_EEENS0_18inequality_wrapperIN6hipcub16HIPCUB_304000_NS8EqualityEEEPlJS8_EEE10hipError_tPvRmT3_T4_T5_T6_T7_T9_mT8_P12ihipStream_tbDpT10_ENKUlT_T0_E_clISt17integral_constantIbLb0EES18_IbLb1EEEEDaS14_S15_EUlS14_E_NS1_11comp_targetILNS1_3genE2ELNS1_11target_archE906ELNS1_3gpuE6ELNS1_3repE0EEENS1_30default_config_static_selectorELNS0_4arch9wavefront6targetE0EEEvT1_.has_indirect_call, 0
	.section	.AMDGPU.csdata,"",@progbits
; Kernel info:
; codeLenInByte = 0
; TotalNumSgprs: 0
; NumVgprs: 0
; ScratchSize: 0
; MemoryBound: 0
; FloatMode: 240
; IeeeMode: 1
; LDSByteSize: 0 bytes/workgroup (compile time only)
; SGPRBlocks: 0
; VGPRBlocks: 0
; NumSGPRsForWavesPerEU: 1
; NumVGPRsForWavesPerEU: 1
; NamedBarCnt: 0
; Occupancy: 16
; WaveLimiterHint : 0
; COMPUTE_PGM_RSRC2:SCRATCH_EN: 0
; COMPUTE_PGM_RSRC2:USER_SGPR: 2
; COMPUTE_PGM_RSRC2:TRAP_HANDLER: 0
; COMPUTE_PGM_RSRC2:TGID_X_EN: 1
; COMPUTE_PGM_RSRC2:TGID_Y_EN: 0
; COMPUTE_PGM_RSRC2:TGID_Z_EN: 0
; COMPUTE_PGM_RSRC2:TIDIG_COMP_CNT: 0
	.section	.text._ZN7rocprim17ROCPRIM_400000_NS6detail17trampoline_kernelINS0_14default_configENS1_25partition_config_selectorILNS1_17partition_subalgoE8EN3c108BFloat16ENS0_10empty_typeEbEEZZNS1_14partition_implILS5_8ELb0ES3_jPKS7_PS8_PKS8_NS0_5tupleIJPS7_S8_EEENSG_IJSD_SD_EEENS0_18inequality_wrapperIN6hipcub16HIPCUB_304000_NS8EqualityEEEPlJS8_EEE10hipError_tPvRmT3_T4_T5_T6_T7_T9_mT8_P12ihipStream_tbDpT10_ENKUlT_T0_E_clISt17integral_constantIbLb0EES18_IbLb1EEEEDaS14_S15_EUlS14_E_NS1_11comp_targetILNS1_3genE10ELNS1_11target_archE1200ELNS1_3gpuE4ELNS1_3repE0EEENS1_30default_config_static_selectorELNS0_4arch9wavefront6targetE0EEEvT1_,"axG",@progbits,_ZN7rocprim17ROCPRIM_400000_NS6detail17trampoline_kernelINS0_14default_configENS1_25partition_config_selectorILNS1_17partition_subalgoE8EN3c108BFloat16ENS0_10empty_typeEbEEZZNS1_14partition_implILS5_8ELb0ES3_jPKS7_PS8_PKS8_NS0_5tupleIJPS7_S8_EEENSG_IJSD_SD_EEENS0_18inequality_wrapperIN6hipcub16HIPCUB_304000_NS8EqualityEEEPlJS8_EEE10hipError_tPvRmT3_T4_T5_T6_T7_T9_mT8_P12ihipStream_tbDpT10_ENKUlT_T0_E_clISt17integral_constantIbLb0EES18_IbLb1EEEEDaS14_S15_EUlS14_E_NS1_11comp_targetILNS1_3genE10ELNS1_11target_archE1200ELNS1_3gpuE4ELNS1_3repE0EEENS1_30default_config_static_selectorELNS0_4arch9wavefront6targetE0EEEvT1_,comdat
	.protected	_ZN7rocprim17ROCPRIM_400000_NS6detail17trampoline_kernelINS0_14default_configENS1_25partition_config_selectorILNS1_17partition_subalgoE8EN3c108BFloat16ENS0_10empty_typeEbEEZZNS1_14partition_implILS5_8ELb0ES3_jPKS7_PS8_PKS8_NS0_5tupleIJPS7_S8_EEENSG_IJSD_SD_EEENS0_18inequality_wrapperIN6hipcub16HIPCUB_304000_NS8EqualityEEEPlJS8_EEE10hipError_tPvRmT3_T4_T5_T6_T7_T9_mT8_P12ihipStream_tbDpT10_ENKUlT_T0_E_clISt17integral_constantIbLb0EES18_IbLb1EEEEDaS14_S15_EUlS14_E_NS1_11comp_targetILNS1_3genE10ELNS1_11target_archE1200ELNS1_3gpuE4ELNS1_3repE0EEENS1_30default_config_static_selectorELNS0_4arch9wavefront6targetE0EEEvT1_ ; -- Begin function _ZN7rocprim17ROCPRIM_400000_NS6detail17trampoline_kernelINS0_14default_configENS1_25partition_config_selectorILNS1_17partition_subalgoE8EN3c108BFloat16ENS0_10empty_typeEbEEZZNS1_14partition_implILS5_8ELb0ES3_jPKS7_PS8_PKS8_NS0_5tupleIJPS7_S8_EEENSG_IJSD_SD_EEENS0_18inequality_wrapperIN6hipcub16HIPCUB_304000_NS8EqualityEEEPlJS8_EEE10hipError_tPvRmT3_T4_T5_T6_T7_T9_mT8_P12ihipStream_tbDpT10_ENKUlT_T0_E_clISt17integral_constantIbLb0EES18_IbLb1EEEEDaS14_S15_EUlS14_E_NS1_11comp_targetILNS1_3genE10ELNS1_11target_archE1200ELNS1_3gpuE4ELNS1_3repE0EEENS1_30default_config_static_selectorELNS0_4arch9wavefront6targetE0EEEvT1_
	.globl	_ZN7rocprim17ROCPRIM_400000_NS6detail17trampoline_kernelINS0_14default_configENS1_25partition_config_selectorILNS1_17partition_subalgoE8EN3c108BFloat16ENS0_10empty_typeEbEEZZNS1_14partition_implILS5_8ELb0ES3_jPKS7_PS8_PKS8_NS0_5tupleIJPS7_S8_EEENSG_IJSD_SD_EEENS0_18inequality_wrapperIN6hipcub16HIPCUB_304000_NS8EqualityEEEPlJS8_EEE10hipError_tPvRmT3_T4_T5_T6_T7_T9_mT8_P12ihipStream_tbDpT10_ENKUlT_T0_E_clISt17integral_constantIbLb0EES18_IbLb1EEEEDaS14_S15_EUlS14_E_NS1_11comp_targetILNS1_3genE10ELNS1_11target_archE1200ELNS1_3gpuE4ELNS1_3repE0EEENS1_30default_config_static_selectorELNS0_4arch9wavefront6targetE0EEEvT1_
	.p2align	8
	.type	_ZN7rocprim17ROCPRIM_400000_NS6detail17trampoline_kernelINS0_14default_configENS1_25partition_config_selectorILNS1_17partition_subalgoE8EN3c108BFloat16ENS0_10empty_typeEbEEZZNS1_14partition_implILS5_8ELb0ES3_jPKS7_PS8_PKS8_NS0_5tupleIJPS7_S8_EEENSG_IJSD_SD_EEENS0_18inequality_wrapperIN6hipcub16HIPCUB_304000_NS8EqualityEEEPlJS8_EEE10hipError_tPvRmT3_T4_T5_T6_T7_T9_mT8_P12ihipStream_tbDpT10_ENKUlT_T0_E_clISt17integral_constantIbLb0EES18_IbLb1EEEEDaS14_S15_EUlS14_E_NS1_11comp_targetILNS1_3genE10ELNS1_11target_archE1200ELNS1_3gpuE4ELNS1_3repE0EEENS1_30default_config_static_selectorELNS0_4arch9wavefront6targetE0EEEvT1_,@function
_ZN7rocprim17ROCPRIM_400000_NS6detail17trampoline_kernelINS0_14default_configENS1_25partition_config_selectorILNS1_17partition_subalgoE8EN3c108BFloat16ENS0_10empty_typeEbEEZZNS1_14partition_implILS5_8ELb0ES3_jPKS7_PS8_PKS8_NS0_5tupleIJPS7_S8_EEENSG_IJSD_SD_EEENS0_18inequality_wrapperIN6hipcub16HIPCUB_304000_NS8EqualityEEEPlJS8_EEE10hipError_tPvRmT3_T4_T5_T6_T7_T9_mT8_P12ihipStream_tbDpT10_ENKUlT_T0_E_clISt17integral_constantIbLb0EES18_IbLb1EEEEDaS14_S15_EUlS14_E_NS1_11comp_targetILNS1_3genE10ELNS1_11target_archE1200ELNS1_3gpuE4ELNS1_3repE0EEENS1_30default_config_static_selectorELNS0_4arch9wavefront6targetE0EEEvT1_: ; @_ZN7rocprim17ROCPRIM_400000_NS6detail17trampoline_kernelINS0_14default_configENS1_25partition_config_selectorILNS1_17partition_subalgoE8EN3c108BFloat16ENS0_10empty_typeEbEEZZNS1_14partition_implILS5_8ELb0ES3_jPKS7_PS8_PKS8_NS0_5tupleIJPS7_S8_EEENSG_IJSD_SD_EEENS0_18inequality_wrapperIN6hipcub16HIPCUB_304000_NS8EqualityEEEPlJS8_EEE10hipError_tPvRmT3_T4_T5_T6_T7_T9_mT8_P12ihipStream_tbDpT10_ENKUlT_T0_E_clISt17integral_constantIbLb0EES18_IbLb1EEEEDaS14_S15_EUlS14_E_NS1_11comp_targetILNS1_3genE10ELNS1_11target_archE1200ELNS1_3gpuE4ELNS1_3repE0EEENS1_30default_config_static_selectorELNS0_4arch9wavefront6targetE0EEEvT1_
; %bb.0:
	.section	.rodata,"a",@progbits
	.p2align	6, 0x0
	.amdhsa_kernel _ZN7rocprim17ROCPRIM_400000_NS6detail17trampoline_kernelINS0_14default_configENS1_25partition_config_selectorILNS1_17partition_subalgoE8EN3c108BFloat16ENS0_10empty_typeEbEEZZNS1_14partition_implILS5_8ELb0ES3_jPKS7_PS8_PKS8_NS0_5tupleIJPS7_S8_EEENSG_IJSD_SD_EEENS0_18inequality_wrapperIN6hipcub16HIPCUB_304000_NS8EqualityEEEPlJS8_EEE10hipError_tPvRmT3_T4_T5_T6_T7_T9_mT8_P12ihipStream_tbDpT10_ENKUlT_T0_E_clISt17integral_constantIbLb0EES18_IbLb1EEEEDaS14_S15_EUlS14_E_NS1_11comp_targetILNS1_3genE10ELNS1_11target_archE1200ELNS1_3gpuE4ELNS1_3repE0EEENS1_30default_config_static_selectorELNS0_4arch9wavefront6targetE0EEEvT1_
		.amdhsa_group_segment_fixed_size 0
		.amdhsa_private_segment_fixed_size 0
		.amdhsa_kernarg_size 128
		.amdhsa_user_sgpr_count 2
		.amdhsa_user_sgpr_dispatch_ptr 0
		.amdhsa_user_sgpr_queue_ptr 0
		.amdhsa_user_sgpr_kernarg_segment_ptr 1
		.amdhsa_user_sgpr_dispatch_id 0
		.amdhsa_user_sgpr_kernarg_preload_length 0
		.amdhsa_user_sgpr_kernarg_preload_offset 0
		.amdhsa_user_sgpr_private_segment_size 0
		.amdhsa_wavefront_size32 1
		.amdhsa_uses_dynamic_stack 0
		.amdhsa_enable_private_segment 0
		.amdhsa_system_sgpr_workgroup_id_x 1
		.amdhsa_system_sgpr_workgroup_id_y 0
		.amdhsa_system_sgpr_workgroup_id_z 0
		.amdhsa_system_sgpr_workgroup_info 0
		.amdhsa_system_vgpr_workitem_id 0
		.amdhsa_next_free_vgpr 1
		.amdhsa_next_free_sgpr 1
		.amdhsa_named_barrier_count 0
		.amdhsa_reserve_vcc 0
		.amdhsa_float_round_mode_32 0
		.amdhsa_float_round_mode_16_64 0
		.amdhsa_float_denorm_mode_32 3
		.amdhsa_float_denorm_mode_16_64 3
		.amdhsa_fp16_overflow 0
		.amdhsa_memory_ordered 1
		.amdhsa_forward_progress 1
		.amdhsa_inst_pref_size 0
		.amdhsa_round_robin_scheduling 0
		.amdhsa_exception_fp_ieee_invalid_op 0
		.amdhsa_exception_fp_denorm_src 0
		.amdhsa_exception_fp_ieee_div_zero 0
		.amdhsa_exception_fp_ieee_overflow 0
		.amdhsa_exception_fp_ieee_underflow 0
		.amdhsa_exception_fp_ieee_inexact 0
		.amdhsa_exception_int_div_zero 0
	.end_amdhsa_kernel
	.section	.text._ZN7rocprim17ROCPRIM_400000_NS6detail17trampoline_kernelINS0_14default_configENS1_25partition_config_selectorILNS1_17partition_subalgoE8EN3c108BFloat16ENS0_10empty_typeEbEEZZNS1_14partition_implILS5_8ELb0ES3_jPKS7_PS8_PKS8_NS0_5tupleIJPS7_S8_EEENSG_IJSD_SD_EEENS0_18inequality_wrapperIN6hipcub16HIPCUB_304000_NS8EqualityEEEPlJS8_EEE10hipError_tPvRmT3_T4_T5_T6_T7_T9_mT8_P12ihipStream_tbDpT10_ENKUlT_T0_E_clISt17integral_constantIbLb0EES18_IbLb1EEEEDaS14_S15_EUlS14_E_NS1_11comp_targetILNS1_3genE10ELNS1_11target_archE1200ELNS1_3gpuE4ELNS1_3repE0EEENS1_30default_config_static_selectorELNS0_4arch9wavefront6targetE0EEEvT1_,"axG",@progbits,_ZN7rocprim17ROCPRIM_400000_NS6detail17trampoline_kernelINS0_14default_configENS1_25partition_config_selectorILNS1_17partition_subalgoE8EN3c108BFloat16ENS0_10empty_typeEbEEZZNS1_14partition_implILS5_8ELb0ES3_jPKS7_PS8_PKS8_NS0_5tupleIJPS7_S8_EEENSG_IJSD_SD_EEENS0_18inequality_wrapperIN6hipcub16HIPCUB_304000_NS8EqualityEEEPlJS8_EEE10hipError_tPvRmT3_T4_T5_T6_T7_T9_mT8_P12ihipStream_tbDpT10_ENKUlT_T0_E_clISt17integral_constantIbLb0EES18_IbLb1EEEEDaS14_S15_EUlS14_E_NS1_11comp_targetILNS1_3genE10ELNS1_11target_archE1200ELNS1_3gpuE4ELNS1_3repE0EEENS1_30default_config_static_selectorELNS0_4arch9wavefront6targetE0EEEvT1_,comdat
.Lfunc_end853:
	.size	_ZN7rocprim17ROCPRIM_400000_NS6detail17trampoline_kernelINS0_14default_configENS1_25partition_config_selectorILNS1_17partition_subalgoE8EN3c108BFloat16ENS0_10empty_typeEbEEZZNS1_14partition_implILS5_8ELb0ES3_jPKS7_PS8_PKS8_NS0_5tupleIJPS7_S8_EEENSG_IJSD_SD_EEENS0_18inequality_wrapperIN6hipcub16HIPCUB_304000_NS8EqualityEEEPlJS8_EEE10hipError_tPvRmT3_T4_T5_T6_T7_T9_mT8_P12ihipStream_tbDpT10_ENKUlT_T0_E_clISt17integral_constantIbLb0EES18_IbLb1EEEEDaS14_S15_EUlS14_E_NS1_11comp_targetILNS1_3genE10ELNS1_11target_archE1200ELNS1_3gpuE4ELNS1_3repE0EEENS1_30default_config_static_selectorELNS0_4arch9wavefront6targetE0EEEvT1_, .Lfunc_end853-_ZN7rocprim17ROCPRIM_400000_NS6detail17trampoline_kernelINS0_14default_configENS1_25partition_config_selectorILNS1_17partition_subalgoE8EN3c108BFloat16ENS0_10empty_typeEbEEZZNS1_14partition_implILS5_8ELb0ES3_jPKS7_PS8_PKS8_NS0_5tupleIJPS7_S8_EEENSG_IJSD_SD_EEENS0_18inequality_wrapperIN6hipcub16HIPCUB_304000_NS8EqualityEEEPlJS8_EEE10hipError_tPvRmT3_T4_T5_T6_T7_T9_mT8_P12ihipStream_tbDpT10_ENKUlT_T0_E_clISt17integral_constantIbLb0EES18_IbLb1EEEEDaS14_S15_EUlS14_E_NS1_11comp_targetILNS1_3genE10ELNS1_11target_archE1200ELNS1_3gpuE4ELNS1_3repE0EEENS1_30default_config_static_selectorELNS0_4arch9wavefront6targetE0EEEvT1_
                                        ; -- End function
	.set _ZN7rocprim17ROCPRIM_400000_NS6detail17trampoline_kernelINS0_14default_configENS1_25partition_config_selectorILNS1_17partition_subalgoE8EN3c108BFloat16ENS0_10empty_typeEbEEZZNS1_14partition_implILS5_8ELb0ES3_jPKS7_PS8_PKS8_NS0_5tupleIJPS7_S8_EEENSG_IJSD_SD_EEENS0_18inequality_wrapperIN6hipcub16HIPCUB_304000_NS8EqualityEEEPlJS8_EEE10hipError_tPvRmT3_T4_T5_T6_T7_T9_mT8_P12ihipStream_tbDpT10_ENKUlT_T0_E_clISt17integral_constantIbLb0EES18_IbLb1EEEEDaS14_S15_EUlS14_E_NS1_11comp_targetILNS1_3genE10ELNS1_11target_archE1200ELNS1_3gpuE4ELNS1_3repE0EEENS1_30default_config_static_selectorELNS0_4arch9wavefront6targetE0EEEvT1_.num_vgpr, 0
	.set _ZN7rocprim17ROCPRIM_400000_NS6detail17trampoline_kernelINS0_14default_configENS1_25partition_config_selectorILNS1_17partition_subalgoE8EN3c108BFloat16ENS0_10empty_typeEbEEZZNS1_14partition_implILS5_8ELb0ES3_jPKS7_PS8_PKS8_NS0_5tupleIJPS7_S8_EEENSG_IJSD_SD_EEENS0_18inequality_wrapperIN6hipcub16HIPCUB_304000_NS8EqualityEEEPlJS8_EEE10hipError_tPvRmT3_T4_T5_T6_T7_T9_mT8_P12ihipStream_tbDpT10_ENKUlT_T0_E_clISt17integral_constantIbLb0EES18_IbLb1EEEEDaS14_S15_EUlS14_E_NS1_11comp_targetILNS1_3genE10ELNS1_11target_archE1200ELNS1_3gpuE4ELNS1_3repE0EEENS1_30default_config_static_selectorELNS0_4arch9wavefront6targetE0EEEvT1_.num_agpr, 0
	.set _ZN7rocprim17ROCPRIM_400000_NS6detail17trampoline_kernelINS0_14default_configENS1_25partition_config_selectorILNS1_17partition_subalgoE8EN3c108BFloat16ENS0_10empty_typeEbEEZZNS1_14partition_implILS5_8ELb0ES3_jPKS7_PS8_PKS8_NS0_5tupleIJPS7_S8_EEENSG_IJSD_SD_EEENS0_18inequality_wrapperIN6hipcub16HIPCUB_304000_NS8EqualityEEEPlJS8_EEE10hipError_tPvRmT3_T4_T5_T6_T7_T9_mT8_P12ihipStream_tbDpT10_ENKUlT_T0_E_clISt17integral_constantIbLb0EES18_IbLb1EEEEDaS14_S15_EUlS14_E_NS1_11comp_targetILNS1_3genE10ELNS1_11target_archE1200ELNS1_3gpuE4ELNS1_3repE0EEENS1_30default_config_static_selectorELNS0_4arch9wavefront6targetE0EEEvT1_.numbered_sgpr, 0
	.set _ZN7rocprim17ROCPRIM_400000_NS6detail17trampoline_kernelINS0_14default_configENS1_25partition_config_selectorILNS1_17partition_subalgoE8EN3c108BFloat16ENS0_10empty_typeEbEEZZNS1_14partition_implILS5_8ELb0ES3_jPKS7_PS8_PKS8_NS0_5tupleIJPS7_S8_EEENSG_IJSD_SD_EEENS0_18inequality_wrapperIN6hipcub16HIPCUB_304000_NS8EqualityEEEPlJS8_EEE10hipError_tPvRmT3_T4_T5_T6_T7_T9_mT8_P12ihipStream_tbDpT10_ENKUlT_T0_E_clISt17integral_constantIbLb0EES18_IbLb1EEEEDaS14_S15_EUlS14_E_NS1_11comp_targetILNS1_3genE10ELNS1_11target_archE1200ELNS1_3gpuE4ELNS1_3repE0EEENS1_30default_config_static_selectorELNS0_4arch9wavefront6targetE0EEEvT1_.num_named_barrier, 0
	.set _ZN7rocprim17ROCPRIM_400000_NS6detail17trampoline_kernelINS0_14default_configENS1_25partition_config_selectorILNS1_17partition_subalgoE8EN3c108BFloat16ENS0_10empty_typeEbEEZZNS1_14partition_implILS5_8ELb0ES3_jPKS7_PS8_PKS8_NS0_5tupleIJPS7_S8_EEENSG_IJSD_SD_EEENS0_18inequality_wrapperIN6hipcub16HIPCUB_304000_NS8EqualityEEEPlJS8_EEE10hipError_tPvRmT3_T4_T5_T6_T7_T9_mT8_P12ihipStream_tbDpT10_ENKUlT_T0_E_clISt17integral_constantIbLb0EES18_IbLb1EEEEDaS14_S15_EUlS14_E_NS1_11comp_targetILNS1_3genE10ELNS1_11target_archE1200ELNS1_3gpuE4ELNS1_3repE0EEENS1_30default_config_static_selectorELNS0_4arch9wavefront6targetE0EEEvT1_.private_seg_size, 0
	.set _ZN7rocprim17ROCPRIM_400000_NS6detail17trampoline_kernelINS0_14default_configENS1_25partition_config_selectorILNS1_17partition_subalgoE8EN3c108BFloat16ENS0_10empty_typeEbEEZZNS1_14partition_implILS5_8ELb0ES3_jPKS7_PS8_PKS8_NS0_5tupleIJPS7_S8_EEENSG_IJSD_SD_EEENS0_18inequality_wrapperIN6hipcub16HIPCUB_304000_NS8EqualityEEEPlJS8_EEE10hipError_tPvRmT3_T4_T5_T6_T7_T9_mT8_P12ihipStream_tbDpT10_ENKUlT_T0_E_clISt17integral_constantIbLb0EES18_IbLb1EEEEDaS14_S15_EUlS14_E_NS1_11comp_targetILNS1_3genE10ELNS1_11target_archE1200ELNS1_3gpuE4ELNS1_3repE0EEENS1_30default_config_static_selectorELNS0_4arch9wavefront6targetE0EEEvT1_.uses_vcc, 0
	.set _ZN7rocprim17ROCPRIM_400000_NS6detail17trampoline_kernelINS0_14default_configENS1_25partition_config_selectorILNS1_17partition_subalgoE8EN3c108BFloat16ENS0_10empty_typeEbEEZZNS1_14partition_implILS5_8ELb0ES3_jPKS7_PS8_PKS8_NS0_5tupleIJPS7_S8_EEENSG_IJSD_SD_EEENS0_18inequality_wrapperIN6hipcub16HIPCUB_304000_NS8EqualityEEEPlJS8_EEE10hipError_tPvRmT3_T4_T5_T6_T7_T9_mT8_P12ihipStream_tbDpT10_ENKUlT_T0_E_clISt17integral_constantIbLb0EES18_IbLb1EEEEDaS14_S15_EUlS14_E_NS1_11comp_targetILNS1_3genE10ELNS1_11target_archE1200ELNS1_3gpuE4ELNS1_3repE0EEENS1_30default_config_static_selectorELNS0_4arch9wavefront6targetE0EEEvT1_.uses_flat_scratch, 0
	.set _ZN7rocprim17ROCPRIM_400000_NS6detail17trampoline_kernelINS0_14default_configENS1_25partition_config_selectorILNS1_17partition_subalgoE8EN3c108BFloat16ENS0_10empty_typeEbEEZZNS1_14partition_implILS5_8ELb0ES3_jPKS7_PS8_PKS8_NS0_5tupleIJPS7_S8_EEENSG_IJSD_SD_EEENS0_18inequality_wrapperIN6hipcub16HIPCUB_304000_NS8EqualityEEEPlJS8_EEE10hipError_tPvRmT3_T4_T5_T6_T7_T9_mT8_P12ihipStream_tbDpT10_ENKUlT_T0_E_clISt17integral_constantIbLb0EES18_IbLb1EEEEDaS14_S15_EUlS14_E_NS1_11comp_targetILNS1_3genE10ELNS1_11target_archE1200ELNS1_3gpuE4ELNS1_3repE0EEENS1_30default_config_static_selectorELNS0_4arch9wavefront6targetE0EEEvT1_.has_dyn_sized_stack, 0
	.set _ZN7rocprim17ROCPRIM_400000_NS6detail17trampoline_kernelINS0_14default_configENS1_25partition_config_selectorILNS1_17partition_subalgoE8EN3c108BFloat16ENS0_10empty_typeEbEEZZNS1_14partition_implILS5_8ELb0ES3_jPKS7_PS8_PKS8_NS0_5tupleIJPS7_S8_EEENSG_IJSD_SD_EEENS0_18inequality_wrapperIN6hipcub16HIPCUB_304000_NS8EqualityEEEPlJS8_EEE10hipError_tPvRmT3_T4_T5_T6_T7_T9_mT8_P12ihipStream_tbDpT10_ENKUlT_T0_E_clISt17integral_constantIbLb0EES18_IbLb1EEEEDaS14_S15_EUlS14_E_NS1_11comp_targetILNS1_3genE10ELNS1_11target_archE1200ELNS1_3gpuE4ELNS1_3repE0EEENS1_30default_config_static_selectorELNS0_4arch9wavefront6targetE0EEEvT1_.has_recursion, 0
	.set _ZN7rocprim17ROCPRIM_400000_NS6detail17trampoline_kernelINS0_14default_configENS1_25partition_config_selectorILNS1_17partition_subalgoE8EN3c108BFloat16ENS0_10empty_typeEbEEZZNS1_14partition_implILS5_8ELb0ES3_jPKS7_PS8_PKS8_NS0_5tupleIJPS7_S8_EEENSG_IJSD_SD_EEENS0_18inequality_wrapperIN6hipcub16HIPCUB_304000_NS8EqualityEEEPlJS8_EEE10hipError_tPvRmT3_T4_T5_T6_T7_T9_mT8_P12ihipStream_tbDpT10_ENKUlT_T0_E_clISt17integral_constantIbLb0EES18_IbLb1EEEEDaS14_S15_EUlS14_E_NS1_11comp_targetILNS1_3genE10ELNS1_11target_archE1200ELNS1_3gpuE4ELNS1_3repE0EEENS1_30default_config_static_selectorELNS0_4arch9wavefront6targetE0EEEvT1_.has_indirect_call, 0
	.section	.AMDGPU.csdata,"",@progbits
; Kernel info:
; codeLenInByte = 0
; TotalNumSgprs: 0
; NumVgprs: 0
; ScratchSize: 0
; MemoryBound: 0
; FloatMode: 240
; IeeeMode: 1
; LDSByteSize: 0 bytes/workgroup (compile time only)
; SGPRBlocks: 0
; VGPRBlocks: 0
; NumSGPRsForWavesPerEU: 1
; NumVGPRsForWavesPerEU: 1
; NamedBarCnt: 0
; Occupancy: 16
; WaveLimiterHint : 0
; COMPUTE_PGM_RSRC2:SCRATCH_EN: 0
; COMPUTE_PGM_RSRC2:USER_SGPR: 2
; COMPUTE_PGM_RSRC2:TRAP_HANDLER: 0
; COMPUTE_PGM_RSRC2:TGID_X_EN: 1
; COMPUTE_PGM_RSRC2:TGID_Y_EN: 0
; COMPUTE_PGM_RSRC2:TGID_Z_EN: 0
; COMPUTE_PGM_RSRC2:TIDIG_COMP_CNT: 0
	.section	.text._ZN7rocprim17ROCPRIM_400000_NS6detail17trampoline_kernelINS0_14default_configENS1_25partition_config_selectorILNS1_17partition_subalgoE8EN3c108BFloat16ENS0_10empty_typeEbEEZZNS1_14partition_implILS5_8ELb0ES3_jPKS7_PS8_PKS8_NS0_5tupleIJPS7_S8_EEENSG_IJSD_SD_EEENS0_18inequality_wrapperIN6hipcub16HIPCUB_304000_NS8EqualityEEEPlJS8_EEE10hipError_tPvRmT3_T4_T5_T6_T7_T9_mT8_P12ihipStream_tbDpT10_ENKUlT_T0_E_clISt17integral_constantIbLb0EES18_IbLb1EEEEDaS14_S15_EUlS14_E_NS1_11comp_targetILNS1_3genE9ELNS1_11target_archE1100ELNS1_3gpuE3ELNS1_3repE0EEENS1_30default_config_static_selectorELNS0_4arch9wavefront6targetE0EEEvT1_,"axG",@progbits,_ZN7rocprim17ROCPRIM_400000_NS6detail17trampoline_kernelINS0_14default_configENS1_25partition_config_selectorILNS1_17partition_subalgoE8EN3c108BFloat16ENS0_10empty_typeEbEEZZNS1_14partition_implILS5_8ELb0ES3_jPKS7_PS8_PKS8_NS0_5tupleIJPS7_S8_EEENSG_IJSD_SD_EEENS0_18inequality_wrapperIN6hipcub16HIPCUB_304000_NS8EqualityEEEPlJS8_EEE10hipError_tPvRmT3_T4_T5_T6_T7_T9_mT8_P12ihipStream_tbDpT10_ENKUlT_T0_E_clISt17integral_constantIbLb0EES18_IbLb1EEEEDaS14_S15_EUlS14_E_NS1_11comp_targetILNS1_3genE9ELNS1_11target_archE1100ELNS1_3gpuE3ELNS1_3repE0EEENS1_30default_config_static_selectorELNS0_4arch9wavefront6targetE0EEEvT1_,comdat
	.protected	_ZN7rocprim17ROCPRIM_400000_NS6detail17trampoline_kernelINS0_14default_configENS1_25partition_config_selectorILNS1_17partition_subalgoE8EN3c108BFloat16ENS0_10empty_typeEbEEZZNS1_14partition_implILS5_8ELb0ES3_jPKS7_PS8_PKS8_NS0_5tupleIJPS7_S8_EEENSG_IJSD_SD_EEENS0_18inequality_wrapperIN6hipcub16HIPCUB_304000_NS8EqualityEEEPlJS8_EEE10hipError_tPvRmT3_T4_T5_T6_T7_T9_mT8_P12ihipStream_tbDpT10_ENKUlT_T0_E_clISt17integral_constantIbLb0EES18_IbLb1EEEEDaS14_S15_EUlS14_E_NS1_11comp_targetILNS1_3genE9ELNS1_11target_archE1100ELNS1_3gpuE3ELNS1_3repE0EEENS1_30default_config_static_selectorELNS0_4arch9wavefront6targetE0EEEvT1_ ; -- Begin function _ZN7rocprim17ROCPRIM_400000_NS6detail17trampoline_kernelINS0_14default_configENS1_25partition_config_selectorILNS1_17partition_subalgoE8EN3c108BFloat16ENS0_10empty_typeEbEEZZNS1_14partition_implILS5_8ELb0ES3_jPKS7_PS8_PKS8_NS0_5tupleIJPS7_S8_EEENSG_IJSD_SD_EEENS0_18inequality_wrapperIN6hipcub16HIPCUB_304000_NS8EqualityEEEPlJS8_EEE10hipError_tPvRmT3_T4_T5_T6_T7_T9_mT8_P12ihipStream_tbDpT10_ENKUlT_T0_E_clISt17integral_constantIbLb0EES18_IbLb1EEEEDaS14_S15_EUlS14_E_NS1_11comp_targetILNS1_3genE9ELNS1_11target_archE1100ELNS1_3gpuE3ELNS1_3repE0EEENS1_30default_config_static_selectorELNS0_4arch9wavefront6targetE0EEEvT1_
	.globl	_ZN7rocprim17ROCPRIM_400000_NS6detail17trampoline_kernelINS0_14default_configENS1_25partition_config_selectorILNS1_17partition_subalgoE8EN3c108BFloat16ENS0_10empty_typeEbEEZZNS1_14partition_implILS5_8ELb0ES3_jPKS7_PS8_PKS8_NS0_5tupleIJPS7_S8_EEENSG_IJSD_SD_EEENS0_18inequality_wrapperIN6hipcub16HIPCUB_304000_NS8EqualityEEEPlJS8_EEE10hipError_tPvRmT3_T4_T5_T6_T7_T9_mT8_P12ihipStream_tbDpT10_ENKUlT_T0_E_clISt17integral_constantIbLb0EES18_IbLb1EEEEDaS14_S15_EUlS14_E_NS1_11comp_targetILNS1_3genE9ELNS1_11target_archE1100ELNS1_3gpuE3ELNS1_3repE0EEENS1_30default_config_static_selectorELNS0_4arch9wavefront6targetE0EEEvT1_
	.p2align	8
	.type	_ZN7rocprim17ROCPRIM_400000_NS6detail17trampoline_kernelINS0_14default_configENS1_25partition_config_selectorILNS1_17partition_subalgoE8EN3c108BFloat16ENS0_10empty_typeEbEEZZNS1_14partition_implILS5_8ELb0ES3_jPKS7_PS8_PKS8_NS0_5tupleIJPS7_S8_EEENSG_IJSD_SD_EEENS0_18inequality_wrapperIN6hipcub16HIPCUB_304000_NS8EqualityEEEPlJS8_EEE10hipError_tPvRmT3_T4_T5_T6_T7_T9_mT8_P12ihipStream_tbDpT10_ENKUlT_T0_E_clISt17integral_constantIbLb0EES18_IbLb1EEEEDaS14_S15_EUlS14_E_NS1_11comp_targetILNS1_3genE9ELNS1_11target_archE1100ELNS1_3gpuE3ELNS1_3repE0EEENS1_30default_config_static_selectorELNS0_4arch9wavefront6targetE0EEEvT1_,@function
_ZN7rocprim17ROCPRIM_400000_NS6detail17trampoline_kernelINS0_14default_configENS1_25partition_config_selectorILNS1_17partition_subalgoE8EN3c108BFloat16ENS0_10empty_typeEbEEZZNS1_14partition_implILS5_8ELb0ES3_jPKS7_PS8_PKS8_NS0_5tupleIJPS7_S8_EEENSG_IJSD_SD_EEENS0_18inequality_wrapperIN6hipcub16HIPCUB_304000_NS8EqualityEEEPlJS8_EEE10hipError_tPvRmT3_T4_T5_T6_T7_T9_mT8_P12ihipStream_tbDpT10_ENKUlT_T0_E_clISt17integral_constantIbLb0EES18_IbLb1EEEEDaS14_S15_EUlS14_E_NS1_11comp_targetILNS1_3genE9ELNS1_11target_archE1100ELNS1_3gpuE3ELNS1_3repE0EEENS1_30default_config_static_selectorELNS0_4arch9wavefront6targetE0EEEvT1_: ; @_ZN7rocprim17ROCPRIM_400000_NS6detail17trampoline_kernelINS0_14default_configENS1_25partition_config_selectorILNS1_17partition_subalgoE8EN3c108BFloat16ENS0_10empty_typeEbEEZZNS1_14partition_implILS5_8ELb0ES3_jPKS7_PS8_PKS8_NS0_5tupleIJPS7_S8_EEENSG_IJSD_SD_EEENS0_18inequality_wrapperIN6hipcub16HIPCUB_304000_NS8EqualityEEEPlJS8_EEE10hipError_tPvRmT3_T4_T5_T6_T7_T9_mT8_P12ihipStream_tbDpT10_ENKUlT_T0_E_clISt17integral_constantIbLb0EES18_IbLb1EEEEDaS14_S15_EUlS14_E_NS1_11comp_targetILNS1_3genE9ELNS1_11target_archE1100ELNS1_3gpuE3ELNS1_3repE0EEENS1_30default_config_static_selectorELNS0_4arch9wavefront6targetE0EEEvT1_
; %bb.0:
	.section	.rodata,"a",@progbits
	.p2align	6, 0x0
	.amdhsa_kernel _ZN7rocprim17ROCPRIM_400000_NS6detail17trampoline_kernelINS0_14default_configENS1_25partition_config_selectorILNS1_17partition_subalgoE8EN3c108BFloat16ENS0_10empty_typeEbEEZZNS1_14partition_implILS5_8ELb0ES3_jPKS7_PS8_PKS8_NS0_5tupleIJPS7_S8_EEENSG_IJSD_SD_EEENS0_18inequality_wrapperIN6hipcub16HIPCUB_304000_NS8EqualityEEEPlJS8_EEE10hipError_tPvRmT3_T4_T5_T6_T7_T9_mT8_P12ihipStream_tbDpT10_ENKUlT_T0_E_clISt17integral_constantIbLb0EES18_IbLb1EEEEDaS14_S15_EUlS14_E_NS1_11comp_targetILNS1_3genE9ELNS1_11target_archE1100ELNS1_3gpuE3ELNS1_3repE0EEENS1_30default_config_static_selectorELNS0_4arch9wavefront6targetE0EEEvT1_
		.amdhsa_group_segment_fixed_size 0
		.amdhsa_private_segment_fixed_size 0
		.amdhsa_kernarg_size 128
		.amdhsa_user_sgpr_count 2
		.amdhsa_user_sgpr_dispatch_ptr 0
		.amdhsa_user_sgpr_queue_ptr 0
		.amdhsa_user_sgpr_kernarg_segment_ptr 1
		.amdhsa_user_sgpr_dispatch_id 0
		.amdhsa_user_sgpr_kernarg_preload_length 0
		.amdhsa_user_sgpr_kernarg_preload_offset 0
		.amdhsa_user_sgpr_private_segment_size 0
		.amdhsa_wavefront_size32 1
		.amdhsa_uses_dynamic_stack 0
		.amdhsa_enable_private_segment 0
		.amdhsa_system_sgpr_workgroup_id_x 1
		.amdhsa_system_sgpr_workgroup_id_y 0
		.amdhsa_system_sgpr_workgroup_id_z 0
		.amdhsa_system_sgpr_workgroup_info 0
		.amdhsa_system_vgpr_workitem_id 0
		.amdhsa_next_free_vgpr 1
		.amdhsa_next_free_sgpr 1
		.amdhsa_named_barrier_count 0
		.amdhsa_reserve_vcc 0
		.amdhsa_float_round_mode_32 0
		.amdhsa_float_round_mode_16_64 0
		.amdhsa_float_denorm_mode_32 3
		.amdhsa_float_denorm_mode_16_64 3
		.amdhsa_fp16_overflow 0
		.amdhsa_memory_ordered 1
		.amdhsa_forward_progress 1
		.amdhsa_inst_pref_size 0
		.amdhsa_round_robin_scheduling 0
		.amdhsa_exception_fp_ieee_invalid_op 0
		.amdhsa_exception_fp_denorm_src 0
		.amdhsa_exception_fp_ieee_div_zero 0
		.amdhsa_exception_fp_ieee_overflow 0
		.amdhsa_exception_fp_ieee_underflow 0
		.amdhsa_exception_fp_ieee_inexact 0
		.amdhsa_exception_int_div_zero 0
	.end_amdhsa_kernel
	.section	.text._ZN7rocprim17ROCPRIM_400000_NS6detail17trampoline_kernelINS0_14default_configENS1_25partition_config_selectorILNS1_17partition_subalgoE8EN3c108BFloat16ENS0_10empty_typeEbEEZZNS1_14partition_implILS5_8ELb0ES3_jPKS7_PS8_PKS8_NS0_5tupleIJPS7_S8_EEENSG_IJSD_SD_EEENS0_18inequality_wrapperIN6hipcub16HIPCUB_304000_NS8EqualityEEEPlJS8_EEE10hipError_tPvRmT3_T4_T5_T6_T7_T9_mT8_P12ihipStream_tbDpT10_ENKUlT_T0_E_clISt17integral_constantIbLb0EES18_IbLb1EEEEDaS14_S15_EUlS14_E_NS1_11comp_targetILNS1_3genE9ELNS1_11target_archE1100ELNS1_3gpuE3ELNS1_3repE0EEENS1_30default_config_static_selectorELNS0_4arch9wavefront6targetE0EEEvT1_,"axG",@progbits,_ZN7rocprim17ROCPRIM_400000_NS6detail17trampoline_kernelINS0_14default_configENS1_25partition_config_selectorILNS1_17partition_subalgoE8EN3c108BFloat16ENS0_10empty_typeEbEEZZNS1_14partition_implILS5_8ELb0ES3_jPKS7_PS8_PKS8_NS0_5tupleIJPS7_S8_EEENSG_IJSD_SD_EEENS0_18inequality_wrapperIN6hipcub16HIPCUB_304000_NS8EqualityEEEPlJS8_EEE10hipError_tPvRmT3_T4_T5_T6_T7_T9_mT8_P12ihipStream_tbDpT10_ENKUlT_T0_E_clISt17integral_constantIbLb0EES18_IbLb1EEEEDaS14_S15_EUlS14_E_NS1_11comp_targetILNS1_3genE9ELNS1_11target_archE1100ELNS1_3gpuE3ELNS1_3repE0EEENS1_30default_config_static_selectorELNS0_4arch9wavefront6targetE0EEEvT1_,comdat
.Lfunc_end854:
	.size	_ZN7rocprim17ROCPRIM_400000_NS6detail17trampoline_kernelINS0_14default_configENS1_25partition_config_selectorILNS1_17partition_subalgoE8EN3c108BFloat16ENS0_10empty_typeEbEEZZNS1_14partition_implILS5_8ELb0ES3_jPKS7_PS8_PKS8_NS0_5tupleIJPS7_S8_EEENSG_IJSD_SD_EEENS0_18inequality_wrapperIN6hipcub16HIPCUB_304000_NS8EqualityEEEPlJS8_EEE10hipError_tPvRmT3_T4_T5_T6_T7_T9_mT8_P12ihipStream_tbDpT10_ENKUlT_T0_E_clISt17integral_constantIbLb0EES18_IbLb1EEEEDaS14_S15_EUlS14_E_NS1_11comp_targetILNS1_3genE9ELNS1_11target_archE1100ELNS1_3gpuE3ELNS1_3repE0EEENS1_30default_config_static_selectorELNS0_4arch9wavefront6targetE0EEEvT1_, .Lfunc_end854-_ZN7rocprim17ROCPRIM_400000_NS6detail17trampoline_kernelINS0_14default_configENS1_25partition_config_selectorILNS1_17partition_subalgoE8EN3c108BFloat16ENS0_10empty_typeEbEEZZNS1_14partition_implILS5_8ELb0ES3_jPKS7_PS8_PKS8_NS0_5tupleIJPS7_S8_EEENSG_IJSD_SD_EEENS0_18inequality_wrapperIN6hipcub16HIPCUB_304000_NS8EqualityEEEPlJS8_EEE10hipError_tPvRmT3_T4_T5_T6_T7_T9_mT8_P12ihipStream_tbDpT10_ENKUlT_T0_E_clISt17integral_constantIbLb0EES18_IbLb1EEEEDaS14_S15_EUlS14_E_NS1_11comp_targetILNS1_3genE9ELNS1_11target_archE1100ELNS1_3gpuE3ELNS1_3repE0EEENS1_30default_config_static_selectorELNS0_4arch9wavefront6targetE0EEEvT1_
                                        ; -- End function
	.set _ZN7rocprim17ROCPRIM_400000_NS6detail17trampoline_kernelINS0_14default_configENS1_25partition_config_selectorILNS1_17partition_subalgoE8EN3c108BFloat16ENS0_10empty_typeEbEEZZNS1_14partition_implILS5_8ELb0ES3_jPKS7_PS8_PKS8_NS0_5tupleIJPS7_S8_EEENSG_IJSD_SD_EEENS0_18inequality_wrapperIN6hipcub16HIPCUB_304000_NS8EqualityEEEPlJS8_EEE10hipError_tPvRmT3_T4_T5_T6_T7_T9_mT8_P12ihipStream_tbDpT10_ENKUlT_T0_E_clISt17integral_constantIbLb0EES18_IbLb1EEEEDaS14_S15_EUlS14_E_NS1_11comp_targetILNS1_3genE9ELNS1_11target_archE1100ELNS1_3gpuE3ELNS1_3repE0EEENS1_30default_config_static_selectorELNS0_4arch9wavefront6targetE0EEEvT1_.num_vgpr, 0
	.set _ZN7rocprim17ROCPRIM_400000_NS6detail17trampoline_kernelINS0_14default_configENS1_25partition_config_selectorILNS1_17partition_subalgoE8EN3c108BFloat16ENS0_10empty_typeEbEEZZNS1_14partition_implILS5_8ELb0ES3_jPKS7_PS8_PKS8_NS0_5tupleIJPS7_S8_EEENSG_IJSD_SD_EEENS0_18inequality_wrapperIN6hipcub16HIPCUB_304000_NS8EqualityEEEPlJS8_EEE10hipError_tPvRmT3_T4_T5_T6_T7_T9_mT8_P12ihipStream_tbDpT10_ENKUlT_T0_E_clISt17integral_constantIbLb0EES18_IbLb1EEEEDaS14_S15_EUlS14_E_NS1_11comp_targetILNS1_3genE9ELNS1_11target_archE1100ELNS1_3gpuE3ELNS1_3repE0EEENS1_30default_config_static_selectorELNS0_4arch9wavefront6targetE0EEEvT1_.num_agpr, 0
	.set _ZN7rocprim17ROCPRIM_400000_NS6detail17trampoline_kernelINS0_14default_configENS1_25partition_config_selectorILNS1_17partition_subalgoE8EN3c108BFloat16ENS0_10empty_typeEbEEZZNS1_14partition_implILS5_8ELb0ES3_jPKS7_PS8_PKS8_NS0_5tupleIJPS7_S8_EEENSG_IJSD_SD_EEENS0_18inequality_wrapperIN6hipcub16HIPCUB_304000_NS8EqualityEEEPlJS8_EEE10hipError_tPvRmT3_T4_T5_T6_T7_T9_mT8_P12ihipStream_tbDpT10_ENKUlT_T0_E_clISt17integral_constantIbLb0EES18_IbLb1EEEEDaS14_S15_EUlS14_E_NS1_11comp_targetILNS1_3genE9ELNS1_11target_archE1100ELNS1_3gpuE3ELNS1_3repE0EEENS1_30default_config_static_selectorELNS0_4arch9wavefront6targetE0EEEvT1_.numbered_sgpr, 0
	.set _ZN7rocprim17ROCPRIM_400000_NS6detail17trampoline_kernelINS0_14default_configENS1_25partition_config_selectorILNS1_17partition_subalgoE8EN3c108BFloat16ENS0_10empty_typeEbEEZZNS1_14partition_implILS5_8ELb0ES3_jPKS7_PS8_PKS8_NS0_5tupleIJPS7_S8_EEENSG_IJSD_SD_EEENS0_18inequality_wrapperIN6hipcub16HIPCUB_304000_NS8EqualityEEEPlJS8_EEE10hipError_tPvRmT3_T4_T5_T6_T7_T9_mT8_P12ihipStream_tbDpT10_ENKUlT_T0_E_clISt17integral_constantIbLb0EES18_IbLb1EEEEDaS14_S15_EUlS14_E_NS1_11comp_targetILNS1_3genE9ELNS1_11target_archE1100ELNS1_3gpuE3ELNS1_3repE0EEENS1_30default_config_static_selectorELNS0_4arch9wavefront6targetE0EEEvT1_.num_named_barrier, 0
	.set _ZN7rocprim17ROCPRIM_400000_NS6detail17trampoline_kernelINS0_14default_configENS1_25partition_config_selectorILNS1_17partition_subalgoE8EN3c108BFloat16ENS0_10empty_typeEbEEZZNS1_14partition_implILS5_8ELb0ES3_jPKS7_PS8_PKS8_NS0_5tupleIJPS7_S8_EEENSG_IJSD_SD_EEENS0_18inequality_wrapperIN6hipcub16HIPCUB_304000_NS8EqualityEEEPlJS8_EEE10hipError_tPvRmT3_T4_T5_T6_T7_T9_mT8_P12ihipStream_tbDpT10_ENKUlT_T0_E_clISt17integral_constantIbLb0EES18_IbLb1EEEEDaS14_S15_EUlS14_E_NS1_11comp_targetILNS1_3genE9ELNS1_11target_archE1100ELNS1_3gpuE3ELNS1_3repE0EEENS1_30default_config_static_selectorELNS0_4arch9wavefront6targetE0EEEvT1_.private_seg_size, 0
	.set _ZN7rocprim17ROCPRIM_400000_NS6detail17trampoline_kernelINS0_14default_configENS1_25partition_config_selectorILNS1_17partition_subalgoE8EN3c108BFloat16ENS0_10empty_typeEbEEZZNS1_14partition_implILS5_8ELb0ES3_jPKS7_PS8_PKS8_NS0_5tupleIJPS7_S8_EEENSG_IJSD_SD_EEENS0_18inequality_wrapperIN6hipcub16HIPCUB_304000_NS8EqualityEEEPlJS8_EEE10hipError_tPvRmT3_T4_T5_T6_T7_T9_mT8_P12ihipStream_tbDpT10_ENKUlT_T0_E_clISt17integral_constantIbLb0EES18_IbLb1EEEEDaS14_S15_EUlS14_E_NS1_11comp_targetILNS1_3genE9ELNS1_11target_archE1100ELNS1_3gpuE3ELNS1_3repE0EEENS1_30default_config_static_selectorELNS0_4arch9wavefront6targetE0EEEvT1_.uses_vcc, 0
	.set _ZN7rocprim17ROCPRIM_400000_NS6detail17trampoline_kernelINS0_14default_configENS1_25partition_config_selectorILNS1_17partition_subalgoE8EN3c108BFloat16ENS0_10empty_typeEbEEZZNS1_14partition_implILS5_8ELb0ES3_jPKS7_PS8_PKS8_NS0_5tupleIJPS7_S8_EEENSG_IJSD_SD_EEENS0_18inequality_wrapperIN6hipcub16HIPCUB_304000_NS8EqualityEEEPlJS8_EEE10hipError_tPvRmT3_T4_T5_T6_T7_T9_mT8_P12ihipStream_tbDpT10_ENKUlT_T0_E_clISt17integral_constantIbLb0EES18_IbLb1EEEEDaS14_S15_EUlS14_E_NS1_11comp_targetILNS1_3genE9ELNS1_11target_archE1100ELNS1_3gpuE3ELNS1_3repE0EEENS1_30default_config_static_selectorELNS0_4arch9wavefront6targetE0EEEvT1_.uses_flat_scratch, 0
	.set _ZN7rocprim17ROCPRIM_400000_NS6detail17trampoline_kernelINS0_14default_configENS1_25partition_config_selectorILNS1_17partition_subalgoE8EN3c108BFloat16ENS0_10empty_typeEbEEZZNS1_14partition_implILS5_8ELb0ES3_jPKS7_PS8_PKS8_NS0_5tupleIJPS7_S8_EEENSG_IJSD_SD_EEENS0_18inequality_wrapperIN6hipcub16HIPCUB_304000_NS8EqualityEEEPlJS8_EEE10hipError_tPvRmT3_T4_T5_T6_T7_T9_mT8_P12ihipStream_tbDpT10_ENKUlT_T0_E_clISt17integral_constantIbLb0EES18_IbLb1EEEEDaS14_S15_EUlS14_E_NS1_11comp_targetILNS1_3genE9ELNS1_11target_archE1100ELNS1_3gpuE3ELNS1_3repE0EEENS1_30default_config_static_selectorELNS0_4arch9wavefront6targetE0EEEvT1_.has_dyn_sized_stack, 0
	.set _ZN7rocprim17ROCPRIM_400000_NS6detail17trampoline_kernelINS0_14default_configENS1_25partition_config_selectorILNS1_17partition_subalgoE8EN3c108BFloat16ENS0_10empty_typeEbEEZZNS1_14partition_implILS5_8ELb0ES3_jPKS7_PS8_PKS8_NS0_5tupleIJPS7_S8_EEENSG_IJSD_SD_EEENS0_18inequality_wrapperIN6hipcub16HIPCUB_304000_NS8EqualityEEEPlJS8_EEE10hipError_tPvRmT3_T4_T5_T6_T7_T9_mT8_P12ihipStream_tbDpT10_ENKUlT_T0_E_clISt17integral_constantIbLb0EES18_IbLb1EEEEDaS14_S15_EUlS14_E_NS1_11comp_targetILNS1_3genE9ELNS1_11target_archE1100ELNS1_3gpuE3ELNS1_3repE0EEENS1_30default_config_static_selectorELNS0_4arch9wavefront6targetE0EEEvT1_.has_recursion, 0
	.set _ZN7rocprim17ROCPRIM_400000_NS6detail17trampoline_kernelINS0_14default_configENS1_25partition_config_selectorILNS1_17partition_subalgoE8EN3c108BFloat16ENS0_10empty_typeEbEEZZNS1_14partition_implILS5_8ELb0ES3_jPKS7_PS8_PKS8_NS0_5tupleIJPS7_S8_EEENSG_IJSD_SD_EEENS0_18inequality_wrapperIN6hipcub16HIPCUB_304000_NS8EqualityEEEPlJS8_EEE10hipError_tPvRmT3_T4_T5_T6_T7_T9_mT8_P12ihipStream_tbDpT10_ENKUlT_T0_E_clISt17integral_constantIbLb0EES18_IbLb1EEEEDaS14_S15_EUlS14_E_NS1_11comp_targetILNS1_3genE9ELNS1_11target_archE1100ELNS1_3gpuE3ELNS1_3repE0EEENS1_30default_config_static_selectorELNS0_4arch9wavefront6targetE0EEEvT1_.has_indirect_call, 0
	.section	.AMDGPU.csdata,"",@progbits
; Kernel info:
; codeLenInByte = 0
; TotalNumSgprs: 0
; NumVgprs: 0
; ScratchSize: 0
; MemoryBound: 0
; FloatMode: 240
; IeeeMode: 1
; LDSByteSize: 0 bytes/workgroup (compile time only)
; SGPRBlocks: 0
; VGPRBlocks: 0
; NumSGPRsForWavesPerEU: 1
; NumVGPRsForWavesPerEU: 1
; NamedBarCnt: 0
; Occupancy: 16
; WaveLimiterHint : 0
; COMPUTE_PGM_RSRC2:SCRATCH_EN: 0
; COMPUTE_PGM_RSRC2:USER_SGPR: 2
; COMPUTE_PGM_RSRC2:TRAP_HANDLER: 0
; COMPUTE_PGM_RSRC2:TGID_X_EN: 1
; COMPUTE_PGM_RSRC2:TGID_Y_EN: 0
; COMPUTE_PGM_RSRC2:TGID_Z_EN: 0
; COMPUTE_PGM_RSRC2:TIDIG_COMP_CNT: 0
	.section	.text._ZN7rocprim17ROCPRIM_400000_NS6detail17trampoline_kernelINS0_14default_configENS1_25partition_config_selectorILNS1_17partition_subalgoE8EN3c108BFloat16ENS0_10empty_typeEbEEZZNS1_14partition_implILS5_8ELb0ES3_jPKS7_PS8_PKS8_NS0_5tupleIJPS7_S8_EEENSG_IJSD_SD_EEENS0_18inequality_wrapperIN6hipcub16HIPCUB_304000_NS8EqualityEEEPlJS8_EEE10hipError_tPvRmT3_T4_T5_T6_T7_T9_mT8_P12ihipStream_tbDpT10_ENKUlT_T0_E_clISt17integral_constantIbLb0EES18_IbLb1EEEEDaS14_S15_EUlS14_E_NS1_11comp_targetILNS1_3genE8ELNS1_11target_archE1030ELNS1_3gpuE2ELNS1_3repE0EEENS1_30default_config_static_selectorELNS0_4arch9wavefront6targetE0EEEvT1_,"axG",@progbits,_ZN7rocprim17ROCPRIM_400000_NS6detail17trampoline_kernelINS0_14default_configENS1_25partition_config_selectorILNS1_17partition_subalgoE8EN3c108BFloat16ENS0_10empty_typeEbEEZZNS1_14partition_implILS5_8ELb0ES3_jPKS7_PS8_PKS8_NS0_5tupleIJPS7_S8_EEENSG_IJSD_SD_EEENS0_18inequality_wrapperIN6hipcub16HIPCUB_304000_NS8EqualityEEEPlJS8_EEE10hipError_tPvRmT3_T4_T5_T6_T7_T9_mT8_P12ihipStream_tbDpT10_ENKUlT_T0_E_clISt17integral_constantIbLb0EES18_IbLb1EEEEDaS14_S15_EUlS14_E_NS1_11comp_targetILNS1_3genE8ELNS1_11target_archE1030ELNS1_3gpuE2ELNS1_3repE0EEENS1_30default_config_static_selectorELNS0_4arch9wavefront6targetE0EEEvT1_,comdat
	.protected	_ZN7rocprim17ROCPRIM_400000_NS6detail17trampoline_kernelINS0_14default_configENS1_25partition_config_selectorILNS1_17partition_subalgoE8EN3c108BFloat16ENS0_10empty_typeEbEEZZNS1_14partition_implILS5_8ELb0ES3_jPKS7_PS8_PKS8_NS0_5tupleIJPS7_S8_EEENSG_IJSD_SD_EEENS0_18inequality_wrapperIN6hipcub16HIPCUB_304000_NS8EqualityEEEPlJS8_EEE10hipError_tPvRmT3_T4_T5_T6_T7_T9_mT8_P12ihipStream_tbDpT10_ENKUlT_T0_E_clISt17integral_constantIbLb0EES18_IbLb1EEEEDaS14_S15_EUlS14_E_NS1_11comp_targetILNS1_3genE8ELNS1_11target_archE1030ELNS1_3gpuE2ELNS1_3repE0EEENS1_30default_config_static_selectorELNS0_4arch9wavefront6targetE0EEEvT1_ ; -- Begin function _ZN7rocprim17ROCPRIM_400000_NS6detail17trampoline_kernelINS0_14default_configENS1_25partition_config_selectorILNS1_17partition_subalgoE8EN3c108BFloat16ENS0_10empty_typeEbEEZZNS1_14partition_implILS5_8ELb0ES3_jPKS7_PS8_PKS8_NS0_5tupleIJPS7_S8_EEENSG_IJSD_SD_EEENS0_18inequality_wrapperIN6hipcub16HIPCUB_304000_NS8EqualityEEEPlJS8_EEE10hipError_tPvRmT3_T4_T5_T6_T7_T9_mT8_P12ihipStream_tbDpT10_ENKUlT_T0_E_clISt17integral_constantIbLb0EES18_IbLb1EEEEDaS14_S15_EUlS14_E_NS1_11comp_targetILNS1_3genE8ELNS1_11target_archE1030ELNS1_3gpuE2ELNS1_3repE0EEENS1_30default_config_static_selectorELNS0_4arch9wavefront6targetE0EEEvT1_
	.globl	_ZN7rocprim17ROCPRIM_400000_NS6detail17trampoline_kernelINS0_14default_configENS1_25partition_config_selectorILNS1_17partition_subalgoE8EN3c108BFloat16ENS0_10empty_typeEbEEZZNS1_14partition_implILS5_8ELb0ES3_jPKS7_PS8_PKS8_NS0_5tupleIJPS7_S8_EEENSG_IJSD_SD_EEENS0_18inequality_wrapperIN6hipcub16HIPCUB_304000_NS8EqualityEEEPlJS8_EEE10hipError_tPvRmT3_T4_T5_T6_T7_T9_mT8_P12ihipStream_tbDpT10_ENKUlT_T0_E_clISt17integral_constantIbLb0EES18_IbLb1EEEEDaS14_S15_EUlS14_E_NS1_11comp_targetILNS1_3genE8ELNS1_11target_archE1030ELNS1_3gpuE2ELNS1_3repE0EEENS1_30default_config_static_selectorELNS0_4arch9wavefront6targetE0EEEvT1_
	.p2align	8
	.type	_ZN7rocprim17ROCPRIM_400000_NS6detail17trampoline_kernelINS0_14default_configENS1_25partition_config_selectorILNS1_17partition_subalgoE8EN3c108BFloat16ENS0_10empty_typeEbEEZZNS1_14partition_implILS5_8ELb0ES3_jPKS7_PS8_PKS8_NS0_5tupleIJPS7_S8_EEENSG_IJSD_SD_EEENS0_18inequality_wrapperIN6hipcub16HIPCUB_304000_NS8EqualityEEEPlJS8_EEE10hipError_tPvRmT3_T4_T5_T6_T7_T9_mT8_P12ihipStream_tbDpT10_ENKUlT_T0_E_clISt17integral_constantIbLb0EES18_IbLb1EEEEDaS14_S15_EUlS14_E_NS1_11comp_targetILNS1_3genE8ELNS1_11target_archE1030ELNS1_3gpuE2ELNS1_3repE0EEENS1_30default_config_static_selectorELNS0_4arch9wavefront6targetE0EEEvT1_,@function
_ZN7rocprim17ROCPRIM_400000_NS6detail17trampoline_kernelINS0_14default_configENS1_25partition_config_selectorILNS1_17partition_subalgoE8EN3c108BFloat16ENS0_10empty_typeEbEEZZNS1_14partition_implILS5_8ELb0ES3_jPKS7_PS8_PKS8_NS0_5tupleIJPS7_S8_EEENSG_IJSD_SD_EEENS0_18inequality_wrapperIN6hipcub16HIPCUB_304000_NS8EqualityEEEPlJS8_EEE10hipError_tPvRmT3_T4_T5_T6_T7_T9_mT8_P12ihipStream_tbDpT10_ENKUlT_T0_E_clISt17integral_constantIbLb0EES18_IbLb1EEEEDaS14_S15_EUlS14_E_NS1_11comp_targetILNS1_3genE8ELNS1_11target_archE1030ELNS1_3gpuE2ELNS1_3repE0EEENS1_30default_config_static_selectorELNS0_4arch9wavefront6targetE0EEEvT1_: ; @_ZN7rocprim17ROCPRIM_400000_NS6detail17trampoline_kernelINS0_14default_configENS1_25partition_config_selectorILNS1_17partition_subalgoE8EN3c108BFloat16ENS0_10empty_typeEbEEZZNS1_14partition_implILS5_8ELb0ES3_jPKS7_PS8_PKS8_NS0_5tupleIJPS7_S8_EEENSG_IJSD_SD_EEENS0_18inequality_wrapperIN6hipcub16HIPCUB_304000_NS8EqualityEEEPlJS8_EEE10hipError_tPvRmT3_T4_T5_T6_T7_T9_mT8_P12ihipStream_tbDpT10_ENKUlT_T0_E_clISt17integral_constantIbLb0EES18_IbLb1EEEEDaS14_S15_EUlS14_E_NS1_11comp_targetILNS1_3genE8ELNS1_11target_archE1030ELNS1_3gpuE2ELNS1_3repE0EEENS1_30default_config_static_selectorELNS0_4arch9wavefront6targetE0EEEvT1_
; %bb.0:
	.section	.rodata,"a",@progbits
	.p2align	6, 0x0
	.amdhsa_kernel _ZN7rocprim17ROCPRIM_400000_NS6detail17trampoline_kernelINS0_14default_configENS1_25partition_config_selectorILNS1_17partition_subalgoE8EN3c108BFloat16ENS0_10empty_typeEbEEZZNS1_14partition_implILS5_8ELb0ES3_jPKS7_PS8_PKS8_NS0_5tupleIJPS7_S8_EEENSG_IJSD_SD_EEENS0_18inequality_wrapperIN6hipcub16HIPCUB_304000_NS8EqualityEEEPlJS8_EEE10hipError_tPvRmT3_T4_T5_T6_T7_T9_mT8_P12ihipStream_tbDpT10_ENKUlT_T0_E_clISt17integral_constantIbLb0EES18_IbLb1EEEEDaS14_S15_EUlS14_E_NS1_11comp_targetILNS1_3genE8ELNS1_11target_archE1030ELNS1_3gpuE2ELNS1_3repE0EEENS1_30default_config_static_selectorELNS0_4arch9wavefront6targetE0EEEvT1_
		.amdhsa_group_segment_fixed_size 0
		.amdhsa_private_segment_fixed_size 0
		.amdhsa_kernarg_size 128
		.amdhsa_user_sgpr_count 2
		.amdhsa_user_sgpr_dispatch_ptr 0
		.amdhsa_user_sgpr_queue_ptr 0
		.amdhsa_user_sgpr_kernarg_segment_ptr 1
		.amdhsa_user_sgpr_dispatch_id 0
		.amdhsa_user_sgpr_kernarg_preload_length 0
		.amdhsa_user_sgpr_kernarg_preload_offset 0
		.amdhsa_user_sgpr_private_segment_size 0
		.amdhsa_wavefront_size32 1
		.amdhsa_uses_dynamic_stack 0
		.amdhsa_enable_private_segment 0
		.amdhsa_system_sgpr_workgroup_id_x 1
		.amdhsa_system_sgpr_workgroup_id_y 0
		.amdhsa_system_sgpr_workgroup_id_z 0
		.amdhsa_system_sgpr_workgroup_info 0
		.amdhsa_system_vgpr_workitem_id 0
		.amdhsa_next_free_vgpr 1
		.amdhsa_next_free_sgpr 1
		.amdhsa_named_barrier_count 0
		.amdhsa_reserve_vcc 0
		.amdhsa_float_round_mode_32 0
		.amdhsa_float_round_mode_16_64 0
		.amdhsa_float_denorm_mode_32 3
		.amdhsa_float_denorm_mode_16_64 3
		.amdhsa_fp16_overflow 0
		.amdhsa_memory_ordered 1
		.amdhsa_forward_progress 1
		.amdhsa_inst_pref_size 0
		.amdhsa_round_robin_scheduling 0
		.amdhsa_exception_fp_ieee_invalid_op 0
		.amdhsa_exception_fp_denorm_src 0
		.amdhsa_exception_fp_ieee_div_zero 0
		.amdhsa_exception_fp_ieee_overflow 0
		.amdhsa_exception_fp_ieee_underflow 0
		.amdhsa_exception_fp_ieee_inexact 0
		.amdhsa_exception_int_div_zero 0
	.end_amdhsa_kernel
	.section	.text._ZN7rocprim17ROCPRIM_400000_NS6detail17trampoline_kernelINS0_14default_configENS1_25partition_config_selectorILNS1_17partition_subalgoE8EN3c108BFloat16ENS0_10empty_typeEbEEZZNS1_14partition_implILS5_8ELb0ES3_jPKS7_PS8_PKS8_NS0_5tupleIJPS7_S8_EEENSG_IJSD_SD_EEENS0_18inequality_wrapperIN6hipcub16HIPCUB_304000_NS8EqualityEEEPlJS8_EEE10hipError_tPvRmT3_T4_T5_T6_T7_T9_mT8_P12ihipStream_tbDpT10_ENKUlT_T0_E_clISt17integral_constantIbLb0EES18_IbLb1EEEEDaS14_S15_EUlS14_E_NS1_11comp_targetILNS1_3genE8ELNS1_11target_archE1030ELNS1_3gpuE2ELNS1_3repE0EEENS1_30default_config_static_selectorELNS0_4arch9wavefront6targetE0EEEvT1_,"axG",@progbits,_ZN7rocprim17ROCPRIM_400000_NS6detail17trampoline_kernelINS0_14default_configENS1_25partition_config_selectorILNS1_17partition_subalgoE8EN3c108BFloat16ENS0_10empty_typeEbEEZZNS1_14partition_implILS5_8ELb0ES3_jPKS7_PS8_PKS8_NS0_5tupleIJPS7_S8_EEENSG_IJSD_SD_EEENS0_18inequality_wrapperIN6hipcub16HIPCUB_304000_NS8EqualityEEEPlJS8_EEE10hipError_tPvRmT3_T4_T5_T6_T7_T9_mT8_P12ihipStream_tbDpT10_ENKUlT_T0_E_clISt17integral_constantIbLb0EES18_IbLb1EEEEDaS14_S15_EUlS14_E_NS1_11comp_targetILNS1_3genE8ELNS1_11target_archE1030ELNS1_3gpuE2ELNS1_3repE0EEENS1_30default_config_static_selectorELNS0_4arch9wavefront6targetE0EEEvT1_,comdat
.Lfunc_end855:
	.size	_ZN7rocprim17ROCPRIM_400000_NS6detail17trampoline_kernelINS0_14default_configENS1_25partition_config_selectorILNS1_17partition_subalgoE8EN3c108BFloat16ENS0_10empty_typeEbEEZZNS1_14partition_implILS5_8ELb0ES3_jPKS7_PS8_PKS8_NS0_5tupleIJPS7_S8_EEENSG_IJSD_SD_EEENS0_18inequality_wrapperIN6hipcub16HIPCUB_304000_NS8EqualityEEEPlJS8_EEE10hipError_tPvRmT3_T4_T5_T6_T7_T9_mT8_P12ihipStream_tbDpT10_ENKUlT_T0_E_clISt17integral_constantIbLb0EES18_IbLb1EEEEDaS14_S15_EUlS14_E_NS1_11comp_targetILNS1_3genE8ELNS1_11target_archE1030ELNS1_3gpuE2ELNS1_3repE0EEENS1_30default_config_static_selectorELNS0_4arch9wavefront6targetE0EEEvT1_, .Lfunc_end855-_ZN7rocprim17ROCPRIM_400000_NS6detail17trampoline_kernelINS0_14default_configENS1_25partition_config_selectorILNS1_17partition_subalgoE8EN3c108BFloat16ENS0_10empty_typeEbEEZZNS1_14partition_implILS5_8ELb0ES3_jPKS7_PS8_PKS8_NS0_5tupleIJPS7_S8_EEENSG_IJSD_SD_EEENS0_18inequality_wrapperIN6hipcub16HIPCUB_304000_NS8EqualityEEEPlJS8_EEE10hipError_tPvRmT3_T4_T5_T6_T7_T9_mT8_P12ihipStream_tbDpT10_ENKUlT_T0_E_clISt17integral_constantIbLb0EES18_IbLb1EEEEDaS14_S15_EUlS14_E_NS1_11comp_targetILNS1_3genE8ELNS1_11target_archE1030ELNS1_3gpuE2ELNS1_3repE0EEENS1_30default_config_static_selectorELNS0_4arch9wavefront6targetE0EEEvT1_
                                        ; -- End function
	.set _ZN7rocprim17ROCPRIM_400000_NS6detail17trampoline_kernelINS0_14default_configENS1_25partition_config_selectorILNS1_17partition_subalgoE8EN3c108BFloat16ENS0_10empty_typeEbEEZZNS1_14partition_implILS5_8ELb0ES3_jPKS7_PS8_PKS8_NS0_5tupleIJPS7_S8_EEENSG_IJSD_SD_EEENS0_18inequality_wrapperIN6hipcub16HIPCUB_304000_NS8EqualityEEEPlJS8_EEE10hipError_tPvRmT3_T4_T5_T6_T7_T9_mT8_P12ihipStream_tbDpT10_ENKUlT_T0_E_clISt17integral_constantIbLb0EES18_IbLb1EEEEDaS14_S15_EUlS14_E_NS1_11comp_targetILNS1_3genE8ELNS1_11target_archE1030ELNS1_3gpuE2ELNS1_3repE0EEENS1_30default_config_static_selectorELNS0_4arch9wavefront6targetE0EEEvT1_.num_vgpr, 0
	.set _ZN7rocprim17ROCPRIM_400000_NS6detail17trampoline_kernelINS0_14default_configENS1_25partition_config_selectorILNS1_17partition_subalgoE8EN3c108BFloat16ENS0_10empty_typeEbEEZZNS1_14partition_implILS5_8ELb0ES3_jPKS7_PS8_PKS8_NS0_5tupleIJPS7_S8_EEENSG_IJSD_SD_EEENS0_18inequality_wrapperIN6hipcub16HIPCUB_304000_NS8EqualityEEEPlJS8_EEE10hipError_tPvRmT3_T4_T5_T6_T7_T9_mT8_P12ihipStream_tbDpT10_ENKUlT_T0_E_clISt17integral_constantIbLb0EES18_IbLb1EEEEDaS14_S15_EUlS14_E_NS1_11comp_targetILNS1_3genE8ELNS1_11target_archE1030ELNS1_3gpuE2ELNS1_3repE0EEENS1_30default_config_static_selectorELNS0_4arch9wavefront6targetE0EEEvT1_.num_agpr, 0
	.set _ZN7rocprim17ROCPRIM_400000_NS6detail17trampoline_kernelINS0_14default_configENS1_25partition_config_selectorILNS1_17partition_subalgoE8EN3c108BFloat16ENS0_10empty_typeEbEEZZNS1_14partition_implILS5_8ELb0ES3_jPKS7_PS8_PKS8_NS0_5tupleIJPS7_S8_EEENSG_IJSD_SD_EEENS0_18inequality_wrapperIN6hipcub16HIPCUB_304000_NS8EqualityEEEPlJS8_EEE10hipError_tPvRmT3_T4_T5_T6_T7_T9_mT8_P12ihipStream_tbDpT10_ENKUlT_T0_E_clISt17integral_constantIbLb0EES18_IbLb1EEEEDaS14_S15_EUlS14_E_NS1_11comp_targetILNS1_3genE8ELNS1_11target_archE1030ELNS1_3gpuE2ELNS1_3repE0EEENS1_30default_config_static_selectorELNS0_4arch9wavefront6targetE0EEEvT1_.numbered_sgpr, 0
	.set _ZN7rocprim17ROCPRIM_400000_NS6detail17trampoline_kernelINS0_14default_configENS1_25partition_config_selectorILNS1_17partition_subalgoE8EN3c108BFloat16ENS0_10empty_typeEbEEZZNS1_14partition_implILS5_8ELb0ES3_jPKS7_PS8_PKS8_NS0_5tupleIJPS7_S8_EEENSG_IJSD_SD_EEENS0_18inequality_wrapperIN6hipcub16HIPCUB_304000_NS8EqualityEEEPlJS8_EEE10hipError_tPvRmT3_T4_T5_T6_T7_T9_mT8_P12ihipStream_tbDpT10_ENKUlT_T0_E_clISt17integral_constantIbLb0EES18_IbLb1EEEEDaS14_S15_EUlS14_E_NS1_11comp_targetILNS1_3genE8ELNS1_11target_archE1030ELNS1_3gpuE2ELNS1_3repE0EEENS1_30default_config_static_selectorELNS0_4arch9wavefront6targetE0EEEvT1_.num_named_barrier, 0
	.set _ZN7rocprim17ROCPRIM_400000_NS6detail17trampoline_kernelINS0_14default_configENS1_25partition_config_selectorILNS1_17partition_subalgoE8EN3c108BFloat16ENS0_10empty_typeEbEEZZNS1_14partition_implILS5_8ELb0ES3_jPKS7_PS8_PKS8_NS0_5tupleIJPS7_S8_EEENSG_IJSD_SD_EEENS0_18inequality_wrapperIN6hipcub16HIPCUB_304000_NS8EqualityEEEPlJS8_EEE10hipError_tPvRmT3_T4_T5_T6_T7_T9_mT8_P12ihipStream_tbDpT10_ENKUlT_T0_E_clISt17integral_constantIbLb0EES18_IbLb1EEEEDaS14_S15_EUlS14_E_NS1_11comp_targetILNS1_3genE8ELNS1_11target_archE1030ELNS1_3gpuE2ELNS1_3repE0EEENS1_30default_config_static_selectorELNS0_4arch9wavefront6targetE0EEEvT1_.private_seg_size, 0
	.set _ZN7rocprim17ROCPRIM_400000_NS6detail17trampoline_kernelINS0_14default_configENS1_25partition_config_selectorILNS1_17partition_subalgoE8EN3c108BFloat16ENS0_10empty_typeEbEEZZNS1_14partition_implILS5_8ELb0ES3_jPKS7_PS8_PKS8_NS0_5tupleIJPS7_S8_EEENSG_IJSD_SD_EEENS0_18inequality_wrapperIN6hipcub16HIPCUB_304000_NS8EqualityEEEPlJS8_EEE10hipError_tPvRmT3_T4_T5_T6_T7_T9_mT8_P12ihipStream_tbDpT10_ENKUlT_T0_E_clISt17integral_constantIbLb0EES18_IbLb1EEEEDaS14_S15_EUlS14_E_NS1_11comp_targetILNS1_3genE8ELNS1_11target_archE1030ELNS1_3gpuE2ELNS1_3repE0EEENS1_30default_config_static_selectorELNS0_4arch9wavefront6targetE0EEEvT1_.uses_vcc, 0
	.set _ZN7rocprim17ROCPRIM_400000_NS6detail17trampoline_kernelINS0_14default_configENS1_25partition_config_selectorILNS1_17partition_subalgoE8EN3c108BFloat16ENS0_10empty_typeEbEEZZNS1_14partition_implILS5_8ELb0ES3_jPKS7_PS8_PKS8_NS0_5tupleIJPS7_S8_EEENSG_IJSD_SD_EEENS0_18inequality_wrapperIN6hipcub16HIPCUB_304000_NS8EqualityEEEPlJS8_EEE10hipError_tPvRmT3_T4_T5_T6_T7_T9_mT8_P12ihipStream_tbDpT10_ENKUlT_T0_E_clISt17integral_constantIbLb0EES18_IbLb1EEEEDaS14_S15_EUlS14_E_NS1_11comp_targetILNS1_3genE8ELNS1_11target_archE1030ELNS1_3gpuE2ELNS1_3repE0EEENS1_30default_config_static_selectorELNS0_4arch9wavefront6targetE0EEEvT1_.uses_flat_scratch, 0
	.set _ZN7rocprim17ROCPRIM_400000_NS6detail17trampoline_kernelINS0_14default_configENS1_25partition_config_selectorILNS1_17partition_subalgoE8EN3c108BFloat16ENS0_10empty_typeEbEEZZNS1_14partition_implILS5_8ELb0ES3_jPKS7_PS8_PKS8_NS0_5tupleIJPS7_S8_EEENSG_IJSD_SD_EEENS0_18inequality_wrapperIN6hipcub16HIPCUB_304000_NS8EqualityEEEPlJS8_EEE10hipError_tPvRmT3_T4_T5_T6_T7_T9_mT8_P12ihipStream_tbDpT10_ENKUlT_T0_E_clISt17integral_constantIbLb0EES18_IbLb1EEEEDaS14_S15_EUlS14_E_NS1_11comp_targetILNS1_3genE8ELNS1_11target_archE1030ELNS1_3gpuE2ELNS1_3repE0EEENS1_30default_config_static_selectorELNS0_4arch9wavefront6targetE0EEEvT1_.has_dyn_sized_stack, 0
	.set _ZN7rocprim17ROCPRIM_400000_NS6detail17trampoline_kernelINS0_14default_configENS1_25partition_config_selectorILNS1_17partition_subalgoE8EN3c108BFloat16ENS0_10empty_typeEbEEZZNS1_14partition_implILS5_8ELb0ES3_jPKS7_PS8_PKS8_NS0_5tupleIJPS7_S8_EEENSG_IJSD_SD_EEENS0_18inequality_wrapperIN6hipcub16HIPCUB_304000_NS8EqualityEEEPlJS8_EEE10hipError_tPvRmT3_T4_T5_T6_T7_T9_mT8_P12ihipStream_tbDpT10_ENKUlT_T0_E_clISt17integral_constantIbLb0EES18_IbLb1EEEEDaS14_S15_EUlS14_E_NS1_11comp_targetILNS1_3genE8ELNS1_11target_archE1030ELNS1_3gpuE2ELNS1_3repE0EEENS1_30default_config_static_selectorELNS0_4arch9wavefront6targetE0EEEvT1_.has_recursion, 0
	.set _ZN7rocprim17ROCPRIM_400000_NS6detail17trampoline_kernelINS0_14default_configENS1_25partition_config_selectorILNS1_17partition_subalgoE8EN3c108BFloat16ENS0_10empty_typeEbEEZZNS1_14partition_implILS5_8ELb0ES3_jPKS7_PS8_PKS8_NS0_5tupleIJPS7_S8_EEENSG_IJSD_SD_EEENS0_18inequality_wrapperIN6hipcub16HIPCUB_304000_NS8EqualityEEEPlJS8_EEE10hipError_tPvRmT3_T4_T5_T6_T7_T9_mT8_P12ihipStream_tbDpT10_ENKUlT_T0_E_clISt17integral_constantIbLb0EES18_IbLb1EEEEDaS14_S15_EUlS14_E_NS1_11comp_targetILNS1_3genE8ELNS1_11target_archE1030ELNS1_3gpuE2ELNS1_3repE0EEENS1_30default_config_static_selectorELNS0_4arch9wavefront6targetE0EEEvT1_.has_indirect_call, 0
	.section	.AMDGPU.csdata,"",@progbits
; Kernel info:
; codeLenInByte = 0
; TotalNumSgprs: 0
; NumVgprs: 0
; ScratchSize: 0
; MemoryBound: 0
; FloatMode: 240
; IeeeMode: 1
; LDSByteSize: 0 bytes/workgroup (compile time only)
; SGPRBlocks: 0
; VGPRBlocks: 0
; NumSGPRsForWavesPerEU: 1
; NumVGPRsForWavesPerEU: 1
; NamedBarCnt: 0
; Occupancy: 16
; WaveLimiterHint : 0
; COMPUTE_PGM_RSRC2:SCRATCH_EN: 0
; COMPUTE_PGM_RSRC2:USER_SGPR: 2
; COMPUTE_PGM_RSRC2:TRAP_HANDLER: 0
; COMPUTE_PGM_RSRC2:TGID_X_EN: 1
; COMPUTE_PGM_RSRC2:TGID_Y_EN: 0
; COMPUTE_PGM_RSRC2:TGID_Z_EN: 0
; COMPUTE_PGM_RSRC2:TIDIG_COMP_CNT: 0
	.section	.text._ZN7rocprim17ROCPRIM_400000_NS6detail17trampoline_kernelINS0_14default_configENS1_33run_length_encode_config_selectorIN3c108BFloat16EjNS0_4plusIjEEEEZZNS1_33reduce_by_key_impl_wrapped_configILNS1_25lookback_scan_determinismE0ES3_S9_PKS6_NS0_17constant_iteratorIjlEEPS6_PlSH_S8_NS0_8equal_toIS6_EEEE10hipError_tPvRmT2_T3_mT4_T5_T6_T7_T8_P12ihipStream_tbENKUlT_T0_E_clISt17integral_constantIbLb0EES11_EEDaSW_SX_EUlSW_E_NS1_11comp_targetILNS1_3genE0ELNS1_11target_archE4294967295ELNS1_3gpuE0ELNS1_3repE0EEENS1_30default_config_static_selectorELNS0_4arch9wavefront6targetE0EEEvT1_,"axG",@progbits,_ZN7rocprim17ROCPRIM_400000_NS6detail17trampoline_kernelINS0_14default_configENS1_33run_length_encode_config_selectorIN3c108BFloat16EjNS0_4plusIjEEEEZZNS1_33reduce_by_key_impl_wrapped_configILNS1_25lookback_scan_determinismE0ES3_S9_PKS6_NS0_17constant_iteratorIjlEEPS6_PlSH_S8_NS0_8equal_toIS6_EEEE10hipError_tPvRmT2_T3_mT4_T5_T6_T7_T8_P12ihipStream_tbENKUlT_T0_E_clISt17integral_constantIbLb0EES11_EEDaSW_SX_EUlSW_E_NS1_11comp_targetILNS1_3genE0ELNS1_11target_archE4294967295ELNS1_3gpuE0ELNS1_3repE0EEENS1_30default_config_static_selectorELNS0_4arch9wavefront6targetE0EEEvT1_,comdat
	.protected	_ZN7rocprim17ROCPRIM_400000_NS6detail17trampoline_kernelINS0_14default_configENS1_33run_length_encode_config_selectorIN3c108BFloat16EjNS0_4plusIjEEEEZZNS1_33reduce_by_key_impl_wrapped_configILNS1_25lookback_scan_determinismE0ES3_S9_PKS6_NS0_17constant_iteratorIjlEEPS6_PlSH_S8_NS0_8equal_toIS6_EEEE10hipError_tPvRmT2_T3_mT4_T5_T6_T7_T8_P12ihipStream_tbENKUlT_T0_E_clISt17integral_constantIbLb0EES11_EEDaSW_SX_EUlSW_E_NS1_11comp_targetILNS1_3genE0ELNS1_11target_archE4294967295ELNS1_3gpuE0ELNS1_3repE0EEENS1_30default_config_static_selectorELNS0_4arch9wavefront6targetE0EEEvT1_ ; -- Begin function _ZN7rocprim17ROCPRIM_400000_NS6detail17trampoline_kernelINS0_14default_configENS1_33run_length_encode_config_selectorIN3c108BFloat16EjNS0_4plusIjEEEEZZNS1_33reduce_by_key_impl_wrapped_configILNS1_25lookback_scan_determinismE0ES3_S9_PKS6_NS0_17constant_iteratorIjlEEPS6_PlSH_S8_NS0_8equal_toIS6_EEEE10hipError_tPvRmT2_T3_mT4_T5_T6_T7_T8_P12ihipStream_tbENKUlT_T0_E_clISt17integral_constantIbLb0EES11_EEDaSW_SX_EUlSW_E_NS1_11comp_targetILNS1_3genE0ELNS1_11target_archE4294967295ELNS1_3gpuE0ELNS1_3repE0EEENS1_30default_config_static_selectorELNS0_4arch9wavefront6targetE0EEEvT1_
	.globl	_ZN7rocprim17ROCPRIM_400000_NS6detail17trampoline_kernelINS0_14default_configENS1_33run_length_encode_config_selectorIN3c108BFloat16EjNS0_4plusIjEEEEZZNS1_33reduce_by_key_impl_wrapped_configILNS1_25lookback_scan_determinismE0ES3_S9_PKS6_NS0_17constant_iteratorIjlEEPS6_PlSH_S8_NS0_8equal_toIS6_EEEE10hipError_tPvRmT2_T3_mT4_T5_T6_T7_T8_P12ihipStream_tbENKUlT_T0_E_clISt17integral_constantIbLb0EES11_EEDaSW_SX_EUlSW_E_NS1_11comp_targetILNS1_3genE0ELNS1_11target_archE4294967295ELNS1_3gpuE0ELNS1_3repE0EEENS1_30default_config_static_selectorELNS0_4arch9wavefront6targetE0EEEvT1_
	.p2align	8
	.type	_ZN7rocprim17ROCPRIM_400000_NS6detail17trampoline_kernelINS0_14default_configENS1_33run_length_encode_config_selectorIN3c108BFloat16EjNS0_4plusIjEEEEZZNS1_33reduce_by_key_impl_wrapped_configILNS1_25lookback_scan_determinismE0ES3_S9_PKS6_NS0_17constant_iteratorIjlEEPS6_PlSH_S8_NS0_8equal_toIS6_EEEE10hipError_tPvRmT2_T3_mT4_T5_T6_T7_T8_P12ihipStream_tbENKUlT_T0_E_clISt17integral_constantIbLb0EES11_EEDaSW_SX_EUlSW_E_NS1_11comp_targetILNS1_3genE0ELNS1_11target_archE4294967295ELNS1_3gpuE0ELNS1_3repE0EEENS1_30default_config_static_selectorELNS0_4arch9wavefront6targetE0EEEvT1_,@function
_ZN7rocprim17ROCPRIM_400000_NS6detail17trampoline_kernelINS0_14default_configENS1_33run_length_encode_config_selectorIN3c108BFloat16EjNS0_4plusIjEEEEZZNS1_33reduce_by_key_impl_wrapped_configILNS1_25lookback_scan_determinismE0ES3_S9_PKS6_NS0_17constant_iteratorIjlEEPS6_PlSH_S8_NS0_8equal_toIS6_EEEE10hipError_tPvRmT2_T3_mT4_T5_T6_T7_T8_P12ihipStream_tbENKUlT_T0_E_clISt17integral_constantIbLb0EES11_EEDaSW_SX_EUlSW_E_NS1_11comp_targetILNS1_3genE0ELNS1_11target_archE4294967295ELNS1_3gpuE0ELNS1_3repE0EEENS1_30default_config_static_selectorELNS0_4arch9wavefront6targetE0EEEvT1_: ; @_ZN7rocprim17ROCPRIM_400000_NS6detail17trampoline_kernelINS0_14default_configENS1_33run_length_encode_config_selectorIN3c108BFloat16EjNS0_4plusIjEEEEZZNS1_33reduce_by_key_impl_wrapped_configILNS1_25lookback_scan_determinismE0ES3_S9_PKS6_NS0_17constant_iteratorIjlEEPS6_PlSH_S8_NS0_8equal_toIS6_EEEE10hipError_tPvRmT2_T3_mT4_T5_T6_T7_T8_P12ihipStream_tbENKUlT_T0_E_clISt17integral_constantIbLb0EES11_EEDaSW_SX_EUlSW_E_NS1_11comp_targetILNS1_3genE0ELNS1_11target_archE4294967295ELNS1_3gpuE0ELNS1_3repE0EEENS1_30default_config_static_selectorELNS0_4arch9wavefront6targetE0EEEvT1_
; %bb.0:
	s_clause 0x4
	s_load_b128 s[4:7], s[0:1], 0x0
	s_load_b256 s[36:43], s[0:1], 0x40
	s_load_b32 s19, s[0:1], 0x10
	s_load_b128 s[28:31], s[0:1], 0x20
	s_load_b64 s[34:35], s[0:1], 0x30
	s_bfe_u32 s8, ttmp6, 0x4000c
	s_clause 0x1
	s_load_b64 s[44:45], s[0:1], 0x70
	s_load_b128 s[24:27], s[0:1], 0x60
	s_add_co_i32 s8, s8, 1
	s_and_b32 s2, ttmp6, 15
	s_wait_xcnt 0x0
	s_mul_i32 s0, ttmp9, s8
	s_getreg_b32 s9, hwreg(HW_REG_IB_STS2, 6, 4)
	s_add_co_i32 s2, s2, s0
	s_mov_b32 s3, 0
	s_delay_alu instid0(SALU_CYCLE_1)
	s_mov_b32 s47, s3
	s_wait_kmcnt 0x0
	s_lshl_b64 s[0:1], s[6:7], 1
	s_cmp_eq_u32 s9, 0
	s_mul_u64 s[6:7], s[40:41], s[38:39]
	s_cselect_b32 s46, ttmp9, s2
	s_add_nc_u64 s[8:9], s[42:43], -1
	s_mul_i32 s2, s46, 0xf00
	s_add_nc_u64 s[16:17], s[6:7], s[46:47]
	s_lshl_b64 s[6:7], s[2:3], 1
	s_cmp_eq_u64 s[16:17], s[8:9]
	s_add_nc_u64 s[0:1], s[4:5], s[0:1]
	s_cselect_b32 s33, -1, 0
	s_cmp_lg_u64 s[16:17], s[8:9]
	s_add_nc_u64 s[14:15], s[0:1], s[6:7]
	s_cselect_b32 s18, -1, 0
	s_and_b32 vcc_lo, exec_lo, s33
	s_mul_i32 s42, s8, 0xfffff100
	s_cbranch_vccnz .LBB856_2
; %bb.1:
	s_clause 0xe
	global_load_u16 v1, v0, s[14:15] scale_offset
	global_load_u16 v2, v0, s[14:15] offset:512 scale_offset
	global_load_u16 v3, v0, s[14:15] offset:1024 scale_offset
	;; [unrolled: 1-line block ×14, first 2 shown]
	v_lshlrev_b32_e32 v16, 1, v0
	s_wait_loadcnt 0xe
	ds_store_b16 v16, v1
	s_wait_loadcnt 0xd
	ds_store_b16 v16, v2 offset:512
	s_wait_loadcnt 0xc
	ds_store_b16 v16, v3 offset:1024
	s_wait_loadcnt 0xb
	ds_store_b16 v16, v4 offset:1536
	s_wait_loadcnt 0xa
	ds_store_b16 v16, v5 offset:2048
	s_wait_loadcnt 0x9
	ds_store_b16 v16, v6 offset:2560
	s_wait_loadcnt 0x8
	ds_store_b16 v16, v7 offset:3072
	s_wait_loadcnt 0x7
	ds_store_b16 v16, v8 offset:3584
	s_wait_loadcnt 0x6
	ds_store_b16 v16, v9 offset:4096
	s_wait_loadcnt 0x5
	ds_store_b16 v16, v10 offset:4608
	s_wait_loadcnt 0x4
	ds_store_b16 v16, v11 offset:5120
	s_wait_loadcnt 0x3
	ds_store_b16 v16, v12 offset:5632
	s_wait_loadcnt 0x2
	ds_store_b16 v16, v13 offset:6144
	s_wait_loadcnt 0x1
	ds_store_b16 v16, v14 offset:6656
	s_wait_loadcnt 0x0
	ds_store_b16 v16, v15 offset:7168
	v_mov_b32_e32 v8, s19
	v_mad_u32_u24 v17, v0, 28, v16
	s_wait_dscnt 0x0
	s_barrier_signal -1
	s_barrier_wait -1
	ds_load_b128 v[2:5], v17
	ds_load_b96 v[14:16], v17 offset:16
	ds_load_u16 v1, v17 offset:28
	v_mul_u32_u24_e32 v6, 15, v0
	v_mad_i32_i24 v7, 0xffffffe6, v0, v17
	s_wait_dscnt 0x0
	s_barrier_signal -1
	s_barrier_wait -1
	ds_store_2addr_stride64_b32 v7, v8, v8 offset1:4
	ds_store_2addr_stride64_b32 v7, v8, v8 offset0:8 offset1:12
	ds_store_2addr_stride64_b32 v7, v8, v8 offset0:16 offset1:20
	;; [unrolled: 1-line block ×6, first 2 shown]
	ds_store_b32 v7, v8 offset:14336
	s_wait_dscnt 0x0
	s_barrier_signal -1
	s_barrier_wait -1
	s_and_not1_b32 vcc_lo, exec_lo, s3
	s_add_co_i32 s42, s42, s24
	s_cbranch_vccz .LBB856_3
	s_branch .LBB856_34
.LBB856_2:
                                        ; implicit-def: $vgpr16
                                        ; implicit-def: $vgpr5
                                        ; implicit-def: $vgpr1
                                        ; implicit-def: $vgpr6
	s_add_co_i32 s42, s42, s24
.LBB856_3:
	s_delay_alu instid0(SALU_CYCLE_1)
	v_cmp_gt_u32_e32 vcc_lo, s42, v0
                                        ; implicit-def: $vgpr1
	s_and_saveexec_b32 s0, vcc_lo
	s_cbranch_execz .LBB856_5
; %bb.4:
	global_load_u16 v1, v0, s[14:15] scale_offset
.LBB856_5:
	s_wait_xcnt 0x0
	s_or_b32 exec_lo, exec_lo, s0
	v_or_b32_e32 v2, 0x100, v0
	s_delay_alu instid0(VALU_DEP_1)
	v_cmp_gt_u32_e64 s0, s42, v2
                                        ; implicit-def: $vgpr2
	s_and_saveexec_b32 s1, s0
	s_cbranch_execz .LBB856_7
; %bb.6:
	global_load_u16 v2, v0, s[14:15] offset:512 scale_offset
.LBB856_7:
	s_wait_xcnt 0x0
	s_or_b32 exec_lo, exec_lo, s1
	v_or_b32_e32 v3, 0x200, v0
	s_delay_alu instid0(VALU_DEP_1)
	v_cmp_gt_u32_e64 s1, s42, v3
                                        ; implicit-def: $vgpr3
	s_and_saveexec_b32 s2, s1
	s_cbranch_execz .LBB856_9
; %bb.8:
	global_load_u16 v3, v0, s[14:15] offset:1024 scale_offset
.LBB856_9:
	s_wait_xcnt 0x0
	s_or_b32 exec_lo, exec_lo, s2
	v_or_b32_e32 v4, 0x300, v0
	s_delay_alu instid0(VALU_DEP_1)
	v_cmp_gt_u32_e64 s2, s42, v4
                                        ; implicit-def: $vgpr4
	s_and_saveexec_b32 s3, s2
	s_cbranch_execz .LBB856_11
; %bb.10:
	global_load_u16 v4, v0, s[14:15] offset:1536 scale_offset
.LBB856_11:
	s_wait_xcnt 0x0
	s_or_b32 exec_lo, exec_lo, s3
	v_or_b32_e32 v5, 0x400, v0
	s_delay_alu instid0(VALU_DEP_1)
	v_cmp_gt_u32_e64 s3, s42, v5
                                        ; implicit-def: $vgpr5
	s_and_saveexec_b32 s4, s3
	s_cbranch_execz .LBB856_13
; %bb.12:
	global_load_u16 v5, v0, s[14:15] offset:2048 scale_offset
.LBB856_13:
	s_wait_xcnt 0x0
	s_or_b32 exec_lo, exec_lo, s4
	v_or_b32_e32 v6, 0x500, v0
	s_delay_alu instid0(VALU_DEP_1)
	v_cmp_gt_u32_e64 s4, s42, v6
                                        ; implicit-def: $vgpr6
	s_and_saveexec_b32 s5, s4
	s_cbranch_execz .LBB856_15
; %bb.14:
	global_load_u16 v6, v0, s[14:15] offset:2560 scale_offset
.LBB856_15:
	s_wait_xcnt 0x0
	s_or_b32 exec_lo, exec_lo, s5
	v_or_b32_e32 v7, 0x600, v0
	s_delay_alu instid0(VALU_DEP_1)
	v_cmp_gt_u32_e64 s5, s42, v7
                                        ; implicit-def: $vgpr7
	s_and_saveexec_b32 s6, s5
	s_cbranch_execz .LBB856_17
; %bb.16:
	global_load_u16 v7, v0, s[14:15] offset:3072 scale_offset
.LBB856_17:
	s_wait_xcnt 0x0
	s_or_b32 exec_lo, exec_lo, s6
	v_or_b32_e32 v8, 0x700, v0
	s_delay_alu instid0(VALU_DEP_1)
	v_cmp_gt_u32_e64 s6, s42, v8
                                        ; implicit-def: $vgpr8
	s_and_saveexec_b32 s7, s6
	s_cbranch_execz .LBB856_19
; %bb.18:
	global_load_u16 v8, v0, s[14:15] offset:3584 scale_offset
.LBB856_19:
	s_wait_xcnt 0x0
	s_or_b32 exec_lo, exec_lo, s7
	v_or_b32_e32 v9, 0x800, v0
	s_delay_alu instid0(VALU_DEP_1)
	v_cmp_gt_u32_e64 s7, s42, v9
                                        ; implicit-def: $vgpr9
	s_and_saveexec_b32 s8, s7
	s_cbranch_execz .LBB856_21
; %bb.20:
	global_load_u16 v9, v0, s[14:15] offset:4096 scale_offset
.LBB856_21:
	s_wait_xcnt 0x0
	s_or_b32 exec_lo, exec_lo, s8
	v_or_b32_e32 v10, 0x900, v0
	s_delay_alu instid0(VALU_DEP_1)
	v_cmp_gt_u32_e64 s8, s42, v10
                                        ; implicit-def: $vgpr10
	s_and_saveexec_b32 s9, s8
	s_cbranch_execz .LBB856_23
; %bb.22:
	global_load_u16 v10, v0, s[14:15] offset:4608 scale_offset
.LBB856_23:
	s_wait_xcnt 0x0
	s_or_b32 exec_lo, exec_lo, s9
	v_or_b32_e32 v11, 0xa00, v0
	s_delay_alu instid0(VALU_DEP_1)
	v_cmp_gt_u32_e64 s9, s42, v11
                                        ; implicit-def: $vgpr11
	s_and_saveexec_b32 s10, s9
	s_cbranch_execz .LBB856_25
; %bb.24:
	global_load_u16 v11, v0, s[14:15] offset:5120 scale_offset
.LBB856_25:
	s_wait_xcnt 0x0
	s_or_b32 exec_lo, exec_lo, s10
	v_or_b32_e32 v12, 0xb00, v0
	s_delay_alu instid0(VALU_DEP_1)
	v_cmp_gt_u32_e64 s10, s42, v12
                                        ; implicit-def: $vgpr12
	s_and_saveexec_b32 s11, s10
	s_cbranch_execz .LBB856_27
; %bb.26:
	global_load_u16 v12, v0, s[14:15] offset:5632 scale_offset
.LBB856_27:
	s_wait_xcnt 0x0
	s_or_b32 exec_lo, exec_lo, s11
	v_or_b32_e32 v13, 0xc00, v0
	s_delay_alu instid0(VALU_DEP_1)
	v_cmp_gt_u32_e64 s11, s42, v13
                                        ; implicit-def: $vgpr13
	s_and_saveexec_b32 s12, s11
	s_cbranch_execz .LBB856_29
; %bb.28:
	global_load_u16 v13, v0, s[14:15] offset:6144 scale_offset
.LBB856_29:
	s_wait_xcnt 0x0
	s_or_b32 exec_lo, exec_lo, s12
	v_or_b32_e32 v14, 0xd00, v0
	s_delay_alu instid0(VALU_DEP_1)
	v_cmp_gt_u32_e64 s12, s42, v14
                                        ; implicit-def: $vgpr14
	s_and_saveexec_b32 s13, s12
	s_cbranch_execz .LBB856_31
; %bb.30:
	global_load_u16 v14, v0, s[14:15] offset:6656 scale_offset
.LBB856_31:
	s_wait_xcnt 0x0
	s_or_b32 exec_lo, exec_lo, s13
	v_or_b32_e32 v15, 0xe00, v0
	s_delay_alu instid0(VALU_DEP_1)
	v_cmp_gt_u32_e64 s13, s42, v15
                                        ; implicit-def: $vgpr15
	s_and_saveexec_b32 s20, s13
	s_cbranch_execz .LBB856_33
; %bb.32:
	global_load_u16 v15, v0, s[14:15] offset:7168 scale_offset
.LBB856_33:
	s_wait_xcnt 0x0
	s_or_b32 exec_lo, exec_lo, s20
	v_lshlrev_b32_e32 v16, 1, v0
	v_cndmask_b32_e64 v17, 0, s19, s5
	v_cndmask_b32_e64 v18, 0, s19, s6
	;; [unrolled: 1-line block ×4, first 2 shown]
	s_wait_loadcnt 0x0
	ds_store_b16 v16, v1
	ds_store_b16 v16, v2 offset:512
	ds_store_b16 v16, v3 offset:1024
	;; [unrolled: 1-line block ×14, first 2 shown]
	v_mad_u32_u24 v7, v0, 28, v16
	s_wait_dscnt 0x0
	s_barrier_signal -1
	s_barrier_wait -1
	ds_load_b128 v[2:5], v7
	ds_load_b96 v[14:16], v7 offset:16
	ds_load_u16 v1, v7 offset:28
	v_mul_u32_u24_e32 v6, 15, v0
	v_cndmask_b32_e64 v8, 0, s19, vcc_lo
	v_cndmask_b32_e64 v9, 0, s19, s0
	v_mad_i32_i24 v7, 0xffffffe6, v0, v7
	v_cndmask_b32_e64 v10, 0, s19, s1
	v_cndmask_b32_e64 v11, 0, s19, s2
	;; [unrolled: 1-line block ×4, first 2 shown]
	s_wait_dscnt 0x0
	s_barrier_signal -1
	s_barrier_wait -1
	v_cndmask_b32_e64 v21, 0, s19, s9
	v_cndmask_b32_e64 v22, 0, s19, s10
	;; [unrolled: 1-line block ×5, first 2 shown]
	ds_store_2addr_stride64_b32 v7, v8, v9 offset1:4
	ds_store_2addr_stride64_b32 v7, v10, v11 offset0:8 offset1:12
	ds_store_2addr_stride64_b32 v7, v12, v13 offset0:16 offset1:20
	;; [unrolled: 1-line block ×6, first 2 shown]
	ds_store_b32 v7, v25 offset:14336
	s_wait_dscnt 0x0
	s_barrier_signal -1
	s_barrier_wait -1
.LBB856_34:
	v_lshlrev_b32_e32 v6, 2, v6
	s_cmp_eq_u64 s[16:17], 0
	ds_load_2addr_b32 v[30:31], v6 offset1:1
	ds_load_2addr_b32 v[28:29], v6 offset0:2 offset1:3
	ds_load_2addr_b32 v[26:27], v6 offset0:4 offset1:5
	;; [unrolled: 1-line block ×6, first 2 shown]
	ds_load_b32 v78, v6 offset:56
	s_cselect_b32 s43, -1, 0
	s_cmp_lg_u64 s[16:17], 0
	s_wait_dscnt 0x0
	s_cselect_b32 s19, -1, 0
	s_and_b32 vcc_lo, exec_lo, s18
	s_barrier_signal -1
	s_barrier_wait -1
	s_cbranch_vccz .LBB856_39
; %bb.35:
	s_and_b32 vcc_lo, exec_lo, s19
	s_cbranch_vccz .LBB856_40
; %bb.36:
	v_dual_mov_b32 v6, 0 :: v_dual_lshlrev_b32 v7, 1, v0
	s_mov_b32 s0, 0
	s_mov_b32 s1, exec_lo
	global_load_u16 v6, v6, s[14:15] offset:-2
	ds_store_b16 v7, v1
	s_wait_loadcnt_dscnt 0x0
	s_barrier_signal -1
	s_barrier_wait -1
	v_cmpx_ne_u32_e32 0, v0
; %bb.37:
	v_add_nc_u32_e32 v6, -2, v7
	ds_load_u16 v6, v6
; %bb.38:
	s_or_b32 exec_lo, exec_lo, s1
	v_and_b32_e32 v33, 0xffff0000, v2
	v_dual_lshlrev_b32 v34, 16, v2 :: v_dual_lshlrev_b32 v35, 16, v4
	v_dual_lshlrev_b32 v36, 16, v3 :: v_dual_lshlrev_b32 v37, 16, v5
	v_and_b32_e32 v38, 0xffff0000, v3
	s_delay_alu instid0(VALU_DEP_3)
	v_cmp_neq_f32_e32 vcc_lo, v33, v34
	v_and_b32_e32 v32, 0xffff0000, v4
	v_and_b32_e32 v17, 0xffff0000, v5
	v_dual_lshlrev_b32 v12, 16, v14 :: v_dual_lshlrev_b32 v13, 16, v15
	v_cndmask_b32_e64 v73, 0, 1, vcc_lo
	v_cmp_neq_f32_e32 vcc_lo, v33, v36
	v_and_b32_e32 v11, 0xffff0000, v14
	v_and_b32_e32 v10, 0xffff0000, v15
	v_dual_lshlrev_b32 v8, 16, v16 :: v_dual_lshlrev_b32 v9, 16, v1
	v_cndmask_b32_e64 v72, 0, 1, vcc_lo
	v_cmp_neq_f32_e32 vcc_lo, v38, v36
	v_and_b32_e32 v7, 0xffff0000, v16
	s_wait_dscnt 0x0
	v_lshlrev_b32_e32 v6, 16, v6
	s_mov_b32 s47, -1
	v_cndmask_b32_e64 v71, 0, 1, vcc_lo
	v_cmp_neq_f32_e32 vcc_lo, v38, v35
	s_delay_alu instid0(VALU_DEP_3)
	v_cmp_neq_f32_e64 s18, v34, v6
	v_cndmask_b32_e64 v70, 0, 1, vcc_lo
	v_cmp_neq_f32_e32 vcc_lo, v32, v35
	v_cndmask_b32_e64 v66, 0, 1, vcc_lo
	v_cmp_neq_f32_e32 vcc_lo, v32, v37
	;; [unrolled: 2-line block ×10, first 2 shown]
	v_cndmask_b32_e64 v76, 0, 1, vcc_lo
	s_and_b32 vcc_lo, exec_lo, s0
	s_cbranch_vccnz .LBB856_41
	s_branch .LBB856_44
.LBB856_39:
	s_mov_b32 s47, 0
                                        ; implicit-def: $sgpr18
                                        ; implicit-def: $vgpr76
                                        ; implicit-def: $vgpr75
                                        ; implicit-def: $vgpr65
                                        ; implicit-def: $vgpr69
                                        ; implicit-def: $vgpr67
                                        ; implicit-def: $vgpr17
                                        ; implicit-def: $vgpr64
                                        ; implicit-def: $vgpr68
                                        ; implicit-def: $vgpr74
                                        ; implicit-def: $vgpr66
                                        ; implicit-def: $vgpr70
                                        ; implicit-def: $vgpr71
                                        ; implicit-def: $vgpr72
                                        ; implicit-def: $vgpr73
	s_cbranch_execnz .LBB856_45
	s_branch .LBB856_53
.LBB856_40:
	s_mov_b32 s47, 0
                                        ; implicit-def: $sgpr18
                                        ; implicit-def: $vgpr76
                                        ; implicit-def: $vgpr75
                                        ; implicit-def: $vgpr65
                                        ; implicit-def: $vgpr69
                                        ; implicit-def: $vgpr67
                                        ; implicit-def: $vgpr17
                                        ; implicit-def: $vgpr64
                                        ; implicit-def: $vgpr68
                                        ; implicit-def: $vgpr74
                                        ; implicit-def: $vgpr66
                                        ; implicit-def: $vgpr70
                                        ; implicit-def: $vgpr71
                                        ; implicit-def: $vgpr72
                                        ; implicit-def: $vgpr73
	s_cbranch_execz .LBB856_44
.LBB856_41:
	v_dual_lshlrev_b32 v6, 1, v0 :: v_dual_lshlrev_b32 v8, 16, v1
	v_and_b32_e32 v7, 0xffff0000, v16
	v_dual_lshlrev_b32 v9, 16, v16 :: v_dual_lshlrev_b32 v10, 16, v15
	v_and_b32_e32 v11, 0xffff0000, v14
	v_and_b32_e32 v12, 0xffff0000, v2
	s_delay_alu instid0(VALU_DEP_4)
	v_cmp_neq_f32_e32 vcc_lo, v7, v8
	v_and_b32_e32 v8, 0xffff0000, v15
	v_cmp_neq_f32_e64 s0, v7, v9
	v_lshlrev_b32_e32 v7, 16, v14
	v_cmp_neq_f32_e64 s3, v11, v10
	v_cmp_ne_u32_e64 s13, 0, v0
	v_cmp_neq_f32_e64 s1, v8, v9
	v_cmp_neq_f32_e64 s2, v8, v10
	v_and_b32_e32 v8, 0xffff0000, v5
	v_lshlrev_b32_e32 v9, 16, v5
	v_and_b32_e32 v10, 0xffff0000, v4
	v_cmp_neq_f32_e64 s4, v11, v7
	v_lshlrev_b32_e32 v11, 16, v4
	v_cmp_neq_f32_e64 s5, v8, v7
	v_cmp_neq_f32_e64 s6, v8, v9
	;; [unrolled: 1-line block ×3, first 2 shown]
	v_and_b32_e32 v8, 0xffff0000, v3
	v_dual_lshlrev_b32 v9, 16, v3 :: v_dual_lshlrev_b32 v7, 16, v2
	v_cmp_neq_f32_e64 s8, v10, v11
	ds_store_b16 v6, v1
	v_cmp_neq_f32_e64 s9, v8, v11
	v_cmp_neq_f32_e64 s10, v8, v9
	;; [unrolled: 1-line block ×4, first 2 shown]
	s_wait_dscnt 0x0
	s_barrier_signal -1
	s_barrier_wait -1
                                        ; implicit-def: $sgpr18
	s_and_saveexec_b32 s20, s13
	s_delay_alu instid0(SALU_CYCLE_1)
	s_xor_b32 s13, exec_lo, s20
	s_cbranch_execz .LBB856_43
; %bb.42:
	v_add_nc_u32_e32 v6, -2, v6
	s_or_b32 s47, s47, exec_lo
	ds_load_u16 v6, v6
	s_wait_dscnt 0x0
	v_lshlrev_b32_e32 v6, 16, v6
	s_delay_alu instid0(VALU_DEP_1)
	v_cmp_neq_f32_e64 s18, v7, v6
.LBB856_43:
	s_or_b32 exec_lo, exec_lo, s13
	v_cndmask_b32_e64 v73, 0, 1, s12
	v_cndmask_b32_e64 v72, 0, 1, s11
	;; [unrolled: 1-line block ×13, first 2 shown]
	v_cndmask_b32_e64 v76, 0, 1, vcc_lo
.LBB856_44:
	s_branch .LBB856_53
.LBB856_45:
	s_mov_b64 s[0:1], 0xfffffffffffff100
	s_and_b32 vcc_lo, exec_lo, s19
	s_mul_u64 s[2:3], s[16:17], s[0:1]
	v_cmp_ne_u32_e64 s0, 0, v0
	s_add_nc_u64 s[40:41], s[2:3], s[24:25]
	s_cbranch_vccz .LBB856_49
; %bb.46:
	v_dual_mov_b32 v9, 0 :: v_dual_lshlrev_b32 v7, 1, v0
	v_mul_u32_u24_e32 v6, 15, v0
	s_mov_b32 s19, 0
	global_load_u16 v10, v9, s[14:15] offset:-2
	ds_store_b16 v7, v1
	s_wait_loadcnt_dscnt 0x0
	s_barrier_signal -1
	s_barrier_wait -1
	s_and_saveexec_b32 s1, s0
; %bb.47:
	v_add_nc_u32_e32 v7, -2, v7
	ds_load_u16 v10, v7
; %bb.48:
	s_or_b32 exec_lo, exec_lo, s1
	v_pk_add_u16 v7, 0xe000d, v6 op_sel_hi:[1,0]
	v_pk_add_u16 v33, 0xb000a, v6 op_sel_hi:[1,0]
	v_dual_lshlrev_b32 v32, 16, v16 :: v_dual_lshlrev_b32 v34, 16, v15
	v_and_b32_e32 v36, 0xffff0000, v15
	s_delay_alu instid0(VALU_DEP_4)
	v_and_b32_e32 v8, 0xffff, v7
	v_and_b32_e32 v11, 0xffff0000, v16
	;; [unrolled: 1-line block ×3, first 2 shown]
	v_alignbit_b32 v12, 0, v7, 16
	v_cmp_neq_f32_e64 s3, v36, v32
	v_cmp_gt_u64_e32 vcc_lo, s[40:41], v[8:9]
	v_add_nc_u32_e32 v8, 12, v6
	v_cmp_neq_f32_e64 s0, v11, v32
	v_alignbit_b32 v32, 0, v33, 16
	v_dual_lshlrev_b32 v7, 16, v14 :: v_dual_mov_b32 v13, v9
	v_lshlrev_b32_e32 v17, 16, v1
	v_cmp_gt_u64_e64 s1, s[40:41], v[8:9]
	v_and_b32_e32 v8, 0xffff, v33
	v_mov_b32_e32 v33, v9
	v_cmp_neq_f32_e64 s6, v35, v7
	v_cmp_neq_f32_e64 s2, v11, v17
	v_pk_add_u16 v11, 0x70006, v6 op_sel_hi:[1,0]
	v_cmp_gt_u64_e64 s5, s[40:41], v[8:9]
	v_add_nc_u32_e32 v8, 9, v6
	s_and_b32 s1, s1, s3
	v_cmp_gt_u64_e64 s3, s[40:41], v[32:33]
	v_cndmask_b32_e64 v65, 0, 1, s1
	v_lshlrev_b32_e32 v33, 16, v5
	v_cmp_gt_u64_e64 s1, s[40:41], v[8:9]
	v_add_nc_u32_e32 v8, 8, v6
	v_and_b32_e32 v32, 0xffff0000, v5
	v_cmp_neq_f32_e64 s7, v34, v35
	v_cmp_neq_f32_e64 s8, v34, v36
	v_and_b32_e32 v34, 0xffff0000, v4
	v_cmp_gt_u64_e64 s4, s[40:41], v[12:13]
	s_and_b32 s1, s1, s6
	v_cmp_neq_f32_e64 s6, v32, v7
	v_cndmask_b32_e64 v17, 0, 1, s1
	v_lshlrev_b32_e32 v7, 16, v4
	v_cmp_gt_u64_e64 s1, s[40:41], v[8:9]
	v_and_b32_e32 v8, 0xffff, v11
	v_alignbit_b32 v12, 0, v11, 16
	v_pk_add_u16 v11, 0x30002, v6 op_sel_hi:[1,0]
	v_cmp_neq_f32_e64 s10, v34, v7
	v_cmp_neq_f32_e64 s11, v33, v34
	v_cmp_gt_u64_e64 s9, s[40:41], v[8:9]
	v_add_nc_u32_e32 v8, 5, v6
	s_and_b32 s1, s1, s6
	v_cmp_neq_f32_e64 s12, v33, v32
	v_and_b32_e32 v33, 0xffff0000, v3
	v_cndmask_b32_e64 v64, 0, 1, s1
	v_cmp_gt_u64_e64 s6, s[40:41], v[8:9]
	v_add_nc_u32_e32 v8, 4, v6
	v_cmp_gt_u64_e64 s1, s[40:41], v[12:13]
	v_and_b32_e32 v32, 0xffff0000, v2
	v_alignbit_b32 v12, 0, v11, 16
	v_lshlrev_b32_e32 v34, 16, v3
	v_cmp_gt_u64_e64 s13, s[40:41], v[8:9]
	v_and_b32_e32 v8, 0xffff, v11
	s_and_b32 s6, s6, s10
	v_cmp_neq_f32_e64 s10, v33, v7
	v_cndmask_b32_e64 v66, 0, 1, s6
	s_and_b32 s1, s1, s12
	v_cmp_gt_u64_e64 s6, s[40:41], v[8:9]
	v_add_nc_u32_e32 v8, 1, v6
	v_dual_lshlrev_b32 v11, 16, v2 :: v_dual_mov_b32 v7, v9
	v_cmp_gt_u64_e64 s15, s[40:41], v[12:13]
	v_cmp_neq_f32_e64 s17, v34, v32
	s_and_b32 s10, s13, s10
	v_cndmask_b32_e64 v68, 0, 1, s1
	s_and_b32 s1, s5, s7
	v_cmp_gt_u64_e64 s14, s[40:41], v[8:9]
	s_wait_dscnt 0x0
	v_lshlrev_b32_e32 v8, 16, v10
	v_cndmask_b32_e64 v70, 0, 1, s10
	v_cmp_neq_f32_e64 s10, v34, v33
	v_cndmask_b32_e64 v67, 0, 1, s1
	s_and_b32 s1, s3, s8
	v_cmp_neq_f32_e64 s16, v32, v11
	v_cndmask_b32_e64 v69, 0, 1, s1
	v_cmp_gt_u64_e64 s1, s[40:41], v[6:7]
	s_and_b32 s6, s6, s17
	v_cmp_neq_f32_e64 s3, v8, v11
	v_cndmask_b32_e64 v72, 0, 1, s6
	s_and_b32 s6, s15, s10
	s_and_b32 s0, vcc_lo, s0
	s_and_b32 s13, s14, s16
	v_cndmask_b32_e64 v71, 0, 1, s6
	s_and_b32 s6, s9, s11
	v_cndmask_b32_e64 v75, 0, 1, s0
	;; [unrolled: 2-line block ×3, first 2 shown]
	v_cndmask_b32_e64 v74, 0, 1, s6
	v_cndmask_b32_e64 v76, 0, 1, s0
	s_and_b32 s18, s1, s3
	s_mov_b32 s47, -1
	s_and_b32 vcc_lo, exec_lo, s19
	s_cbranch_vccnz .LBB856_50
	s_branch .LBB856_53
.LBB856_49:
                                        ; implicit-def: $sgpr18
                                        ; implicit-def: $vgpr76
                                        ; implicit-def: $vgpr75
                                        ; implicit-def: $vgpr65
                                        ; implicit-def: $vgpr69
                                        ; implicit-def: $vgpr67
                                        ; implicit-def: $vgpr17
                                        ; implicit-def: $vgpr64
                                        ; implicit-def: $vgpr68
                                        ; implicit-def: $vgpr74
                                        ; implicit-def: $vgpr66
                                        ; implicit-def: $vgpr70
                                        ; implicit-def: $vgpr71
                                        ; implicit-def: $vgpr72
                                        ; implicit-def: $vgpr73
	s_cbranch_execz .LBB856_53
.LBB856_50:
	v_mad_u32_u24 v6, v0, 15, 14
	v_dual_mov_b32 v7, 0 :: v_dual_lshlrev_b32 v8, 1, v0
	v_dual_lshlrev_b32 v10, 16, v1 :: v_dual_lshlrev_b32 v12, 16, v16
	v_and_b32_e32 v11, 0xffff0000, v16
	s_delay_alu instid0(VALU_DEP_3) | instskip(SKIP_4) | instid1(VALU_DEP_4)
	v_cmp_gt_u64_e32 vcc_lo, s[40:41], v[6:7]
	v_mad_u32_u24 v6, v0, 15, 13
	v_and_b32_e32 v13, 0xffff0000, v15
	v_dual_lshlrev_b32 v17, 16, v15 :: v_dual_lshlrev_b32 v33, 16, v14
	v_cmp_neq_f32_e64 s8, v11, v10
	v_cmp_gt_u64_e64 s0, s[40:41], v[6:7]
	v_mad_u32_u24 v6, v0, 15, 12
	v_cmp_neq_f32_e64 s9, v12, v11
	v_and_b32_e32 v32, 0xffff0000, v14
	s_and_b32 s8, vcc_lo, s8
	v_and_b32_e32 v34, 0xffff0000, v5
	v_cmp_gt_u64_e64 s1, s[40:41], v[6:7]
	v_mad_u32_u24 v6, v0, 15, 11
	v_dual_lshlrev_b32 v35, 16, v5 :: v_dual_lshlrev_b32 v37, 16, v4
	v_and_b32_e32 v36, 0xffff0000, v4
	v_and_b32_e32 v38, 0xffff0000, v3
	s_delay_alu instid0(VALU_DEP_4) | instskip(SKIP_4) | instid1(VALU_DEP_3)
	v_cmp_gt_u64_e64 s2, s[40:41], v[6:7]
	v_mad_u32_u24 v6, v0, 15, 10
	v_dual_lshlrev_b32 v39, 16, v3 :: v_dual_lshlrev_b32 v9, 16, v2
	v_and_b32_e32 v40, 0xffff0000, v2
	s_and_b32 s9, s0, s9
	v_cmp_gt_u64_e64 s3, s[40:41], v[6:7]
	v_mad_u32_u24 v6, v0, 15, 9
	v_cmp_neq_f32_e64 s10, v13, v12
	v_cmp_neq_f32_e64 s12, v17, v13
	v_cmp_neq_f32_e64 s13, v32, v17
	v_cmp_neq_f32_e64 s14, v33, v32
	v_cmp_gt_u64_e64 s4, s[40:41], v[6:7]
	v_mad_u32_u24 v6, v0, 15, 8
	v_cmp_neq_f32_e64 s15, v34, v33
	v_cmp_neq_f32_e64 s17, v35, v34
	v_cmp_neq_f32_e64 s18, v36, v35
	v_cmp_neq_f32_e64 s19, v37, v36
	;; [unrolled: 6-line block ×3, first 2 shown]
	v_cmp_gt_u64_e64 s7, s[40:41], v[6:7]
	v_mad_u32_u24 v6, v0, 15, 6
	v_cmp_ne_u32_e64 s6, 0, v0
	s_and_b32 s1, s1, s10
	s_and_b32 s2, s2, s12
	;; [unrolled: 1-line block ×3, first 2 shown]
	v_cmp_gt_u64_e64 s11, s[40:41], v[6:7]
	v_mad_u32_u24 v6, v0, 15, 5
	s_and_b32 s4, s4, s14
	s_and_b32 s5, s5, s15
	;; [unrolled: 1-line block ×3, first 2 shown]
	ds_store_b16 v8, v1
	v_cmp_gt_u64_e64 s16, s[40:41], v[6:7]
	v_mad_u32_u24 v6, v0, 15, 4
	s_and_b32 s10, s11, s18
	s_wait_dscnt 0x0
	s_barrier_signal -1
	s_barrier_wait -1
	v_cmp_gt_u64_e64 s21, s[40:41], v[6:7]
	v_mad_u32_u24 v6, v0, 15, 3
	s_and_b32 s11, s16, s19
                                        ; implicit-def: $sgpr18
	s_delay_alu instid0(VALU_DEP_1) | instskip(SKIP_2) | instid1(VALU_DEP_1)
	v_cmp_gt_u64_e64 s25, s[40:41], v[6:7]
	v_mad_u32_u24 v6, v0, 15, 2
	s_and_b32 s12, s21, s20
	v_cmp_gt_u64_e32 vcc_lo, s[40:41], v[6:7]
	v_mad_u32_u24 v6, v0, 15, 1
	s_and_b32 s13, s25, s22
	s_delay_alu instid0(VALU_DEP_1)
	v_cmp_gt_u64_e64 s0, s[40:41], v[6:7]
	s_and_b32 s14, vcc_lo, s23
	s_and_b32 s15, s0, s24
	s_and_saveexec_b32 s16, s6
	s_cbranch_execz .LBB856_52
; %bb.51:
	v_add_nc_u32_e32 v6, -2, v8
	s_or_b32 s47, s47, exec_lo
	ds_load_u16 v8, v6
	v_mul_u32_u24_e32 v6, 15, v0
	s_delay_alu instid0(VALU_DEP_1) | instskip(SKIP_2) | instid1(VALU_DEP_1)
	v_cmp_gt_u64_e32 vcc_lo, s[40:41], v[6:7]
	s_wait_dscnt 0x0
	v_lshlrev_b32_e32 v8, 16, v8
	v_cmp_neq_f32_e64 s0, v9, v8
	s_and_b32 s18, vcc_lo, s0
.LBB856_52:
	s_or_b32 exec_lo, exec_lo, s16
	v_cndmask_b32_e64 v76, 0, 1, s8
	v_cndmask_b32_e64 v75, 0, 1, s9
	;; [unrolled: 1-line block ×14, first 2 shown]
.LBB856_53:
	v_mov_b32_e32 v77, 1
	s_and_saveexec_b32 s0, s47
; %bb.54:
	v_cndmask_b32_e64 v77, 0, 1, s18
; %bb.55:
	s_or_b32 exec_lo, exec_lo, s0
	s_delay_alu instid0(VALU_DEP_1)
	v_add3_u32 v6, v73, v77, v72
	v_cmp_eq_u32_e64 s12, 0, v73
	v_cmp_eq_u32_e64 s11, 0, v72
	;; [unrolled: 1-line block ×4, first 2 shown]
	v_add3_u32 v82, v6, v71, v70
	v_cmp_eq_u32_e64 s8, 0, v66
	v_cmp_eq_u32_e64 s7, 0, v74
	;; [unrolled: 1-line block ×9, first 2 shown]
	v_mbcnt_lo_u32_b32 v79, -1, 0
	v_dual_lshrrev_b32 v80, 5, v0 :: v_dual_bitop2_b32 v81, 31, v0 bitop3:0x54
	s_cmp_eq_u64 s[38:39], 0
	v_cmp_eq_u32_e32 vcc_lo, 0, v76
	s_cselect_b32 s16, -1, 0
	s_cmp_lg_u32 s46, 0
	s_cbranch_scc0 .LBB856_76
; %bb.56:
	v_add3_u32 v7, v82, v66, v74
	v_dual_cndmask_b32 v6, 0, v30, s12 :: v_dual_bitop2_b32 v9, 15, v79 bitop3:0x40
	s_delay_alu instid0(VALU_DEP_2) | instskip(NEXT) | instid1(VALU_DEP_2)
	v_add3_u32 v7, v7, v68, v64
	v_add_nc_u32_e32 v6, v6, v31
	s_delay_alu instid0(VALU_DEP_2) | instskip(NEXT) | instid1(VALU_DEP_1)
	v_add3_u32 v7, v7, v17, v67
	v_add3_u32 v7, v7, v69, v65
	s_delay_alu instid0(VALU_DEP_1) | instskip(NEXT) | instid1(VALU_DEP_4)
	v_add3_u32 v7, v7, v75, v76
	v_cndmask_b32_e64 v6, 0, v6, s11
	s_delay_alu instid0(VALU_DEP_2) | instskip(NEXT) | instid1(VALU_DEP_2)
	v_mov_b32_dpp v10, v7 row_shr:1 row_mask:0xf bank_mask:0xf
	v_add_nc_u32_e32 v6, v6, v28
	s_delay_alu instid0(VALU_DEP_1) | instskip(NEXT) | instid1(VALU_DEP_1)
	v_cndmask_b32_e64 v6, 0, v6, s10
	v_add_nc_u32_e32 v6, v6, v29
	s_delay_alu instid0(VALU_DEP_1) | instskip(NEXT) | instid1(VALU_DEP_1)
	v_cndmask_b32_e64 v6, 0, v6, s9
	;; [unrolled: 3-line block ×11, first 2 shown]
	v_add_nc_u32_e32 v6, v6, v19
	s_delay_alu instid0(VALU_DEP_1) | instskip(SKIP_1) | instid1(VALU_DEP_2)
	v_cndmask_b32_e32 v6, 0, v6, vcc_lo
	v_cmp_eq_u32_e32 vcc_lo, 0, v7
	v_add_nc_u32_e32 v6, v6, v78
	s_delay_alu instid0(VALU_DEP_1) | instskip(NEXT) | instid1(VALU_DEP_1)
	v_mov_b32_dpp v8, v6 row_shr:1 row_mask:0xf bank_mask:0xf
	v_cndmask_b32_e32 v8, 0, v8, vcc_lo
	v_cmp_eq_u32_e32 vcc_lo, 0, v9
	v_cndmask_b32_e64 v10, v10, 0, vcc_lo
	s_delay_alu instid0(VALU_DEP_3) | instskip(SKIP_1) | instid1(VALU_DEP_2)
	v_cndmask_b32_e64 v8, v8, 0, vcc_lo
	v_cmp_lt_u32_e32 vcc_lo, 1, v9
	v_dual_add_nc_u32 v7, v10, v7 :: v_dual_add_nc_u32 v6, v8, v6
	s_delay_alu instid0(VALU_DEP_1) | instskip(SKIP_1) | instid1(VALU_DEP_3)
	v_mov_b32_dpp v8, v7 row_shr:2 row_mask:0xf bank_mask:0xf
	v_cmp_eq_u32_e64 s13, 0, v7
	v_mov_b32_dpp v10, v6 row_shr:2 row_mask:0xf bank_mask:0xf
	s_delay_alu instid0(VALU_DEP_3) | instskip(SKIP_1) | instid1(VALU_DEP_2)
	v_cndmask_b32_e32 v8, 0, v8, vcc_lo
	s_and_b32 vcc_lo, vcc_lo, s13
	v_cndmask_b32_e32 v10, 0, v10, vcc_lo
	v_cmp_lt_u32_e32 vcc_lo, 3, v9
	s_delay_alu instid0(VALU_DEP_2) | instskip(NEXT) | instid1(VALU_DEP_1)
	v_dual_add_nc_u32 v7, v7, v8 :: v_dual_add_nc_u32 v6, v10, v6
	v_mov_b32_dpp v8, v7 row_shr:4 row_mask:0xf bank_mask:0xf
	v_cmp_eq_u32_e64 s13, 0, v7
	s_delay_alu instid0(VALU_DEP_3) | instskip(NEXT) | instid1(VALU_DEP_3)
	v_mov_b32_dpp v10, v6 row_shr:4 row_mask:0xf bank_mask:0xf
	v_cndmask_b32_e32 v8, 0, v8, vcc_lo
	s_and_b32 vcc_lo, vcc_lo, s13
	s_delay_alu instid0(VALU_DEP_2) | instskip(SKIP_1) | instid1(VALU_DEP_2)
	v_cndmask_b32_e32 v10, 0, v10, vcc_lo
	v_cmp_lt_u32_e32 vcc_lo, 7, v9
	v_dual_add_nc_u32 v7, v8, v7 :: v_dual_add_nc_u32 v6, v6, v10
	v_bfe_i32 v10, v79, 4, 1
	s_delay_alu instid0(VALU_DEP_2) | instskip(SKIP_1) | instid1(VALU_DEP_4)
	v_mov_b32_dpp v8, v7 row_shr:8 row_mask:0xf bank_mask:0xf
	v_cmp_eq_u32_e64 s13, 0, v7
	v_mov_b32_dpp v9, v6 row_shr:8 row_mask:0xf bank_mask:0xf
	s_delay_alu instid0(VALU_DEP_3) | instskip(SKIP_2) | instid1(VALU_DEP_2)
	v_cndmask_b32_e32 v8, 0, v8, vcc_lo
	s_and_b32 vcc_lo, vcc_lo, s13
	s_mov_b32 s13, exec_lo
	v_cndmask_b32_e32 v9, 0, v9, vcc_lo
	s_delay_alu instid0(VALU_DEP_1)
	v_dual_add_nc_u32 v9, v9, v6 :: v_dual_add_nc_u32 v6, v8, v7
	ds_swizzle_b32 v7, v9 offset:swizzle(BROADCAST,32,15)
	ds_swizzle_b32 v8, v6 offset:swizzle(BROADCAST,32,15)
	v_cmp_eq_u32_e32 vcc_lo, 0, v6
	s_wait_dscnt 0x0
	v_dual_cndmask_b32 v7, 0, v7, vcc_lo :: v_dual_bitop2_b32 v8, v10, v8 bitop3:0x40
	s_delay_alu instid0(VALU_DEP_1) | instskip(NEXT) | instid1(VALU_DEP_1)
	v_dual_add_nc_u32 v6, v8, v6 :: v_dual_bitop2_b32 v7, v10, v7 bitop3:0x40
	v_dual_lshlrev_b32 v8, 3, v80 :: v_dual_add_nc_u32 v7, v7, v9
	v_cmpx_eq_u32_e64 v0, v81
; %bb.57:
	ds_store_b64 v8, v[6:7] offset:1040
; %bb.58:
	s_or_b32 exec_lo, exec_lo, s13
	s_delay_alu instid0(SALU_CYCLE_1)
	s_mov_b32 s14, exec_lo
	s_wait_dscnt 0x0
	s_barrier_signal -1
	s_barrier_wait -1
	v_cmpx_gt_u32_e32 8, v0
	s_cbranch_execz .LBB856_60
; %bb.59:
	v_dual_lshlrev_b32 v9, 3, v0 :: v_dual_bitop2_b32 v13, 7, v79 bitop3:0x40
	ds_load_b64 v[10:11], v9 offset:1040
	s_wait_dscnt 0x0
	v_mov_b32_dpp v12, v11 row_shr:1 row_mask:0xf bank_mask:0xf
	v_cmp_eq_u32_e32 vcc_lo, 0, v10
	v_mov_b32_dpp v32, v10 row_shr:1 row_mask:0xf bank_mask:0xf
	s_delay_alu instid0(VALU_DEP_3) | instskip(SKIP_1) | instid1(VALU_DEP_3)
	v_cndmask_b32_e32 v12, 0, v12, vcc_lo
	v_cmp_eq_u32_e32 vcc_lo, 0, v13
	v_cndmask_b32_e64 v32, v32, 0, vcc_lo
	s_delay_alu instid0(VALU_DEP_1) | instskip(NEXT) | instid1(VALU_DEP_4)
	v_add_nc_u32_e32 v10, v32, v10
	v_cndmask_b32_e64 v12, v12, 0, vcc_lo
	v_cmp_lt_u32_e32 vcc_lo, 1, v13
	s_delay_alu instid0(VALU_DEP_3) | instskip(NEXT) | instid1(VALU_DEP_3)
	v_cmp_eq_u32_e64 s13, 0, v10
	v_add_nc_u32_e32 v11, v12, v11
	v_mov_b32_dpp v12, v10 row_shr:2 row_mask:0xf bank_mask:0xf
	s_delay_alu instid0(VALU_DEP_1) | instskip(NEXT) | instid1(VALU_DEP_3)
	v_cndmask_b32_e32 v12, 0, v12, vcc_lo
	v_mov_b32_dpp v32, v11 row_shr:2 row_mask:0xf bank_mask:0xf
	s_and_b32 vcc_lo, vcc_lo, s13
	s_delay_alu instid0(VALU_DEP_1) | instid1(SALU_CYCLE_1)
	v_dual_add_nc_u32 v10, v12, v10 :: v_dual_cndmask_b32 v32, 0, v32, vcc_lo
	v_cmp_lt_u32_e32 vcc_lo, 3, v13
	s_delay_alu instid0(VALU_DEP_2) | instskip(NEXT) | instid1(VALU_DEP_3)
	v_mov_b32_dpp v12, v10 row_shr:4 row_mask:0xf bank_mask:0xf
	v_add_nc_u32_e32 v11, v32, v11
	v_cmp_eq_u32_e64 s13, 0, v10
	s_delay_alu instid0(VALU_DEP_3) | instskip(NEXT) | instid1(VALU_DEP_3)
	v_cndmask_b32_e32 v12, 0, v12, vcc_lo
	v_mov_b32_dpp v13, v11 row_shr:4 row_mask:0xf bank_mask:0xf
	s_and_b32 vcc_lo, vcc_lo, s13
	s_delay_alu instid0(VALU_DEP_1) | instskip(NEXT) | instid1(VALU_DEP_1)
	v_dual_cndmask_b32 v13, 0, v13 :: v_dual_add_nc_u32 v10, v12, v10
	v_add_nc_u32_e32 v11, v13, v11
	ds_store_b64 v9, v[10:11] offset:1040
.LBB856_60:
	s_or_b32 exec_lo, exec_lo, s14
	v_dual_mov_b32 v32, 0 :: v_dual_mov_b32 v33, 0
	s_mov_b32 s14, exec_lo
	v_cmp_gt_u32_e32 vcc_lo, 32, v0
	s_wait_dscnt 0x0
	s_barrier_signal -1
	s_barrier_wait -1
	v_cmpx_lt_u32_e32 31, v0
	s_cbranch_execz .LBB856_62
; %bb.61:
	ds_load_b64 v[32:33], v8 offset:1032
	v_cmp_eq_u32_e64 s13, 0, v6
	s_wait_dscnt 0x0
	s_delay_alu instid0(VALU_DEP_1) | instskip(NEXT) | instid1(VALU_DEP_1)
	v_dual_cndmask_b32 v8, 0, v33, s13 :: v_dual_add_nc_u32 v6, v32, v6
	v_add_nc_u32_e32 v7, v8, v7
.LBB856_62:
	s_or_b32 exec_lo, exec_lo, s14
	v_sub_co_u32 v8, s13, v79, 1
	s_delay_alu instid0(VALU_DEP_1) | instskip(NEXT) | instid1(VALU_DEP_1)
	v_cmp_gt_i32_e64 s14, 0, v8
	v_cndmask_b32_e64 v8, v8, v79, s14
	s_delay_alu instid0(VALU_DEP_1)
	v_lshlrev_b32_e32 v8, 2, v8
	ds_bpermute_b32 v38, v8, v6
	ds_bpermute_b32 v39, v8, v7
	s_and_saveexec_b32 s17, vcc_lo
	s_cbranch_execz .LBB856_81
; %bb.63:
	v_mov_b32_e32 v9, 0
	ds_load_b64 v[6:7], v9 offset:1096
	s_and_saveexec_b32 s14, s13
	s_cbranch_execz .LBB856_65
; %bb.64:
	s_add_co_i32 s18, s46, 32
	s_mov_b32 s19, 0
	v_mov_b32_e32 v8, 1
	s_lshl_b64 s[18:19], s[18:19], 4
	s_delay_alu instid0(SALU_CYCLE_1) | instskip(NEXT) | instid1(SALU_CYCLE_1)
	s_add_nc_u64 s[18:19], s[36:37], s[18:19]
	v_mov_b64_e32 v[10:11], s[18:19]
	s_wait_dscnt 0x0
	;;#ASMSTART
	global_store_b128 v[10:11], v[6:9] off scope:SCOPE_DEV	
s_wait_storecnt 0x0
	;;#ASMEND
.LBB856_65:
	s_or_b32 exec_lo, exec_lo, s14
	v_xad_u32 v34, v79, -1, s46
	s_mov_b32 s15, 0
	s_mov_b32 s14, exec_lo
	s_delay_alu instid0(VALU_DEP_1) | instskip(NEXT) | instid1(VALU_DEP_1)
	v_add_nc_u32_e32 v8, 32, v34
	v_lshl_add_u64 v[8:9], v[8:9], 4, s[36:37]
	;;#ASMSTART
	global_load_b128 v[10:13], v[8:9] off scope:SCOPE_DEV	
s_wait_loadcnt 0x0
	;;#ASMEND
	v_and_b32_e32 v13, 0xff, v12
	s_delay_alu instid0(VALU_DEP_1)
	v_cmpx_eq_u16_e32 0, v13
	s_cbranch_execz .LBB856_68
.LBB856_66:                             ; =>This Inner Loop Header: Depth=1
	;;#ASMSTART
	global_load_b128 v[10:13], v[8:9] off scope:SCOPE_DEV	
s_wait_loadcnt 0x0
	;;#ASMEND
	v_and_b32_e32 v13, 0xff, v12
	s_delay_alu instid0(VALU_DEP_1) | instskip(SKIP_1) | instid1(SALU_CYCLE_1)
	v_cmp_ne_u16_e32 vcc_lo, 0, v13
	s_or_b32 s15, vcc_lo, s15
	s_and_not1_b32 exec_lo, exec_lo, s15
	s_cbranch_execnz .LBB856_66
; %bb.67:
	s_or_b32 exec_lo, exec_lo, s15
.LBB856_68:
	s_delay_alu instid0(SALU_CYCLE_1)
	s_or_b32 exec_lo, exec_lo, s14
	v_cmp_ne_u32_e32 vcc_lo, 31, v79
	v_lshlrev_b32_e64 v41, v79, -1
	v_cmp_gt_u32_e64 s15, 30, v79
	v_lshl_or_b32 v48, v79, 2, 64
	v_add_nc_u32_e32 v49, 16, v79
	v_add_co_ci_u32_e64 v8, null, 0, v79, vcc_lo
	s_delay_alu instid0(VALU_DEP_4) | instskip(NEXT) | instid1(VALU_DEP_2)
	v_cndmask_b32_e64 v35, 0, 2, s15
	v_lshlrev_b32_e32 v40, 2, v8
	v_and_b32_e32 v8, 0xff, v12
	s_delay_alu instid0(VALU_DEP_3) | instskip(SKIP_4) | instid1(VALU_DEP_2)
	v_add_lshl_u32 v42, v35, v79, 2
	ds_bpermute_b32 v9, v40, v10
	v_cmp_eq_u16_e32 vcc_lo, 2, v8
	v_and_or_b32 v13, vcc_lo, v41, 0x80000000
	v_cmp_eq_u32_e32 vcc_lo, 0, v10
	v_ctz_i32_b32_e32 v13, v13
	s_delay_alu instid0(VALU_DEP_1) | instskip(SKIP_1) | instid1(VALU_DEP_1)
	v_cmp_lt_u32_e64 s14, v79, v13
	s_wait_dscnt 0x0
	v_cndmask_b32_e64 v9, 0, v9, s14
	ds_bpermute_b32 v8, v40, v11
	s_and_b32 vcc_lo, s14, vcc_lo
	s_wait_dscnt 0x0
	v_dual_cndmask_b32 v8, 0, v8 :: v_dual_add_nc_u32 v9, v9, v10
	s_delay_alu instid0(VALU_DEP_1) | instskip(NEXT) | instid1(VALU_DEP_2)
	v_cmp_eq_u32_e32 vcc_lo, 0, v9
	v_add_nc_u32_e32 v8, v8, v11
	ds_bpermute_b32 v11, v42, v8
	s_wait_dscnt 0x0
	v_cndmask_b32_e32 v10, 0, v11, vcc_lo
	v_add_nc_u32_e32 v43, 2, v79
	v_cmp_gt_u32_e32 vcc_lo, 28, v79
	ds_bpermute_b32 v11, v42, v9
	v_cndmask_b32_e64 v35, 0, 4, vcc_lo
	v_cmp_gt_u32_e32 vcc_lo, v43, v13
	s_delay_alu instid0(VALU_DEP_2) | instskip(SKIP_1) | instid1(VALU_DEP_1)
	v_add_lshl_u32 v44, v35, v79, 2
	v_cndmask_b32_e64 v10, v10, 0, vcc_lo
	v_dual_add_nc_u32 v8, v10, v8 :: v_dual_add_nc_u32 v45, 4, v79
	ds_bpermute_b32 v10, v44, v8
	s_wait_dscnt 0x1
	v_cndmask_b32_e64 v11, v11, 0, vcc_lo
	s_delay_alu instid0(VALU_DEP_1) | instskip(NEXT) | instid1(VALU_DEP_1)
	v_add_nc_u32_e32 v9, v9, v11
	v_cmp_eq_u32_e32 vcc_lo, 0, v9
	s_wait_dscnt 0x0
	v_cndmask_b32_e32 v10, 0, v10, vcc_lo
	v_cmp_gt_u32_e32 vcc_lo, 24, v79
	ds_bpermute_b32 v11, v44, v9
	v_cndmask_b32_e64 v35, 0, 8, vcc_lo
	v_cmp_gt_u32_e32 vcc_lo, v45, v13
	s_delay_alu instid0(VALU_DEP_2) | instskip(SKIP_1) | instid1(VALU_DEP_1)
	v_add_lshl_u32 v46, v35, v79, 2
	v_cndmask_b32_e64 v10, v10, 0, vcc_lo
	v_dual_mov_b32 v35, 0 :: v_dual_add_nc_u32 v8, v8, v10
	v_add_nc_u32_e32 v47, 8, v79
	ds_bpermute_b32 v10, v46, v8
	s_wait_dscnt 0x1
	v_cndmask_b32_e64 v11, v11, 0, vcc_lo
	s_delay_alu instid0(VALU_DEP_1) | instskip(NEXT) | instid1(VALU_DEP_1)
	v_add_nc_u32_e32 v9, v9, v11
	v_cmp_eq_u32_e32 vcc_lo, 0, v9
	s_wait_dscnt 0x0
	v_cndmask_b32_e32 v10, 0, v10, vcc_lo
	ds_bpermute_b32 v11, v46, v9
	v_cmp_gt_u32_e32 vcc_lo, v47, v13
	v_cndmask_b32_e64 v10, v10, 0, vcc_lo
	s_delay_alu instid0(VALU_DEP_1)
	v_add_nc_u32_e32 v8, v8, v10
	s_wait_dscnt 0x0
	v_cndmask_b32_e64 v10, v11, 0, vcc_lo
	ds_bpermute_b32 v11, v48, v8
	v_add_nc_u32_e32 v9, v9, v10
	ds_bpermute_b32 v10, v48, v9
	v_cmp_eq_u32_e32 vcc_lo, 0, v9
	s_wait_dscnt 0x1
	v_cndmask_b32_e32 v11, 0, v11, vcc_lo
	v_cmp_gt_u32_e32 vcc_lo, v49, v13
	s_wait_dscnt 0x0
	v_cndmask_b32_e64 v10, v10, 0, vcc_lo
	s_delay_alu instid0(VALU_DEP_1) | instskip(SKIP_1) | instid1(VALU_DEP_1)
	v_add_nc_u32_e32 v10, v10, v9
	v_cndmask_b32_e64 v11, v11, 0, vcc_lo
	v_add_nc_u32_e32 v11, v11, v8
	s_branch .LBB856_72
.LBB856_69:                             ;   in Loop: Header=BB856_72 Depth=1
	s_or_b32 exec_lo, exec_lo, s15
.LBB856_70:                             ;   in Loop: Header=BB856_72 Depth=1
	s_delay_alu instid0(SALU_CYCLE_1)
	s_or_b32 exec_lo, exec_lo, s14
	v_and_b32_e32 v13, 0xff, v12
	ds_bpermute_b32 v36, v40, v10
	v_subrev_nc_u32_e32 v34, 32, v34
	v_cmp_eq_u16_e32 vcc_lo, 2, v13
	ds_bpermute_b32 v13, v40, v11
	v_and_or_b32 v37, vcc_lo, v41, 0x80000000
	v_cmp_eq_u32_e32 vcc_lo, 0, v10
	s_delay_alu instid0(VALU_DEP_2) | instskip(NEXT) | instid1(VALU_DEP_1)
	v_ctz_i32_b32_e32 v37, v37
	v_cmp_lt_u32_e64 s14, v79, v37
	s_and_b32 vcc_lo, s14, vcc_lo
	s_wait_dscnt 0x0
	v_dual_cndmask_b32 v36, 0, v36, s14 :: v_dual_cndmask_b32 v13, 0, v13, vcc_lo
	s_mov_b32 s14, 0
	s_delay_alu instid0(VALU_DEP_1)
	v_dual_add_nc_u32 v10, v36, v10 :: v_dual_add_nc_u32 v11, v13, v11
	ds_bpermute_b32 v36, v42, v10
	ds_bpermute_b32 v13, v42, v11
	v_cmp_eq_u32_e32 vcc_lo, 0, v10
	s_wait_dscnt 0x0
	v_cndmask_b32_e32 v13, 0, v13, vcc_lo
	v_cmp_gt_u32_e32 vcc_lo, v43, v37
	v_cndmask_b32_e64 v36, v36, 0, vcc_lo
	s_delay_alu instid0(VALU_DEP_1) | instskip(NEXT) | instid1(VALU_DEP_4)
	v_add_nc_u32_e32 v10, v10, v36
	v_cndmask_b32_e64 v13, v13, 0, vcc_lo
	s_delay_alu instid0(VALU_DEP_2) | instskip(NEXT) | instid1(VALU_DEP_2)
	v_cmp_eq_u32_e32 vcc_lo, 0, v10
	v_add_nc_u32_e32 v11, v13, v11
	ds_bpermute_b32 v36, v44, v10
	ds_bpermute_b32 v13, v44, v11
	s_wait_dscnt 0x0
	v_cndmask_b32_e32 v13, 0, v13, vcc_lo
	v_cmp_gt_u32_e32 vcc_lo, v45, v37
	s_delay_alu instid0(VALU_DEP_2) | instskip(SKIP_1) | instid1(VALU_DEP_1)
	v_cndmask_b32_e64 v13, v13, 0, vcc_lo
	v_cndmask_b32_e64 v36, v36, 0, vcc_lo
	v_dual_add_nc_u32 v11, v11, v13 :: v_dual_add_nc_u32 v10, v10, v36
	ds_bpermute_b32 v13, v46, v11
	ds_bpermute_b32 v36, v46, v10
	v_cmp_eq_u32_e32 vcc_lo, 0, v10
	s_wait_dscnt 0x1
	v_cndmask_b32_e32 v13, 0, v13, vcc_lo
	v_cmp_gt_u32_e32 vcc_lo, v47, v37
	s_wait_dscnt 0x0
	v_cndmask_b32_e64 v36, v36, 0, vcc_lo
	s_delay_alu instid0(VALU_DEP_1) | instskip(SKIP_1) | instid1(VALU_DEP_2)
	v_add_nc_u32_e32 v10, v10, v36
	v_cndmask_b32_e64 v13, v13, 0, vcc_lo
	v_cmp_eq_u32_e32 vcc_lo, 0, v10
	s_delay_alu instid0(VALU_DEP_2)
	v_add_nc_u32_e32 v11, v11, v13
	ds_bpermute_b32 v36, v48, v10
	ds_bpermute_b32 v13, v48, v11
	s_wait_dscnt 0x0
	v_cndmask_b32_e32 v13, 0, v13, vcc_lo
	v_cmp_gt_u32_e32 vcc_lo, v49, v37
	s_delay_alu instid0(VALU_DEP_2) | instskip(NEXT) | instid1(VALU_DEP_1)
	v_cndmask_b32_e64 v13, v13, 0, vcc_lo
	v_add_nc_u32_e32 v11, v13, v11
	v_cndmask_b32_e64 v13, v36, 0, vcc_lo
	v_cmp_eq_u32_e32 vcc_lo, 0, v8
	s_delay_alu instid0(VALU_DEP_2) | instskip(NEXT) | instid1(VALU_DEP_4)
	v_add3_u32 v10, v10, v8, v13
	v_cndmask_b32_e32 v11, 0, v11, vcc_lo
	s_delay_alu instid0(VALU_DEP_1)
	v_add_nc_u32_e32 v11, v11, v9
.LBB856_71:                             ;   in Loop: Header=BB856_72 Depth=1
	s_and_b32 vcc_lo, exec_lo, s14
	s_cbranch_vccnz .LBB856_77
.LBB856_72:                             ; =>This Loop Header: Depth=1
                                        ;     Child Loop BB856_75 Depth 2
	v_and_b32_e32 v8, 0xff, v12
	s_delay_alu instid0(VALU_DEP_2) | instskip(SKIP_1) | instid1(VALU_DEP_2)
	v_mov_b32_e32 v9, v11
	s_mov_b32 s14, -1
                                        ; implicit-def: $vgpr11
                                        ; implicit-def: $vgpr12
	v_cmp_ne_u16_e32 vcc_lo, 2, v8
	v_mov_b32_e32 v8, v10
                                        ; implicit-def: $vgpr10
	s_cmp_lg_u32 vcc_lo, exec_lo
	s_cbranch_scc1 .LBB856_71
; %bb.73:                               ;   in Loop: Header=BB856_72 Depth=1
	v_lshl_add_u64 v[36:37], v[34:35], 4, s[36:37]
	;;#ASMSTART
	global_load_b128 v[10:13], v[36:37] off scope:SCOPE_DEV	
s_wait_loadcnt 0x0
	;;#ASMEND
	v_and_b32_e32 v13, 0xff, v12
	s_mov_b32 s14, exec_lo
	s_delay_alu instid0(VALU_DEP_1)
	v_cmpx_eq_u16_e32 0, v13
	s_cbranch_execz .LBB856_70
; %bb.74:                               ;   in Loop: Header=BB856_72 Depth=1
	s_mov_b32 s15, 0
.LBB856_75:                             ;   Parent Loop BB856_72 Depth=1
                                        ; =>  This Inner Loop Header: Depth=2
	;;#ASMSTART
	global_load_b128 v[10:13], v[36:37] off scope:SCOPE_DEV	
s_wait_loadcnt 0x0
	;;#ASMEND
	v_and_b32_e32 v13, 0xff, v12
	s_delay_alu instid0(VALU_DEP_1) | instskip(SKIP_1) | instid1(SALU_CYCLE_1)
	v_cmp_ne_u16_e32 vcc_lo, 0, v13
	s_or_b32 s15, vcc_lo, s15
	s_and_not1_b32 exec_lo, exec_lo, s15
	s_cbranch_execnz .LBB856_75
	s_branch .LBB856_69
.LBB856_76:
                                        ; implicit-def: $vgpr6
                                        ; implicit-def: $vgpr32
                                        ; implicit-def: $vgpr34_vgpr35
                                        ; implicit-def: $vgpr40_vgpr41
                                        ; implicit-def: $vgpr46_vgpr47
                                        ; implicit-def: $vgpr42_vgpr43
                                        ; implicit-def: $vgpr58_vgpr59
                                        ; implicit-def: $vgpr62_vgpr63
                                        ; implicit-def: $vgpr60_vgpr61
                                        ; implicit-def: $vgpr56_vgpr57
                                        ; implicit-def: $vgpr52_vgpr53
                                        ; implicit-def: $vgpr48_vgpr49
                                        ; implicit-def: $vgpr44_vgpr45
                                        ; implicit-def: $vgpr50_vgpr51
                                        ; implicit-def: $vgpr54_vgpr55
                                        ; implicit-def: $vgpr36_vgpr37
                                        ; implicit-def: $vgpr38_vgpr39
	s_cbranch_execnz .LBB856_82
	s_branch .LBB856_93
.LBB856_77:
	s_and_saveexec_b32 s14, s13
	s_cbranch_execz .LBB856_79
; %bb.78:
	v_cmp_eq_u32_e32 vcc_lo, 0, v6
	s_mov_b32 s19, 0
	s_add_co_i32 s18, s46, 32
	v_mov_b32_e32 v13, 0
	s_lshl_b64 s[18:19], s[18:19], 4
	v_dual_cndmask_b32 v11, 0, v9 :: v_dual_add_nc_u32 v10, v8, v6
	s_add_nc_u64 s[18:19], s[36:37], s[18:19]
	v_mov_b32_e32 v12, 2
	v_mov_b64_e32 v[34:35], s[18:19]
	s_delay_alu instid0(VALU_DEP_3)
	v_add_nc_u32_e32 v11, v11, v7
	;;#ASMSTART
	global_store_b128 v[34:35], v[10:13] off scope:SCOPE_DEV	
s_wait_storecnt 0x0
	;;#ASMEND
	ds_store_b128 v13, v[6:9] offset:1024
.LBB856_79:
	s_or_b32 exec_lo, exec_lo, s14
	v_cmp_eq_u32_e32 vcc_lo, 0, v0
	s_and_b32 exec_lo, exec_lo, vcc_lo
; %bb.80:
	v_mov_b32_e32 v6, 0
	ds_store_b64 v6, v[8:9] offset:1096
.LBB856_81:
	s_or_b32 exec_lo, exec_lo, s17
	s_wait_dscnt 0x1
	v_dual_mov_b32 v8, 0 :: v_dual_cndmask_b32 v9, v38, v32, s13
	s_wait_dscnt 0x0
	s_barrier_signal -1
	s_barrier_wait -1
	ds_load_b64 v[6:7], v8 offset:1096
	v_cmp_eq_u32_e32 vcc_lo, 0, v9
	v_cndmask_b32_e64 v10, v39, v33, s13
	v_cmp_eq_u32_e64 s13, 0, v77
	s_wait_dscnt 0x0
	s_barrier_signal -1
	s_barrier_wait -1
	v_cndmask_b32_e32 v11, 0, v7, vcc_lo
	v_cmp_eq_u32_e32 vcc_lo, 0, v0
	s_delay_alu instid0(VALU_DEP_2) | instskip(NEXT) | instid1(VALU_DEP_1)
	v_add_nc_u32_e32 v10, v11, v10
	v_cndmask_b32_e32 v59, v10, v7, vcc_lo
	s_delay_alu instid0(VALU_DEP_1) | instskip(NEXT) | instid1(VALU_DEP_1)
	v_cndmask_b32_e64 v7, 0, v59, s13
	v_add_nc_u32_e32 v63, v7, v30
	s_delay_alu instid0(VALU_DEP_1) | instskip(NEXT) | instid1(VALU_DEP_1)
	v_cndmask_b32_e64 v7, 0, v63, s12
	v_add_nc_u32_e32 v61, v7, v31
	;; [unrolled: 3-line block ×6, first 2 shown]
	v_cndmask_b32_e64 v7, v9, 0, vcc_lo
	s_delay_alu instid0(VALU_DEP_1) | instskip(NEXT) | instid1(VALU_DEP_1)
	v_add_nc_u32_e32 v58, v6, v7
	v_add_nc_u32_e32 v62, v58, v77
	s_delay_alu instid0(VALU_DEP_4) | instskip(NEXT) | instid1(VALU_DEP_1)
	v_cndmask_b32_e64 v9, 0, v45, s7
	v_dual_add_nc_u32 v60, v62, v73 :: v_dual_add_nc_u32 v51, v9, v24
	s_delay_alu instid0(VALU_DEP_1) | instskip(NEXT) | instid1(VALU_DEP_1)
	v_dual_add_nc_u32 v56, v60, v72 :: v_dual_cndmask_b32 v6, 0, v51, s6
	v_dual_add_nc_u32 v52, v56, v71 :: v_dual_add_nc_u32 v55, v6, v25
	s_delay_alu instid0(VALU_DEP_1) | instskip(NEXT) | instid1(VALU_DEP_1)
	v_cndmask_b32_e64 v6, 0, v55, s5
	v_add_nc_u32_e32 v37, v6, v22
	s_delay_alu instid0(VALU_DEP_1) | instskip(NEXT) | instid1(VALU_DEP_1)
	v_dual_add_nc_u32 v48, v52, v70 :: v_dual_cndmask_b32 v6, 0, v37, s4
	v_dual_add_nc_u32 v39, v6, v23 :: v_dual_add_nc_u32 v44, v48, v66
	s_delay_alu instid0(VALU_DEP_1) | instskip(NEXT) | instid1(VALU_DEP_1)
	v_dual_cndmask_b32 v6, 0, v39, s3 :: v_dual_add_nc_u32 v50, v44, v74
	v_add_nc_u32_e32 v43, v6, v20
	s_delay_alu instid0(VALU_DEP_2) | instskip(SKIP_2) | instid1(VALU_DEP_1)
	v_add_nc_u32_e32 v54, v50, v68
	ds_load_b128 v[6:9], v8 offset:1024
	v_cndmask_b32_e64 v10, 0, v43, s2
	v_add_nc_u32_e32 v47, v10, v21
	s_delay_alu instid0(VALU_DEP_1) | instskip(NEXT) | instid1(VALU_DEP_1)
	v_dual_add_nc_u32 v36, v54, v64 :: v_dual_cndmask_b32 v10, 0, v47, s1
	v_dual_add_nc_u32 v38, v36, v17 :: v_dual_add_nc_u32 v41, v10, v18
	s_delay_alu instid0(VALU_DEP_1) | instskip(SKIP_2) | instid1(VALU_DEP_3)
	v_add_nc_u32_e32 v42, v38, v67
	s_wait_dscnt 0x0
	v_cmp_eq_u32_e32 vcc_lo, 0, v6
	v_cndmask_b32_e64 v10, 0, v41, s0
	s_delay_alu instid0(VALU_DEP_1) | instskip(NEXT) | instid1(VALU_DEP_1)
	v_dual_cndmask_b32 v9, 0, v9, vcc_lo :: v_dual_add_nc_u32 v35, v10, v19
	v_dual_add_nc_u32 v46, v42, v69 :: v_dual_add_nc_u32 v32, v9, v7
	s_delay_alu instid0(VALU_DEP_1) | instskip(NEXT) | instid1(VALU_DEP_1)
	v_add_nc_u32_e32 v40, v46, v65
	v_add_nc_u32_e32 v34, v40, v75
	s_branch .LBB856_93
.LBB856_82:
	s_cmp_eq_u64 s[44:45], 0
	v_mov_b32_e32 v10, v30
	s_cselect_b32 s0, -1, 0
	s_delay_alu instid0(SALU_CYCLE_1) | instskip(NEXT) | instid1(SALU_CYCLE_1)
	s_or_b32 s0, s16, s0
	s_and_b32 vcc_lo, exec_lo, s0
	s_cbranch_vccnz .LBB856_84
; %bb.83:
	v_mov_b32_e32 v6, 0
	global_load_b32 v10, v6, s[44:45]
.LBB856_84:
	v_add3_u32 v7, v82, v66, v74
	v_cmp_eq_u32_e64 s6, 0, v73
	v_cmp_eq_u32_e64 s7, 0, v72
	;; [unrolled: 1-line block ×4, first 2 shown]
	v_add3_u32 v7, v7, v68, v64
	s_wait_xcnt 0x0
	v_dual_cndmask_b32 v6, 0, v30, s6 :: v_dual_bitop2_b32 v9, 15, v79 bitop3:0x40
	v_cmp_eq_u32_e64 s10, 0, v66
	v_cmp_eq_u32_e64 s11, 0, v74
	v_add3_u32 v7, v7, v17, v67
	s_delay_alu instid0(VALU_DEP_4)
	v_add_nc_u32_e32 v6, v6, v31
	v_cmp_eq_u32_e64 s5, 0, v68
	v_cmp_eq_u32_e64 s4, 0, v64
	;; [unrolled: 1-line block ×3, first 2 shown]
	v_add3_u32 v7, v7, v69, v65
	v_cmp_eq_u32_e64 s2, 0, v67
	v_cmp_eq_u32_e64 s1, 0, v69
	v_cmp_eq_u32_e32 vcc_lo, 0, v65
	v_cmp_eq_u32_e64 s0, 0, v75
	v_add3_u32 v7, v7, v75, v76
	v_cndmask_b32_e64 v6, 0, v6, s7
	v_cmp_eq_u32_e64 s12, 0, v76
	s_delay_alu instid0(VALU_DEP_3) | instskip(NEXT) | instid1(VALU_DEP_3)
	v_mov_b32_dpp v11, v7 row_shr:1 row_mask:0xf bank_mask:0xf
	v_add_nc_u32_e32 v6, v6, v28
	s_delay_alu instid0(VALU_DEP_1) | instskip(NEXT) | instid1(VALU_DEP_1)
	v_cndmask_b32_e64 v6, 0, v6, s8
	v_add_nc_u32_e32 v6, v6, v29
	s_delay_alu instid0(VALU_DEP_1) | instskip(NEXT) | instid1(VALU_DEP_1)
	v_cndmask_b32_e64 v6, 0, v6, s9
	;; [unrolled: 3-line block ×9, first 2 shown]
	v_add_nc_u32_e32 v6, v6, v21
	s_delay_alu instid0(VALU_DEP_1) | instskip(NEXT) | instid1(VALU_DEP_1)
	v_cndmask_b32_e32 v6, 0, v6, vcc_lo
	v_add_nc_u32_e32 v6, v6, v18
	s_delay_alu instid0(VALU_DEP_1) | instskip(NEXT) | instid1(VALU_DEP_1)
	v_cndmask_b32_e64 v6, 0, v6, s0
	v_add_nc_u32_e32 v6, v6, v19
	s_delay_alu instid0(VALU_DEP_1) | instskip(SKIP_1) | instid1(VALU_DEP_2)
	v_cndmask_b32_e64 v6, 0, v6, s12
	v_cmp_eq_u32_e64 s12, 0, v7
	v_add_nc_u32_e32 v6, v6, v78
	s_delay_alu instid0(VALU_DEP_1) | instskip(NEXT) | instid1(VALU_DEP_1)
	v_mov_b32_dpp v8, v6 row_shr:1 row_mask:0xf bank_mask:0xf
	v_cndmask_b32_e64 v8, 0, v8, s12
	v_cmp_eq_u32_e64 s12, 0, v9
	s_delay_alu instid0(VALU_DEP_1) | instskip(NEXT) | instid1(VALU_DEP_3)
	v_cndmask_b32_e64 v11, v11, 0, s12
	v_cndmask_b32_e64 v8, v8, 0, s12
	v_cmp_lt_u32_e64 s12, 1, v9
	s_delay_alu instid0(VALU_DEP_2) | instskip(NEXT) | instid1(VALU_DEP_1)
	v_dual_add_nc_u32 v7, v11, v7 :: v_dual_add_nc_u32 v6, v8, v6
	v_mov_b32_dpp v8, v7 row_shr:2 row_mask:0xf bank_mask:0xf
	v_cmp_eq_u32_e64 s13, 0, v7
	s_delay_alu instid0(VALU_DEP_3) | instskip(NEXT) | instid1(VALU_DEP_3)
	v_mov_b32_dpp v11, v6 row_shr:2 row_mask:0xf bank_mask:0xf
	v_cndmask_b32_e64 v8, 0, v8, s12
	s_and_b32 s12, s12, s13
	s_delay_alu instid0(VALU_DEP_2) | instid1(SALU_CYCLE_1)
	v_cndmask_b32_e64 v11, 0, v11, s12
	v_cmp_lt_u32_e64 s12, 3, v9
	s_delay_alu instid0(VALU_DEP_3) | instskip(NEXT) | instid1(VALU_DEP_3)
	v_add_nc_u32_e32 v7, v7, v8
	v_add_nc_u32_e32 v6, v11, v6
	s_delay_alu instid0(VALU_DEP_2) | instskip(SKIP_1) | instid1(VALU_DEP_3)
	v_mov_b32_dpp v8, v7 row_shr:4 row_mask:0xf bank_mask:0xf
	v_cmp_eq_u32_e64 s13, 0, v7
	v_mov_b32_dpp v11, v6 row_shr:4 row_mask:0xf bank_mask:0xf
	s_delay_alu instid0(VALU_DEP_3)
	v_cndmask_b32_e64 v8, 0, v8, s12
	s_and_b32 s12, s12, s13
	s_delay_alu instid0(VALU_DEP_2) | instid1(SALU_CYCLE_1)
	v_cndmask_b32_e64 v11, 0, v11, s12
	v_cmp_lt_u32_e64 s12, 7, v9
	s_delay_alu instid0(VALU_DEP_3) | instskip(NEXT) | instid1(VALU_DEP_3)
	v_add_nc_u32_e32 v7, v8, v7
	v_add_nc_u32_e32 v6, v6, v11
	v_bfe_i32 v11, v79, 4, 1
	s_delay_alu instid0(VALU_DEP_3) | instskip(SKIP_1) | instid1(VALU_DEP_4)
	v_mov_b32_dpp v8, v7 row_shr:8 row_mask:0xf bank_mask:0xf
	v_cmp_eq_u32_e64 s13, 0, v7
	v_mov_b32_dpp v9, v6 row_shr:8 row_mask:0xf bank_mask:0xf
	s_delay_alu instid0(VALU_DEP_3) | instskip(SKIP_2) | instid1(VALU_DEP_2)
	v_cndmask_b32_e64 v8, 0, v8, s12
	s_and_b32 s12, s12, s13
	s_mov_b32 s13, exec_lo
	v_cndmask_b32_e64 v9, 0, v9, s12
	s_delay_alu instid0(VALU_DEP_1) | instskip(SKIP_4) | instid1(VALU_DEP_1)
	v_dual_add_nc_u32 v9, v9, v6 :: v_dual_add_nc_u32 v6, v8, v7
	ds_swizzle_b32 v7, v9 offset:swizzle(BROADCAST,32,15)
	ds_swizzle_b32 v8, v6 offset:swizzle(BROADCAST,32,15)
	v_cmp_eq_u32_e64 s12, 0, v6
	s_wait_dscnt 0x0
	v_dual_cndmask_b32 v7, 0, v7, s12 :: v_dual_bitop2_b32 v8, v11, v8 bitop3:0x40
	s_delay_alu instid0(VALU_DEP_1) | instskip(NEXT) | instid1(VALU_DEP_1)
	v_dual_add_nc_u32 v6, v8, v6 :: v_dual_bitop2_b32 v7, v11, v7 bitop3:0x40
	v_dual_add_nc_u32 v7, v7, v9 :: v_dual_lshlrev_b32 v9, 3, v80
	v_cmpx_eq_u32_e64 v0, v81
; %bb.85:
	ds_store_b64 v9, v[6:7] offset:1040
; %bb.86:
	s_or_b32 exec_lo, exec_lo, s13
	s_delay_alu instid0(SALU_CYCLE_1)
	s_mov_b32 s14, exec_lo
	s_wait_loadcnt_dscnt 0x0
	s_barrier_signal -1
	s_barrier_wait -1
	v_cmpx_gt_u32_e32 8, v0
	s_cbranch_execz .LBB856_88
; %bb.87:
	v_dual_lshlrev_b32 v8, 3, v0 :: v_dual_bitop2_b32 v32, 7, v79 bitop3:0x40
	ds_load_b64 v[12:13], v8 offset:1040
	s_wait_dscnt 0x0
	v_mov_b32_dpp v11, v13 row_shr:1 row_mask:0xf bank_mask:0xf
	v_cmp_eq_u32_e64 s12, 0, v12
	v_mov_b32_dpp v33, v12 row_shr:1 row_mask:0xf bank_mask:0xf
	s_delay_alu instid0(VALU_DEP_2) | instskip(SKIP_1) | instid1(VALU_DEP_1)
	v_cndmask_b32_e64 v11, 0, v11, s12
	v_cmp_eq_u32_e64 s12, 0, v32
	v_cndmask_b32_e64 v33, v33, 0, s12
	s_delay_alu instid0(VALU_DEP_1) | instskip(NEXT) | instid1(VALU_DEP_4)
	v_add_nc_u32_e32 v12, v33, v12
	v_cndmask_b32_e64 v11, v11, 0, s12
	v_cmp_lt_u32_e64 s12, 1, v32
	s_delay_alu instid0(VALU_DEP_3) | instskip(NEXT) | instid1(VALU_DEP_3)
	v_cmp_eq_u32_e64 s13, 0, v12
	v_add_nc_u32_e32 v11, v11, v13
	v_mov_b32_dpp v13, v12 row_shr:2 row_mask:0xf bank_mask:0xf
	s_delay_alu instid0(VALU_DEP_1) | instskip(NEXT) | instid1(VALU_DEP_3)
	v_cndmask_b32_e64 v13, 0, v13, s12
	v_mov_b32_dpp v33, v11 row_shr:2 row_mask:0xf bank_mask:0xf
	s_and_b32 s12, s12, s13
	s_delay_alu instid0(VALU_DEP_1) | instid1(SALU_CYCLE_1)
	v_dual_add_nc_u32 v12, v13, v12 :: v_dual_cndmask_b32 v33, 0, v33, s12
	v_cmp_lt_u32_e64 s12, 3, v32
	s_delay_alu instid0(VALU_DEP_2) | instskip(NEXT) | instid1(VALU_DEP_3)
	v_mov_b32_dpp v13, v12 row_shr:4 row_mask:0xf bank_mask:0xf
	v_add_nc_u32_e32 v11, v33, v11
	v_cmp_eq_u32_e64 s13, 0, v12
	s_delay_alu instid0(VALU_DEP_3) | instskip(NEXT) | instid1(VALU_DEP_3)
	v_cndmask_b32_e64 v13, 0, v13, s12
	v_mov_b32_dpp v32, v11 row_shr:4 row_mask:0xf bank_mask:0xf
	s_and_b32 s12, s12, s13
	s_delay_alu instid0(VALU_DEP_1) | instid1(SALU_CYCLE_1)
	v_cndmask_b32_e64 v32, 0, v32, s12
	s_delay_alu instid0(VALU_DEP_1)
	v_dual_add_nc_u32 v12, v13, v12 :: v_dual_add_nc_u32 v13, v32, v11
	ds_store_b64 v8, v[12:13] offset:1040
.LBB856_88:
	s_or_b32 exec_lo, exec_lo, s14
	v_dual_mov_b32 v11, 0 :: v_dual_mov_b32 v8, 0
	v_mov_b32_e32 v12, v10
	s_mov_b32 s13, exec_lo
	s_wait_dscnt 0x0
	s_barrier_signal -1
	s_barrier_wait -1
	v_cmpx_lt_u32_e32 31, v0
	s_cbranch_execz .LBB856_90
; %bb.89:
	ds_load_b64 v[8:9], v9 offset:1032
	s_wait_dscnt 0x0
	v_cmp_eq_u32_e64 s12, 0, v8
	s_delay_alu instid0(VALU_DEP_1) | instskip(NEXT) | instid1(VALU_DEP_1)
	v_cndmask_b32_e64 v12, 0, v10, s12
	v_add_nc_u32_e32 v12, v12, v9
.LBB856_90:
	s_or_b32 exec_lo, exec_lo, s13
	v_sub_co_u32 v9, s12, v79, 1
	s_delay_alu instid0(VALU_DEP_1) | instskip(NEXT) | instid1(VALU_DEP_1)
	v_cmp_gt_i32_e64 s13, 0, v9
	v_cndmask_b32_e64 v9, v9, v79, s13
	v_cmp_eq_u32_e64 s13, 0, v6
	s_delay_alu instid0(VALU_DEP_1) | instskip(NEXT) | instid1(VALU_DEP_3)
	v_dual_cndmask_b32 v13, 0, v12, s13 :: v_dual_add_nc_u32 v6, v8, v6
	v_lshlrev_b32_e32 v9, 2, v9
	v_cmp_eq_u32_e64 s13, 0, v77
	ds_bpermute_b32 v6, v9, v6
	s_wait_dscnt 0x0
	v_dual_add_nc_u32 v7, v13, v7 :: v_dual_cndmask_b32 v6, v6, v8, s12
	ds_bpermute_b32 v7, v9, v7
	s_wait_dscnt 0x0
	v_cndmask_b32_e64 v7, v7, v12, s12
	v_cmp_eq_u32_e64 s12, 0, v0
	s_delay_alu instid0(VALU_DEP_1) | instskip(NEXT) | instid1(VALU_DEP_1)
	v_cndmask_b32_e64 v58, v6, 0, s12
	v_dual_add_nc_u32 v62, v58, v77 :: v_dual_cndmask_b32 v59, v7, v10, s12
	s_delay_alu instid0(VALU_DEP_1) | instskip(NEXT) | instid1(VALU_DEP_1)
	v_dual_add_nc_u32 v60, v62, v73 :: v_dual_cndmask_b32 v7, 0, v59, s13
	v_dual_add_nc_u32 v56, v60, v72 :: v_dual_add_nc_u32 v63, v7, v30
	s_delay_alu instid0(VALU_DEP_1) | instskip(NEXT) | instid1(VALU_DEP_2)
	v_add_nc_u32_e32 v52, v56, v71
	v_cndmask_b32_e64 v7, 0, v63, s6
	s_delay_alu instid0(VALU_DEP_1) | instskip(NEXT) | instid1(VALU_DEP_1)
	v_add_nc_u32_e32 v61, v7, v31
	v_cndmask_b32_e64 v7, 0, v61, s7
	s_delay_alu instid0(VALU_DEP_1) | instskip(NEXT) | instid1(VALU_DEP_1)
	;; [unrolled: 3-line block ×8, first 2 shown]
	v_add_nc_u32_e32 v37, v6, v22
	v_dual_add_nc_u32 v48, v52, v70 :: v_dual_cndmask_b32 v6, 0, v37, s3
	s_delay_alu instid0(VALU_DEP_1) | instskip(NEXT) | instid1(VALU_DEP_1)
	v_dual_add_nc_u32 v44, v48, v66 :: v_dual_add_nc_u32 v39, v6, v23
	v_dual_add_nc_u32 v50, v44, v74 :: v_dual_cndmask_b32 v6, 0, v39, s2
	s_delay_alu instid0(VALU_DEP_1) | instskip(NEXT) | instid1(VALU_DEP_2)
	v_add_nc_u32_e32 v43, v6, v20
	v_add_nc_u32_e32 v54, v50, v68
	ds_load_b64 v[6:7], v11 offset:1096
	v_dual_cndmask_b32 v8, 0, v43, s1 :: v_dual_add_nc_u32 v36, v54, v64
	s_delay_alu instid0(VALU_DEP_1) | instskip(NEXT) | instid1(VALU_DEP_1)
	v_add_nc_u32_e32 v47, v8, v21
	v_dual_add_nc_u32 v38, v36, v17 :: v_dual_cndmask_b32 v8, 0, v47, vcc_lo
	s_delay_alu instid0(VALU_DEP_1) | instskip(NEXT) | instid1(VALU_DEP_1)
	v_dual_add_nc_u32 v42, v38, v67 :: v_dual_add_nc_u32 v41, v8, v18
	v_add_nc_u32_e32 v46, v42, v69
	s_wait_dscnt 0x0
	v_cmp_eq_u32_e32 vcc_lo, 0, v6
	s_delay_alu instid0(VALU_DEP_2) | instskip(NEXT) | instid1(VALU_DEP_1)
	v_dual_cndmask_b32 v9, 0, v10 :: v_dual_add_nc_u32 v40, v46, v65
	v_dual_cndmask_b32 v8, 0, v41, s0 :: v_dual_add_nc_u32 v34, v40, v75
	s_delay_alu instid0(VALU_DEP_2) | instskip(NEXT) | instid1(VALU_DEP_2)
	v_add_nc_u32_e32 v32, v9, v7
	v_add_nc_u32_e32 v35, v8, v19
	s_and_saveexec_b32 s0, s12
	s_cbranch_execz .LBB856_92
; %bb.91:
	s_add_nc_u64 s[2:3], s[36:37], 0x200
	v_dual_mov_b32 v8, 2 :: v_dual_mov_b32 v9, 0
	v_mov_b32_e32 v7, v32
	v_mov_b64_e32 v[10:11], s[2:3]
	;;#ASMSTART
	global_store_b128 v[10:11], v[6:9] off scope:SCOPE_DEV	
s_wait_storecnt 0x0
	;;#ASMEND
.LBB856_92:
	s_or_b32 exec_lo, exec_lo, s0
	v_mov_b32_e32 v8, 0
.LBB856_93:
	s_cmp_eq_u64 s[26:27], 0
	v_mov_b64_e32 v[18:19], 0
	s_cselect_b32 s0, -1, 0
	s_delay_alu instid0(SALU_CYCLE_1)
	s_or_b32 s0, s16, s0
	s_barrier_signal -1
	s_and_b32 vcc_lo, exec_lo, s0
	s_barrier_wait -1
	s_cbranch_vccnz .LBB856_95
; %bb.94:
	v_mov_b32_e32 v7, 0
	global_load_b64 v[18:19], v7, s[26:27]
.LBB856_95:
	v_cmp_eq_u32_e32 vcc_lo, 0, v77
	v_cmp_ne_u32_e64 s14, 0, v77
	v_cmp_ne_u32_e64 s13, 0, v73
	;; [unrolled: 1-line block ×4, first 2 shown]
	s_wait_xcnt 0x0
	v_cndmask_b32_e64 v7, 1, 2, vcc_lo
	v_cmp_eq_u32_e32 vcc_lo, 0, v73
	v_cmp_ne_u32_e64 s10, 0, v70
	v_cmp_ne_u32_e64 s9, 0, v66
	;; [unrolled: 1-line block ×4, first 2 shown]
	v_cndmask_b32_e64 v9, 1, 2, vcc_lo
	v_cmp_eq_u32_e32 vcc_lo, 0, v72
	v_cmp_ne_u32_e64 s6, 0, v64
	v_cmp_ne_u32_e64 s5, 0, v17
	;; [unrolled: 1-line block ×4, first 2 shown]
	v_cndmask_b32_e64 v10, 1, 2, vcc_lo
	v_cmp_eq_u32_e32 vcc_lo, 0, v71
	v_cmp_ne_u32_e64 s2, 0, v65
	v_cmp_ne_u32_e64 s1, 0, v75
	v_cmp_ne_u32_e64 s0, 0, v76
	v_bitop3_b16 v7, v9, v10, v7 bitop3:0x80
	v_cndmask_b32_e64 v12, 1, 2, vcc_lo
	v_cmp_eq_u32_e32 vcc_lo, 0, v70
	s_wait_loadcnt 0x0
	v_lshlrev_b64_e32 v[10:11], 1, v[18:19]
	v_mov_b32_e32 v9, 0
	s_mov_b32 s16, -1
	v_cndmask_b32_e64 v13, 1, 2, vcc_lo
	v_cmp_eq_u32_e32 vcc_lo, 0, v66
	s_delay_alu instid0(VALU_DEP_4) | instskip(NEXT) | instid1(VALU_DEP_3)
	v_add_nc_u64_e32 v[10:11], s[28:29], v[10:11]
	v_bitop3_b16 v7, v7, v13, v12 bitop3:0x80
	v_cndmask_b32_e64 v20, 1, 2, vcc_lo
	v_cmp_eq_u32_e32 vcc_lo, 0, v74
	v_lshlrev_b64_e32 v[12:13], 1, v[8:9]
	v_cndmask_b32_e64 v21, 1, 2, vcc_lo
	v_cmp_eq_u32_e32 vcc_lo, 0, v68
	s_delay_alu instid0(VALU_DEP_2)
	v_bitop3_b16 v7, v7, v21, v20 bitop3:0x80
	v_cndmask_b32_e64 v22, 1, 2, vcc_lo
	v_cmp_eq_u32_e32 vcc_lo, 0, v64
	v_add_nc_u64_e32 v[20:21], v[10:11], v[12:13]
	v_cndmask_b32_e64 v23, 1, 2, vcc_lo
	v_cmp_eq_u32_e32 vcc_lo, 0, v17
	s_delay_alu instid0(VALU_DEP_2) | instskip(SKIP_4) | instid1(VALU_DEP_2)
	v_bitop3_b16 v7, v7, v23, v22 bitop3:0x80
	v_cndmask_b32_e64 v10, 1, 2, vcc_lo
	v_cmp_eq_u32_e32 vcc_lo, 0, v67
	v_cndmask_b32_e64 v11, 1, 2, vcc_lo
	v_cmp_eq_u32_e32 vcc_lo, 0, v69
	v_bitop3_b16 v7, v7, v11, v10 bitop3:0x80
	v_cndmask_b32_e64 v10, 1, 2, vcc_lo
	v_cmp_eq_u32_e32 vcc_lo, 0, v65
	v_cndmask_b32_e64 v11, 1, 2, vcc_lo
	v_cmp_eq_u32_e32 vcc_lo, 0, v75
	s_delay_alu instid0(VALU_DEP_2) | instskip(SKIP_4) | instid1(VALU_DEP_2)
	v_bitop3_b16 v7, v7, v11, v10 bitop3:0x80
	v_cndmask_b32_e64 v10, 1, 2, vcc_lo
	v_cmp_eq_u32_e32 vcc_lo, 0, v76
	v_cndmask_b32_e64 v11, 1, 2, vcc_lo
	v_cmp_gt_u32_e32 vcc_lo, 0x100, v6
	v_bitop3_b16 v7, v7, v11, v10 bitop3:0x80
	s_delay_alu instid0(VALU_DEP_1)
	v_cmp_gt_i16_e64 s15, 2, v7
	s_cbranch_vccz .LBB856_102
; %bb.96:
	s_and_saveexec_b32 s16, s15
	s_cbranch_execz .LBB856_101
; %bb.97:
	s_mov_b32 s17, 0
	s_mov_b32 s15, exec_lo
	v_cmpx_ne_u16_e32 1, v7
	s_xor_b32 s15, exec_lo, s15
	s_cbranch_execnz .LBB856_145
; %bb.98:
	s_and_not1_saveexec_b32 s15, s15
	s_cbranch_execnz .LBB856_161
.LBB856_99:
	s_or_b32 exec_lo, exec_lo, s15
	s_delay_alu instid0(SALU_CYCLE_1)
	s_and_b32 exec_lo, exec_lo, s17
	s_cbranch_execz .LBB856_101
.LBB856_100:
	v_sub_nc_u32_e32 v10, v34, v8
	v_readfirstlane_b32 s18, v20
	v_readfirstlane_b32 s19, v21
	global_store_b16 v10, v1, s[18:19] scale_offset
.LBB856_101:
	s_wait_xcnt 0x0
	s_or_b32 exec_lo, exec_lo, s16
	s_mov_b32 s16, 0
.LBB856_102:
	s_delay_alu instid0(SALU_CYCLE_1)
	s_and_b32 vcc_lo, exec_lo, s16
	s_cbranch_vccz .LBB856_124
; %bb.103:
	s_mov_b32 s15, exec_lo
	v_cmpx_gt_i16_e32 2, v7
	s_cbranch_execz .LBB856_108
; %bb.104:
	s_mov_b32 s17, 0
	s_mov_b32 s16, exec_lo
	v_cmpx_ne_u16_e32 1, v7
	s_xor_b32 s16, exec_lo, s16
	s_cbranch_execnz .LBB856_162
; %bb.105:
	s_and_not1_saveexec_b32 s0, s16
	s_cbranch_execnz .LBB856_178
.LBB856_106:
	s_or_b32 exec_lo, exec_lo, s0
	s_delay_alu instid0(SALU_CYCLE_1)
	s_and_b32 exec_lo, exec_lo, s17
.LBB856_107:
	v_sub_nc_u32_e32 v2, v34, v8
	s_delay_alu instid0(VALU_DEP_1)
	v_lshlrev_b32_e32 v2, 1, v2
	ds_store_b16 v2, v1
.LBB856_108:
	s_or_b32 exec_lo, exec_lo, s15
	s_delay_alu instid0(SALU_CYCLE_1)
	s_mov_b32 s0, exec_lo
	s_wait_storecnt_dscnt 0x0
	s_barrier_signal -1
	s_barrier_wait -1
	v_cmpx_lt_u32_e64 v0, v6
	s_cbranch_execz .LBB856_123
; %bb.109:
	v_xad_u32 v2, v0, -1, v6
	v_mov_b32_e32 v1, v0
	s_mov_b32 s4, -1
	s_mov_b32 s2, exec_lo
	s_delay_alu instid0(VALU_DEP_2)
	v_cmp_gt_u32_e64 s1, 0x1b00, v2
	v_cmpx_lt_u32_e32 0x1aff, v2
	s_cbranch_execz .LBB856_120
; %bb.110:
	v_sub_nc_u32_e32 v1, v0, v6
	s_delay_alu instid0(VALU_DEP_1) | instskip(NEXT) | instid1(VALU_DEP_1)
	v_or_b32_e32 v1, 0xff, v1
	v_cmp_ge_u32_e32 vcc_lo, v1, v0
	v_mov_b32_e32 v1, v0
	s_and_saveexec_b32 s3, vcc_lo
	s_cbranch_execz .LBB856_119
; %bb.111:
	v_lshrrev_b32_e32 v7, 8, v2
	v_or_b32_e32 v3, 0x300, v0
	v_or_b32_e32 v2, 0x200, v0
	;; [unrolled: 1-line block ×3, first 2 shown]
	s_mov_b32 s4, exec_lo
	v_dual_mov_b32 v23, 0 :: v_dual_add_nc_u32 v4, -3, v7
	s_delay_alu instid0(VALU_DEP_3) | instskip(NEXT) | instid1(VALU_DEP_3)
	v_mov_b64_e32 v[12:13], v[2:3]
	v_mov_b64_e32 v[10:11], v[0:1]
	s_delay_alu instid0(VALU_DEP_3) | instskip(NEXT) | instid1(VALU_DEP_1)
	v_lshrrev_b32_e32 v5, 2, v4
	v_dual_lshlrev_b32 v14, 1, v0 :: v_dual_add_nc_u32 v15, 1, v5
	v_cmpx_lt_u32_e32 11, v4
	s_cbranch_execz .LBB856_115
; %bb.112:
	v_mov_b64_e32 v[12:13], v[2:3]
	v_mov_b64_e32 v[10:11], v[0:1]
	v_and_b32_e32 v16, 0x7ffffffc, v15
	v_dual_mov_b32 v5, 0 :: v_dual_mov_b32 v22, v14
	s_mov_b32 s5, 0
	s_mov_b32 s6, 0
.LBB856_113:                            ; =>This Inner Loop Header: Depth=1
	s_delay_alu instid0(VALU_DEP_1) | instskip(SKIP_2) | instid1(VALU_DEP_3)
	v_dual_mov_b32 v4, v10 :: v_dual_mov_b32 v27, v5
	v_add_nc_u32_e32 v16, -4, v16
	v_dual_mov_b32 v79, v5 :: v_dual_add_nc_u32 v26, 0x400, v11
	v_lshl_add_u64 v[86:87], v[4:5], 1, v[20:21]
	v_mov_b32_e32 v4, v11
	ds_load_u16 v1, v22
	ds_load_u16 v33, v22 offset:512
	ds_load_u16 v94, v22 offset:1024
	;; [unrolled: 1-line block ×7, first 2 shown]
	v_dual_mov_b32 v85, v5 :: v_dual_add_nc_u32 v78, 0x800, v11
	s_add_co_i32 s6, s6, 16
	s_delay_alu instid0(SALU_CYCLE_1)
	v_dual_mov_b32 v23, s6 :: v_dual_add_nc_u32 v84, 0xc00, v11
	v_add_nc_u32_e32 v11, 0x1000, v11
	v_lshl_add_u64 v[88:89], v[4:5], 1, v[20:21]
	v_mov_b32_e32 v4, v12
	ds_load_u16 v100, v22 offset:4096
	ds_load_u16 v101, v22 offset:4608
	;; [unrolled: 1-line block ×8, first 2 shown]
	v_dual_mov_b32 v25, v5 :: v_dual_add_nc_u32 v2, 0x400, v13
	v_dual_mov_b32 v31, v5 :: v_dual_add_nc_u32 v28, 0x800, v13
	v_lshl_add_u64 v[90:91], v[4:5], 1, v[20:21]
	v_mov_b32_e32 v4, v13
	v_dual_mov_b32 v83, v5 :: v_dual_add_nc_u32 v80, 0xc00, v13
	v_add_nc_u32_e32 v13, 0x1000, v13
	s_wait_dscnt 0xf
	global_store_b16 v[86:87], v1, off
	s_wait_dscnt 0xe
	global_store_b16 v[88:89], v33, off
	s_wait_dscnt 0xd
	global_store_b16 v[90:91], v94, off
	v_lshl_add_u64 v[92:93], v[4:5], 1, v[20:21]
	v_add_nc_u32_e32 v4, 0x400, v10
	v_dual_mov_b32 v3, v5 :: v_dual_add_nc_u32 v24, 0x400, v12
	v_dual_mov_b32 v29, v5 :: v_dual_add_nc_u32 v30, 0x800, v12
	s_wait_xcnt 0x2
	s_delay_alu instid0(VALU_DEP_3)
	v_lshl_add_u64 v[86:87], v[4:5], 1, v[20:21]
	v_add_nc_u32_e32 v4, 0x800, v10
	v_cmp_eq_u32_e32 vcc_lo, 0, v16
	v_lshl_add_u64 v[26:27], v[26:27], 1, v[20:21]
	s_wait_dscnt 0xc
	global_store_b16 v[92:93], v95, off
	s_wait_dscnt 0xb
	global_store_b16 v[86:87], v96, off
	v_dual_mov_b32 v81, v5 :: v_dual_add_nc_u32 v82, 0xc00, v12
	s_wait_xcnt 0x0
	v_lshl_add_u64 v[86:87], v[4:5], 1, v[20:21]
	v_add_nc_u32_e32 v4, 0xc00, v10
	v_add_nc_u32_e32 v22, 0x2000, v22
	v_lshl_add_u64 v[24:25], v[24:25], 1, v[20:21]
	v_add_nc_u32_e32 v12, 0x1000, v12
	v_add_nc_u32_e32 v10, 0x1000, v10
	v_lshl_add_u64 v[2:3], v[2:3], 1, v[20:21]
	v_lshl_add_u64 v[78:79], v[78:79], 1, v[20:21]
	;; [unrolled: 1-line block ×4, first 2 shown]
	s_or_b32 s5, vcc_lo, s5
	s_wait_dscnt 0xa
	global_store_b16 v[26:27], v97, off
	s_wait_dscnt 0x9
	global_store_b16 v[24:25], v98, off
	;; [unrolled: 2-line block ×3, first 2 shown]
	s_wait_xcnt 0x0
	v_lshl_add_u64 v[2:3], v[4:5], 1, v[20:21]
	v_lshl_add_u64 v[84:85], v[84:85], 1, v[20:21]
	;; [unrolled: 1-line block ×4, first 2 shown]
	s_wait_dscnt 0x7
	global_store_b16 v[86:87], v100, off
	s_wait_dscnt 0x6
	global_store_b16 v[78:79], v101, off
	;; [unrolled: 2-line block ×8, first 2 shown]
	s_wait_xcnt 0x0
	s_and_not1_b32 exec_lo, exec_lo, s5
	s_cbranch_execnz .LBB856_113
; %bb.114:
	s_or_b32 exec_lo, exec_lo, s5
.LBB856_115:
	s_delay_alu instid0(SALU_CYCLE_1) | instskip(NEXT) | instid1(VALU_DEP_2)
	s_or_b32 exec_lo, exec_lo, s4
	v_and_b32_e32 v1, 3, v15
	s_mov_b32 s5, 0
	s_mov_b32 s4, exec_lo
	s_delay_alu instid0(VALU_DEP_1)
	v_cmpx_ne_u32_e32 0, v1
	s_cbranch_execz .LBB856_118
; %bb.116:
	v_lshl_or_b32 v4, v23, 9, v14
	v_mov_b32_e32 v3, 0
.LBB856_117:                            ; =>This Inner Loop Header: Depth=1
	v_dual_mov_b32 v2, v10 :: v_dual_add_nc_u32 v1, -1, v1
	ds_load_u16 v5, v4
	ds_load_u16 v16, v4 offset:512
	ds_load_u16 v28, v4 offset:1024
	;; [unrolled: 1-line block ×3, first 2 shown]
	v_add_nc_u32_e32 v10, 0x400, v10
	v_add_nc_u32_e32 v4, 0x800, v4
	v_lshl_add_u64 v[14:15], v[2:3], 1, v[20:21]
	v_dual_mov_b32 v2, v11 :: v_dual_add_nc_u32 v11, 0x400, v11
	v_cmp_eq_u32_e32 vcc_lo, 0, v1
	s_delay_alu instid0(VALU_DEP_2) | instskip(SKIP_3) | instid1(VALU_DEP_2)
	v_lshl_add_u64 v[22:23], v[2:3], 1, v[20:21]
	v_mov_b32_e32 v2, v12
	v_add_nc_u32_e32 v12, 0x400, v12
	s_or_b32 s5, vcc_lo, s5
	v_lshl_add_u64 v[24:25], v[2:3], 1, v[20:21]
	v_dual_mov_b32 v2, v13 :: v_dual_add_nc_u32 v13, 0x400, v13
	s_delay_alu instid0(VALU_DEP_1)
	v_lshl_add_u64 v[26:27], v[2:3], 1, v[20:21]
	s_wait_dscnt 0x3
	global_store_b16 v[14:15], v5, off
	s_wait_dscnt 0x2
	global_store_b16 v[22:23], v16, off
	;; [unrolled: 2-line block ×4, first 2 shown]
	s_wait_xcnt 0x0
	s_and_not1_b32 exec_lo, exec_lo, s5
	s_cbranch_execnz .LBB856_117
.LBB856_118:
	s_or_b32 exec_lo, exec_lo, s4
	v_add_nc_u32_e32 v1, 1, v7
	s_delay_alu instid0(VALU_DEP_1) | instskip(NEXT) | instid1(VALU_DEP_1)
	v_and_b32_e32 v2, 0x1fffffc, v1
	v_cmp_ne_u32_e32 vcc_lo, v1, v2
	v_lshl_or_b32 v1, v2, 8, v0
	s_or_not1_b32 s4, vcc_lo, exec_lo
.LBB856_119:
	s_or_b32 exec_lo, exec_lo, s3
	s_delay_alu instid0(SALU_CYCLE_1) | instskip(SKIP_1) | instid1(SALU_CYCLE_1)
	s_and_not1_b32 s1, s1, exec_lo
	s_and_b32 s3, s4, exec_lo
	s_or_b32 s1, s1, s3
.LBB856_120:
	s_or_b32 exec_lo, exec_lo, s2
	s_delay_alu instid0(SALU_CYCLE_1)
	s_and_b32 exec_lo, exec_lo, s1
	s_cbranch_execz .LBB856_123
; %bb.121:
	v_lshlrev_b32_e32 v2, 1, v1
	s_mov_b32 s1, 0
.LBB856_122:                            ; =>This Inner Loop Header: Depth=1
	ds_load_u16 v3, v2
	v_readfirstlane_b32 s2, v20
	v_readfirstlane_b32 s3, v21
	v_add_nc_u32_e32 v2, 0x200, v2
	s_wait_dscnt 0x0
	global_store_b16 v1, v3, s[2:3] scale_offset
	s_wait_xcnt 0x0
	v_add_nc_u32_e32 v1, 0x100, v1
	s_delay_alu instid0(VALU_DEP_1) | instskip(SKIP_1) | instid1(SALU_CYCLE_1)
	v_cmp_ge_u32_e32 vcc_lo, v1, v6
	s_or_b32 s1, vcc_lo, s1
	s_and_not1_b32 exec_lo, exec_lo, s1
	s_cbranch_execnz .LBB856_122
.LBB856_123:
	s_or_b32 exec_lo, exec_lo, s0
.LBB856_124:
	s_cmp_lg_u32 s42, 0xf00
	v_cmp_eq_u32_e32 vcc_lo, 0, v0
	s_cselect_b32 s0, -1, 0
	v_cndmask_b32_e64 v7, 0, 1, s43
	s_and_b32 s0, s33, s0
	v_mad_i32_i24 v3, v0, -15, s42
	v_cndmask_b32_e64 v2, 0, 1, s0
	s_mul_hi_u32 s0, s42, 0x88888889
	s_and_b32 s1, vcc_lo, s43
	s_lshr_b32 s0, s0, 3
	v_cndmask_b32_e64 v4, v77, 0, s1
	v_cmp_eq_u32_e32 vcc_lo, s0, v0
	v_cmp_ne_u32_e64 s0, 0, v3
	v_sub_nc_u32_e32 v1, v6, v7
	s_mov_b32 s16, -1
	s_wait_storecnt 0x0
	s_and_b32 vcc_lo, s33, vcc_lo
	s_barrier_signal -1
	v_dual_add_nc_u32 v1, v1, v2 :: v_dual_cndmask_b32 v2, 1, v4, s0
	v_cmp_ne_u32_e64 s0, 1, v3
	s_barrier_wait -1
	s_delay_alu instid0(VALU_DEP_1) | instskip(SKIP_1) | instid1(VALU_DEP_2)
	v_cndmask_b32_e64 v5, 1, v73, s0
	v_cmp_ne_u32_e64 s0, 2, v3
	v_dual_cndmask_b32 v26, v4, v2 :: v_dual_cndmask_b32 v27, v73, v5
	s_delay_alu instid0(VALU_DEP_2) | instskip(SKIP_2) | instid1(VALU_DEP_4)
	v_cndmask_b32_e64 v10, 1, v72, s0
	v_cmp_ne_u32_e64 s0, 3, v3
	v_lshlrev_b64_e32 v[4:5], 3, v[8:9]
	v_cmp_ne_u32_e64 s14, 0, v26
	v_cmp_ne_u32_e64 s13, 0, v27
	s_delay_alu instid0(VALU_DEP_4) | instskip(SKIP_1) | instid1(VALU_DEP_1)
	v_cndmask_b32_e64 v11, 1, v71, s0
	v_cmp_ne_u32_e64 s0, 4, v3
	v_dual_cndmask_b32 v11, v71, v11, vcc_lo :: v_dual_cndmask_b32 v12, 1, v70, s0
	v_cmp_ne_u32_e64 s0, 5, v3
	s_delay_alu instid0(VALU_DEP_2) | instskip(NEXT) | instid1(VALU_DEP_2)
	v_cmp_ne_u32_e64 s11, 0, v11
	v_cndmask_b32_e64 v13, 1, v66, s0
	v_cmp_ne_u32_e64 s0, 6, v3
	s_delay_alu instid0(VALU_DEP_1) | instskip(SKIP_1) | instid1(VALU_DEP_1)
	v_cndmask_b32_e64 v14, 1, v74, s0
	v_cmp_ne_u32_e64 s0, 7, v3
	v_cndmask_b32_e64 v15, 1, v68, s0
	v_cmp_ne_u32_e64 s0, 8, v3
	v_dual_cndmask_b32 v10, v72, v10, vcc_lo :: v_dual_cndmask_b32 v12, v70, v12, vcc_lo
	s_delay_alu instid0(VALU_DEP_2) | instskip(SKIP_2) | instid1(VALU_DEP_4)
	v_dual_cndmask_b32 v15, v68, v15, vcc_lo :: v_dual_cndmask_b32 v16, 1, v64, s0
	v_cmp_ne_u32_e64 s0, 9, v3
	v_cndmask_b32_e32 v13, v66, v13, vcc_lo
	v_cmp_ne_u32_e64 s12, 0, v10
	v_cmp_ne_u32_e64 s10, 0, v12
	s_delay_alu instid0(VALU_DEP_4) | instskip(SKIP_3) | instid1(VALU_DEP_4)
	v_dual_cndmask_b32 v16, v64, v16, vcc_lo :: v_dual_cndmask_b32 v20, 1, v17, s0
	v_cmp_ne_u32_e64 s0, 10, v3
	v_cndmask_b32_e32 v14, v74, v14, vcc_lo
	v_cmp_ne_u32_e64 s7, 0, v15
	v_cmp_ne_u32_e64 s6, 0, v16
	s_delay_alu instid0(VALU_DEP_4) | instskip(SKIP_2) | instid1(VALU_DEP_2)
	v_cndmask_b32_e64 v21, 1, v67, s0
	v_cmp_ne_u32_e64 s0, 12, v3
	v_cmp_ne_u32_e64 s8, 0, v14
	v_cndmask_b32_e64 v22, 1, v65, s0
	v_cmp_ne_u32_e64 s0, 14, v3
	v_dual_cndmask_b32 v17, v17, v20 :: v_dual_cndmask_b32 v20, v67, v21
	s_delay_alu instid0(VALU_DEP_2) | instskip(SKIP_1) | instid1(VALU_DEP_3)
	v_dual_cndmask_b32 v22, v65, v22, vcc_lo :: v_dual_cndmask_b32 v23, 1, v76, s0
	v_cmp_ne_u32_e64 s0, 13, v3
	v_cmp_ne_u32_e64 s5, 0, v17
	s_delay_alu instid0(VALU_DEP_4) | instskip(NEXT) | instid1(VALU_DEP_4)
	v_cmp_ne_u32_e64 s4, 0, v20
	v_cmp_ne_u32_e64 s2, 0, v22
	s_delay_alu instid0(VALU_DEP_4) | instskip(SKIP_2) | instid1(VALU_DEP_3)
	v_cndmask_b32_e64 v24, 1, v75, s0
	v_cmp_ne_u32_e64 s0, 11, v3
	v_lshlrev_b64_e32 v[2:3], 3, v[18:19]
	v_dual_cndmask_b32 v23, v76, v23 :: v_dual_cndmask_b32 v24, v75, v24
	s_delay_alu instid0(VALU_DEP_3) | instskip(SKIP_1) | instid1(VALU_DEP_4)
	v_cndmask_b32_e64 v25, 1, v69, s0
	v_cmp_eq_u32_e64 s0, 0, v26
	v_add_nc_u64_e32 v[2:3], s[30:31], v[2:3]
	s_delay_alu instid0(VALU_DEP_4) | instskip(NEXT) | instid1(VALU_DEP_4)
	v_cmp_ne_u32_e64 s1, 0, v24
	v_cndmask_b32_e32 v25, v69, v25, vcc_lo
	s_delay_alu instid0(VALU_DEP_4) | instskip(SKIP_4) | instid1(VALU_DEP_4)
	v_cndmask_b32_e64 v28, 1, 2, s0
	v_cmp_eq_u32_e64 s0, 0, v27
	v_cmp_eq_u32_e32 vcc_lo, 0, v17
	v_add_nc_u64_e32 v[2:3], v[2:3], v[4:5]
	v_lshlrev_b32_e32 v4, 3, v7
	v_cndmask_b32_e64 v29, 1, 2, s0
	v_cmp_eq_u32_e64 s0, 0, v10
	v_dual_mov_b32 v5, 0 :: v_dual_add_nc_u32 v7, v8, v7
	v_cmp_ne_u32_e64 s9, 0, v13
	v_cmp_ne_u32_e64 s3, 0, v25
	s_delay_alu instid0(VALU_DEP_4) | instskip(SKIP_2) | instid1(VALU_DEP_3)
	v_cndmask_b32_e64 v30, 1, 2, s0
	v_cmp_eq_u32_e64 s0, 0, v11
	v_add_nc_u64_e32 v[4:5], v[2:3], v[4:5]
	v_bitop3_b16 v28, v29, v30, v28 bitop3:0x80
	s_delay_alu instid0(VALU_DEP_3) | instskip(SKIP_1) | instid1(VALU_DEP_4)
	v_cndmask_b32_e64 v29, 1, 2, s0
	v_cmp_eq_u32_e64 s0, 0, v12
	v_add_nc_u64_e32 v[4:5], -8, v[4:5]
	s_delay_alu instid0(VALU_DEP_2) | instskip(SKIP_1) | instid1(VALU_DEP_2)
	v_cndmask_b32_e64 v30, 1, 2, s0
	v_cmp_eq_u32_e64 s0, 0, v13
	v_bitop3_b16 v28, v28, v30, v29 bitop3:0x80
	s_delay_alu instid0(VALU_DEP_2) | instskip(SKIP_1) | instid1(VALU_DEP_1)
	v_cndmask_b32_e64 v29, 1, 2, s0
	v_cmp_eq_u32_e64 s0, 0, v14
	v_cndmask_b32_e64 v30, 1, 2, s0
	v_cmp_eq_u32_e64 s0, 0, v15
	s_delay_alu instid0(VALU_DEP_2) | instskip(NEXT) | instid1(VALU_DEP_2)
	v_bitop3_b16 v28, v28, v30, v29 bitop3:0x80
	v_cndmask_b32_e64 v29, 1, 2, s0
	v_cmp_eq_u32_e64 s0, 0, v16
	s_delay_alu instid0(VALU_DEP_1) | instskip(SKIP_1) | instid1(VALU_DEP_2)
	v_cndmask_b32_e64 v30, 1, 2, s0
	v_cmp_ne_u32_e64 s0, 0, v23
	v_bitop3_b16 v21, v28, v30, v29 bitop3:0x80
	v_cndmask_b32_e64 v28, 1, 2, vcc_lo
	v_cmp_eq_u32_e32 vcc_lo, 0, v20
	v_cndmask_b32_e64 v29, 1, 2, vcc_lo
	v_cmp_eq_u32_e32 vcc_lo, 0, v25
	s_delay_alu instid0(VALU_DEP_2) | instskip(SKIP_4) | instid1(VALU_DEP_2)
	v_bitop3_b16 v10, v21, v29, v28 bitop3:0x80
	v_cndmask_b32_e64 v11, 1, 2, vcc_lo
	v_cmp_eq_u32_e32 vcc_lo, 0, v22
	v_cndmask_b32_e64 v21, 1, 2, vcc_lo
	v_cmp_eq_u32_e32 vcc_lo, 0, v24
	v_bitop3_b16 v10, v10, v21, v11 bitop3:0x80
	v_cndmask_b32_e64 v11, 1, 2, vcc_lo
	v_cmp_eq_u32_e32 vcc_lo, 0, v23
	v_cndmask_b32_e64 v12, 1, 2, vcc_lo
	v_cmp_gt_u32_e32 vcc_lo, 0x100, v1
	s_delay_alu instid0(VALU_DEP_2) | instskip(NEXT) | instid1(VALU_DEP_1)
	v_bitop3_b16 v10, v10, v12, v11 bitop3:0x80
	v_cmp_gt_i16_e64 s15, 2, v10
	s_cbranch_vccnz .LBB856_128
; %bb.125:
	s_and_b32 vcc_lo, exec_lo, s16
	s_cbranch_vccnz .LBB856_134
.LBB856_126:
	v_cmp_eq_u32_e32 vcc_lo, 0xff, v0
	s_and_b32 s0, vcc_lo, s33
	s_delay_alu instid0(SALU_CYCLE_1)
	s_and_saveexec_b32 s1, s0
	s_cbranch_execnz .LBB856_143
.LBB856_127:
	s_sendmsg sendmsg(MSG_DEALLOC_VGPRS)
	s_endpgm
.LBB856_128:
	s_and_saveexec_b32 s16, s15
	s_cbranch_execz .LBB856_133
; %bb.129:
	s_mov_b32 s17, 0
	s_mov_b32 s15, exec_lo
	v_cmpx_ne_u16_e32 1, v10
	s_xor_b32 s15, exec_lo, s15
	s_cbranch_execnz .LBB856_179
; %bb.130:
	s_and_not1_saveexec_b32 s15, s15
	s_cbranch_execnz .LBB856_195
.LBB856_131:
	s_or_b32 exec_lo, exec_lo, s15
	s_delay_alu instid0(SALU_CYCLE_1)
	s_and_b32 exec_lo, exec_lo, s17
	s_cbranch_execz .LBB856_133
.LBB856_132:
	v_dual_mov_b32 v13, 0 :: v_dual_mov_b32 v12, v35
	v_sub_nc_u32_e32 v11, v34, v7
	v_readfirstlane_b32 s18, v4
	v_readfirstlane_b32 s19, v5
	global_store_b64 v11, v[12:13], s[18:19] scale_offset
.LBB856_133:
	s_wait_xcnt 0x0
	s_or_b32 exec_lo, exec_lo, s16
	s_branch .LBB856_126
.LBB856_134:
	s_mov_b32 s15, exec_lo
	v_cmpx_gt_i16_e32 2, v10
	s_cbranch_execz .LBB856_139
; %bb.135:
	s_mov_b32 s17, 0
	s_mov_b32 s16, exec_lo
	v_cmpx_ne_u16_e32 1, v10
	s_xor_b32 s16, exec_lo, s16
	s_cbranch_execnz .LBB856_196
; %bb.136:
	s_and_not1_saveexec_b32 s0, s16
	s_cbranch_execnz .LBB856_212
.LBB856_137:
	s_or_b32 exec_lo, exec_lo, s0
	s_delay_alu instid0(SALU_CYCLE_1)
	s_and_b32 exec_lo, exec_lo, s17
.LBB856_138:
	v_sub_nc_u32_e32 v7, v34, v7
	s_delay_alu instid0(VALU_DEP_1)
	v_lshlrev_b32_e32 v7, 2, v7
	ds_store_b32 v7, v35
.LBB856_139:
	s_or_b32 exec_lo, exec_lo, s15
	s_delay_alu instid0(SALU_CYCLE_1)
	s_mov_b32 s0, exec_lo
	s_wait_storecnt_dscnt 0x0
	s_barrier_signal -1
	s_barrier_wait -1
	v_cmpx_lt_u32_e64 v0, v1
	s_cbranch_execz .LBB856_142
; %bb.140:
	v_dual_lshlrev_b32 v7, 2, v0 :: v_dual_mov_b32 v11, 0
	v_mov_b32_e32 v12, v0
	s_mov_b32 s1, 0
.LBB856_141:                            ; =>This Inner Loop Header: Depth=1
	ds_load_b32 v10, v7
	v_readfirstlane_b32 s2, v4
	v_readfirstlane_b32 s3, v5
	v_add_nc_u32_e32 v7, 0x400, v7
	s_wait_dscnt 0x0
	global_store_b64 v12, v[10:11], s[2:3] scale_offset
	s_wait_xcnt 0x0
	v_add_nc_u32_e32 v12, 0x100, v12
	s_delay_alu instid0(VALU_DEP_1) | instskip(SKIP_1) | instid1(SALU_CYCLE_1)
	v_cmp_ge_u32_e32 vcc_lo, v12, v1
	s_or_b32 s1, vcc_lo, s1
	s_and_not1_b32 exec_lo, exec_lo, s1
	s_cbranch_execnz .LBB856_141
.LBB856_142:
	s_or_b32 exec_lo, exec_lo, s0
	v_cmp_eq_u32_e32 vcc_lo, 0xff, v0
	s_and_b32 s0, vcc_lo, s33
	s_delay_alu instid0(SALU_CYCLE_1)
	s_and_saveexec_b32 s1, s0
	s_cbranch_execz .LBB856_127
.LBB856_143:
	v_mov_b32_e32 v7, 0
	s_cmp_lg_u32 s42, 0xf00
	s_delay_alu instid0(VALU_DEP_1) | instskip(NEXT) | instid1(VALU_DEP_1)
	v_add_nc_u64_e32 v[0:1], v[6:7], v[8:9]
	v_add_nc_u64_e32 v[0:1], v[0:1], v[18:19]
	global_store_b64 v7, v[0:1], s[34:35]
	s_cbranch_scc1 .LBB856_127
; %bb.144:
	s_wait_xcnt 0x0
	v_lshlrev_b64_e32 v[0:1], 3, v[6:7]
	v_mov_b32_e32 v33, v7
	s_delay_alu instid0(VALU_DEP_2)
	v_add_nc_u64_e32 v[0:1], v[2:3], v[0:1]
	global_store_b64 v[0:1], v[32:33], off offset:-8
	s_sendmsg sendmsg(MSG_DEALLOC_VGPRS)
	s_endpgm
.LBB856_145:
	s_and_saveexec_b32 s17, s14
	s_cbranch_execnz .LBB856_213
; %bb.146:
	s_or_b32 exec_lo, exec_lo, s17
	s_and_saveexec_b32 s17, s13
	s_cbranch_execnz .LBB856_214
.LBB856_147:
	s_or_b32 exec_lo, exec_lo, s17
	s_and_saveexec_b32 s17, s12
	s_cbranch_execnz .LBB856_215
.LBB856_148:
	s_or_b32 exec_lo, exec_lo, s17
	s_and_saveexec_b32 s17, s11
	s_cbranch_execnz .LBB856_216
.LBB856_149:
	s_or_b32 exec_lo, exec_lo, s17
	s_and_saveexec_b32 s17, s10
	s_cbranch_execnz .LBB856_217
.LBB856_150:
	s_or_b32 exec_lo, exec_lo, s17
	s_and_saveexec_b32 s17, s9
	s_cbranch_execnz .LBB856_218
.LBB856_151:
	s_or_b32 exec_lo, exec_lo, s17
	s_and_saveexec_b32 s17, s8
	s_cbranch_execnz .LBB856_219
.LBB856_152:
	s_or_b32 exec_lo, exec_lo, s17
	s_and_saveexec_b32 s17, s7
	s_cbranch_execnz .LBB856_220
.LBB856_153:
	s_or_b32 exec_lo, exec_lo, s17
	s_and_saveexec_b32 s17, s6
	s_cbranch_execnz .LBB856_221
.LBB856_154:
	s_or_b32 exec_lo, exec_lo, s17
	s_and_saveexec_b32 s17, s5
	s_cbranch_execnz .LBB856_222
.LBB856_155:
	s_or_b32 exec_lo, exec_lo, s17
	s_and_saveexec_b32 s17, s4
	s_cbranch_execnz .LBB856_223
.LBB856_156:
	s_or_b32 exec_lo, exec_lo, s17
	s_and_saveexec_b32 s17, s3
	s_cbranch_execnz .LBB856_224
.LBB856_157:
	s_or_b32 exec_lo, exec_lo, s17
	s_and_saveexec_b32 s17, s2
	s_cbranch_execnz .LBB856_225
.LBB856_158:
	s_or_b32 exec_lo, exec_lo, s17
	s_and_saveexec_b32 s17, s1
	s_cbranch_execz .LBB856_160
.LBB856_159:
	v_sub_nc_u32_e32 v10, v40, v8
	v_readfirstlane_b32 s18, v20
	v_readfirstlane_b32 s19, v21
	global_store_d16_hi_b16 v10, v16, s[18:19] scale_offset
.LBB856_160:
	s_wait_xcnt 0x0
	s_or_b32 exec_lo, exec_lo, s17
	s_delay_alu instid0(SALU_CYCLE_1)
	s_and_b32 s17, s0, exec_lo
	s_and_not1_saveexec_b32 s15, s15
	s_cbranch_execz .LBB856_99
.LBB856_161:
	v_dual_sub_nc_u32 v10, v58, v8 :: v_dual_sub_nc_u32 v12, v60, v8
	v_readfirstlane_b32 s18, v20
	v_readfirstlane_b32 s19, v21
	v_dual_sub_nc_u32 v11, v62, v8 :: v_dual_sub_nc_u32 v13, v56, v8
	s_clause 0x2
	global_store_b16 v10, v2, s[18:19] scale_offset
	global_store_d16_hi_b16 v11, v2, s[18:19] scale_offset
	global_store_b16 v12, v3, s[18:19] scale_offset
	s_wait_xcnt 0x2
	v_sub_nc_u32_e32 v10, v52, v8
	s_wait_xcnt 0x1
	v_sub_nc_u32_e32 v11, v48, v8
	;; [unrolled: 2-line block ×3, first 2 shown]
	global_store_d16_hi_b16 v13, v3, s[18:19] scale_offset
	s_wait_xcnt 0x0
	v_sub_nc_u32_e32 v13, v50, v8
	global_store_b16 v10, v4, s[18:19] scale_offset
	s_wait_xcnt 0x0
	v_sub_nc_u32_e32 v10, v54, v8
	s_clause 0x2
	global_store_d16_hi_b16 v11, v4, s[18:19] scale_offset
	global_store_b16 v12, v5, s[18:19] scale_offset
	global_store_d16_hi_b16 v13, v5, s[18:19] scale_offset
	s_wait_xcnt 0x1
	v_dual_sub_nc_u32 v11, v36, v8 :: v_dual_sub_nc_u32 v12, v42, v8
	s_wait_xcnt 0x0
	v_sub_nc_u32_e32 v13, v46, v8
	global_store_b16 v10, v14, s[18:19] scale_offset
	s_wait_xcnt 0x0
	v_sub_nc_u32_e32 v10, v38, v8
	global_store_d16_hi_b16 v11, v14, s[18:19] scale_offset
	s_wait_xcnt 0x0
	v_sub_nc_u32_e32 v11, v40, v8
	s_or_b32 s17, s17, exec_lo
	s_clause 0x3
	global_store_b16 v10, v15, s[18:19] scale_offset
	global_store_d16_hi_b16 v12, v15, s[18:19] scale_offset
	global_store_b16 v13, v16, s[18:19] scale_offset
	global_store_d16_hi_b16 v11, v16, s[18:19] scale_offset
	s_wait_xcnt 0x0
	s_or_b32 exec_lo, exec_lo, s15
	s_delay_alu instid0(SALU_CYCLE_1)
	s_and_b32 exec_lo, exec_lo, s17
	s_cbranch_execnz .LBB856_100
	s_branch .LBB856_101
.LBB856_162:
	s_and_saveexec_b32 s17, s14
	s_cbranch_execnz .LBB856_226
; %bb.163:
	s_or_b32 exec_lo, exec_lo, s17
	s_and_saveexec_b32 s14, s13
	s_cbranch_execnz .LBB856_227
.LBB856_164:
	s_or_b32 exec_lo, exec_lo, s14
	s_and_saveexec_b32 s13, s12
	s_cbranch_execnz .LBB856_228
.LBB856_165:
	s_or_b32 exec_lo, exec_lo, s13
	s_and_saveexec_b32 s12, s11
	s_cbranch_execnz .LBB856_229
.LBB856_166:
	s_or_b32 exec_lo, exec_lo, s12
	s_and_saveexec_b32 s11, s10
	s_cbranch_execnz .LBB856_230
.LBB856_167:
	s_or_b32 exec_lo, exec_lo, s11
	s_and_saveexec_b32 s10, s9
	s_cbranch_execnz .LBB856_231
.LBB856_168:
	s_or_b32 exec_lo, exec_lo, s10
	s_and_saveexec_b32 s9, s8
	s_cbranch_execnz .LBB856_232
.LBB856_169:
	s_or_b32 exec_lo, exec_lo, s9
	s_and_saveexec_b32 s8, s7
	s_cbranch_execnz .LBB856_233
.LBB856_170:
	s_or_b32 exec_lo, exec_lo, s8
	s_and_saveexec_b32 s7, s6
	s_cbranch_execnz .LBB856_234
.LBB856_171:
	s_or_b32 exec_lo, exec_lo, s7
	s_and_saveexec_b32 s6, s5
	s_cbranch_execnz .LBB856_235
.LBB856_172:
	s_or_b32 exec_lo, exec_lo, s6
	s_and_saveexec_b32 s5, s4
	s_cbranch_execnz .LBB856_236
.LBB856_173:
	s_or_b32 exec_lo, exec_lo, s5
	s_and_saveexec_b32 s4, s3
	s_cbranch_execnz .LBB856_237
.LBB856_174:
	s_or_b32 exec_lo, exec_lo, s4
	s_and_saveexec_b32 s3, s2
	s_cbranch_execnz .LBB856_238
.LBB856_175:
	s_or_b32 exec_lo, exec_lo, s3
	s_and_saveexec_b32 s2, s1
.LBB856_176:
	v_sub_nc_u32_e32 v2, v40, v8
	s_delay_alu instid0(VALU_DEP_1)
	v_lshlrev_b32_e32 v2, 1, v2
	ds_store_b16_d16_hi v2, v16
.LBB856_177:
	s_or_b32 exec_lo, exec_lo, s2
	s_delay_alu instid0(SALU_CYCLE_1)
	s_and_b32 s17, s0, exec_lo
                                        ; implicit-def: $vgpr2
                                        ; implicit-def: $vgpr14
	s_and_not1_saveexec_b32 s0, s16
	s_cbranch_execz .LBB856_106
.LBB856_178:
	v_dual_sub_nc_u32 v7, v58, v8 :: v_dual_sub_nc_u32 v11, v60, v8
	v_dual_sub_nc_u32 v10, v62, v8 :: v_dual_sub_nc_u32 v12, v56, v8
	s_or_b32 s17, s17, exec_lo
	s_delay_alu instid0(VALU_DEP_2) | instskip(NEXT) | instid1(VALU_DEP_2)
	v_lshlrev_b32_e32 v7, 1, v7
	v_dual_lshlrev_b32 v11, 1, v11 :: v_dual_lshlrev_b32 v10, 1, v10
	s_delay_alu instid0(VALU_DEP_3)
	v_lshlrev_b32_e32 v12, 1, v12
	ds_store_b16 v7, v2
	ds_store_b16_d16_hi v10, v2
	ds_store_b16 v11, v3
	v_dual_sub_nc_u32 v2, v52, v8 :: v_dual_sub_nc_u32 v10, v50, v8
	ds_store_b16_d16_hi v12, v3
	v_sub_nc_u32_e32 v3, v48, v8
	v_dual_sub_nc_u32 v7, v44, v8 :: v_dual_sub_nc_u32 v11, v54, v8
	v_lshlrev_b32_e32 v2, 1, v2
	s_delay_alu instid0(VALU_DEP_3) | instskip(NEXT) | instid1(VALU_DEP_3)
	v_dual_lshlrev_b32 v10, 1, v10 :: v_dual_lshlrev_b32 v3, 1, v3
	v_lshlrev_b32_e32 v7, 1, v7
	ds_store_b16 v2, v4
	v_lshlrev_b32_e32 v2, 1, v11
	ds_store_b16_d16_hi v3, v4
	ds_store_b16 v7, v5
	ds_store_b16_d16_hi v10, v5
	v_dual_sub_nc_u32 v3, v36, v8 :: v_dual_sub_nc_u32 v4, v42, v8
	v_dual_sub_nc_u32 v5, v46, v8 :: v_dual_sub_nc_u32 v7, v40, v8
	ds_store_b16 v2, v14
	v_dual_sub_nc_u32 v2, v38, v8 :: v_dual_lshlrev_b32 v3, 1, v3
	v_dual_lshlrev_b32 v5, 1, v5 :: v_dual_lshlrev_b32 v4, 1, v4
	s_delay_alu instid0(VALU_DEP_2)
	v_lshlrev_b32_e32 v2, 1, v2
	ds_store_b16_d16_hi v3, v14
	v_lshlrev_b32_e32 v3, 1, v7
	ds_store_b16 v2, v15
	ds_store_b16_d16_hi v4, v15
	ds_store_b16 v5, v16
	ds_store_b16_d16_hi v3, v16
	s_or_b32 exec_lo, exec_lo, s0
	s_delay_alu instid0(SALU_CYCLE_1)
	s_and_b32 exec_lo, exec_lo, s17
	s_cbranch_execnz .LBB856_107
	s_branch .LBB856_108
.LBB856_179:
	s_and_saveexec_b32 s17, s14
	s_cbranch_execnz .LBB856_239
; %bb.180:
	s_or_b32 exec_lo, exec_lo, s17
	s_and_saveexec_b32 s17, s13
	s_cbranch_execnz .LBB856_240
.LBB856_181:
	s_or_b32 exec_lo, exec_lo, s17
	s_and_saveexec_b32 s17, s12
	s_cbranch_execnz .LBB856_241
.LBB856_182:
	s_or_b32 exec_lo, exec_lo, s17
	s_and_saveexec_b32 s17, s11
	s_cbranch_execnz .LBB856_242
.LBB856_183:
	s_or_b32 exec_lo, exec_lo, s17
	s_and_saveexec_b32 s17, s10
	s_cbranch_execnz .LBB856_243
.LBB856_184:
	s_or_b32 exec_lo, exec_lo, s17
	s_and_saveexec_b32 s17, s9
	s_cbranch_execnz .LBB856_244
.LBB856_185:
	s_or_b32 exec_lo, exec_lo, s17
	s_and_saveexec_b32 s17, s8
	s_cbranch_execnz .LBB856_245
.LBB856_186:
	s_or_b32 exec_lo, exec_lo, s17
	s_and_saveexec_b32 s17, s7
	s_cbranch_execnz .LBB856_246
.LBB856_187:
	s_or_b32 exec_lo, exec_lo, s17
	s_and_saveexec_b32 s17, s6
	s_cbranch_execnz .LBB856_247
.LBB856_188:
	s_or_b32 exec_lo, exec_lo, s17
	s_and_saveexec_b32 s17, s5
	s_cbranch_execnz .LBB856_248
.LBB856_189:
	s_or_b32 exec_lo, exec_lo, s17
	s_and_saveexec_b32 s17, s4
	s_cbranch_execnz .LBB856_249
.LBB856_190:
	s_or_b32 exec_lo, exec_lo, s17
	s_and_saveexec_b32 s17, s3
	s_cbranch_execnz .LBB856_250
.LBB856_191:
	s_or_b32 exec_lo, exec_lo, s17
	s_and_saveexec_b32 s17, s2
	s_cbranch_execnz .LBB856_251
.LBB856_192:
	s_or_b32 exec_lo, exec_lo, s17
	s_and_saveexec_b32 s17, s1
	s_cbranch_execz .LBB856_194
.LBB856_193:
	v_dual_sub_nc_u32 v11, v40, v7 :: v_dual_mov_b32 v13, 0
	v_mov_b32_e32 v12, v41
	v_readfirstlane_b32 s18, v4
	v_readfirstlane_b32 s19, v5
	global_store_b64 v11, v[12:13], s[18:19] scale_offset
.LBB856_194:
	s_wait_xcnt 0x0
	s_or_b32 exec_lo, exec_lo, s17
	s_delay_alu instid0(SALU_CYCLE_1)
	s_and_b32 s17, s0, exec_lo
	s_and_not1_saveexec_b32 s15, s15
	s_cbranch_execz .LBB856_131
.LBB856_195:
	v_dual_mov_b32 v13, 0 :: v_dual_mov_b32 v12, v59
	v_sub_nc_u32_e32 v11, v58, v7
	v_readfirstlane_b32 s18, v4
	v_readfirstlane_b32 s19, v5
	v_sub_nc_u32_e32 v14, v60, v7
	s_or_b32 s17, s17, exec_lo
	global_store_b64 v11, v[12:13], s[18:19] scale_offset
	s_wait_xcnt 0x0
	v_dual_mov_b32 v12, v63 :: v_dual_sub_nc_u32 v11, v62, v7
	global_store_b64 v11, v[12:13], s[18:19] scale_offset
	s_wait_xcnt 0x0
	v_dual_mov_b32 v12, v61 :: v_dual_sub_nc_u32 v11, v56, v7
	;; [unrolled: 3-line block ×12, first 2 shown]
	global_store_b64 v14, v[12:13], s[18:19] scale_offset
	s_wait_xcnt 0x0
	v_mov_b32_e32 v12, v41
	global_store_b64 v11, v[12:13], s[18:19] scale_offset
	s_wait_xcnt 0x0
	s_or_b32 exec_lo, exec_lo, s15
	s_delay_alu instid0(SALU_CYCLE_1)
	s_and_b32 exec_lo, exec_lo, s17
	s_cbranch_execnz .LBB856_132
	s_branch .LBB856_133
.LBB856_196:
	s_and_saveexec_b32 s17, s14
	s_cbranch_execnz .LBB856_252
; %bb.197:
	s_or_b32 exec_lo, exec_lo, s17
	s_and_saveexec_b32 s14, s13
	s_cbranch_execnz .LBB856_253
.LBB856_198:
	s_or_b32 exec_lo, exec_lo, s14
	s_and_saveexec_b32 s13, s12
	s_cbranch_execnz .LBB856_254
.LBB856_199:
	s_or_b32 exec_lo, exec_lo, s13
	s_and_saveexec_b32 s12, s11
	s_cbranch_execnz .LBB856_255
.LBB856_200:
	s_or_b32 exec_lo, exec_lo, s12
	s_and_saveexec_b32 s11, s10
	s_cbranch_execnz .LBB856_256
.LBB856_201:
	s_or_b32 exec_lo, exec_lo, s11
	s_and_saveexec_b32 s10, s9
	s_cbranch_execnz .LBB856_257
.LBB856_202:
	s_or_b32 exec_lo, exec_lo, s10
	s_and_saveexec_b32 s9, s8
	s_cbranch_execnz .LBB856_258
.LBB856_203:
	s_or_b32 exec_lo, exec_lo, s9
	s_and_saveexec_b32 s8, s7
	s_cbranch_execnz .LBB856_259
.LBB856_204:
	s_or_b32 exec_lo, exec_lo, s8
	s_and_saveexec_b32 s7, s6
	s_cbranch_execnz .LBB856_260
.LBB856_205:
	s_or_b32 exec_lo, exec_lo, s7
	s_and_saveexec_b32 s6, s5
	s_cbranch_execnz .LBB856_261
.LBB856_206:
	s_or_b32 exec_lo, exec_lo, s6
	s_and_saveexec_b32 s5, s4
	s_cbranch_execnz .LBB856_262
.LBB856_207:
	s_or_b32 exec_lo, exec_lo, s5
	s_and_saveexec_b32 s4, s3
	s_cbranch_execnz .LBB856_263
.LBB856_208:
	s_or_b32 exec_lo, exec_lo, s4
	s_and_saveexec_b32 s3, s2
	s_cbranch_execnz .LBB856_264
.LBB856_209:
	s_or_b32 exec_lo, exec_lo, s3
	s_and_saveexec_b32 s2, s1
.LBB856_210:
	v_sub_nc_u32_e32 v10, v40, v7
	s_delay_alu instid0(VALU_DEP_1)
	v_lshlrev_b32_e32 v10, 2, v10
	ds_store_b32 v10, v41
.LBB856_211:
	s_or_b32 exec_lo, exec_lo, s2
	s_delay_alu instid0(SALU_CYCLE_1)
	s_and_b32 s17, s0, exec_lo
                                        ; implicit-def: $vgpr40_vgpr41
                                        ; implicit-def: $vgpr46_vgpr47
                                        ; implicit-def: $vgpr42_vgpr43
                                        ; implicit-def: $vgpr58_vgpr59
                                        ; implicit-def: $vgpr62_vgpr63
                                        ; implicit-def: $vgpr60_vgpr61
                                        ; implicit-def: $vgpr56_vgpr57
                                        ; implicit-def: $vgpr52_vgpr53
                                        ; implicit-def: $vgpr48_vgpr49
                                        ; implicit-def: $vgpr44_vgpr45
                                        ; implicit-def: $vgpr50_vgpr51
                                        ; implicit-def: $vgpr54_vgpr55
                                        ; implicit-def: $vgpr36_vgpr37
                                        ; implicit-def: $vgpr38_vgpr39
	s_and_not1_saveexec_b32 s0, s16
	s_cbranch_execz .LBB856_137
.LBB856_212:
	v_dual_sub_nc_u32 v10, v58, v7 :: v_dual_sub_nc_u32 v12, v60, v7
	v_dual_sub_nc_u32 v11, v62, v7 :: v_dual_sub_nc_u32 v13, v56, v7
	s_or_b32 s17, s17, exec_lo
	s_delay_alu instid0(VALU_DEP_2) | instskip(NEXT) | instid1(VALU_DEP_2)
	v_dual_lshlrev_b32 v10, 2, v10 :: v_dual_lshlrev_b32 v12, 2, v12
	v_dual_lshlrev_b32 v11, 2, v11 :: v_dual_lshlrev_b32 v13, 2, v13
	ds_store_b32 v10, v59
	ds_store_b32 v11, v63
	;; [unrolled: 1-line block ×3, first 2 shown]
	v_sub_nc_u32_e32 v10, v52, v7
	ds_store_b32 v13, v57
	v_dual_sub_nc_u32 v13, v50, v7 :: v_dual_sub_nc_u32 v11, v48, v7
	v_dual_sub_nc_u32 v12, v44, v7 :: v_dual_sub_nc_u32 v14, v54, v7
	s_delay_alu instid0(VALU_DEP_2) | instskip(NEXT) | instid1(VALU_DEP_2)
	v_dual_lshlrev_b32 v10, 2, v10 :: v_dual_lshlrev_b32 v13, 2, v13
	v_dual_lshlrev_b32 v11, 2, v11 :: v_dual_lshlrev_b32 v12, 2, v12
	ds_store_b32 v10, v53
	v_lshlrev_b32_e32 v10, 2, v14
	ds_store_b32 v11, v49
	ds_store_b32 v12, v45
	;; [unrolled: 1-line block ×3, first 2 shown]
	v_dual_sub_nc_u32 v11, v36, v7 :: v_dual_sub_nc_u32 v12, v42, v7
	v_sub_nc_u32_e32 v14, v40, v7
	ds_store_b32 v10, v55
	v_sub_nc_u32_e32 v10, v38, v7
	v_sub_nc_u32_e32 v13, v46, v7
	v_dual_lshlrev_b32 v11, 2, v11 :: v_dual_lshlrev_b32 v12, 2, v12
	s_delay_alu instid0(VALU_DEP_2)
	v_dual_lshlrev_b32 v10, 2, v10 :: v_dual_lshlrev_b32 v13, 2, v13
	ds_store_b32 v11, v37
	v_lshlrev_b32_e32 v11, 2, v14
	ds_store_b32 v10, v39
	ds_store_b32 v12, v43
	;; [unrolled: 1-line block ×4, first 2 shown]
	s_or_b32 exec_lo, exec_lo, s0
	s_delay_alu instid0(SALU_CYCLE_1)
	s_and_b32 exec_lo, exec_lo, s17
	s_cbranch_execnz .LBB856_138
	s_branch .LBB856_139
.LBB856_213:
	v_sub_nc_u32_e32 v10, v58, v8
	v_readfirstlane_b32 s18, v20
	v_readfirstlane_b32 s19, v21
	global_store_b16 v10, v2, s[18:19] scale_offset
	s_wait_xcnt 0x0
	s_or_b32 exec_lo, exec_lo, s17
	s_and_saveexec_b32 s17, s13
	s_cbranch_execz .LBB856_147
.LBB856_214:
	v_sub_nc_u32_e32 v10, v62, v8
	v_readfirstlane_b32 s18, v20
	v_readfirstlane_b32 s19, v21
	global_store_d16_hi_b16 v10, v2, s[18:19] scale_offset
	s_wait_xcnt 0x0
	s_or_b32 exec_lo, exec_lo, s17
	s_and_saveexec_b32 s17, s12
	s_cbranch_execz .LBB856_148
.LBB856_215:
	v_sub_nc_u32_e32 v10, v60, v8
	v_readfirstlane_b32 s18, v20
	v_readfirstlane_b32 s19, v21
	global_store_b16 v10, v3, s[18:19] scale_offset
	s_wait_xcnt 0x0
	s_or_b32 exec_lo, exec_lo, s17
	s_and_saveexec_b32 s17, s11
	s_cbranch_execz .LBB856_149
.LBB856_216:
	v_sub_nc_u32_e32 v10, v56, v8
	v_readfirstlane_b32 s18, v20
	v_readfirstlane_b32 s19, v21
	global_store_d16_hi_b16 v10, v3, s[18:19] scale_offset
	s_wait_xcnt 0x0
	s_or_b32 exec_lo, exec_lo, s17
	s_and_saveexec_b32 s17, s10
	s_cbranch_execz .LBB856_150
.LBB856_217:
	v_sub_nc_u32_e32 v10, v52, v8
	v_readfirstlane_b32 s18, v20
	v_readfirstlane_b32 s19, v21
	global_store_b16 v10, v4, s[18:19] scale_offset
	s_wait_xcnt 0x0
	s_or_b32 exec_lo, exec_lo, s17
	s_and_saveexec_b32 s17, s9
	s_cbranch_execz .LBB856_151
.LBB856_218:
	v_sub_nc_u32_e32 v10, v48, v8
	v_readfirstlane_b32 s18, v20
	v_readfirstlane_b32 s19, v21
	global_store_d16_hi_b16 v10, v4, s[18:19] scale_offset
	s_wait_xcnt 0x0
	s_or_b32 exec_lo, exec_lo, s17
	s_and_saveexec_b32 s17, s8
	s_cbranch_execz .LBB856_152
.LBB856_219:
	v_sub_nc_u32_e32 v10, v44, v8
	v_readfirstlane_b32 s18, v20
	v_readfirstlane_b32 s19, v21
	global_store_b16 v10, v5, s[18:19] scale_offset
	s_wait_xcnt 0x0
	s_or_b32 exec_lo, exec_lo, s17
	s_and_saveexec_b32 s17, s7
	s_cbranch_execz .LBB856_153
.LBB856_220:
	v_sub_nc_u32_e32 v10, v50, v8
	v_readfirstlane_b32 s18, v20
	v_readfirstlane_b32 s19, v21
	global_store_d16_hi_b16 v10, v5, s[18:19] scale_offset
	s_wait_xcnt 0x0
	s_or_b32 exec_lo, exec_lo, s17
	s_and_saveexec_b32 s17, s6
	s_cbranch_execz .LBB856_154
.LBB856_221:
	v_sub_nc_u32_e32 v10, v54, v8
	v_readfirstlane_b32 s18, v20
	v_readfirstlane_b32 s19, v21
	global_store_b16 v10, v14, s[18:19] scale_offset
	s_wait_xcnt 0x0
	s_or_b32 exec_lo, exec_lo, s17
	s_and_saveexec_b32 s17, s5
	s_cbranch_execz .LBB856_155
.LBB856_222:
	v_sub_nc_u32_e32 v10, v36, v8
	v_readfirstlane_b32 s18, v20
	v_readfirstlane_b32 s19, v21
	global_store_d16_hi_b16 v10, v14, s[18:19] scale_offset
	s_wait_xcnt 0x0
	s_or_b32 exec_lo, exec_lo, s17
	s_and_saveexec_b32 s17, s4
	s_cbranch_execz .LBB856_156
.LBB856_223:
	v_sub_nc_u32_e32 v10, v38, v8
	v_readfirstlane_b32 s18, v20
	v_readfirstlane_b32 s19, v21
	global_store_b16 v10, v15, s[18:19] scale_offset
	s_wait_xcnt 0x0
	s_or_b32 exec_lo, exec_lo, s17
	s_and_saveexec_b32 s17, s3
	s_cbranch_execz .LBB856_157
.LBB856_224:
	v_sub_nc_u32_e32 v10, v42, v8
	v_readfirstlane_b32 s18, v20
	v_readfirstlane_b32 s19, v21
	global_store_d16_hi_b16 v10, v15, s[18:19] scale_offset
	s_wait_xcnt 0x0
	s_or_b32 exec_lo, exec_lo, s17
	s_and_saveexec_b32 s17, s2
	s_cbranch_execz .LBB856_158
.LBB856_225:
	v_sub_nc_u32_e32 v10, v46, v8
	v_readfirstlane_b32 s18, v20
	v_readfirstlane_b32 s19, v21
	global_store_b16 v10, v16, s[18:19] scale_offset
	s_wait_xcnt 0x0
	s_or_b32 exec_lo, exec_lo, s17
	s_and_saveexec_b32 s17, s1
	s_cbranch_execnz .LBB856_159
	s_branch .LBB856_160
.LBB856_226:
	v_sub_nc_u32_e32 v7, v58, v8
	s_delay_alu instid0(VALU_DEP_1)
	v_lshlrev_b32_e32 v7, 1, v7
	ds_store_b16 v7, v2
	s_or_b32 exec_lo, exec_lo, s17
	s_and_saveexec_b32 s14, s13
	s_cbranch_execz .LBB856_164
.LBB856_227:
	v_sub_nc_u32_e32 v7, v62, v8
	s_delay_alu instid0(VALU_DEP_1)
	v_lshlrev_b32_e32 v7, 1, v7
	ds_store_b16_d16_hi v7, v2
	s_or_b32 exec_lo, exec_lo, s14
	s_and_saveexec_b32 s13, s12
	s_cbranch_execz .LBB856_165
.LBB856_228:
	v_sub_nc_u32_e32 v2, v60, v8
	s_delay_alu instid0(VALU_DEP_1)
	v_lshlrev_b32_e32 v2, 1, v2
	ds_store_b16 v2, v3
	s_or_b32 exec_lo, exec_lo, s13
	s_and_saveexec_b32 s12, s11
	s_cbranch_execz .LBB856_166
.LBB856_229:
	v_sub_nc_u32_e32 v2, v56, v8
	s_delay_alu instid0(VALU_DEP_1)
	v_lshlrev_b32_e32 v2, 1, v2
	ds_store_b16_d16_hi v2, v3
	s_or_b32 exec_lo, exec_lo, s12
	s_and_saveexec_b32 s11, s10
	s_cbranch_execz .LBB856_167
.LBB856_230:
	v_sub_nc_u32_e32 v2, v52, v8
	s_delay_alu instid0(VALU_DEP_1)
	v_lshlrev_b32_e32 v2, 1, v2
	ds_store_b16 v2, v4
	s_or_b32 exec_lo, exec_lo, s11
	s_and_saveexec_b32 s10, s9
	s_cbranch_execz .LBB856_168
.LBB856_231:
	v_sub_nc_u32_e32 v2, v48, v8
	s_delay_alu instid0(VALU_DEP_1)
	v_lshlrev_b32_e32 v2, 1, v2
	ds_store_b16_d16_hi v2, v4
	s_or_b32 exec_lo, exec_lo, s10
	s_and_saveexec_b32 s9, s8
	s_cbranch_execz .LBB856_169
.LBB856_232:
	v_sub_nc_u32_e32 v2, v44, v8
	s_delay_alu instid0(VALU_DEP_1)
	v_lshlrev_b32_e32 v2, 1, v2
	ds_store_b16 v2, v5
	s_or_b32 exec_lo, exec_lo, s9
	s_and_saveexec_b32 s8, s7
	s_cbranch_execz .LBB856_170
.LBB856_233:
	v_sub_nc_u32_e32 v2, v50, v8
	s_delay_alu instid0(VALU_DEP_1)
	v_lshlrev_b32_e32 v2, 1, v2
	ds_store_b16_d16_hi v2, v5
	s_or_b32 exec_lo, exec_lo, s8
	s_and_saveexec_b32 s7, s6
	s_cbranch_execz .LBB856_171
.LBB856_234:
	v_sub_nc_u32_e32 v2, v54, v8
	s_delay_alu instid0(VALU_DEP_1)
	v_lshlrev_b32_e32 v2, 1, v2
	ds_store_b16 v2, v14
	s_or_b32 exec_lo, exec_lo, s7
	s_and_saveexec_b32 s6, s5
	s_cbranch_execz .LBB856_172
.LBB856_235:
	v_sub_nc_u32_e32 v2, v36, v8
	s_delay_alu instid0(VALU_DEP_1)
	v_lshlrev_b32_e32 v2, 1, v2
	ds_store_b16_d16_hi v2, v14
	s_or_b32 exec_lo, exec_lo, s6
	s_and_saveexec_b32 s5, s4
	s_cbranch_execz .LBB856_173
.LBB856_236:
	v_sub_nc_u32_e32 v2, v38, v8
	s_delay_alu instid0(VALU_DEP_1)
	v_lshlrev_b32_e32 v2, 1, v2
	ds_store_b16 v2, v15
	s_or_b32 exec_lo, exec_lo, s5
	s_and_saveexec_b32 s4, s3
	s_cbranch_execz .LBB856_174
.LBB856_237:
	v_sub_nc_u32_e32 v2, v42, v8
	s_delay_alu instid0(VALU_DEP_1)
	v_lshlrev_b32_e32 v2, 1, v2
	ds_store_b16_d16_hi v2, v15
	s_or_b32 exec_lo, exec_lo, s4
	s_and_saveexec_b32 s3, s2
	s_cbranch_execz .LBB856_175
.LBB856_238:
	v_sub_nc_u32_e32 v2, v46, v8
	s_delay_alu instid0(VALU_DEP_1)
	v_lshlrev_b32_e32 v2, 1, v2
	ds_store_b16 v2, v16
	s_or_b32 exec_lo, exec_lo, s3
	s_and_saveexec_b32 s2, s1
	s_cbranch_execnz .LBB856_176
	s_branch .LBB856_177
.LBB856_239:
	v_dual_sub_nc_u32 v11, v58, v7 :: v_dual_mov_b32 v13, 0
	v_mov_b32_e32 v12, v59
	v_readfirstlane_b32 s18, v4
	v_readfirstlane_b32 s19, v5
	global_store_b64 v11, v[12:13], s[18:19] scale_offset
	s_wait_xcnt 0x0
	s_or_b32 exec_lo, exec_lo, s17
	s_and_saveexec_b32 s17, s13
	s_cbranch_execz .LBB856_181
.LBB856_240:
	v_dual_sub_nc_u32 v11, v62, v7 :: v_dual_mov_b32 v13, 0
	v_mov_b32_e32 v12, v63
	v_readfirstlane_b32 s18, v4
	v_readfirstlane_b32 s19, v5
	global_store_b64 v11, v[12:13], s[18:19] scale_offset
	s_wait_xcnt 0x0
	s_or_b32 exec_lo, exec_lo, s17
	s_and_saveexec_b32 s17, s12
	s_cbranch_execz .LBB856_182
.LBB856_241:
	v_dual_sub_nc_u32 v11, v60, v7 :: v_dual_mov_b32 v13, 0
	v_mov_b32_e32 v12, v61
	v_readfirstlane_b32 s18, v4
	v_readfirstlane_b32 s19, v5
	global_store_b64 v11, v[12:13], s[18:19] scale_offset
	s_wait_xcnt 0x0
	s_or_b32 exec_lo, exec_lo, s17
	s_and_saveexec_b32 s17, s11
	s_cbranch_execz .LBB856_183
.LBB856_242:
	v_dual_sub_nc_u32 v11, v56, v7 :: v_dual_mov_b32 v13, 0
	v_mov_b32_e32 v12, v57
	v_readfirstlane_b32 s18, v4
	v_readfirstlane_b32 s19, v5
	global_store_b64 v11, v[12:13], s[18:19] scale_offset
	s_wait_xcnt 0x0
	s_or_b32 exec_lo, exec_lo, s17
	s_and_saveexec_b32 s17, s10
	s_cbranch_execz .LBB856_184
.LBB856_243:
	v_dual_sub_nc_u32 v11, v52, v7 :: v_dual_mov_b32 v13, 0
	v_mov_b32_e32 v12, v53
	v_readfirstlane_b32 s18, v4
	v_readfirstlane_b32 s19, v5
	global_store_b64 v11, v[12:13], s[18:19] scale_offset
	s_wait_xcnt 0x0
	s_or_b32 exec_lo, exec_lo, s17
	s_and_saveexec_b32 s17, s9
	s_cbranch_execz .LBB856_185
.LBB856_244:
	v_dual_sub_nc_u32 v11, v48, v7 :: v_dual_mov_b32 v13, 0
	v_mov_b32_e32 v12, v49
	v_readfirstlane_b32 s18, v4
	v_readfirstlane_b32 s19, v5
	global_store_b64 v11, v[12:13], s[18:19] scale_offset
	s_wait_xcnt 0x0
	s_or_b32 exec_lo, exec_lo, s17
	s_and_saveexec_b32 s17, s8
	s_cbranch_execz .LBB856_186
.LBB856_245:
	v_dual_sub_nc_u32 v11, v44, v7 :: v_dual_mov_b32 v13, 0
	v_mov_b32_e32 v12, v45
	v_readfirstlane_b32 s18, v4
	v_readfirstlane_b32 s19, v5
	global_store_b64 v11, v[12:13], s[18:19] scale_offset
	s_wait_xcnt 0x0
	s_or_b32 exec_lo, exec_lo, s17
	s_and_saveexec_b32 s17, s7
	s_cbranch_execz .LBB856_187
.LBB856_246:
	v_dual_sub_nc_u32 v11, v50, v7 :: v_dual_mov_b32 v13, 0
	v_mov_b32_e32 v12, v51
	v_readfirstlane_b32 s18, v4
	v_readfirstlane_b32 s19, v5
	global_store_b64 v11, v[12:13], s[18:19] scale_offset
	s_wait_xcnt 0x0
	s_or_b32 exec_lo, exec_lo, s17
	s_and_saveexec_b32 s17, s6
	s_cbranch_execz .LBB856_188
.LBB856_247:
	v_dual_sub_nc_u32 v11, v54, v7 :: v_dual_mov_b32 v13, 0
	v_mov_b32_e32 v12, v55
	v_readfirstlane_b32 s18, v4
	v_readfirstlane_b32 s19, v5
	global_store_b64 v11, v[12:13], s[18:19] scale_offset
	s_wait_xcnt 0x0
	s_or_b32 exec_lo, exec_lo, s17
	s_and_saveexec_b32 s17, s5
	s_cbranch_execz .LBB856_189
.LBB856_248:
	v_dual_sub_nc_u32 v11, v36, v7 :: v_dual_mov_b32 v13, 0
	v_mov_b32_e32 v12, v37
	v_readfirstlane_b32 s18, v4
	v_readfirstlane_b32 s19, v5
	global_store_b64 v11, v[12:13], s[18:19] scale_offset
	s_wait_xcnt 0x0
	s_or_b32 exec_lo, exec_lo, s17
	s_and_saveexec_b32 s17, s4
	s_cbranch_execz .LBB856_190
.LBB856_249:
	v_dual_sub_nc_u32 v11, v38, v7 :: v_dual_mov_b32 v13, 0
	v_mov_b32_e32 v12, v39
	v_readfirstlane_b32 s18, v4
	v_readfirstlane_b32 s19, v5
	global_store_b64 v11, v[12:13], s[18:19] scale_offset
	s_wait_xcnt 0x0
	s_or_b32 exec_lo, exec_lo, s17
	s_and_saveexec_b32 s17, s3
	s_cbranch_execz .LBB856_191
.LBB856_250:
	v_dual_sub_nc_u32 v11, v42, v7 :: v_dual_mov_b32 v13, 0
	v_mov_b32_e32 v12, v43
	v_readfirstlane_b32 s18, v4
	v_readfirstlane_b32 s19, v5
	global_store_b64 v11, v[12:13], s[18:19] scale_offset
	s_wait_xcnt 0x0
	s_or_b32 exec_lo, exec_lo, s17
	s_and_saveexec_b32 s17, s2
	s_cbranch_execz .LBB856_192
.LBB856_251:
	v_dual_sub_nc_u32 v11, v46, v7 :: v_dual_mov_b32 v13, 0
	v_mov_b32_e32 v12, v47
	v_readfirstlane_b32 s18, v4
	v_readfirstlane_b32 s19, v5
	global_store_b64 v11, v[12:13], s[18:19] scale_offset
	s_wait_xcnt 0x0
	s_or_b32 exec_lo, exec_lo, s17
	s_and_saveexec_b32 s17, s1
	s_cbranch_execnz .LBB856_193
	s_branch .LBB856_194
.LBB856_252:
	v_sub_nc_u32_e32 v10, v58, v7
	s_delay_alu instid0(VALU_DEP_1)
	v_lshlrev_b32_e32 v10, 2, v10
	ds_store_b32 v10, v59
	s_or_b32 exec_lo, exec_lo, s17
	s_and_saveexec_b32 s14, s13
	s_cbranch_execz .LBB856_198
.LBB856_253:
	v_sub_nc_u32_e32 v10, v62, v7
	s_delay_alu instid0(VALU_DEP_1)
	v_lshlrev_b32_e32 v10, 2, v10
	ds_store_b32 v10, v63
	s_or_b32 exec_lo, exec_lo, s14
	s_and_saveexec_b32 s13, s12
	s_cbranch_execz .LBB856_199
.LBB856_254:
	v_sub_nc_u32_e32 v10, v60, v7
	s_delay_alu instid0(VALU_DEP_1)
	v_lshlrev_b32_e32 v10, 2, v10
	ds_store_b32 v10, v61
	s_or_b32 exec_lo, exec_lo, s13
	s_and_saveexec_b32 s12, s11
	s_cbranch_execz .LBB856_200
.LBB856_255:
	v_sub_nc_u32_e32 v10, v56, v7
	s_delay_alu instid0(VALU_DEP_1)
	v_lshlrev_b32_e32 v10, 2, v10
	ds_store_b32 v10, v57
	s_or_b32 exec_lo, exec_lo, s12
	s_and_saveexec_b32 s11, s10
	s_cbranch_execz .LBB856_201
.LBB856_256:
	v_sub_nc_u32_e32 v10, v52, v7
	s_delay_alu instid0(VALU_DEP_1)
	v_lshlrev_b32_e32 v10, 2, v10
	ds_store_b32 v10, v53
	s_or_b32 exec_lo, exec_lo, s11
	s_and_saveexec_b32 s10, s9
	s_cbranch_execz .LBB856_202
.LBB856_257:
	v_sub_nc_u32_e32 v10, v48, v7
	s_delay_alu instid0(VALU_DEP_1)
	v_lshlrev_b32_e32 v10, 2, v10
	ds_store_b32 v10, v49
	s_or_b32 exec_lo, exec_lo, s10
	s_and_saveexec_b32 s9, s8
	s_cbranch_execz .LBB856_203
.LBB856_258:
	v_sub_nc_u32_e32 v10, v44, v7
	s_delay_alu instid0(VALU_DEP_1)
	v_lshlrev_b32_e32 v10, 2, v10
	ds_store_b32 v10, v45
	s_or_b32 exec_lo, exec_lo, s9
	s_and_saveexec_b32 s8, s7
	s_cbranch_execz .LBB856_204
.LBB856_259:
	v_sub_nc_u32_e32 v10, v50, v7
	s_delay_alu instid0(VALU_DEP_1)
	v_lshlrev_b32_e32 v10, 2, v10
	ds_store_b32 v10, v51
	s_or_b32 exec_lo, exec_lo, s8
	s_and_saveexec_b32 s7, s6
	s_cbranch_execz .LBB856_205
.LBB856_260:
	v_sub_nc_u32_e32 v10, v54, v7
	s_delay_alu instid0(VALU_DEP_1)
	v_lshlrev_b32_e32 v10, 2, v10
	ds_store_b32 v10, v55
	s_or_b32 exec_lo, exec_lo, s7
	s_and_saveexec_b32 s6, s5
	s_cbranch_execz .LBB856_206
.LBB856_261:
	v_sub_nc_u32_e32 v10, v36, v7
	s_delay_alu instid0(VALU_DEP_1)
	v_lshlrev_b32_e32 v10, 2, v10
	ds_store_b32 v10, v37
	s_or_b32 exec_lo, exec_lo, s6
	s_and_saveexec_b32 s5, s4
	s_cbranch_execz .LBB856_207
.LBB856_262:
	v_sub_nc_u32_e32 v10, v38, v7
	s_delay_alu instid0(VALU_DEP_1)
	v_lshlrev_b32_e32 v10, 2, v10
	ds_store_b32 v10, v39
	s_or_b32 exec_lo, exec_lo, s5
	s_and_saveexec_b32 s4, s3
	s_cbranch_execz .LBB856_208
.LBB856_263:
	v_sub_nc_u32_e32 v10, v42, v7
	s_delay_alu instid0(VALU_DEP_1)
	v_lshlrev_b32_e32 v10, 2, v10
	ds_store_b32 v10, v43
	s_or_b32 exec_lo, exec_lo, s4
	s_and_saveexec_b32 s3, s2
	s_cbranch_execz .LBB856_209
.LBB856_264:
	v_sub_nc_u32_e32 v10, v46, v7
	s_delay_alu instid0(VALU_DEP_1)
	v_lshlrev_b32_e32 v10, 2, v10
	ds_store_b32 v10, v47
	s_or_b32 exec_lo, exec_lo, s3
	s_and_saveexec_b32 s2, s1
	s_cbranch_execnz .LBB856_210
	s_branch .LBB856_211
	.section	.rodata,"a",@progbits
	.p2align	6, 0x0
	.amdhsa_kernel _ZN7rocprim17ROCPRIM_400000_NS6detail17trampoline_kernelINS0_14default_configENS1_33run_length_encode_config_selectorIN3c108BFloat16EjNS0_4plusIjEEEEZZNS1_33reduce_by_key_impl_wrapped_configILNS1_25lookback_scan_determinismE0ES3_S9_PKS6_NS0_17constant_iteratorIjlEEPS6_PlSH_S8_NS0_8equal_toIS6_EEEE10hipError_tPvRmT2_T3_mT4_T5_T6_T7_T8_P12ihipStream_tbENKUlT_T0_E_clISt17integral_constantIbLb0EES11_EEDaSW_SX_EUlSW_E_NS1_11comp_targetILNS1_3genE0ELNS1_11target_archE4294967295ELNS1_3gpuE0ELNS1_3repE0EEENS1_30default_config_static_selectorELNS0_4arch9wavefront6targetE0EEEvT1_
		.amdhsa_group_segment_fixed_size 15360
		.amdhsa_private_segment_fixed_size 0
		.amdhsa_kernarg_size 128
		.amdhsa_user_sgpr_count 2
		.amdhsa_user_sgpr_dispatch_ptr 0
		.amdhsa_user_sgpr_queue_ptr 0
		.amdhsa_user_sgpr_kernarg_segment_ptr 1
		.amdhsa_user_sgpr_dispatch_id 0
		.amdhsa_user_sgpr_kernarg_preload_length 0
		.amdhsa_user_sgpr_kernarg_preload_offset 0
		.amdhsa_user_sgpr_private_segment_size 0
		.amdhsa_wavefront_size32 1
		.amdhsa_uses_dynamic_stack 0
		.amdhsa_enable_private_segment 0
		.amdhsa_system_sgpr_workgroup_id_x 1
		.amdhsa_system_sgpr_workgroup_id_y 0
		.amdhsa_system_sgpr_workgroup_id_z 0
		.amdhsa_system_sgpr_workgroup_info 0
		.amdhsa_system_vgpr_workitem_id 0
		.amdhsa_next_free_vgpr 108
		.amdhsa_next_free_sgpr 48
		.amdhsa_named_barrier_count 0
		.amdhsa_reserve_vcc 1
		.amdhsa_float_round_mode_32 0
		.amdhsa_float_round_mode_16_64 0
		.amdhsa_float_denorm_mode_32 3
		.amdhsa_float_denorm_mode_16_64 3
		.amdhsa_fp16_overflow 0
		.amdhsa_memory_ordered 1
		.amdhsa_forward_progress 1
		.amdhsa_inst_pref_size 129
		.amdhsa_round_robin_scheduling 0
		.amdhsa_exception_fp_ieee_invalid_op 0
		.amdhsa_exception_fp_denorm_src 0
		.amdhsa_exception_fp_ieee_div_zero 0
		.amdhsa_exception_fp_ieee_overflow 0
		.amdhsa_exception_fp_ieee_underflow 0
		.amdhsa_exception_fp_ieee_inexact 0
		.amdhsa_exception_int_div_zero 0
	.end_amdhsa_kernel
	.section	.text._ZN7rocprim17ROCPRIM_400000_NS6detail17trampoline_kernelINS0_14default_configENS1_33run_length_encode_config_selectorIN3c108BFloat16EjNS0_4plusIjEEEEZZNS1_33reduce_by_key_impl_wrapped_configILNS1_25lookback_scan_determinismE0ES3_S9_PKS6_NS0_17constant_iteratorIjlEEPS6_PlSH_S8_NS0_8equal_toIS6_EEEE10hipError_tPvRmT2_T3_mT4_T5_T6_T7_T8_P12ihipStream_tbENKUlT_T0_E_clISt17integral_constantIbLb0EES11_EEDaSW_SX_EUlSW_E_NS1_11comp_targetILNS1_3genE0ELNS1_11target_archE4294967295ELNS1_3gpuE0ELNS1_3repE0EEENS1_30default_config_static_selectorELNS0_4arch9wavefront6targetE0EEEvT1_,"axG",@progbits,_ZN7rocprim17ROCPRIM_400000_NS6detail17trampoline_kernelINS0_14default_configENS1_33run_length_encode_config_selectorIN3c108BFloat16EjNS0_4plusIjEEEEZZNS1_33reduce_by_key_impl_wrapped_configILNS1_25lookback_scan_determinismE0ES3_S9_PKS6_NS0_17constant_iteratorIjlEEPS6_PlSH_S8_NS0_8equal_toIS6_EEEE10hipError_tPvRmT2_T3_mT4_T5_T6_T7_T8_P12ihipStream_tbENKUlT_T0_E_clISt17integral_constantIbLb0EES11_EEDaSW_SX_EUlSW_E_NS1_11comp_targetILNS1_3genE0ELNS1_11target_archE4294967295ELNS1_3gpuE0ELNS1_3repE0EEENS1_30default_config_static_selectorELNS0_4arch9wavefront6targetE0EEEvT1_,comdat
.Lfunc_end856:
	.size	_ZN7rocprim17ROCPRIM_400000_NS6detail17trampoline_kernelINS0_14default_configENS1_33run_length_encode_config_selectorIN3c108BFloat16EjNS0_4plusIjEEEEZZNS1_33reduce_by_key_impl_wrapped_configILNS1_25lookback_scan_determinismE0ES3_S9_PKS6_NS0_17constant_iteratorIjlEEPS6_PlSH_S8_NS0_8equal_toIS6_EEEE10hipError_tPvRmT2_T3_mT4_T5_T6_T7_T8_P12ihipStream_tbENKUlT_T0_E_clISt17integral_constantIbLb0EES11_EEDaSW_SX_EUlSW_E_NS1_11comp_targetILNS1_3genE0ELNS1_11target_archE4294967295ELNS1_3gpuE0ELNS1_3repE0EEENS1_30default_config_static_selectorELNS0_4arch9wavefront6targetE0EEEvT1_, .Lfunc_end856-_ZN7rocprim17ROCPRIM_400000_NS6detail17trampoline_kernelINS0_14default_configENS1_33run_length_encode_config_selectorIN3c108BFloat16EjNS0_4plusIjEEEEZZNS1_33reduce_by_key_impl_wrapped_configILNS1_25lookback_scan_determinismE0ES3_S9_PKS6_NS0_17constant_iteratorIjlEEPS6_PlSH_S8_NS0_8equal_toIS6_EEEE10hipError_tPvRmT2_T3_mT4_T5_T6_T7_T8_P12ihipStream_tbENKUlT_T0_E_clISt17integral_constantIbLb0EES11_EEDaSW_SX_EUlSW_E_NS1_11comp_targetILNS1_3genE0ELNS1_11target_archE4294967295ELNS1_3gpuE0ELNS1_3repE0EEENS1_30default_config_static_selectorELNS0_4arch9wavefront6targetE0EEEvT1_
                                        ; -- End function
	.set _ZN7rocprim17ROCPRIM_400000_NS6detail17trampoline_kernelINS0_14default_configENS1_33run_length_encode_config_selectorIN3c108BFloat16EjNS0_4plusIjEEEEZZNS1_33reduce_by_key_impl_wrapped_configILNS1_25lookback_scan_determinismE0ES3_S9_PKS6_NS0_17constant_iteratorIjlEEPS6_PlSH_S8_NS0_8equal_toIS6_EEEE10hipError_tPvRmT2_T3_mT4_T5_T6_T7_T8_P12ihipStream_tbENKUlT_T0_E_clISt17integral_constantIbLb0EES11_EEDaSW_SX_EUlSW_E_NS1_11comp_targetILNS1_3genE0ELNS1_11target_archE4294967295ELNS1_3gpuE0ELNS1_3repE0EEENS1_30default_config_static_selectorELNS0_4arch9wavefront6targetE0EEEvT1_.num_vgpr, 108
	.set _ZN7rocprim17ROCPRIM_400000_NS6detail17trampoline_kernelINS0_14default_configENS1_33run_length_encode_config_selectorIN3c108BFloat16EjNS0_4plusIjEEEEZZNS1_33reduce_by_key_impl_wrapped_configILNS1_25lookback_scan_determinismE0ES3_S9_PKS6_NS0_17constant_iteratorIjlEEPS6_PlSH_S8_NS0_8equal_toIS6_EEEE10hipError_tPvRmT2_T3_mT4_T5_T6_T7_T8_P12ihipStream_tbENKUlT_T0_E_clISt17integral_constantIbLb0EES11_EEDaSW_SX_EUlSW_E_NS1_11comp_targetILNS1_3genE0ELNS1_11target_archE4294967295ELNS1_3gpuE0ELNS1_3repE0EEENS1_30default_config_static_selectorELNS0_4arch9wavefront6targetE0EEEvT1_.num_agpr, 0
	.set _ZN7rocprim17ROCPRIM_400000_NS6detail17trampoline_kernelINS0_14default_configENS1_33run_length_encode_config_selectorIN3c108BFloat16EjNS0_4plusIjEEEEZZNS1_33reduce_by_key_impl_wrapped_configILNS1_25lookback_scan_determinismE0ES3_S9_PKS6_NS0_17constant_iteratorIjlEEPS6_PlSH_S8_NS0_8equal_toIS6_EEEE10hipError_tPvRmT2_T3_mT4_T5_T6_T7_T8_P12ihipStream_tbENKUlT_T0_E_clISt17integral_constantIbLb0EES11_EEDaSW_SX_EUlSW_E_NS1_11comp_targetILNS1_3genE0ELNS1_11target_archE4294967295ELNS1_3gpuE0ELNS1_3repE0EEENS1_30default_config_static_selectorELNS0_4arch9wavefront6targetE0EEEvT1_.numbered_sgpr, 48
	.set _ZN7rocprim17ROCPRIM_400000_NS6detail17trampoline_kernelINS0_14default_configENS1_33run_length_encode_config_selectorIN3c108BFloat16EjNS0_4plusIjEEEEZZNS1_33reduce_by_key_impl_wrapped_configILNS1_25lookback_scan_determinismE0ES3_S9_PKS6_NS0_17constant_iteratorIjlEEPS6_PlSH_S8_NS0_8equal_toIS6_EEEE10hipError_tPvRmT2_T3_mT4_T5_T6_T7_T8_P12ihipStream_tbENKUlT_T0_E_clISt17integral_constantIbLb0EES11_EEDaSW_SX_EUlSW_E_NS1_11comp_targetILNS1_3genE0ELNS1_11target_archE4294967295ELNS1_3gpuE0ELNS1_3repE0EEENS1_30default_config_static_selectorELNS0_4arch9wavefront6targetE0EEEvT1_.num_named_barrier, 0
	.set _ZN7rocprim17ROCPRIM_400000_NS6detail17trampoline_kernelINS0_14default_configENS1_33run_length_encode_config_selectorIN3c108BFloat16EjNS0_4plusIjEEEEZZNS1_33reduce_by_key_impl_wrapped_configILNS1_25lookback_scan_determinismE0ES3_S9_PKS6_NS0_17constant_iteratorIjlEEPS6_PlSH_S8_NS0_8equal_toIS6_EEEE10hipError_tPvRmT2_T3_mT4_T5_T6_T7_T8_P12ihipStream_tbENKUlT_T0_E_clISt17integral_constantIbLb0EES11_EEDaSW_SX_EUlSW_E_NS1_11comp_targetILNS1_3genE0ELNS1_11target_archE4294967295ELNS1_3gpuE0ELNS1_3repE0EEENS1_30default_config_static_selectorELNS0_4arch9wavefront6targetE0EEEvT1_.private_seg_size, 0
	.set _ZN7rocprim17ROCPRIM_400000_NS6detail17trampoline_kernelINS0_14default_configENS1_33run_length_encode_config_selectorIN3c108BFloat16EjNS0_4plusIjEEEEZZNS1_33reduce_by_key_impl_wrapped_configILNS1_25lookback_scan_determinismE0ES3_S9_PKS6_NS0_17constant_iteratorIjlEEPS6_PlSH_S8_NS0_8equal_toIS6_EEEE10hipError_tPvRmT2_T3_mT4_T5_T6_T7_T8_P12ihipStream_tbENKUlT_T0_E_clISt17integral_constantIbLb0EES11_EEDaSW_SX_EUlSW_E_NS1_11comp_targetILNS1_3genE0ELNS1_11target_archE4294967295ELNS1_3gpuE0ELNS1_3repE0EEENS1_30default_config_static_selectorELNS0_4arch9wavefront6targetE0EEEvT1_.uses_vcc, 1
	.set _ZN7rocprim17ROCPRIM_400000_NS6detail17trampoline_kernelINS0_14default_configENS1_33run_length_encode_config_selectorIN3c108BFloat16EjNS0_4plusIjEEEEZZNS1_33reduce_by_key_impl_wrapped_configILNS1_25lookback_scan_determinismE0ES3_S9_PKS6_NS0_17constant_iteratorIjlEEPS6_PlSH_S8_NS0_8equal_toIS6_EEEE10hipError_tPvRmT2_T3_mT4_T5_T6_T7_T8_P12ihipStream_tbENKUlT_T0_E_clISt17integral_constantIbLb0EES11_EEDaSW_SX_EUlSW_E_NS1_11comp_targetILNS1_3genE0ELNS1_11target_archE4294967295ELNS1_3gpuE0ELNS1_3repE0EEENS1_30default_config_static_selectorELNS0_4arch9wavefront6targetE0EEEvT1_.uses_flat_scratch, 0
	.set _ZN7rocprim17ROCPRIM_400000_NS6detail17trampoline_kernelINS0_14default_configENS1_33run_length_encode_config_selectorIN3c108BFloat16EjNS0_4plusIjEEEEZZNS1_33reduce_by_key_impl_wrapped_configILNS1_25lookback_scan_determinismE0ES3_S9_PKS6_NS0_17constant_iteratorIjlEEPS6_PlSH_S8_NS0_8equal_toIS6_EEEE10hipError_tPvRmT2_T3_mT4_T5_T6_T7_T8_P12ihipStream_tbENKUlT_T0_E_clISt17integral_constantIbLb0EES11_EEDaSW_SX_EUlSW_E_NS1_11comp_targetILNS1_3genE0ELNS1_11target_archE4294967295ELNS1_3gpuE0ELNS1_3repE0EEENS1_30default_config_static_selectorELNS0_4arch9wavefront6targetE0EEEvT1_.has_dyn_sized_stack, 0
	.set _ZN7rocprim17ROCPRIM_400000_NS6detail17trampoline_kernelINS0_14default_configENS1_33run_length_encode_config_selectorIN3c108BFloat16EjNS0_4plusIjEEEEZZNS1_33reduce_by_key_impl_wrapped_configILNS1_25lookback_scan_determinismE0ES3_S9_PKS6_NS0_17constant_iteratorIjlEEPS6_PlSH_S8_NS0_8equal_toIS6_EEEE10hipError_tPvRmT2_T3_mT4_T5_T6_T7_T8_P12ihipStream_tbENKUlT_T0_E_clISt17integral_constantIbLb0EES11_EEDaSW_SX_EUlSW_E_NS1_11comp_targetILNS1_3genE0ELNS1_11target_archE4294967295ELNS1_3gpuE0ELNS1_3repE0EEENS1_30default_config_static_selectorELNS0_4arch9wavefront6targetE0EEEvT1_.has_recursion, 0
	.set _ZN7rocprim17ROCPRIM_400000_NS6detail17trampoline_kernelINS0_14default_configENS1_33run_length_encode_config_selectorIN3c108BFloat16EjNS0_4plusIjEEEEZZNS1_33reduce_by_key_impl_wrapped_configILNS1_25lookback_scan_determinismE0ES3_S9_PKS6_NS0_17constant_iteratorIjlEEPS6_PlSH_S8_NS0_8equal_toIS6_EEEE10hipError_tPvRmT2_T3_mT4_T5_T6_T7_T8_P12ihipStream_tbENKUlT_T0_E_clISt17integral_constantIbLb0EES11_EEDaSW_SX_EUlSW_E_NS1_11comp_targetILNS1_3genE0ELNS1_11target_archE4294967295ELNS1_3gpuE0ELNS1_3repE0EEENS1_30default_config_static_selectorELNS0_4arch9wavefront6targetE0EEEvT1_.has_indirect_call, 0
	.section	.AMDGPU.csdata,"",@progbits
; Kernel info:
; codeLenInByte = 16480
; TotalNumSgprs: 50
; NumVgprs: 108
; ScratchSize: 0
; MemoryBound: 0
; FloatMode: 240
; IeeeMode: 1
; LDSByteSize: 15360 bytes/workgroup (compile time only)
; SGPRBlocks: 0
; VGPRBlocks: 6
; NumSGPRsForWavesPerEU: 50
; NumVGPRsForWavesPerEU: 108
; NamedBarCnt: 0
; Occupancy: 9
; WaveLimiterHint : 1
; COMPUTE_PGM_RSRC2:SCRATCH_EN: 0
; COMPUTE_PGM_RSRC2:USER_SGPR: 2
; COMPUTE_PGM_RSRC2:TRAP_HANDLER: 0
; COMPUTE_PGM_RSRC2:TGID_X_EN: 1
; COMPUTE_PGM_RSRC2:TGID_Y_EN: 0
; COMPUTE_PGM_RSRC2:TGID_Z_EN: 0
; COMPUTE_PGM_RSRC2:TIDIG_COMP_CNT: 0
	.section	.text._ZN7rocprim17ROCPRIM_400000_NS6detail17trampoline_kernelINS0_14default_configENS1_33run_length_encode_config_selectorIN3c108BFloat16EjNS0_4plusIjEEEEZZNS1_33reduce_by_key_impl_wrapped_configILNS1_25lookback_scan_determinismE0ES3_S9_PKS6_NS0_17constant_iteratorIjlEEPS6_PlSH_S8_NS0_8equal_toIS6_EEEE10hipError_tPvRmT2_T3_mT4_T5_T6_T7_T8_P12ihipStream_tbENKUlT_T0_E_clISt17integral_constantIbLb0EES11_EEDaSW_SX_EUlSW_E_NS1_11comp_targetILNS1_3genE5ELNS1_11target_archE942ELNS1_3gpuE9ELNS1_3repE0EEENS1_30default_config_static_selectorELNS0_4arch9wavefront6targetE0EEEvT1_,"axG",@progbits,_ZN7rocprim17ROCPRIM_400000_NS6detail17trampoline_kernelINS0_14default_configENS1_33run_length_encode_config_selectorIN3c108BFloat16EjNS0_4plusIjEEEEZZNS1_33reduce_by_key_impl_wrapped_configILNS1_25lookback_scan_determinismE0ES3_S9_PKS6_NS0_17constant_iteratorIjlEEPS6_PlSH_S8_NS0_8equal_toIS6_EEEE10hipError_tPvRmT2_T3_mT4_T5_T6_T7_T8_P12ihipStream_tbENKUlT_T0_E_clISt17integral_constantIbLb0EES11_EEDaSW_SX_EUlSW_E_NS1_11comp_targetILNS1_3genE5ELNS1_11target_archE942ELNS1_3gpuE9ELNS1_3repE0EEENS1_30default_config_static_selectorELNS0_4arch9wavefront6targetE0EEEvT1_,comdat
	.protected	_ZN7rocprim17ROCPRIM_400000_NS6detail17trampoline_kernelINS0_14default_configENS1_33run_length_encode_config_selectorIN3c108BFloat16EjNS0_4plusIjEEEEZZNS1_33reduce_by_key_impl_wrapped_configILNS1_25lookback_scan_determinismE0ES3_S9_PKS6_NS0_17constant_iteratorIjlEEPS6_PlSH_S8_NS0_8equal_toIS6_EEEE10hipError_tPvRmT2_T3_mT4_T5_T6_T7_T8_P12ihipStream_tbENKUlT_T0_E_clISt17integral_constantIbLb0EES11_EEDaSW_SX_EUlSW_E_NS1_11comp_targetILNS1_3genE5ELNS1_11target_archE942ELNS1_3gpuE9ELNS1_3repE0EEENS1_30default_config_static_selectorELNS0_4arch9wavefront6targetE0EEEvT1_ ; -- Begin function _ZN7rocprim17ROCPRIM_400000_NS6detail17trampoline_kernelINS0_14default_configENS1_33run_length_encode_config_selectorIN3c108BFloat16EjNS0_4plusIjEEEEZZNS1_33reduce_by_key_impl_wrapped_configILNS1_25lookback_scan_determinismE0ES3_S9_PKS6_NS0_17constant_iteratorIjlEEPS6_PlSH_S8_NS0_8equal_toIS6_EEEE10hipError_tPvRmT2_T3_mT4_T5_T6_T7_T8_P12ihipStream_tbENKUlT_T0_E_clISt17integral_constantIbLb0EES11_EEDaSW_SX_EUlSW_E_NS1_11comp_targetILNS1_3genE5ELNS1_11target_archE942ELNS1_3gpuE9ELNS1_3repE0EEENS1_30default_config_static_selectorELNS0_4arch9wavefront6targetE0EEEvT1_
	.globl	_ZN7rocprim17ROCPRIM_400000_NS6detail17trampoline_kernelINS0_14default_configENS1_33run_length_encode_config_selectorIN3c108BFloat16EjNS0_4plusIjEEEEZZNS1_33reduce_by_key_impl_wrapped_configILNS1_25lookback_scan_determinismE0ES3_S9_PKS6_NS0_17constant_iteratorIjlEEPS6_PlSH_S8_NS0_8equal_toIS6_EEEE10hipError_tPvRmT2_T3_mT4_T5_T6_T7_T8_P12ihipStream_tbENKUlT_T0_E_clISt17integral_constantIbLb0EES11_EEDaSW_SX_EUlSW_E_NS1_11comp_targetILNS1_3genE5ELNS1_11target_archE942ELNS1_3gpuE9ELNS1_3repE0EEENS1_30default_config_static_selectorELNS0_4arch9wavefront6targetE0EEEvT1_
	.p2align	8
	.type	_ZN7rocprim17ROCPRIM_400000_NS6detail17trampoline_kernelINS0_14default_configENS1_33run_length_encode_config_selectorIN3c108BFloat16EjNS0_4plusIjEEEEZZNS1_33reduce_by_key_impl_wrapped_configILNS1_25lookback_scan_determinismE0ES3_S9_PKS6_NS0_17constant_iteratorIjlEEPS6_PlSH_S8_NS0_8equal_toIS6_EEEE10hipError_tPvRmT2_T3_mT4_T5_T6_T7_T8_P12ihipStream_tbENKUlT_T0_E_clISt17integral_constantIbLb0EES11_EEDaSW_SX_EUlSW_E_NS1_11comp_targetILNS1_3genE5ELNS1_11target_archE942ELNS1_3gpuE9ELNS1_3repE0EEENS1_30default_config_static_selectorELNS0_4arch9wavefront6targetE0EEEvT1_,@function
_ZN7rocprim17ROCPRIM_400000_NS6detail17trampoline_kernelINS0_14default_configENS1_33run_length_encode_config_selectorIN3c108BFloat16EjNS0_4plusIjEEEEZZNS1_33reduce_by_key_impl_wrapped_configILNS1_25lookback_scan_determinismE0ES3_S9_PKS6_NS0_17constant_iteratorIjlEEPS6_PlSH_S8_NS0_8equal_toIS6_EEEE10hipError_tPvRmT2_T3_mT4_T5_T6_T7_T8_P12ihipStream_tbENKUlT_T0_E_clISt17integral_constantIbLb0EES11_EEDaSW_SX_EUlSW_E_NS1_11comp_targetILNS1_3genE5ELNS1_11target_archE942ELNS1_3gpuE9ELNS1_3repE0EEENS1_30default_config_static_selectorELNS0_4arch9wavefront6targetE0EEEvT1_: ; @_ZN7rocprim17ROCPRIM_400000_NS6detail17trampoline_kernelINS0_14default_configENS1_33run_length_encode_config_selectorIN3c108BFloat16EjNS0_4plusIjEEEEZZNS1_33reduce_by_key_impl_wrapped_configILNS1_25lookback_scan_determinismE0ES3_S9_PKS6_NS0_17constant_iteratorIjlEEPS6_PlSH_S8_NS0_8equal_toIS6_EEEE10hipError_tPvRmT2_T3_mT4_T5_T6_T7_T8_P12ihipStream_tbENKUlT_T0_E_clISt17integral_constantIbLb0EES11_EEDaSW_SX_EUlSW_E_NS1_11comp_targetILNS1_3genE5ELNS1_11target_archE942ELNS1_3gpuE9ELNS1_3repE0EEENS1_30default_config_static_selectorELNS0_4arch9wavefront6targetE0EEEvT1_
; %bb.0:
	.section	.rodata,"a",@progbits
	.p2align	6, 0x0
	.amdhsa_kernel _ZN7rocprim17ROCPRIM_400000_NS6detail17trampoline_kernelINS0_14default_configENS1_33run_length_encode_config_selectorIN3c108BFloat16EjNS0_4plusIjEEEEZZNS1_33reduce_by_key_impl_wrapped_configILNS1_25lookback_scan_determinismE0ES3_S9_PKS6_NS0_17constant_iteratorIjlEEPS6_PlSH_S8_NS0_8equal_toIS6_EEEE10hipError_tPvRmT2_T3_mT4_T5_T6_T7_T8_P12ihipStream_tbENKUlT_T0_E_clISt17integral_constantIbLb0EES11_EEDaSW_SX_EUlSW_E_NS1_11comp_targetILNS1_3genE5ELNS1_11target_archE942ELNS1_3gpuE9ELNS1_3repE0EEENS1_30default_config_static_selectorELNS0_4arch9wavefront6targetE0EEEvT1_
		.amdhsa_group_segment_fixed_size 0
		.amdhsa_private_segment_fixed_size 0
		.amdhsa_kernarg_size 128
		.amdhsa_user_sgpr_count 2
		.amdhsa_user_sgpr_dispatch_ptr 0
		.amdhsa_user_sgpr_queue_ptr 0
		.amdhsa_user_sgpr_kernarg_segment_ptr 1
		.amdhsa_user_sgpr_dispatch_id 0
		.amdhsa_user_sgpr_kernarg_preload_length 0
		.amdhsa_user_sgpr_kernarg_preload_offset 0
		.amdhsa_user_sgpr_private_segment_size 0
		.amdhsa_wavefront_size32 1
		.amdhsa_uses_dynamic_stack 0
		.amdhsa_enable_private_segment 0
		.amdhsa_system_sgpr_workgroup_id_x 1
		.amdhsa_system_sgpr_workgroup_id_y 0
		.amdhsa_system_sgpr_workgroup_id_z 0
		.amdhsa_system_sgpr_workgroup_info 0
		.amdhsa_system_vgpr_workitem_id 0
		.amdhsa_next_free_vgpr 1
		.amdhsa_next_free_sgpr 1
		.amdhsa_named_barrier_count 0
		.amdhsa_reserve_vcc 0
		.amdhsa_float_round_mode_32 0
		.amdhsa_float_round_mode_16_64 0
		.amdhsa_float_denorm_mode_32 3
		.amdhsa_float_denorm_mode_16_64 3
		.amdhsa_fp16_overflow 0
		.amdhsa_memory_ordered 1
		.amdhsa_forward_progress 1
		.amdhsa_inst_pref_size 0
		.amdhsa_round_robin_scheduling 0
		.amdhsa_exception_fp_ieee_invalid_op 0
		.amdhsa_exception_fp_denorm_src 0
		.amdhsa_exception_fp_ieee_div_zero 0
		.amdhsa_exception_fp_ieee_overflow 0
		.amdhsa_exception_fp_ieee_underflow 0
		.amdhsa_exception_fp_ieee_inexact 0
		.amdhsa_exception_int_div_zero 0
	.end_amdhsa_kernel
	.section	.text._ZN7rocprim17ROCPRIM_400000_NS6detail17trampoline_kernelINS0_14default_configENS1_33run_length_encode_config_selectorIN3c108BFloat16EjNS0_4plusIjEEEEZZNS1_33reduce_by_key_impl_wrapped_configILNS1_25lookback_scan_determinismE0ES3_S9_PKS6_NS0_17constant_iteratorIjlEEPS6_PlSH_S8_NS0_8equal_toIS6_EEEE10hipError_tPvRmT2_T3_mT4_T5_T6_T7_T8_P12ihipStream_tbENKUlT_T0_E_clISt17integral_constantIbLb0EES11_EEDaSW_SX_EUlSW_E_NS1_11comp_targetILNS1_3genE5ELNS1_11target_archE942ELNS1_3gpuE9ELNS1_3repE0EEENS1_30default_config_static_selectorELNS0_4arch9wavefront6targetE0EEEvT1_,"axG",@progbits,_ZN7rocprim17ROCPRIM_400000_NS6detail17trampoline_kernelINS0_14default_configENS1_33run_length_encode_config_selectorIN3c108BFloat16EjNS0_4plusIjEEEEZZNS1_33reduce_by_key_impl_wrapped_configILNS1_25lookback_scan_determinismE0ES3_S9_PKS6_NS0_17constant_iteratorIjlEEPS6_PlSH_S8_NS0_8equal_toIS6_EEEE10hipError_tPvRmT2_T3_mT4_T5_T6_T7_T8_P12ihipStream_tbENKUlT_T0_E_clISt17integral_constantIbLb0EES11_EEDaSW_SX_EUlSW_E_NS1_11comp_targetILNS1_3genE5ELNS1_11target_archE942ELNS1_3gpuE9ELNS1_3repE0EEENS1_30default_config_static_selectorELNS0_4arch9wavefront6targetE0EEEvT1_,comdat
.Lfunc_end857:
	.size	_ZN7rocprim17ROCPRIM_400000_NS6detail17trampoline_kernelINS0_14default_configENS1_33run_length_encode_config_selectorIN3c108BFloat16EjNS0_4plusIjEEEEZZNS1_33reduce_by_key_impl_wrapped_configILNS1_25lookback_scan_determinismE0ES3_S9_PKS6_NS0_17constant_iteratorIjlEEPS6_PlSH_S8_NS0_8equal_toIS6_EEEE10hipError_tPvRmT2_T3_mT4_T5_T6_T7_T8_P12ihipStream_tbENKUlT_T0_E_clISt17integral_constantIbLb0EES11_EEDaSW_SX_EUlSW_E_NS1_11comp_targetILNS1_3genE5ELNS1_11target_archE942ELNS1_3gpuE9ELNS1_3repE0EEENS1_30default_config_static_selectorELNS0_4arch9wavefront6targetE0EEEvT1_, .Lfunc_end857-_ZN7rocprim17ROCPRIM_400000_NS6detail17trampoline_kernelINS0_14default_configENS1_33run_length_encode_config_selectorIN3c108BFloat16EjNS0_4plusIjEEEEZZNS1_33reduce_by_key_impl_wrapped_configILNS1_25lookback_scan_determinismE0ES3_S9_PKS6_NS0_17constant_iteratorIjlEEPS6_PlSH_S8_NS0_8equal_toIS6_EEEE10hipError_tPvRmT2_T3_mT4_T5_T6_T7_T8_P12ihipStream_tbENKUlT_T0_E_clISt17integral_constantIbLb0EES11_EEDaSW_SX_EUlSW_E_NS1_11comp_targetILNS1_3genE5ELNS1_11target_archE942ELNS1_3gpuE9ELNS1_3repE0EEENS1_30default_config_static_selectorELNS0_4arch9wavefront6targetE0EEEvT1_
                                        ; -- End function
	.set _ZN7rocprim17ROCPRIM_400000_NS6detail17trampoline_kernelINS0_14default_configENS1_33run_length_encode_config_selectorIN3c108BFloat16EjNS0_4plusIjEEEEZZNS1_33reduce_by_key_impl_wrapped_configILNS1_25lookback_scan_determinismE0ES3_S9_PKS6_NS0_17constant_iteratorIjlEEPS6_PlSH_S8_NS0_8equal_toIS6_EEEE10hipError_tPvRmT2_T3_mT4_T5_T6_T7_T8_P12ihipStream_tbENKUlT_T0_E_clISt17integral_constantIbLb0EES11_EEDaSW_SX_EUlSW_E_NS1_11comp_targetILNS1_3genE5ELNS1_11target_archE942ELNS1_3gpuE9ELNS1_3repE0EEENS1_30default_config_static_selectorELNS0_4arch9wavefront6targetE0EEEvT1_.num_vgpr, 0
	.set _ZN7rocprim17ROCPRIM_400000_NS6detail17trampoline_kernelINS0_14default_configENS1_33run_length_encode_config_selectorIN3c108BFloat16EjNS0_4plusIjEEEEZZNS1_33reduce_by_key_impl_wrapped_configILNS1_25lookback_scan_determinismE0ES3_S9_PKS6_NS0_17constant_iteratorIjlEEPS6_PlSH_S8_NS0_8equal_toIS6_EEEE10hipError_tPvRmT2_T3_mT4_T5_T6_T7_T8_P12ihipStream_tbENKUlT_T0_E_clISt17integral_constantIbLb0EES11_EEDaSW_SX_EUlSW_E_NS1_11comp_targetILNS1_3genE5ELNS1_11target_archE942ELNS1_3gpuE9ELNS1_3repE0EEENS1_30default_config_static_selectorELNS0_4arch9wavefront6targetE0EEEvT1_.num_agpr, 0
	.set _ZN7rocprim17ROCPRIM_400000_NS6detail17trampoline_kernelINS0_14default_configENS1_33run_length_encode_config_selectorIN3c108BFloat16EjNS0_4plusIjEEEEZZNS1_33reduce_by_key_impl_wrapped_configILNS1_25lookback_scan_determinismE0ES3_S9_PKS6_NS0_17constant_iteratorIjlEEPS6_PlSH_S8_NS0_8equal_toIS6_EEEE10hipError_tPvRmT2_T3_mT4_T5_T6_T7_T8_P12ihipStream_tbENKUlT_T0_E_clISt17integral_constantIbLb0EES11_EEDaSW_SX_EUlSW_E_NS1_11comp_targetILNS1_3genE5ELNS1_11target_archE942ELNS1_3gpuE9ELNS1_3repE0EEENS1_30default_config_static_selectorELNS0_4arch9wavefront6targetE0EEEvT1_.numbered_sgpr, 0
	.set _ZN7rocprim17ROCPRIM_400000_NS6detail17trampoline_kernelINS0_14default_configENS1_33run_length_encode_config_selectorIN3c108BFloat16EjNS0_4plusIjEEEEZZNS1_33reduce_by_key_impl_wrapped_configILNS1_25lookback_scan_determinismE0ES3_S9_PKS6_NS0_17constant_iteratorIjlEEPS6_PlSH_S8_NS0_8equal_toIS6_EEEE10hipError_tPvRmT2_T3_mT4_T5_T6_T7_T8_P12ihipStream_tbENKUlT_T0_E_clISt17integral_constantIbLb0EES11_EEDaSW_SX_EUlSW_E_NS1_11comp_targetILNS1_3genE5ELNS1_11target_archE942ELNS1_3gpuE9ELNS1_3repE0EEENS1_30default_config_static_selectorELNS0_4arch9wavefront6targetE0EEEvT1_.num_named_barrier, 0
	.set _ZN7rocprim17ROCPRIM_400000_NS6detail17trampoline_kernelINS0_14default_configENS1_33run_length_encode_config_selectorIN3c108BFloat16EjNS0_4plusIjEEEEZZNS1_33reduce_by_key_impl_wrapped_configILNS1_25lookback_scan_determinismE0ES3_S9_PKS6_NS0_17constant_iteratorIjlEEPS6_PlSH_S8_NS0_8equal_toIS6_EEEE10hipError_tPvRmT2_T3_mT4_T5_T6_T7_T8_P12ihipStream_tbENKUlT_T0_E_clISt17integral_constantIbLb0EES11_EEDaSW_SX_EUlSW_E_NS1_11comp_targetILNS1_3genE5ELNS1_11target_archE942ELNS1_3gpuE9ELNS1_3repE0EEENS1_30default_config_static_selectorELNS0_4arch9wavefront6targetE0EEEvT1_.private_seg_size, 0
	.set _ZN7rocprim17ROCPRIM_400000_NS6detail17trampoline_kernelINS0_14default_configENS1_33run_length_encode_config_selectorIN3c108BFloat16EjNS0_4plusIjEEEEZZNS1_33reduce_by_key_impl_wrapped_configILNS1_25lookback_scan_determinismE0ES3_S9_PKS6_NS0_17constant_iteratorIjlEEPS6_PlSH_S8_NS0_8equal_toIS6_EEEE10hipError_tPvRmT2_T3_mT4_T5_T6_T7_T8_P12ihipStream_tbENKUlT_T0_E_clISt17integral_constantIbLb0EES11_EEDaSW_SX_EUlSW_E_NS1_11comp_targetILNS1_3genE5ELNS1_11target_archE942ELNS1_3gpuE9ELNS1_3repE0EEENS1_30default_config_static_selectorELNS0_4arch9wavefront6targetE0EEEvT1_.uses_vcc, 0
	.set _ZN7rocprim17ROCPRIM_400000_NS6detail17trampoline_kernelINS0_14default_configENS1_33run_length_encode_config_selectorIN3c108BFloat16EjNS0_4plusIjEEEEZZNS1_33reduce_by_key_impl_wrapped_configILNS1_25lookback_scan_determinismE0ES3_S9_PKS6_NS0_17constant_iteratorIjlEEPS6_PlSH_S8_NS0_8equal_toIS6_EEEE10hipError_tPvRmT2_T3_mT4_T5_T6_T7_T8_P12ihipStream_tbENKUlT_T0_E_clISt17integral_constantIbLb0EES11_EEDaSW_SX_EUlSW_E_NS1_11comp_targetILNS1_3genE5ELNS1_11target_archE942ELNS1_3gpuE9ELNS1_3repE0EEENS1_30default_config_static_selectorELNS0_4arch9wavefront6targetE0EEEvT1_.uses_flat_scratch, 0
	.set _ZN7rocprim17ROCPRIM_400000_NS6detail17trampoline_kernelINS0_14default_configENS1_33run_length_encode_config_selectorIN3c108BFloat16EjNS0_4plusIjEEEEZZNS1_33reduce_by_key_impl_wrapped_configILNS1_25lookback_scan_determinismE0ES3_S9_PKS6_NS0_17constant_iteratorIjlEEPS6_PlSH_S8_NS0_8equal_toIS6_EEEE10hipError_tPvRmT2_T3_mT4_T5_T6_T7_T8_P12ihipStream_tbENKUlT_T0_E_clISt17integral_constantIbLb0EES11_EEDaSW_SX_EUlSW_E_NS1_11comp_targetILNS1_3genE5ELNS1_11target_archE942ELNS1_3gpuE9ELNS1_3repE0EEENS1_30default_config_static_selectorELNS0_4arch9wavefront6targetE0EEEvT1_.has_dyn_sized_stack, 0
	.set _ZN7rocprim17ROCPRIM_400000_NS6detail17trampoline_kernelINS0_14default_configENS1_33run_length_encode_config_selectorIN3c108BFloat16EjNS0_4plusIjEEEEZZNS1_33reduce_by_key_impl_wrapped_configILNS1_25lookback_scan_determinismE0ES3_S9_PKS6_NS0_17constant_iteratorIjlEEPS6_PlSH_S8_NS0_8equal_toIS6_EEEE10hipError_tPvRmT2_T3_mT4_T5_T6_T7_T8_P12ihipStream_tbENKUlT_T0_E_clISt17integral_constantIbLb0EES11_EEDaSW_SX_EUlSW_E_NS1_11comp_targetILNS1_3genE5ELNS1_11target_archE942ELNS1_3gpuE9ELNS1_3repE0EEENS1_30default_config_static_selectorELNS0_4arch9wavefront6targetE0EEEvT1_.has_recursion, 0
	.set _ZN7rocprim17ROCPRIM_400000_NS6detail17trampoline_kernelINS0_14default_configENS1_33run_length_encode_config_selectorIN3c108BFloat16EjNS0_4plusIjEEEEZZNS1_33reduce_by_key_impl_wrapped_configILNS1_25lookback_scan_determinismE0ES3_S9_PKS6_NS0_17constant_iteratorIjlEEPS6_PlSH_S8_NS0_8equal_toIS6_EEEE10hipError_tPvRmT2_T3_mT4_T5_T6_T7_T8_P12ihipStream_tbENKUlT_T0_E_clISt17integral_constantIbLb0EES11_EEDaSW_SX_EUlSW_E_NS1_11comp_targetILNS1_3genE5ELNS1_11target_archE942ELNS1_3gpuE9ELNS1_3repE0EEENS1_30default_config_static_selectorELNS0_4arch9wavefront6targetE0EEEvT1_.has_indirect_call, 0
	.section	.AMDGPU.csdata,"",@progbits
; Kernel info:
; codeLenInByte = 0
; TotalNumSgprs: 0
; NumVgprs: 0
; ScratchSize: 0
; MemoryBound: 0
; FloatMode: 240
; IeeeMode: 1
; LDSByteSize: 0 bytes/workgroup (compile time only)
; SGPRBlocks: 0
; VGPRBlocks: 0
; NumSGPRsForWavesPerEU: 1
; NumVGPRsForWavesPerEU: 1
; NamedBarCnt: 0
; Occupancy: 16
; WaveLimiterHint : 0
; COMPUTE_PGM_RSRC2:SCRATCH_EN: 0
; COMPUTE_PGM_RSRC2:USER_SGPR: 2
; COMPUTE_PGM_RSRC2:TRAP_HANDLER: 0
; COMPUTE_PGM_RSRC2:TGID_X_EN: 1
; COMPUTE_PGM_RSRC2:TGID_Y_EN: 0
; COMPUTE_PGM_RSRC2:TGID_Z_EN: 0
; COMPUTE_PGM_RSRC2:TIDIG_COMP_CNT: 0
	.section	.text._ZN7rocprim17ROCPRIM_400000_NS6detail17trampoline_kernelINS0_14default_configENS1_33run_length_encode_config_selectorIN3c108BFloat16EjNS0_4plusIjEEEEZZNS1_33reduce_by_key_impl_wrapped_configILNS1_25lookback_scan_determinismE0ES3_S9_PKS6_NS0_17constant_iteratorIjlEEPS6_PlSH_S8_NS0_8equal_toIS6_EEEE10hipError_tPvRmT2_T3_mT4_T5_T6_T7_T8_P12ihipStream_tbENKUlT_T0_E_clISt17integral_constantIbLb0EES11_EEDaSW_SX_EUlSW_E_NS1_11comp_targetILNS1_3genE4ELNS1_11target_archE910ELNS1_3gpuE8ELNS1_3repE0EEENS1_30default_config_static_selectorELNS0_4arch9wavefront6targetE0EEEvT1_,"axG",@progbits,_ZN7rocprim17ROCPRIM_400000_NS6detail17trampoline_kernelINS0_14default_configENS1_33run_length_encode_config_selectorIN3c108BFloat16EjNS0_4plusIjEEEEZZNS1_33reduce_by_key_impl_wrapped_configILNS1_25lookback_scan_determinismE0ES3_S9_PKS6_NS0_17constant_iteratorIjlEEPS6_PlSH_S8_NS0_8equal_toIS6_EEEE10hipError_tPvRmT2_T3_mT4_T5_T6_T7_T8_P12ihipStream_tbENKUlT_T0_E_clISt17integral_constantIbLb0EES11_EEDaSW_SX_EUlSW_E_NS1_11comp_targetILNS1_3genE4ELNS1_11target_archE910ELNS1_3gpuE8ELNS1_3repE0EEENS1_30default_config_static_selectorELNS0_4arch9wavefront6targetE0EEEvT1_,comdat
	.protected	_ZN7rocprim17ROCPRIM_400000_NS6detail17trampoline_kernelINS0_14default_configENS1_33run_length_encode_config_selectorIN3c108BFloat16EjNS0_4plusIjEEEEZZNS1_33reduce_by_key_impl_wrapped_configILNS1_25lookback_scan_determinismE0ES3_S9_PKS6_NS0_17constant_iteratorIjlEEPS6_PlSH_S8_NS0_8equal_toIS6_EEEE10hipError_tPvRmT2_T3_mT4_T5_T6_T7_T8_P12ihipStream_tbENKUlT_T0_E_clISt17integral_constantIbLb0EES11_EEDaSW_SX_EUlSW_E_NS1_11comp_targetILNS1_3genE4ELNS1_11target_archE910ELNS1_3gpuE8ELNS1_3repE0EEENS1_30default_config_static_selectorELNS0_4arch9wavefront6targetE0EEEvT1_ ; -- Begin function _ZN7rocprim17ROCPRIM_400000_NS6detail17trampoline_kernelINS0_14default_configENS1_33run_length_encode_config_selectorIN3c108BFloat16EjNS0_4plusIjEEEEZZNS1_33reduce_by_key_impl_wrapped_configILNS1_25lookback_scan_determinismE0ES3_S9_PKS6_NS0_17constant_iteratorIjlEEPS6_PlSH_S8_NS0_8equal_toIS6_EEEE10hipError_tPvRmT2_T3_mT4_T5_T6_T7_T8_P12ihipStream_tbENKUlT_T0_E_clISt17integral_constantIbLb0EES11_EEDaSW_SX_EUlSW_E_NS1_11comp_targetILNS1_3genE4ELNS1_11target_archE910ELNS1_3gpuE8ELNS1_3repE0EEENS1_30default_config_static_selectorELNS0_4arch9wavefront6targetE0EEEvT1_
	.globl	_ZN7rocprim17ROCPRIM_400000_NS6detail17trampoline_kernelINS0_14default_configENS1_33run_length_encode_config_selectorIN3c108BFloat16EjNS0_4plusIjEEEEZZNS1_33reduce_by_key_impl_wrapped_configILNS1_25lookback_scan_determinismE0ES3_S9_PKS6_NS0_17constant_iteratorIjlEEPS6_PlSH_S8_NS0_8equal_toIS6_EEEE10hipError_tPvRmT2_T3_mT4_T5_T6_T7_T8_P12ihipStream_tbENKUlT_T0_E_clISt17integral_constantIbLb0EES11_EEDaSW_SX_EUlSW_E_NS1_11comp_targetILNS1_3genE4ELNS1_11target_archE910ELNS1_3gpuE8ELNS1_3repE0EEENS1_30default_config_static_selectorELNS0_4arch9wavefront6targetE0EEEvT1_
	.p2align	8
	.type	_ZN7rocprim17ROCPRIM_400000_NS6detail17trampoline_kernelINS0_14default_configENS1_33run_length_encode_config_selectorIN3c108BFloat16EjNS0_4plusIjEEEEZZNS1_33reduce_by_key_impl_wrapped_configILNS1_25lookback_scan_determinismE0ES3_S9_PKS6_NS0_17constant_iteratorIjlEEPS6_PlSH_S8_NS0_8equal_toIS6_EEEE10hipError_tPvRmT2_T3_mT4_T5_T6_T7_T8_P12ihipStream_tbENKUlT_T0_E_clISt17integral_constantIbLb0EES11_EEDaSW_SX_EUlSW_E_NS1_11comp_targetILNS1_3genE4ELNS1_11target_archE910ELNS1_3gpuE8ELNS1_3repE0EEENS1_30default_config_static_selectorELNS0_4arch9wavefront6targetE0EEEvT1_,@function
_ZN7rocprim17ROCPRIM_400000_NS6detail17trampoline_kernelINS0_14default_configENS1_33run_length_encode_config_selectorIN3c108BFloat16EjNS0_4plusIjEEEEZZNS1_33reduce_by_key_impl_wrapped_configILNS1_25lookback_scan_determinismE0ES3_S9_PKS6_NS0_17constant_iteratorIjlEEPS6_PlSH_S8_NS0_8equal_toIS6_EEEE10hipError_tPvRmT2_T3_mT4_T5_T6_T7_T8_P12ihipStream_tbENKUlT_T0_E_clISt17integral_constantIbLb0EES11_EEDaSW_SX_EUlSW_E_NS1_11comp_targetILNS1_3genE4ELNS1_11target_archE910ELNS1_3gpuE8ELNS1_3repE0EEENS1_30default_config_static_selectorELNS0_4arch9wavefront6targetE0EEEvT1_: ; @_ZN7rocprim17ROCPRIM_400000_NS6detail17trampoline_kernelINS0_14default_configENS1_33run_length_encode_config_selectorIN3c108BFloat16EjNS0_4plusIjEEEEZZNS1_33reduce_by_key_impl_wrapped_configILNS1_25lookback_scan_determinismE0ES3_S9_PKS6_NS0_17constant_iteratorIjlEEPS6_PlSH_S8_NS0_8equal_toIS6_EEEE10hipError_tPvRmT2_T3_mT4_T5_T6_T7_T8_P12ihipStream_tbENKUlT_T0_E_clISt17integral_constantIbLb0EES11_EEDaSW_SX_EUlSW_E_NS1_11comp_targetILNS1_3genE4ELNS1_11target_archE910ELNS1_3gpuE8ELNS1_3repE0EEENS1_30default_config_static_selectorELNS0_4arch9wavefront6targetE0EEEvT1_
; %bb.0:
	.section	.rodata,"a",@progbits
	.p2align	6, 0x0
	.amdhsa_kernel _ZN7rocprim17ROCPRIM_400000_NS6detail17trampoline_kernelINS0_14default_configENS1_33run_length_encode_config_selectorIN3c108BFloat16EjNS0_4plusIjEEEEZZNS1_33reduce_by_key_impl_wrapped_configILNS1_25lookback_scan_determinismE0ES3_S9_PKS6_NS0_17constant_iteratorIjlEEPS6_PlSH_S8_NS0_8equal_toIS6_EEEE10hipError_tPvRmT2_T3_mT4_T5_T6_T7_T8_P12ihipStream_tbENKUlT_T0_E_clISt17integral_constantIbLb0EES11_EEDaSW_SX_EUlSW_E_NS1_11comp_targetILNS1_3genE4ELNS1_11target_archE910ELNS1_3gpuE8ELNS1_3repE0EEENS1_30default_config_static_selectorELNS0_4arch9wavefront6targetE0EEEvT1_
		.amdhsa_group_segment_fixed_size 0
		.amdhsa_private_segment_fixed_size 0
		.amdhsa_kernarg_size 128
		.amdhsa_user_sgpr_count 2
		.amdhsa_user_sgpr_dispatch_ptr 0
		.amdhsa_user_sgpr_queue_ptr 0
		.amdhsa_user_sgpr_kernarg_segment_ptr 1
		.amdhsa_user_sgpr_dispatch_id 0
		.amdhsa_user_sgpr_kernarg_preload_length 0
		.amdhsa_user_sgpr_kernarg_preload_offset 0
		.amdhsa_user_sgpr_private_segment_size 0
		.amdhsa_wavefront_size32 1
		.amdhsa_uses_dynamic_stack 0
		.amdhsa_enable_private_segment 0
		.amdhsa_system_sgpr_workgroup_id_x 1
		.amdhsa_system_sgpr_workgroup_id_y 0
		.amdhsa_system_sgpr_workgroup_id_z 0
		.amdhsa_system_sgpr_workgroup_info 0
		.amdhsa_system_vgpr_workitem_id 0
		.amdhsa_next_free_vgpr 1
		.amdhsa_next_free_sgpr 1
		.amdhsa_named_barrier_count 0
		.amdhsa_reserve_vcc 0
		.amdhsa_float_round_mode_32 0
		.amdhsa_float_round_mode_16_64 0
		.amdhsa_float_denorm_mode_32 3
		.amdhsa_float_denorm_mode_16_64 3
		.amdhsa_fp16_overflow 0
		.amdhsa_memory_ordered 1
		.amdhsa_forward_progress 1
		.amdhsa_inst_pref_size 0
		.amdhsa_round_robin_scheduling 0
		.amdhsa_exception_fp_ieee_invalid_op 0
		.amdhsa_exception_fp_denorm_src 0
		.amdhsa_exception_fp_ieee_div_zero 0
		.amdhsa_exception_fp_ieee_overflow 0
		.amdhsa_exception_fp_ieee_underflow 0
		.amdhsa_exception_fp_ieee_inexact 0
		.amdhsa_exception_int_div_zero 0
	.end_amdhsa_kernel
	.section	.text._ZN7rocprim17ROCPRIM_400000_NS6detail17trampoline_kernelINS0_14default_configENS1_33run_length_encode_config_selectorIN3c108BFloat16EjNS0_4plusIjEEEEZZNS1_33reduce_by_key_impl_wrapped_configILNS1_25lookback_scan_determinismE0ES3_S9_PKS6_NS0_17constant_iteratorIjlEEPS6_PlSH_S8_NS0_8equal_toIS6_EEEE10hipError_tPvRmT2_T3_mT4_T5_T6_T7_T8_P12ihipStream_tbENKUlT_T0_E_clISt17integral_constantIbLb0EES11_EEDaSW_SX_EUlSW_E_NS1_11comp_targetILNS1_3genE4ELNS1_11target_archE910ELNS1_3gpuE8ELNS1_3repE0EEENS1_30default_config_static_selectorELNS0_4arch9wavefront6targetE0EEEvT1_,"axG",@progbits,_ZN7rocprim17ROCPRIM_400000_NS6detail17trampoline_kernelINS0_14default_configENS1_33run_length_encode_config_selectorIN3c108BFloat16EjNS0_4plusIjEEEEZZNS1_33reduce_by_key_impl_wrapped_configILNS1_25lookback_scan_determinismE0ES3_S9_PKS6_NS0_17constant_iteratorIjlEEPS6_PlSH_S8_NS0_8equal_toIS6_EEEE10hipError_tPvRmT2_T3_mT4_T5_T6_T7_T8_P12ihipStream_tbENKUlT_T0_E_clISt17integral_constantIbLb0EES11_EEDaSW_SX_EUlSW_E_NS1_11comp_targetILNS1_3genE4ELNS1_11target_archE910ELNS1_3gpuE8ELNS1_3repE0EEENS1_30default_config_static_selectorELNS0_4arch9wavefront6targetE0EEEvT1_,comdat
.Lfunc_end858:
	.size	_ZN7rocprim17ROCPRIM_400000_NS6detail17trampoline_kernelINS0_14default_configENS1_33run_length_encode_config_selectorIN3c108BFloat16EjNS0_4plusIjEEEEZZNS1_33reduce_by_key_impl_wrapped_configILNS1_25lookback_scan_determinismE0ES3_S9_PKS6_NS0_17constant_iteratorIjlEEPS6_PlSH_S8_NS0_8equal_toIS6_EEEE10hipError_tPvRmT2_T3_mT4_T5_T6_T7_T8_P12ihipStream_tbENKUlT_T0_E_clISt17integral_constantIbLb0EES11_EEDaSW_SX_EUlSW_E_NS1_11comp_targetILNS1_3genE4ELNS1_11target_archE910ELNS1_3gpuE8ELNS1_3repE0EEENS1_30default_config_static_selectorELNS0_4arch9wavefront6targetE0EEEvT1_, .Lfunc_end858-_ZN7rocprim17ROCPRIM_400000_NS6detail17trampoline_kernelINS0_14default_configENS1_33run_length_encode_config_selectorIN3c108BFloat16EjNS0_4plusIjEEEEZZNS1_33reduce_by_key_impl_wrapped_configILNS1_25lookback_scan_determinismE0ES3_S9_PKS6_NS0_17constant_iteratorIjlEEPS6_PlSH_S8_NS0_8equal_toIS6_EEEE10hipError_tPvRmT2_T3_mT4_T5_T6_T7_T8_P12ihipStream_tbENKUlT_T0_E_clISt17integral_constantIbLb0EES11_EEDaSW_SX_EUlSW_E_NS1_11comp_targetILNS1_3genE4ELNS1_11target_archE910ELNS1_3gpuE8ELNS1_3repE0EEENS1_30default_config_static_selectorELNS0_4arch9wavefront6targetE0EEEvT1_
                                        ; -- End function
	.set _ZN7rocprim17ROCPRIM_400000_NS6detail17trampoline_kernelINS0_14default_configENS1_33run_length_encode_config_selectorIN3c108BFloat16EjNS0_4plusIjEEEEZZNS1_33reduce_by_key_impl_wrapped_configILNS1_25lookback_scan_determinismE0ES3_S9_PKS6_NS0_17constant_iteratorIjlEEPS6_PlSH_S8_NS0_8equal_toIS6_EEEE10hipError_tPvRmT2_T3_mT4_T5_T6_T7_T8_P12ihipStream_tbENKUlT_T0_E_clISt17integral_constantIbLb0EES11_EEDaSW_SX_EUlSW_E_NS1_11comp_targetILNS1_3genE4ELNS1_11target_archE910ELNS1_3gpuE8ELNS1_3repE0EEENS1_30default_config_static_selectorELNS0_4arch9wavefront6targetE0EEEvT1_.num_vgpr, 0
	.set _ZN7rocprim17ROCPRIM_400000_NS6detail17trampoline_kernelINS0_14default_configENS1_33run_length_encode_config_selectorIN3c108BFloat16EjNS0_4plusIjEEEEZZNS1_33reduce_by_key_impl_wrapped_configILNS1_25lookback_scan_determinismE0ES3_S9_PKS6_NS0_17constant_iteratorIjlEEPS6_PlSH_S8_NS0_8equal_toIS6_EEEE10hipError_tPvRmT2_T3_mT4_T5_T6_T7_T8_P12ihipStream_tbENKUlT_T0_E_clISt17integral_constantIbLb0EES11_EEDaSW_SX_EUlSW_E_NS1_11comp_targetILNS1_3genE4ELNS1_11target_archE910ELNS1_3gpuE8ELNS1_3repE0EEENS1_30default_config_static_selectorELNS0_4arch9wavefront6targetE0EEEvT1_.num_agpr, 0
	.set _ZN7rocprim17ROCPRIM_400000_NS6detail17trampoline_kernelINS0_14default_configENS1_33run_length_encode_config_selectorIN3c108BFloat16EjNS0_4plusIjEEEEZZNS1_33reduce_by_key_impl_wrapped_configILNS1_25lookback_scan_determinismE0ES3_S9_PKS6_NS0_17constant_iteratorIjlEEPS6_PlSH_S8_NS0_8equal_toIS6_EEEE10hipError_tPvRmT2_T3_mT4_T5_T6_T7_T8_P12ihipStream_tbENKUlT_T0_E_clISt17integral_constantIbLb0EES11_EEDaSW_SX_EUlSW_E_NS1_11comp_targetILNS1_3genE4ELNS1_11target_archE910ELNS1_3gpuE8ELNS1_3repE0EEENS1_30default_config_static_selectorELNS0_4arch9wavefront6targetE0EEEvT1_.numbered_sgpr, 0
	.set _ZN7rocprim17ROCPRIM_400000_NS6detail17trampoline_kernelINS0_14default_configENS1_33run_length_encode_config_selectorIN3c108BFloat16EjNS0_4plusIjEEEEZZNS1_33reduce_by_key_impl_wrapped_configILNS1_25lookback_scan_determinismE0ES3_S9_PKS6_NS0_17constant_iteratorIjlEEPS6_PlSH_S8_NS0_8equal_toIS6_EEEE10hipError_tPvRmT2_T3_mT4_T5_T6_T7_T8_P12ihipStream_tbENKUlT_T0_E_clISt17integral_constantIbLb0EES11_EEDaSW_SX_EUlSW_E_NS1_11comp_targetILNS1_3genE4ELNS1_11target_archE910ELNS1_3gpuE8ELNS1_3repE0EEENS1_30default_config_static_selectorELNS0_4arch9wavefront6targetE0EEEvT1_.num_named_barrier, 0
	.set _ZN7rocprim17ROCPRIM_400000_NS6detail17trampoline_kernelINS0_14default_configENS1_33run_length_encode_config_selectorIN3c108BFloat16EjNS0_4plusIjEEEEZZNS1_33reduce_by_key_impl_wrapped_configILNS1_25lookback_scan_determinismE0ES3_S9_PKS6_NS0_17constant_iteratorIjlEEPS6_PlSH_S8_NS0_8equal_toIS6_EEEE10hipError_tPvRmT2_T3_mT4_T5_T6_T7_T8_P12ihipStream_tbENKUlT_T0_E_clISt17integral_constantIbLb0EES11_EEDaSW_SX_EUlSW_E_NS1_11comp_targetILNS1_3genE4ELNS1_11target_archE910ELNS1_3gpuE8ELNS1_3repE0EEENS1_30default_config_static_selectorELNS0_4arch9wavefront6targetE0EEEvT1_.private_seg_size, 0
	.set _ZN7rocprim17ROCPRIM_400000_NS6detail17trampoline_kernelINS0_14default_configENS1_33run_length_encode_config_selectorIN3c108BFloat16EjNS0_4plusIjEEEEZZNS1_33reduce_by_key_impl_wrapped_configILNS1_25lookback_scan_determinismE0ES3_S9_PKS6_NS0_17constant_iteratorIjlEEPS6_PlSH_S8_NS0_8equal_toIS6_EEEE10hipError_tPvRmT2_T3_mT4_T5_T6_T7_T8_P12ihipStream_tbENKUlT_T0_E_clISt17integral_constantIbLb0EES11_EEDaSW_SX_EUlSW_E_NS1_11comp_targetILNS1_3genE4ELNS1_11target_archE910ELNS1_3gpuE8ELNS1_3repE0EEENS1_30default_config_static_selectorELNS0_4arch9wavefront6targetE0EEEvT1_.uses_vcc, 0
	.set _ZN7rocprim17ROCPRIM_400000_NS6detail17trampoline_kernelINS0_14default_configENS1_33run_length_encode_config_selectorIN3c108BFloat16EjNS0_4plusIjEEEEZZNS1_33reduce_by_key_impl_wrapped_configILNS1_25lookback_scan_determinismE0ES3_S9_PKS6_NS0_17constant_iteratorIjlEEPS6_PlSH_S8_NS0_8equal_toIS6_EEEE10hipError_tPvRmT2_T3_mT4_T5_T6_T7_T8_P12ihipStream_tbENKUlT_T0_E_clISt17integral_constantIbLb0EES11_EEDaSW_SX_EUlSW_E_NS1_11comp_targetILNS1_3genE4ELNS1_11target_archE910ELNS1_3gpuE8ELNS1_3repE0EEENS1_30default_config_static_selectorELNS0_4arch9wavefront6targetE0EEEvT1_.uses_flat_scratch, 0
	.set _ZN7rocprim17ROCPRIM_400000_NS6detail17trampoline_kernelINS0_14default_configENS1_33run_length_encode_config_selectorIN3c108BFloat16EjNS0_4plusIjEEEEZZNS1_33reduce_by_key_impl_wrapped_configILNS1_25lookback_scan_determinismE0ES3_S9_PKS6_NS0_17constant_iteratorIjlEEPS6_PlSH_S8_NS0_8equal_toIS6_EEEE10hipError_tPvRmT2_T3_mT4_T5_T6_T7_T8_P12ihipStream_tbENKUlT_T0_E_clISt17integral_constantIbLb0EES11_EEDaSW_SX_EUlSW_E_NS1_11comp_targetILNS1_3genE4ELNS1_11target_archE910ELNS1_3gpuE8ELNS1_3repE0EEENS1_30default_config_static_selectorELNS0_4arch9wavefront6targetE0EEEvT1_.has_dyn_sized_stack, 0
	.set _ZN7rocprim17ROCPRIM_400000_NS6detail17trampoline_kernelINS0_14default_configENS1_33run_length_encode_config_selectorIN3c108BFloat16EjNS0_4plusIjEEEEZZNS1_33reduce_by_key_impl_wrapped_configILNS1_25lookback_scan_determinismE0ES3_S9_PKS6_NS0_17constant_iteratorIjlEEPS6_PlSH_S8_NS0_8equal_toIS6_EEEE10hipError_tPvRmT2_T3_mT4_T5_T6_T7_T8_P12ihipStream_tbENKUlT_T0_E_clISt17integral_constantIbLb0EES11_EEDaSW_SX_EUlSW_E_NS1_11comp_targetILNS1_3genE4ELNS1_11target_archE910ELNS1_3gpuE8ELNS1_3repE0EEENS1_30default_config_static_selectorELNS0_4arch9wavefront6targetE0EEEvT1_.has_recursion, 0
	.set _ZN7rocprim17ROCPRIM_400000_NS6detail17trampoline_kernelINS0_14default_configENS1_33run_length_encode_config_selectorIN3c108BFloat16EjNS0_4plusIjEEEEZZNS1_33reduce_by_key_impl_wrapped_configILNS1_25lookback_scan_determinismE0ES3_S9_PKS6_NS0_17constant_iteratorIjlEEPS6_PlSH_S8_NS0_8equal_toIS6_EEEE10hipError_tPvRmT2_T3_mT4_T5_T6_T7_T8_P12ihipStream_tbENKUlT_T0_E_clISt17integral_constantIbLb0EES11_EEDaSW_SX_EUlSW_E_NS1_11comp_targetILNS1_3genE4ELNS1_11target_archE910ELNS1_3gpuE8ELNS1_3repE0EEENS1_30default_config_static_selectorELNS0_4arch9wavefront6targetE0EEEvT1_.has_indirect_call, 0
	.section	.AMDGPU.csdata,"",@progbits
; Kernel info:
; codeLenInByte = 0
; TotalNumSgprs: 0
; NumVgprs: 0
; ScratchSize: 0
; MemoryBound: 0
; FloatMode: 240
; IeeeMode: 1
; LDSByteSize: 0 bytes/workgroup (compile time only)
; SGPRBlocks: 0
; VGPRBlocks: 0
; NumSGPRsForWavesPerEU: 1
; NumVGPRsForWavesPerEU: 1
; NamedBarCnt: 0
; Occupancy: 16
; WaveLimiterHint : 0
; COMPUTE_PGM_RSRC2:SCRATCH_EN: 0
; COMPUTE_PGM_RSRC2:USER_SGPR: 2
; COMPUTE_PGM_RSRC2:TRAP_HANDLER: 0
; COMPUTE_PGM_RSRC2:TGID_X_EN: 1
; COMPUTE_PGM_RSRC2:TGID_Y_EN: 0
; COMPUTE_PGM_RSRC2:TGID_Z_EN: 0
; COMPUTE_PGM_RSRC2:TIDIG_COMP_CNT: 0
	.section	.text._ZN7rocprim17ROCPRIM_400000_NS6detail17trampoline_kernelINS0_14default_configENS1_33run_length_encode_config_selectorIN3c108BFloat16EjNS0_4plusIjEEEEZZNS1_33reduce_by_key_impl_wrapped_configILNS1_25lookback_scan_determinismE0ES3_S9_PKS6_NS0_17constant_iteratorIjlEEPS6_PlSH_S8_NS0_8equal_toIS6_EEEE10hipError_tPvRmT2_T3_mT4_T5_T6_T7_T8_P12ihipStream_tbENKUlT_T0_E_clISt17integral_constantIbLb0EES11_EEDaSW_SX_EUlSW_E_NS1_11comp_targetILNS1_3genE3ELNS1_11target_archE908ELNS1_3gpuE7ELNS1_3repE0EEENS1_30default_config_static_selectorELNS0_4arch9wavefront6targetE0EEEvT1_,"axG",@progbits,_ZN7rocprim17ROCPRIM_400000_NS6detail17trampoline_kernelINS0_14default_configENS1_33run_length_encode_config_selectorIN3c108BFloat16EjNS0_4plusIjEEEEZZNS1_33reduce_by_key_impl_wrapped_configILNS1_25lookback_scan_determinismE0ES3_S9_PKS6_NS0_17constant_iteratorIjlEEPS6_PlSH_S8_NS0_8equal_toIS6_EEEE10hipError_tPvRmT2_T3_mT4_T5_T6_T7_T8_P12ihipStream_tbENKUlT_T0_E_clISt17integral_constantIbLb0EES11_EEDaSW_SX_EUlSW_E_NS1_11comp_targetILNS1_3genE3ELNS1_11target_archE908ELNS1_3gpuE7ELNS1_3repE0EEENS1_30default_config_static_selectorELNS0_4arch9wavefront6targetE0EEEvT1_,comdat
	.protected	_ZN7rocprim17ROCPRIM_400000_NS6detail17trampoline_kernelINS0_14default_configENS1_33run_length_encode_config_selectorIN3c108BFloat16EjNS0_4plusIjEEEEZZNS1_33reduce_by_key_impl_wrapped_configILNS1_25lookback_scan_determinismE0ES3_S9_PKS6_NS0_17constant_iteratorIjlEEPS6_PlSH_S8_NS0_8equal_toIS6_EEEE10hipError_tPvRmT2_T3_mT4_T5_T6_T7_T8_P12ihipStream_tbENKUlT_T0_E_clISt17integral_constantIbLb0EES11_EEDaSW_SX_EUlSW_E_NS1_11comp_targetILNS1_3genE3ELNS1_11target_archE908ELNS1_3gpuE7ELNS1_3repE0EEENS1_30default_config_static_selectorELNS0_4arch9wavefront6targetE0EEEvT1_ ; -- Begin function _ZN7rocprim17ROCPRIM_400000_NS6detail17trampoline_kernelINS0_14default_configENS1_33run_length_encode_config_selectorIN3c108BFloat16EjNS0_4plusIjEEEEZZNS1_33reduce_by_key_impl_wrapped_configILNS1_25lookback_scan_determinismE0ES3_S9_PKS6_NS0_17constant_iteratorIjlEEPS6_PlSH_S8_NS0_8equal_toIS6_EEEE10hipError_tPvRmT2_T3_mT4_T5_T6_T7_T8_P12ihipStream_tbENKUlT_T0_E_clISt17integral_constantIbLb0EES11_EEDaSW_SX_EUlSW_E_NS1_11comp_targetILNS1_3genE3ELNS1_11target_archE908ELNS1_3gpuE7ELNS1_3repE0EEENS1_30default_config_static_selectorELNS0_4arch9wavefront6targetE0EEEvT1_
	.globl	_ZN7rocprim17ROCPRIM_400000_NS6detail17trampoline_kernelINS0_14default_configENS1_33run_length_encode_config_selectorIN3c108BFloat16EjNS0_4plusIjEEEEZZNS1_33reduce_by_key_impl_wrapped_configILNS1_25lookback_scan_determinismE0ES3_S9_PKS6_NS0_17constant_iteratorIjlEEPS6_PlSH_S8_NS0_8equal_toIS6_EEEE10hipError_tPvRmT2_T3_mT4_T5_T6_T7_T8_P12ihipStream_tbENKUlT_T0_E_clISt17integral_constantIbLb0EES11_EEDaSW_SX_EUlSW_E_NS1_11comp_targetILNS1_3genE3ELNS1_11target_archE908ELNS1_3gpuE7ELNS1_3repE0EEENS1_30default_config_static_selectorELNS0_4arch9wavefront6targetE0EEEvT1_
	.p2align	8
	.type	_ZN7rocprim17ROCPRIM_400000_NS6detail17trampoline_kernelINS0_14default_configENS1_33run_length_encode_config_selectorIN3c108BFloat16EjNS0_4plusIjEEEEZZNS1_33reduce_by_key_impl_wrapped_configILNS1_25lookback_scan_determinismE0ES3_S9_PKS6_NS0_17constant_iteratorIjlEEPS6_PlSH_S8_NS0_8equal_toIS6_EEEE10hipError_tPvRmT2_T3_mT4_T5_T6_T7_T8_P12ihipStream_tbENKUlT_T0_E_clISt17integral_constantIbLb0EES11_EEDaSW_SX_EUlSW_E_NS1_11comp_targetILNS1_3genE3ELNS1_11target_archE908ELNS1_3gpuE7ELNS1_3repE0EEENS1_30default_config_static_selectorELNS0_4arch9wavefront6targetE0EEEvT1_,@function
_ZN7rocprim17ROCPRIM_400000_NS6detail17trampoline_kernelINS0_14default_configENS1_33run_length_encode_config_selectorIN3c108BFloat16EjNS0_4plusIjEEEEZZNS1_33reduce_by_key_impl_wrapped_configILNS1_25lookback_scan_determinismE0ES3_S9_PKS6_NS0_17constant_iteratorIjlEEPS6_PlSH_S8_NS0_8equal_toIS6_EEEE10hipError_tPvRmT2_T3_mT4_T5_T6_T7_T8_P12ihipStream_tbENKUlT_T0_E_clISt17integral_constantIbLb0EES11_EEDaSW_SX_EUlSW_E_NS1_11comp_targetILNS1_3genE3ELNS1_11target_archE908ELNS1_3gpuE7ELNS1_3repE0EEENS1_30default_config_static_selectorELNS0_4arch9wavefront6targetE0EEEvT1_: ; @_ZN7rocprim17ROCPRIM_400000_NS6detail17trampoline_kernelINS0_14default_configENS1_33run_length_encode_config_selectorIN3c108BFloat16EjNS0_4plusIjEEEEZZNS1_33reduce_by_key_impl_wrapped_configILNS1_25lookback_scan_determinismE0ES3_S9_PKS6_NS0_17constant_iteratorIjlEEPS6_PlSH_S8_NS0_8equal_toIS6_EEEE10hipError_tPvRmT2_T3_mT4_T5_T6_T7_T8_P12ihipStream_tbENKUlT_T0_E_clISt17integral_constantIbLb0EES11_EEDaSW_SX_EUlSW_E_NS1_11comp_targetILNS1_3genE3ELNS1_11target_archE908ELNS1_3gpuE7ELNS1_3repE0EEENS1_30default_config_static_selectorELNS0_4arch9wavefront6targetE0EEEvT1_
; %bb.0:
	.section	.rodata,"a",@progbits
	.p2align	6, 0x0
	.amdhsa_kernel _ZN7rocprim17ROCPRIM_400000_NS6detail17trampoline_kernelINS0_14default_configENS1_33run_length_encode_config_selectorIN3c108BFloat16EjNS0_4plusIjEEEEZZNS1_33reduce_by_key_impl_wrapped_configILNS1_25lookback_scan_determinismE0ES3_S9_PKS6_NS0_17constant_iteratorIjlEEPS6_PlSH_S8_NS0_8equal_toIS6_EEEE10hipError_tPvRmT2_T3_mT4_T5_T6_T7_T8_P12ihipStream_tbENKUlT_T0_E_clISt17integral_constantIbLb0EES11_EEDaSW_SX_EUlSW_E_NS1_11comp_targetILNS1_3genE3ELNS1_11target_archE908ELNS1_3gpuE7ELNS1_3repE0EEENS1_30default_config_static_selectorELNS0_4arch9wavefront6targetE0EEEvT1_
		.amdhsa_group_segment_fixed_size 0
		.amdhsa_private_segment_fixed_size 0
		.amdhsa_kernarg_size 128
		.amdhsa_user_sgpr_count 2
		.amdhsa_user_sgpr_dispatch_ptr 0
		.amdhsa_user_sgpr_queue_ptr 0
		.amdhsa_user_sgpr_kernarg_segment_ptr 1
		.amdhsa_user_sgpr_dispatch_id 0
		.amdhsa_user_sgpr_kernarg_preload_length 0
		.amdhsa_user_sgpr_kernarg_preload_offset 0
		.amdhsa_user_sgpr_private_segment_size 0
		.amdhsa_wavefront_size32 1
		.amdhsa_uses_dynamic_stack 0
		.amdhsa_enable_private_segment 0
		.amdhsa_system_sgpr_workgroup_id_x 1
		.amdhsa_system_sgpr_workgroup_id_y 0
		.amdhsa_system_sgpr_workgroup_id_z 0
		.amdhsa_system_sgpr_workgroup_info 0
		.amdhsa_system_vgpr_workitem_id 0
		.amdhsa_next_free_vgpr 1
		.amdhsa_next_free_sgpr 1
		.amdhsa_named_barrier_count 0
		.amdhsa_reserve_vcc 0
		.amdhsa_float_round_mode_32 0
		.amdhsa_float_round_mode_16_64 0
		.amdhsa_float_denorm_mode_32 3
		.amdhsa_float_denorm_mode_16_64 3
		.amdhsa_fp16_overflow 0
		.amdhsa_memory_ordered 1
		.amdhsa_forward_progress 1
		.amdhsa_inst_pref_size 0
		.amdhsa_round_robin_scheduling 0
		.amdhsa_exception_fp_ieee_invalid_op 0
		.amdhsa_exception_fp_denorm_src 0
		.amdhsa_exception_fp_ieee_div_zero 0
		.amdhsa_exception_fp_ieee_overflow 0
		.amdhsa_exception_fp_ieee_underflow 0
		.amdhsa_exception_fp_ieee_inexact 0
		.amdhsa_exception_int_div_zero 0
	.end_amdhsa_kernel
	.section	.text._ZN7rocprim17ROCPRIM_400000_NS6detail17trampoline_kernelINS0_14default_configENS1_33run_length_encode_config_selectorIN3c108BFloat16EjNS0_4plusIjEEEEZZNS1_33reduce_by_key_impl_wrapped_configILNS1_25lookback_scan_determinismE0ES3_S9_PKS6_NS0_17constant_iteratorIjlEEPS6_PlSH_S8_NS0_8equal_toIS6_EEEE10hipError_tPvRmT2_T3_mT4_T5_T6_T7_T8_P12ihipStream_tbENKUlT_T0_E_clISt17integral_constantIbLb0EES11_EEDaSW_SX_EUlSW_E_NS1_11comp_targetILNS1_3genE3ELNS1_11target_archE908ELNS1_3gpuE7ELNS1_3repE0EEENS1_30default_config_static_selectorELNS0_4arch9wavefront6targetE0EEEvT1_,"axG",@progbits,_ZN7rocprim17ROCPRIM_400000_NS6detail17trampoline_kernelINS0_14default_configENS1_33run_length_encode_config_selectorIN3c108BFloat16EjNS0_4plusIjEEEEZZNS1_33reduce_by_key_impl_wrapped_configILNS1_25lookback_scan_determinismE0ES3_S9_PKS6_NS0_17constant_iteratorIjlEEPS6_PlSH_S8_NS0_8equal_toIS6_EEEE10hipError_tPvRmT2_T3_mT4_T5_T6_T7_T8_P12ihipStream_tbENKUlT_T0_E_clISt17integral_constantIbLb0EES11_EEDaSW_SX_EUlSW_E_NS1_11comp_targetILNS1_3genE3ELNS1_11target_archE908ELNS1_3gpuE7ELNS1_3repE0EEENS1_30default_config_static_selectorELNS0_4arch9wavefront6targetE0EEEvT1_,comdat
.Lfunc_end859:
	.size	_ZN7rocprim17ROCPRIM_400000_NS6detail17trampoline_kernelINS0_14default_configENS1_33run_length_encode_config_selectorIN3c108BFloat16EjNS0_4plusIjEEEEZZNS1_33reduce_by_key_impl_wrapped_configILNS1_25lookback_scan_determinismE0ES3_S9_PKS6_NS0_17constant_iteratorIjlEEPS6_PlSH_S8_NS0_8equal_toIS6_EEEE10hipError_tPvRmT2_T3_mT4_T5_T6_T7_T8_P12ihipStream_tbENKUlT_T0_E_clISt17integral_constantIbLb0EES11_EEDaSW_SX_EUlSW_E_NS1_11comp_targetILNS1_3genE3ELNS1_11target_archE908ELNS1_3gpuE7ELNS1_3repE0EEENS1_30default_config_static_selectorELNS0_4arch9wavefront6targetE0EEEvT1_, .Lfunc_end859-_ZN7rocprim17ROCPRIM_400000_NS6detail17trampoline_kernelINS0_14default_configENS1_33run_length_encode_config_selectorIN3c108BFloat16EjNS0_4plusIjEEEEZZNS1_33reduce_by_key_impl_wrapped_configILNS1_25lookback_scan_determinismE0ES3_S9_PKS6_NS0_17constant_iteratorIjlEEPS6_PlSH_S8_NS0_8equal_toIS6_EEEE10hipError_tPvRmT2_T3_mT4_T5_T6_T7_T8_P12ihipStream_tbENKUlT_T0_E_clISt17integral_constantIbLb0EES11_EEDaSW_SX_EUlSW_E_NS1_11comp_targetILNS1_3genE3ELNS1_11target_archE908ELNS1_3gpuE7ELNS1_3repE0EEENS1_30default_config_static_selectorELNS0_4arch9wavefront6targetE0EEEvT1_
                                        ; -- End function
	.set _ZN7rocprim17ROCPRIM_400000_NS6detail17trampoline_kernelINS0_14default_configENS1_33run_length_encode_config_selectorIN3c108BFloat16EjNS0_4plusIjEEEEZZNS1_33reduce_by_key_impl_wrapped_configILNS1_25lookback_scan_determinismE0ES3_S9_PKS6_NS0_17constant_iteratorIjlEEPS6_PlSH_S8_NS0_8equal_toIS6_EEEE10hipError_tPvRmT2_T3_mT4_T5_T6_T7_T8_P12ihipStream_tbENKUlT_T0_E_clISt17integral_constantIbLb0EES11_EEDaSW_SX_EUlSW_E_NS1_11comp_targetILNS1_3genE3ELNS1_11target_archE908ELNS1_3gpuE7ELNS1_3repE0EEENS1_30default_config_static_selectorELNS0_4arch9wavefront6targetE0EEEvT1_.num_vgpr, 0
	.set _ZN7rocprim17ROCPRIM_400000_NS6detail17trampoline_kernelINS0_14default_configENS1_33run_length_encode_config_selectorIN3c108BFloat16EjNS0_4plusIjEEEEZZNS1_33reduce_by_key_impl_wrapped_configILNS1_25lookback_scan_determinismE0ES3_S9_PKS6_NS0_17constant_iteratorIjlEEPS6_PlSH_S8_NS0_8equal_toIS6_EEEE10hipError_tPvRmT2_T3_mT4_T5_T6_T7_T8_P12ihipStream_tbENKUlT_T0_E_clISt17integral_constantIbLb0EES11_EEDaSW_SX_EUlSW_E_NS1_11comp_targetILNS1_3genE3ELNS1_11target_archE908ELNS1_3gpuE7ELNS1_3repE0EEENS1_30default_config_static_selectorELNS0_4arch9wavefront6targetE0EEEvT1_.num_agpr, 0
	.set _ZN7rocprim17ROCPRIM_400000_NS6detail17trampoline_kernelINS0_14default_configENS1_33run_length_encode_config_selectorIN3c108BFloat16EjNS0_4plusIjEEEEZZNS1_33reduce_by_key_impl_wrapped_configILNS1_25lookback_scan_determinismE0ES3_S9_PKS6_NS0_17constant_iteratorIjlEEPS6_PlSH_S8_NS0_8equal_toIS6_EEEE10hipError_tPvRmT2_T3_mT4_T5_T6_T7_T8_P12ihipStream_tbENKUlT_T0_E_clISt17integral_constantIbLb0EES11_EEDaSW_SX_EUlSW_E_NS1_11comp_targetILNS1_3genE3ELNS1_11target_archE908ELNS1_3gpuE7ELNS1_3repE0EEENS1_30default_config_static_selectorELNS0_4arch9wavefront6targetE0EEEvT1_.numbered_sgpr, 0
	.set _ZN7rocprim17ROCPRIM_400000_NS6detail17trampoline_kernelINS0_14default_configENS1_33run_length_encode_config_selectorIN3c108BFloat16EjNS0_4plusIjEEEEZZNS1_33reduce_by_key_impl_wrapped_configILNS1_25lookback_scan_determinismE0ES3_S9_PKS6_NS0_17constant_iteratorIjlEEPS6_PlSH_S8_NS0_8equal_toIS6_EEEE10hipError_tPvRmT2_T3_mT4_T5_T6_T7_T8_P12ihipStream_tbENKUlT_T0_E_clISt17integral_constantIbLb0EES11_EEDaSW_SX_EUlSW_E_NS1_11comp_targetILNS1_3genE3ELNS1_11target_archE908ELNS1_3gpuE7ELNS1_3repE0EEENS1_30default_config_static_selectorELNS0_4arch9wavefront6targetE0EEEvT1_.num_named_barrier, 0
	.set _ZN7rocprim17ROCPRIM_400000_NS6detail17trampoline_kernelINS0_14default_configENS1_33run_length_encode_config_selectorIN3c108BFloat16EjNS0_4plusIjEEEEZZNS1_33reduce_by_key_impl_wrapped_configILNS1_25lookback_scan_determinismE0ES3_S9_PKS6_NS0_17constant_iteratorIjlEEPS6_PlSH_S8_NS0_8equal_toIS6_EEEE10hipError_tPvRmT2_T3_mT4_T5_T6_T7_T8_P12ihipStream_tbENKUlT_T0_E_clISt17integral_constantIbLb0EES11_EEDaSW_SX_EUlSW_E_NS1_11comp_targetILNS1_3genE3ELNS1_11target_archE908ELNS1_3gpuE7ELNS1_3repE0EEENS1_30default_config_static_selectorELNS0_4arch9wavefront6targetE0EEEvT1_.private_seg_size, 0
	.set _ZN7rocprim17ROCPRIM_400000_NS6detail17trampoline_kernelINS0_14default_configENS1_33run_length_encode_config_selectorIN3c108BFloat16EjNS0_4plusIjEEEEZZNS1_33reduce_by_key_impl_wrapped_configILNS1_25lookback_scan_determinismE0ES3_S9_PKS6_NS0_17constant_iteratorIjlEEPS6_PlSH_S8_NS0_8equal_toIS6_EEEE10hipError_tPvRmT2_T3_mT4_T5_T6_T7_T8_P12ihipStream_tbENKUlT_T0_E_clISt17integral_constantIbLb0EES11_EEDaSW_SX_EUlSW_E_NS1_11comp_targetILNS1_3genE3ELNS1_11target_archE908ELNS1_3gpuE7ELNS1_3repE0EEENS1_30default_config_static_selectorELNS0_4arch9wavefront6targetE0EEEvT1_.uses_vcc, 0
	.set _ZN7rocprim17ROCPRIM_400000_NS6detail17trampoline_kernelINS0_14default_configENS1_33run_length_encode_config_selectorIN3c108BFloat16EjNS0_4plusIjEEEEZZNS1_33reduce_by_key_impl_wrapped_configILNS1_25lookback_scan_determinismE0ES3_S9_PKS6_NS0_17constant_iteratorIjlEEPS6_PlSH_S8_NS0_8equal_toIS6_EEEE10hipError_tPvRmT2_T3_mT4_T5_T6_T7_T8_P12ihipStream_tbENKUlT_T0_E_clISt17integral_constantIbLb0EES11_EEDaSW_SX_EUlSW_E_NS1_11comp_targetILNS1_3genE3ELNS1_11target_archE908ELNS1_3gpuE7ELNS1_3repE0EEENS1_30default_config_static_selectorELNS0_4arch9wavefront6targetE0EEEvT1_.uses_flat_scratch, 0
	.set _ZN7rocprim17ROCPRIM_400000_NS6detail17trampoline_kernelINS0_14default_configENS1_33run_length_encode_config_selectorIN3c108BFloat16EjNS0_4plusIjEEEEZZNS1_33reduce_by_key_impl_wrapped_configILNS1_25lookback_scan_determinismE0ES3_S9_PKS6_NS0_17constant_iteratorIjlEEPS6_PlSH_S8_NS0_8equal_toIS6_EEEE10hipError_tPvRmT2_T3_mT4_T5_T6_T7_T8_P12ihipStream_tbENKUlT_T0_E_clISt17integral_constantIbLb0EES11_EEDaSW_SX_EUlSW_E_NS1_11comp_targetILNS1_3genE3ELNS1_11target_archE908ELNS1_3gpuE7ELNS1_3repE0EEENS1_30default_config_static_selectorELNS0_4arch9wavefront6targetE0EEEvT1_.has_dyn_sized_stack, 0
	.set _ZN7rocprim17ROCPRIM_400000_NS6detail17trampoline_kernelINS0_14default_configENS1_33run_length_encode_config_selectorIN3c108BFloat16EjNS0_4plusIjEEEEZZNS1_33reduce_by_key_impl_wrapped_configILNS1_25lookback_scan_determinismE0ES3_S9_PKS6_NS0_17constant_iteratorIjlEEPS6_PlSH_S8_NS0_8equal_toIS6_EEEE10hipError_tPvRmT2_T3_mT4_T5_T6_T7_T8_P12ihipStream_tbENKUlT_T0_E_clISt17integral_constantIbLb0EES11_EEDaSW_SX_EUlSW_E_NS1_11comp_targetILNS1_3genE3ELNS1_11target_archE908ELNS1_3gpuE7ELNS1_3repE0EEENS1_30default_config_static_selectorELNS0_4arch9wavefront6targetE0EEEvT1_.has_recursion, 0
	.set _ZN7rocprim17ROCPRIM_400000_NS6detail17trampoline_kernelINS0_14default_configENS1_33run_length_encode_config_selectorIN3c108BFloat16EjNS0_4plusIjEEEEZZNS1_33reduce_by_key_impl_wrapped_configILNS1_25lookback_scan_determinismE0ES3_S9_PKS6_NS0_17constant_iteratorIjlEEPS6_PlSH_S8_NS0_8equal_toIS6_EEEE10hipError_tPvRmT2_T3_mT4_T5_T6_T7_T8_P12ihipStream_tbENKUlT_T0_E_clISt17integral_constantIbLb0EES11_EEDaSW_SX_EUlSW_E_NS1_11comp_targetILNS1_3genE3ELNS1_11target_archE908ELNS1_3gpuE7ELNS1_3repE0EEENS1_30default_config_static_selectorELNS0_4arch9wavefront6targetE0EEEvT1_.has_indirect_call, 0
	.section	.AMDGPU.csdata,"",@progbits
; Kernel info:
; codeLenInByte = 0
; TotalNumSgprs: 0
; NumVgprs: 0
; ScratchSize: 0
; MemoryBound: 0
; FloatMode: 240
; IeeeMode: 1
; LDSByteSize: 0 bytes/workgroup (compile time only)
; SGPRBlocks: 0
; VGPRBlocks: 0
; NumSGPRsForWavesPerEU: 1
; NumVGPRsForWavesPerEU: 1
; NamedBarCnt: 0
; Occupancy: 16
; WaveLimiterHint : 0
; COMPUTE_PGM_RSRC2:SCRATCH_EN: 0
; COMPUTE_PGM_RSRC2:USER_SGPR: 2
; COMPUTE_PGM_RSRC2:TRAP_HANDLER: 0
; COMPUTE_PGM_RSRC2:TGID_X_EN: 1
; COMPUTE_PGM_RSRC2:TGID_Y_EN: 0
; COMPUTE_PGM_RSRC2:TGID_Z_EN: 0
; COMPUTE_PGM_RSRC2:TIDIG_COMP_CNT: 0
	.section	.text._ZN7rocprim17ROCPRIM_400000_NS6detail17trampoline_kernelINS0_14default_configENS1_33run_length_encode_config_selectorIN3c108BFloat16EjNS0_4plusIjEEEEZZNS1_33reduce_by_key_impl_wrapped_configILNS1_25lookback_scan_determinismE0ES3_S9_PKS6_NS0_17constant_iteratorIjlEEPS6_PlSH_S8_NS0_8equal_toIS6_EEEE10hipError_tPvRmT2_T3_mT4_T5_T6_T7_T8_P12ihipStream_tbENKUlT_T0_E_clISt17integral_constantIbLb0EES11_EEDaSW_SX_EUlSW_E_NS1_11comp_targetILNS1_3genE2ELNS1_11target_archE906ELNS1_3gpuE6ELNS1_3repE0EEENS1_30default_config_static_selectorELNS0_4arch9wavefront6targetE0EEEvT1_,"axG",@progbits,_ZN7rocprim17ROCPRIM_400000_NS6detail17trampoline_kernelINS0_14default_configENS1_33run_length_encode_config_selectorIN3c108BFloat16EjNS0_4plusIjEEEEZZNS1_33reduce_by_key_impl_wrapped_configILNS1_25lookback_scan_determinismE0ES3_S9_PKS6_NS0_17constant_iteratorIjlEEPS6_PlSH_S8_NS0_8equal_toIS6_EEEE10hipError_tPvRmT2_T3_mT4_T5_T6_T7_T8_P12ihipStream_tbENKUlT_T0_E_clISt17integral_constantIbLb0EES11_EEDaSW_SX_EUlSW_E_NS1_11comp_targetILNS1_3genE2ELNS1_11target_archE906ELNS1_3gpuE6ELNS1_3repE0EEENS1_30default_config_static_selectorELNS0_4arch9wavefront6targetE0EEEvT1_,comdat
	.protected	_ZN7rocprim17ROCPRIM_400000_NS6detail17trampoline_kernelINS0_14default_configENS1_33run_length_encode_config_selectorIN3c108BFloat16EjNS0_4plusIjEEEEZZNS1_33reduce_by_key_impl_wrapped_configILNS1_25lookback_scan_determinismE0ES3_S9_PKS6_NS0_17constant_iteratorIjlEEPS6_PlSH_S8_NS0_8equal_toIS6_EEEE10hipError_tPvRmT2_T3_mT4_T5_T6_T7_T8_P12ihipStream_tbENKUlT_T0_E_clISt17integral_constantIbLb0EES11_EEDaSW_SX_EUlSW_E_NS1_11comp_targetILNS1_3genE2ELNS1_11target_archE906ELNS1_3gpuE6ELNS1_3repE0EEENS1_30default_config_static_selectorELNS0_4arch9wavefront6targetE0EEEvT1_ ; -- Begin function _ZN7rocprim17ROCPRIM_400000_NS6detail17trampoline_kernelINS0_14default_configENS1_33run_length_encode_config_selectorIN3c108BFloat16EjNS0_4plusIjEEEEZZNS1_33reduce_by_key_impl_wrapped_configILNS1_25lookback_scan_determinismE0ES3_S9_PKS6_NS0_17constant_iteratorIjlEEPS6_PlSH_S8_NS0_8equal_toIS6_EEEE10hipError_tPvRmT2_T3_mT4_T5_T6_T7_T8_P12ihipStream_tbENKUlT_T0_E_clISt17integral_constantIbLb0EES11_EEDaSW_SX_EUlSW_E_NS1_11comp_targetILNS1_3genE2ELNS1_11target_archE906ELNS1_3gpuE6ELNS1_3repE0EEENS1_30default_config_static_selectorELNS0_4arch9wavefront6targetE0EEEvT1_
	.globl	_ZN7rocprim17ROCPRIM_400000_NS6detail17trampoline_kernelINS0_14default_configENS1_33run_length_encode_config_selectorIN3c108BFloat16EjNS0_4plusIjEEEEZZNS1_33reduce_by_key_impl_wrapped_configILNS1_25lookback_scan_determinismE0ES3_S9_PKS6_NS0_17constant_iteratorIjlEEPS6_PlSH_S8_NS0_8equal_toIS6_EEEE10hipError_tPvRmT2_T3_mT4_T5_T6_T7_T8_P12ihipStream_tbENKUlT_T0_E_clISt17integral_constantIbLb0EES11_EEDaSW_SX_EUlSW_E_NS1_11comp_targetILNS1_3genE2ELNS1_11target_archE906ELNS1_3gpuE6ELNS1_3repE0EEENS1_30default_config_static_selectorELNS0_4arch9wavefront6targetE0EEEvT1_
	.p2align	8
	.type	_ZN7rocprim17ROCPRIM_400000_NS6detail17trampoline_kernelINS0_14default_configENS1_33run_length_encode_config_selectorIN3c108BFloat16EjNS0_4plusIjEEEEZZNS1_33reduce_by_key_impl_wrapped_configILNS1_25lookback_scan_determinismE0ES3_S9_PKS6_NS0_17constant_iteratorIjlEEPS6_PlSH_S8_NS0_8equal_toIS6_EEEE10hipError_tPvRmT2_T3_mT4_T5_T6_T7_T8_P12ihipStream_tbENKUlT_T0_E_clISt17integral_constantIbLb0EES11_EEDaSW_SX_EUlSW_E_NS1_11comp_targetILNS1_3genE2ELNS1_11target_archE906ELNS1_3gpuE6ELNS1_3repE0EEENS1_30default_config_static_selectorELNS0_4arch9wavefront6targetE0EEEvT1_,@function
_ZN7rocprim17ROCPRIM_400000_NS6detail17trampoline_kernelINS0_14default_configENS1_33run_length_encode_config_selectorIN3c108BFloat16EjNS0_4plusIjEEEEZZNS1_33reduce_by_key_impl_wrapped_configILNS1_25lookback_scan_determinismE0ES3_S9_PKS6_NS0_17constant_iteratorIjlEEPS6_PlSH_S8_NS0_8equal_toIS6_EEEE10hipError_tPvRmT2_T3_mT4_T5_T6_T7_T8_P12ihipStream_tbENKUlT_T0_E_clISt17integral_constantIbLb0EES11_EEDaSW_SX_EUlSW_E_NS1_11comp_targetILNS1_3genE2ELNS1_11target_archE906ELNS1_3gpuE6ELNS1_3repE0EEENS1_30default_config_static_selectorELNS0_4arch9wavefront6targetE0EEEvT1_: ; @_ZN7rocprim17ROCPRIM_400000_NS6detail17trampoline_kernelINS0_14default_configENS1_33run_length_encode_config_selectorIN3c108BFloat16EjNS0_4plusIjEEEEZZNS1_33reduce_by_key_impl_wrapped_configILNS1_25lookback_scan_determinismE0ES3_S9_PKS6_NS0_17constant_iteratorIjlEEPS6_PlSH_S8_NS0_8equal_toIS6_EEEE10hipError_tPvRmT2_T3_mT4_T5_T6_T7_T8_P12ihipStream_tbENKUlT_T0_E_clISt17integral_constantIbLb0EES11_EEDaSW_SX_EUlSW_E_NS1_11comp_targetILNS1_3genE2ELNS1_11target_archE906ELNS1_3gpuE6ELNS1_3repE0EEENS1_30default_config_static_selectorELNS0_4arch9wavefront6targetE0EEEvT1_
; %bb.0:
	.section	.rodata,"a",@progbits
	.p2align	6, 0x0
	.amdhsa_kernel _ZN7rocprim17ROCPRIM_400000_NS6detail17trampoline_kernelINS0_14default_configENS1_33run_length_encode_config_selectorIN3c108BFloat16EjNS0_4plusIjEEEEZZNS1_33reduce_by_key_impl_wrapped_configILNS1_25lookback_scan_determinismE0ES3_S9_PKS6_NS0_17constant_iteratorIjlEEPS6_PlSH_S8_NS0_8equal_toIS6_EEEE10hipError_tPvRmT2_T3_mT4_T5_T6_T7_T8_P12ihipStream_tbENKUlT_T0_E_clISt17integral_constantIbLb0EES11_EEDaSW_SX_EUlSW_E_NS1_11comp_targetILNS1_3genE2ELNS1_11target_archE906ELNS1_3gpuE6ELNS1_3repE0EEENS1_30default_config_static_selectorELNS0_4arch9wavefront6targetE0EEEvT1_
		.amdhsa_group_segment_fixed_size 0
		.amdhsa_private_segment_fixed_size 0
		.amdhsa_kernarg_size 128
		.amdhsa_user_sgpr_count 2
		.amdhsa_user_sgpr_dispatch_ptr 0
		.amdhsa_user_sgpr_queue_ptr 0
		.amdhsa_user_sgpr_kernarg_segment_ptr 1
		.amdhsa_user_sgpr_dispatch_id 0
		.amdhsa_user_sgpr_kernarg_preload_length 0
		.amdhsa_user_sgpr_kernarg_preload_offset 0
		.amdhsa_user_sgpr_private_segment_size 0
		.amdhsa_wavefront_size32 1
		.amdhsa_uses_dynamic_stack 0
		.amdhsa_enable_private_segment 0
		.amdhsa_system_sgpr_workgroup_id_x 1
		.amdhsa_system_sgpr_workgroup_id_y 0
		.amdhsa_system_sgpr_workgroup_id_z 0
		.amdhsa_system_sgpr_workgroup_info 0
		.amdhsa_system_vgpr_workitem_id 0
		.amdhsa_next_free_vgpr 1
		.amdhsa_next_free_sgpr 1
		.amdhsa_named_barrier_count 0
		.amdhsa_reserve_vcc 0
		.amdhsa_float_round_mode_32 0
		.amdhsa_float_round_mode_16_64 0
		.amdhsa_float_denorm_mode_32 3
		.amdhsa_float_denorm_mode_16_64 3
		.amdhsa_fp16_overflow 0
		.amdhsa_memory_ordered 1
		.amdhsa_forward_progress 1
		.amdhsa_inst_pref_size 0
		.amdhsa_round_robin_scheduling 0
		.amdhsa_exception_fp_ieee_invalid_op 0
		.amdhsa_exception_fp_denorm_src 0
		.amdhsa_exception_fp_ieee_div_zero 0
		.amdhsa_exception_fp_ieee_overflow 0
		.amdhsa_exception_fp_ieee_underflow 0
		.amdhsa_exception_fp_ieee_inexact 0
		.amdhsa_exception_int_div_zero 0
	.end_amdhsa_kernel
	.section	.text._ZN7rocprim17ROCPRIM_400000_NS6detail17trampoline_kernelINS0_14default_configENS1_33run_length_encode_config_selectorIN3c108BFloat16EjNS0_4plusIjEEEEZZNS1_33reduce_by_key_impl_wrapped_configILNS1_25lookback_scan_determinismE0ES3_S9_PKS6_NS0_17constant_iteratorIjlEEPS6_PlSH_S8_NS0_8equal_toIS6_EEEE10hipError_tPvRmT2_T3_mT4_T5_T6_T7_T8_P12ihipStream_tbENKUlT_T0_E_clISt17integral_constantIbLb0EES11_EEDaSW_SX_EUlSW_E_NS1_11comp_targetILNS1_3genE2ELNS1_11target_archE906ELNS1_3gpuE6ELNS1_3repE0EEENS1_30default_config_static_selectorELNS0_4arch9wavefront6targetE0EEEvT1_,"axG",@progbits,_ZN7rocprim17ROCPRIM_400000_NS6detail17trampoline_kernelINS0_14default_configENS1_33run_length_encode_config_selectorIN3c108BFloat16EjNS0_4plusIjEEEEZZNS1_33reduce_by_key_impl_wrapped_configILNS1_25lookback_scan_determinismE0ES3_S9_PKS6_NS0_17constant_iteratorIjlEEPS6_PlSH_S8_NS0_8equal_toIS6_EEEE10hipError_tPvRmT2_T3_mT4_T5_T6_T7_T8_P12ihipStream_tbENKUlT_T0_E_clISt17integral_constantIbLb0EES11_EEDaSW_SX_EUlSW_E_NS1_11comp_targetILNS1_3genE2ELNS1_11target_archE906ELNS1_3gpuE6ELNS1_3repE0EEENS1_30default_config_static_selectorELNS0_4arch9wavefront6targetE0EEEvT1_,comdat
.Lfunc_end860:
	.size	_ZN7rocprim17ROCPRIM_400000_NS6detail17trampoline_kernelINS0_14default_configENS1_33run_length_encode_config_selectorIN3c108BFloat16EjNS0_4plusIjEEEEZZNS1_33reduce_by_key_impl_wrapped_configILNS1_25lookback_scan_determinismE0ES3_S9_PKS6_NS0_17constant_iteratorIjlEEPS6_PlSH_S8_NS0_8equal_toIS6_EEEE10hipError_tPvRmT2_T3_mT4_T5_T6_T7_T8_P12ihipStream_tbENKUlT_T0_E_clISt17integral_constantIbLb0EES11_EEDaSW_SX_EUlSW_E_NS1_11comp_targetILNS1_3genE2ELNS1_11target_archE906ELNS1_3gpuE6ELNS1_3repE0EEENS1_30default_config_static_selectorELNS0_4arch9wavefront6targetE0EEEvT1_, .Lfunc_end860-_ZN7rocprim17ROCPRIM_400000_NS6detail17trampoline_kernelINS0_14default_configENS1_33run_length_encode_config_selectorIN3c108BFloat16EjNS0_4plusIjEEEEZZNS1_33reduce_by_key_impl_wrapped_configILNS1_25lookback_scan_determinismE0ES3_S9_PKS6_NS0_17constant_iteratorIjlEEPS6_PlSH_S8_NS0_8equal_toIS6_EEEE10hipError_tPvRmT2_T3_mT4_T5_T6_T7_T8_P12ihipStream_tbENKUlT_T0_E_clISt17integral_constantIbLb0EES11_EEDaSW_SX_EUlSW_E_NS1_11comp_targetILNS1_3genE2ELNS1_11target_archE906ELNS1_3gpuE6ELNS1_3repE0EEENS1_30default_config_static_selectorELNS0_4arch9wavefront6targetE0EEEvT1_
                                        ; -- End function
	.set _ZN7rocprim17ROCPRIM_400000_NS6detail17trampoline_kernelINS0_14default_configENS1_33run_length_encode_config_selectorIN3c108BFloat16EjNS0_4plusIjEEEEZZNS1_33reduce_by_key_impl_wrapped_configILNS1_25lookback_scan_determinismE0ES3_S9_PKS6_NS0_17constant_iteratorIjlEEPS6_PlSH_S8_NS0_8equal_toIS6_EEEE10hipError_tPvRmT2_T3_mT4_T5_T6_T7_T8_P12ihipStream_tbENKUlT_T0_E_clISt17integral_constantIbLb0EES11_EEDaSW_SX_EUlSW_E_NS1_11comp_targetILNS1_3genE2ELNS1_11target_archE906ELNS1_3gpuE6ELNS1_3repE0EEENS1_30default_config_static_selectorELNS0_4arch9wavefront6targetE0EEEvT1_.num_vgpr, 0
	.set _ZN7rocprim17ROCPRIM_400000_NS6detail17trampoline_kernelINS0_14default_configENS1_33run_length_encode_config_selectorIN3c108BFloat16EjNS0_4plusIjEEEEZZNS1_33reduce_by_key_impl_wrapped_configILNS1_25lookback_scan_determinismE0ES3_S9_PKS6_NS0_17constant_iteratorIjlEEPS6_PlSH_S8_NS0_8equal_toIS6_EEEE10hipError_tPvRmT2_T3_mT4_T5_T6_T7_T8_P12ihipStream_tbENKUlT_T0_E_clISt17integral_constantIbLb0EES11_EEDaSW_SX_EUlSW_E_NS1_11comp_targetILNS1_3genE2ELNS1_11target_archE906ELNS1_3gpuE6ELNS1_3repE0EEENS1_30default_config_static_selectorELNS0_4arch9wavefront6targetE0EEEvT1_.num_agpr, 0
	.set _ZN7rocprim17ROCPRIM_400000_NS6detail17trampoline_kernelINS0_14default_configENS1_33run_length_encode_config_selectorIN3c108BFloat16EjNS0_4plusIjEEEEZZNS1_33reduce_by_key_impl_wrapped_configILNS1_25lookback_scan_determinismE0ES3_S9_PKS6_NS0_17constant_iteratorIjlEEPS6_PlSH_S8_NS0_8equal_toIS6_EEEE10hipError_tPvRmT2_T3_mT4_T5_T6_T7_T8_P12ihipStream_tbENKUlT_T0_E_clISt17integral_constantIbLb0EES11_EEDaSW_SX_EUlSW_E_NS1_11comp_targetILNS1_3genE2ELNS1_11target_archE906ELNS1_3gpuE6ELNS1_3repE0EEENS1_30default_config_static_selectorELNS0_4arch9wavefront6targetE0EEEvT1_.numbered_sgpr, 0
	.set _ZN7rocprim17ROCPRIM_400000_NS6detail17trampoline_kernelINS0_14default_configENS1_33run_length_encode_config_selectorIN3c108BFloat16EjNS0_4plusIjEEEEZZNS1_33reduce_by_key_impl_wrapped_configILNS1_25lookback_scan_determinismE0ES3_S9_PKS6_NS0_17constant_iteratorIjlEEPS6_PlSH_S8_NS0_8equal_toIS6_EEEE10hipError_tPvRmT2_T3_mT4_T5_T6_T7_T8_P12ihipStream_tbENKUlT_T0_E_clISt17integral_constantIbLb0EES11_EEDaSW_SX_EUlSW_E_NS1_11comp_targetILNS1_3genE2ELNS1_11target_archE906ELNS1_3gpuE6ELNS1_3repE0EEENS1_30default_config_static_selectorELNS0_4arch9wavefront6targetE0EEEvT1_.num_named_barrier, 0
	.set _ZN7rocprim17ROCPRIM_400000_NS6detail17trampoline_kernelINS0_14default_configENS1_33run_length_encode_config_selectorIN3c108BFloat16EjNS0_4plusIjEEEEZZNS1_33reduce_by_key_impl_wrapped_configILNS1_25lookback_scan_determinismE0ES3_S9_PKS6_NS0_17constant_iteratorIjlEEPS6_PlSH_S8_NS0_8equal_toIS6_EEEE10hipError_tPvRmT2_T3_mT4_T5_T6_T7_T8_P12ihipStream_tbENKUlT_T0_E_clISt17integral_constantIbLb0EES11_EEDaSW_SX_EUlSW_E_NS1_11comp_targetILNS1_3genE2ELNS1_11target_archE906ELNS1_3gpuE6ELNS1_3repE0EEENS1_30default_config_static_selectorELNS0_4arch9wavefront6targetE0EEEvT1_.private_seg_size, 0
	.set _ZN7rocprim17ROCPRIM_400000_NS6detail17trampoline_kernelINS0_14default_configENS1_33run_length_encode_config_selectorIN3c108BFloat16EjNS0_4plusIjEEEEZZNS1_33reduce_by_key_impl_wrapped_configILNS1_25lookback_scan_determinismE0ES3_S9_PKS6_NS0_17constant_iteratorIjlEEPS6_PlSH_S8_NS0_8equal_toIS6_EEEE10hipError_tPvRmT2_T3_mT4_T5_T6_T7_T8_P12ihipStream_tbENKUlT_T0_E_clISt17integral_constantIbLb0EES11_EEDaSW_SX_EUlSW_E_NS1_11comp_targetILNS1_3genE2ELNS1_11target_archE906ELNS1_3gpuE6ELNS1_3repE0EEENS1_30default_config_static_selectorELNS0_4arch9wavefront6targetE0EEEvT1_.uses_vcc, 0
	.set _ZN7rocprim17ROCPRIM_400000_NS6detail17trampoline_kernelINS0_14default_configENS1_33run_length_encode_config_selectorIN3c108BFloat16EjNS0_4plusIjEEEEZZNS1_33reduce_by_key_impl_wrapped_configILNS1_25lookback_scan_determinismE0ES3_S9_PKS6_NS0_17constant_iteratorIjlEEPS6_PlSH_S8_NS0_8equal_toIS6_EEEE10hipError_tPvRmT2_T3_mT4_T5_T6_T7_T8_P12ihipStream_tbENKUlT_T0_E_clISt17integral_constantIbLb0EES11_EEDaSW_SX_EUlSW_E_NS1_11comp_targetILNS1_3genE2ELNS1_11target_archE906ELNS1_3gpuE6ELNS1_3repE0EEENS1_30default_config_static_selectorELNS0_4arch9wavefront6targetE0EEEvT1_.uses_flat_scratch, 0
	.set _ZN7rocprim17ROCPRIM_400000_NS6detail17trampoline_kernelINS0_14default_configENS1_33run_length_encode_config_selectorIN3c108BFloat16EjNS0_4plusIjEEEEZZNS1_33reduce_by_key_impl_wrapped_configILNS1_25lookback_scan_determinismE0ES3_S9_PKS6_NS0_17constant_iteratorIjlEEPS6_PlSH_S8_NS0_8equal_toIS6_EEEE10hipError_tPvRmT2_T3_mT4_T5_T6_T7_T8_P12ihipStream_tbENKUlT_T0_E_clISt17integral_constantIbLb0EES11_EEDaSW_SX_EUlSW_E_NS1_11comp_targetILNS1_3genE2ELNS1_11target_archE906ELNS1_3gpuE6ELNS1_3repE0EEENS1_30default_config_static_selectorELNS0_4arch9wavefront6targetE0EEEvT1_.has_dyn_sized_stack, 0
	.set _ZN7rocprim17ROCPRIM_400000_NS6detail17trampoline_kernelINS0_14default_configENS1_33run_length_encode_config_selectorIN3c108BFloat16EjNS0_4plusIjEEEEZZNS1_33reduce_by_key_impl_wrapped_configILNS1_25lookback_scan_determinismE0ES3_S9_PKS6_NS0_17constant_iteratorIjlEEPS6_PlSH_S8_NS0_8equal_toIS6_EEEE10hipError_tPvRmT2_T3_mT4_T5_T6_T7_T8_P12ihipStream_tbENKUlT_T0_E_clISt17integral_constantIbLb0EES11_EEDaSW_SX_EUlSW_E_NS1_11comp_targetILNS1_3genE2ELNS1_11target_archE906ELNS1_3gpuE6ELNS1_3repE0EEENS1_30default_config_static_selectorELNS0_4arch9wavefront6targetE0EEEvT1_.has_recursion, 0
	.set _ZN7rocprim17ROCPRIM_400000_NS6detail17trampoline_kernelINS0_14default_configENS1_33run_length_encode_config_selectorIN3c108BFloat16EjNS0_4plusIjEEEEZZNS1_33reduce_by_key_impl_wrapped_configILNS1_25lookback_scan_determinismE0ES3_S9_PKS6_NS0_17constant_iteratorIjlEEPS6_PlSH_S8_NS0_8equal_toIS6_EEEE10hipError_tPvRmT2_T3_mT4_T5_T6_T7_T8_P12ihipStream_tbENKUlT_T0_E_clISt17integral_constantIbLb0EES11_EEDaSW_SX_EUlSW_E_NS1_11comp_targetILNS1_3genE2ELNS1_11target_archE906ELNS1_3gpuE6ELNS1_3repE0EEENS1_30default_config_static_selectorELNS0_4arch9wavefront6targetE0EEEvT1_.has_indirect_call, 0
	.section	.AMDGPU.csdata,"",@progbits
; Kernel info:
; codeLenInByte = 0
; TotalNumSgprs: 0
; NumVgprs: 0
; ScratchSize: 0
; MemoryBound: 0
; FloatMode: 240
; IeeeMode: 1
; LDSByteSize: 0 bytes/workgroup (compile time only)
; SGPRBlocks: 0
; VGPRBlocks: 0
; NumSGPRsForWavesPerEU: 1
; NumVGPRsForWavesPerEU: 1
; NamedBarCnt: 0
; Occupancy: 16
; WaveLimiterHint : 0
; COMPUTE_PGM_RSRC2:SCRATCH_EN: 0
; COMPUTE_PGM_RSRC2:USER_SGPR: 2
; COMPUTE_PGM_RSRC2:TRAP_HANDLER: 0
; COMPUTE_PGM_RSRC2:TGID_X_EN: 1
; COMPUTE_PGM_RSRC2:TGID_Y_EN: 0
; COMPUTE_PGM_RSRC2:TGID_Z_EN: 0
; COMPUTE_PGM_RSRC2:TIDIG_COMP_CNT: 0
	.section	.text._ZN7rocprim17ROCPRIM_400000_NS6detail17trampoline_kernelINS0_14default_configENS1_33run_length_encode_config_selectorIN3c108BFloat16EjNS0_4plusIjEEEEZZNS1_33reduce_by_key_impl_wrapped_configILNS1_25lookback_scan_determinismE0ES3_S9_PKS6_NS0_17constant_iteratorIjlEEPS6_PlSH_S8_NS0_8equal_toIS6_EEEE10hipError_tPvRmT2_T3_mT4_T5_T6_T7_T8_P12ihipStream_tbENKUlT_T0_E_clISt17integral_constantIbLb0EES11_EEDaSW_SX_EUlSW_E_NS1_11comp_targetILNS1_3genE10ELNS1_11target_archE1201ELNS1_3gpuE5ELNS1_3repE0EEENS1_30default_config_static_selectorELNS0_4arch9wavefront6targetE0EEEvT1_,"axG",@progbits,_ZN7rocprim17ROCPRIM_400000_NS6detail17trampoline_kernelINS0_14default_configENS1_33run_length_encode_config_selectorIN3c108BFloat16EjNS0_4plusIjEEEEZZNS1_33reduce_by_key_impl_wrapped_configILNS1_25lookback_scan_determinismE0ES3_S9_PKS6_NS0_17constant_iteratorIjlEEPS6_PlSH_S8_NS0_8equal_toIS6_EEEE10hipError_tPvRmT2_T3_mT4_T5_T6_T7_T8_P12ihipStream_tbENKUlT_T0_E_clISt17integral_constantIbLb0EES11_EEDaSW_SX_EUlSW_E_NS1_11comp_targetILNS1_3genE10ELNS1_11target_archE1201ELNS1_3gpuE5ELNS1_3repE0EEENS1_30default_config_static_selectorELNS0_4arch9wavefront6targetE0EEEvT1_,comdat
	.protected	_ZN7rocprim17ROCPRIM_400000_NS6detail17trampoline_kernelINS0_14default_configENS1_33run_length_encode_config_selectorIN3c108BFloat16EjNS0_4plusIjEEEEZZNS1_33reduce_by_key_impl_wrapped_configILNS1_25lookback_scan_determinismE0ES3_S9_PKS6_NS0_17constant_iteratorIjlEEPS6_PlSH_S8_NS0_8equal_toIS6_EEEE10hipError_tPvRmT2_T3_mT4_T5_T6_T7_T8_P12ihipStream_tbENKUlT_T0_E_clISt17integral_constantIbLb0EES11_EEDaSW_SX_EUlSW_E_NS1_11comp_targetILNS1_3genE10ELNS1_11target_archE1201ELNS1_3gpuE5ELNS1_3repE0EEENS1_30default_config_static_selectorELNS0_4arch9wavefront6targetE0EEEvT1_ ; -- Begin function _ZN7rocprim17ROCPRIM_400000_NS6detail17trampoline_kernelINS0_14default_configENS1_33run_length_encode_config_selectorIN3c108BFloat16EjNS0_4plusIjEEEEZZNS1_33reduce_by_key_impl_wrapped_configILNS1_25lookback_scan_determinismE0ES3_S9_PKS6_NS0_17constant_iteratorIjlEEPS6_PlSH_S8_NS0_8equal_toIS6_EEEE10hipError_tPvRmT2_T3_mT4_T5_T6_T7_T8_P12ihipStream_tbENKUlT_T0_E_clISt17integral_constantIbLb0EES11_EEDaSW_SX_EUlSW_E_NS1_11comp_targetILNS1_3genE10ELNS1_11target_archE1201ELNS1_3gpuE5ELNS1_3repE0EEENS1_30default_config_static_selectorELNS0_4arch9wavefront6targetE0EEEvT1_
	.globl	_ZN7rocprim17ROCPRIM_400000_NS6detail17trampoline_kernelINS0_14default_configENS1_33run_length_encode_config_selectorIN3c108BFloat16EjNS0_4plusIjEEEEZZNS1_33reduce_by_key_impl_wrapped_configILNS1_25lookback_scan_determinismE0ES3_S9_PKS6_NS0_17constant_iteratorIjlEEPS6_PlSH_S8_NS0_8equal_toIS6_EEEE10hipError_tPvRmT2_T3_mT4_T5_T6_T7_T8_P12ihipStream_tbENKUlT_T0_E_clISt17integral_constantIbLb0EES11_EEDaSW_SX_EUlSW_E_NS1_11comp_targetILNS1_3genE10ELNS1_11target_archE1201ELNS1_3gpuE5ELNS1_3repE0EEENS1_30default_config_static_selectorELNS0_4arch9wavefront6targetE0EEEvT1_
	.p2align	8
	.type	_ZN7rocprim17ROCPRIM_400000_NS6detail17trampoline_kernelINS0_14default_configENS1_33run_length_encode_config_selectorIN3c108BFloat16EjNS0_4plusIjEEEEZZNS1_33reduce_by_key_impl_wrapped_configILNS1_25lookback_scan_determinismE0ES3_S9_PKS6_NS0_17constant_iteratorIjlEEPS6_PlSH_S8_NS0_8equal_toIS6_EEEE10hipError_tPvRmT2_T3_mT4_T5_T6_T7_T8_P12ihipStream_tbENKUlT_T0_E_clISt17integral_constantIbLb0EES11_EEDaSW_SX_EUlSW_E_NS1_11comp_targetILNS1_3genE10ELNS1_11target_archE1201ELNS1_3gpuE5ELNS1_3repE0EEENS1_30default_config_static_selectorELNS0_4arch9wavefront6targetE0EEEvT1_,@function
_ZN7rocprim17ROCPRIM_400000_NS6detail17trampoline_kernelINS0_14default_configENS1_33run_length_encode_config_selectorIN3c108BFloat16EjNS0_4plusIjEEEEZZNS1_33reduce_by_key_impl_wrapped_configILNS1_25lookback_scan_determinismE0ES3_S9_PKS6_NS0_17constant_iteratorIjlEEPS6_PlSH_S8_NS0_8equal_toIS6_EEEE10hipError_tPvRmT2_T3_mT4_T5_T6_T7_T8_P12ihipStream_tbENKUlT_T0_E_clISt17integral_constantIbLb0EES11_EEDaSW_SX_EUlSW_E_NS1_11comp_targetILNS1_3genE10ELNS1_11target_archE1201ELNS1_3gpuE5ELNS1_3repE0EEENS1_30default_config_static_selectorELNS0_4arch9wavefront6targetE0EEEvT1_: ; @_ZN7rocprim17ROCPRIM_400000_NS6detail17trampoline_kernelINS0_14default_configENS1_33run_length_encode_config_selectorIN3c108BFloat16EjNS0_4plusIjEEEEZZNS1_33reduce_by_key_impl_wrapped_configILNS1_25lookback_scan_determinismE0ES3_S9_PKS6_NS0_17constant_iteratorIjlEEPS6_PlSH_S8_NS0_8equal_toIS6_EEEE10hipError_tPvRmT2_T3_mT4_T5_T6_T7_T8_P12ihipStream_tbENKUlT_T0_E_clISt17integral_constantIbLb0EES11_EEDaSW_SX_EUlSW_E_NS1_11comp_targetILNS1_3genE10ELNS1_11target_archE1201ELNS1_3gpuE5ELNS1_3repE0EEENS1_30default_config_static_selectorELNS0_4arch9wavefront6targetE0EEEvT1_
; %bb.0:
	.section	.rodata,"a",@progbits
	.p2align	6, 0x0
	.amdhsa_kernel _ZN7rocprim17ROCPRIM_400000_NS6detail17trampoline_kernelINS0_14default_configENS1_33run_length_encode_config_selectorIN3c108BFloat16EjNS0_4plusIjEEEEZZNS1_33reduce_by_key_impl_wrapped_configILNS1_25lookback_scan_determinismE0ES3_S9_PKS6_NS0_17constant_iteratorIjlEEPS6_PlSH_S8_NS0_8equal_toIS6_EEEE10hipError_tPvRmT2_T3_mT4_T5_T6_T7_T8_P12ihipStream_tbENKUlT_T0_E_clISt17integral_constantIbLb0EES11_EEDaSW_SX_EUlSW_E_NS1_11comp_targetILNS1_3genE10ELNS1_11target_archE1201ELNS1_3gpuE5ELNS1_3repE0EEENS1_30default_config_static_selectorELNS0_4arch9wavefront6targetE0EEEvT1_
		.amdhsa_group_segment_fixed_size 0
		.amdhsa_private_segment_fixed_size 0
		.amdhsa_kernarg_size 128
		.amdhsa_user_sgpr_count 2
		.amdhsa_user_sgpr_dispatch_ptr 0
		.amdhsa_user_sgpr_queue_ptr 0
		.amdhsa_user_sgpr_kernarg_segment_ptr 1
		.amdhsa_user_sgpr_dispatch_id 0
		.amdhsa_user_sgpr_kernarg_preload_length 0
		.amdhsa_user_sgpr_kernarg_preload_offset 0
		.amdhsa_user_sgpr_private_segment_size 0
		.amdhsa_wavefront_size32 1
		.amdhsa_uses_dynamic_stack 0
		.amdhsa_enable_private_segment 0
		.amdhsa_system_sgpr_workgroup_id_x 1
		.amdhsa_system_sgpr_workgroup_id_y 0
		.amdhsa_system_sgpr_workgroup_id_z 0
		.amdhsa_system_sgpr_workgroup_info 0
		.amdhsa_system_vgpr_workitem_id 0
		.amdhsa_next_free_vgpr 1
		.amdhsa_next_free_sgpr 1
		.amdhsa_named_barrier_count 0
		.amdhsa_reserve_vcc 0
		.amdhsa_float_round_mode_32 0
		.amdhsa_float_round_mode_16_64 0
		.amdhsa_float_denorm_mode_32 3
		.amdhsa_float_denorm_mode_16_64 3
		.amdhsa_fp16_overflow 0
		.amdhsa_memory_ordered 1
		.amdhsa_forward_progress 1
		.amdhsa_inst_pref_size 0
		.amdhsa_round_robin_scheduling 0
		.amdhsa_exception_fp_ieee_invalid_op 0
		.amdhsa_exception_fp_denorm_src 0
		.amdhsa_exception_fp_ieee_div_zero 0
		.amdhsa_exception_fp_ieee_overflow 0
		.amdhsa_exception_fp_ieee_underflow 0
		.amdhsa_exception_fp_ieee_inexact 0
		.amdhsa_exception_int_div_zero 0
	.end_amdhsa_kernel
	.section	.text._ZN7rocprim17ROCPRIM_400000_NS6detail17trampoline_kernelINS0_14default_configENS1_33run_length_encode_config_selectorIN3c108BFloat16EjNS0_4plusIjEEEEZZNS1_33reduce_by_key_impl_wrapped_configILNS1_25lookback_scan_determinismE0ES3_S9_PKS6_NS0_17constant_iteratorIjlEEPS6_PlSH_S8_NS0_8equal_toIS6_EEEE10hipError_tPvRmT2_T3_mT4_T5_T6_T7_T8_P12ihipStream_tbENKUlT_T0_E_clISt17integral_constantIbLb0EES11_EEDaSW_SX_EUlSW_E_NS1_11comp_targetILNS1_3genE10ELNS1_11target_archE1201ELNS1_3gpuE5ELNS1_3repE0EEENS1_30default_config_static_selectorELNS0_4arch9wavefront6targetE0EEEvT1_,"axG",@progbits,_ZN7rocprim17ROCPRIM_400000_NS6detail17trampoline_kernelINS0_14default_configENS1_33run_length_encode_config_selectorIN3c108BFloat16EjNS0_4plusIjEEEEZZNS1_33reduce_by_key_impl_wrapped_configILNS1_25lookback_scan_determinismE0ES3_S9_PKS6_NS0_17constant_iteratorIjlEEPS6_PlSH_S8_NS0_8equal_toIS6_EEEE10hipError_tPvRmT2_T3_mT4_T5_T6_T7_T8_P12ihipStream_tbENKUlT_T0_E_clISt17integral_constantIbLb0EES11_EEDaSW_SX_EUlSW_E_NS1_11comp_targetILNS1_3genE10ELNS1_11target_archE1201ELNS1_3gpuE5ELNS1_3repE0EEENS1_30default_config_static_selectorELNS0_4arch9wavefront6targetE0EEEvT1_,comdat
.Lfunc_end861:
	.size	_ZN7rocprim17ROCPRIM_400000_NS6detail17trampoline_kernelINS0_14default_configENS1_33run_length_encode_config_selectorIN3c108BFloat16EjNS0_4plusIjEEEEZZNS1_33reduce_by_key_impl_wrapped_configILNS1_25lookback_scan_determinismE0ES3_S9_PKS6_NS0_17constant_iteratorIjlEEPS6_PlSH_S8_NS0_8equal_toIS6_EEEE10hipError_tPvRmT2_T3_mT4_T5_T6_T7_T8_P12ihipStream_tbENKUlT_T0_E_clISt17integral_constantIbLb0EES11_EEDaSW_SX_EUlSW_E_NS1_11comp_targetILNS1_3genE10ELNS1_11target_archE1201ELNS1_3gpuE5ELNS1_3repE0EEENS1_30default_config_static_selectorELNS0_4arch9wavefront6targetE0EEEvT1_, .Lfunc_end861-_ZN7rocprim17ROCPRIM_400000_NS6detail17trampoline_kernelINS0_14default_configENS1_33run_length_encode_config_selectorIN3c108BFloat16EjNS0_4plusIjEEEEZZNS1_33reduce_by_key_impl_wrapped_configILNS1_25lookback_scan_determinismE0ES3_S9_PKS6_NS0_17constant_iteratorIjlEEPS6_PlSH_S8_NS0_8equal_toIS6_EEEE10hipError_tPvRmT2_T3_mT4_T5_T6_T7_T8_P12ihipStream_tbENKUlT_T0_E_clISt17integral_constantIbLb0EES11_EEDaSW_SX_EUlSW_E_NS1_11comp_targetILNS1_3genE10ELNS1_11target_archE1201ELNS1_3gpuE5ELNS1_3repE0EEENS1_30default_config_static_selectorELNS0_4arch9wavefront6targetE0EEEvT1_
                                        ; -- End function
	.set _ZN7rocprim17ROCPRIM_400000_NS6detail17trampoline_kernelINS0_14default_configENS1_33run_length_encode_config_selectorIN3c108BFloat16EjNS0_4plusIjEEEEZZNS1_33reduce_by_key_impl_wrapped_configILNS1_25lookback_scan_determinismE0ES3_S9_PKS6_NS0_17constant_iteratorIjlEEPS6_PlSH_S8_NS0_8equal_toIS6_EEEE10hipError_tPvRmT2_T3_mT4_T5_T6_T7_T8_P12ihipStream_tbENKUlT_T0_E_clISt17integral_constantIbLb0EES11_EEDaSW_SX_EUlSW_E_NS1_11comp_targetILNS1_3genE10ELNS1_11target_archE1201ELNS1_3gpuE5ELNS1_3repE0EEENS1_30default_config_static_selectorELNS0_4arch9wavefront6targetE0EEEvT1_.num_vgpr, 0
	.set _ZN7rocprim17ROCPRIM_400000_NS6detail17trampoline_kernelINS0_14default_configENS1_33run_length_encode_config_selectorIN3c108BFloat16EjNS0_4plusIjEEEEZZNS1_33reduce_by_key_impl_wrapped_configILNS1_25lookback_scan_determinismE0ES3_S9_PKS6_NS0_17constant_iteratorIjlEEPS6_PlSH_S8_NS0_8equal_toIS6_EEEE10hipError_tPvRmT2_T3_mT4_T5_T6_T7_T8_P12ihipStream_tbENKUlT_T0_E_clISt17integral_constantIbLb0EES11_EEDaSW_SX_EUlSW_E_NS1_11comp_targetILNS1_3genE10ELNS1_11target_archE1201ELNS1_3gpuE5ELNS1_3repE0EEENS1_30default_config_static_selectorELNS0_4arch9wavefront6targetE0EEEvT1_.num_agpr, 0
	.set _ZN7rocprim17ROCPRIM_400000_NS6detail17trampoline_kernelINS0_14default_configENS1_33run_length_encode_config_selectorIN3c108BFloat16EjNS0_4plusIjEEEEZZNS1_33reduce_by_key_impl_wrapped_configILNS1_25lookback_scan_determinismE0ES3_S9_PKS6_NS0_17constant_iteratorIjlEEPS6_PlSH_S8_NS0_8equal_toIS6_EEEE10hipError_tPvRmT2_T3_mT4_T5_T6_T7_T8_P12ihipStream_tbENKUlT_T0_E_clISt17integral_constantIbLb0EES11_EEDaSW_SX_EUlSW_E_NS1_11comp_targetILNS1_3genE10ELNS1_11target_archE1201ELNS1_3gpuE5ELNS1_3repE0EEENS1_30default_config_static_selectorELNS0_4arch9wavefront6targetE0EEEvT1_.numbered_sgpr, 0
	.set _ZN7rocprim17ROCPRIM_400000_NS6detail17trampoline_kernelINS0_14default_configENS1_33run_length_encode_config_selectorIN3c108BFloat16EjNS0_4plusIjEEEEZZNS1_33reduce_by_key_impl_wrapped_configILNS1_25lookback_scan_determinismE0ES3_S9_PKS6_NS0_17constant_iteratorIjlEEPS6_PlSH_S8_NS0_8equal_toIS6_EEEE10hipError_tPvRmT2_T3_mT4_T5_T6_T7_T8_P12ihipStream_tbENKUlT_T0_E_clISt17integral_constantIbLb0EES11_EEDaSW_SX_EUlSW_E_NS1_11comp_targetILNS1_3genE10ELNS1_11target_archE1201ELNS1_3gpuE5ELNS1_3repE0EEENS1_30default_config_static_selectorELNS0_4arch9wavefront6targetE0EEEvT1_.num_named_barrier, 0
	.set _ZN7rocprim17ROCPRIM_400000_NS6detail17trampoline_kernelINS0_14default_configENS1_33run_length_encode_config_selectorIN3c108BFloat16EjNS0_4plusIjEEEEZZNS1_33reduce_by_key_impl_wrapped_configILNS1_25lookback_scan_determinismE0ES3_S9_PKS6_NS0_17constant_iteratorIjlEEPS6_PlSH_S8_NS0_8equal_toIS6_EEEE10hipError_tPvRmT2_T3_mT4_T5_T6_T7_T8_P12ihipStream_tbENKUlT_T0_E_clISt17integral_constantIbLb0EES11_EEDaSW_SX_EUlSW_E_NS1_11comp_targetILNS1_3genE10ELNS1_11target_archE1201ELNS1_3gpuE5ELNS1_3repE0EEENS1_30default_config_static_selectorELNS0_4arch9wavefront6targetE0EEEvT1_.private_seg_size, 0
	.set _ZN7rocprim17ROCPRIM_400000_NS6detail17trampoline_kernelINS0_14default_configENS1_33run_length_encode_config_selectorIN3c108BFloat16EjNS0_4plusIjEEEEZZNS1_33reduce_by_key_impl_wrapped_configILNS1_25lookback_scan_determinismE0ES3_S9_PKS6_NS0_17constant_iteratorIjlEEPS6_PlSH_S8_NS0_8equal_toIS6_EEEE10hipError_tPvRmT2_T3_mT4_T5_T6_T7_T8_P12ihipStream_tbENKUlT_T0_E_clISt17integral_constantIbLb0EES11_EEDaSW_SX_EUlSW_E_NS1_11comp_targetILNS1_3genE10ELNS1_11target_archE1201ELNS1_3gpuE5ELNS1_3repE0EEENS1_30default_config_static_selectorELNS0_4arch9wavefront6targetE0EEEvT1_.uses_vcc, 0
	.set _ZN7rocprim17ROCPRIM_400000_NS6detail17trampoline_kernelINS0_14default_configENS1_33run_length_encode_config_selectorIN3c108BFloat16EjNS0_4plusIjEEEEZZNS1_33reduce_by_key_impl_wrapped_configILNS1_25lookback_scan_determinismE0ES3_S9_PKS6_NS0_17constant_iteratorIjlEEPS6_PlSH_S8_NS0_8equal_toIS6_EEEE10hipError_tPvRmT2_T3_mT4_T5_T6_T7_T8_P12ihipStream_tbENKUlT_T0_E_clISt17integral_constantIbLb0EES11_EEDaSW_SX_EUlSW_E_NS1_11comp_targetILNS1_3genE10ELNS1_11target_archE1201ELNS1_3gpuE5ELNS1_3repE0EEENS1_30default_config_static_selectorELNS0_4arch9wavefront6targetE0EEEvT1_.uses_flat_scratch, 0
	.set _ZN7rocprim17ROCPRIM_400000_NS6detail17trampoline_kernelINS0_14default_configENS1_33run_length_encode_config_selectorIN3c108BFloat16EjNS0_4plusIjEEEEZZNS1_33reduce_by_key_impl_wrapped_configILNS1_25lookback_scan_determinismE0ES3_S9_PKS6_NS0_17constant_iteratorIjlEEPS6_PlSH_S8_NS0_8equal_toIS6_EEEE10hipError_tPvRmT2_T3_mT4_T5_T6_T7_T8_P12ihipStream_tbENKUlT_T0_E_clISt17integral_constantIbLb0EES11_EEDaSW_SX_EUlSW_E_NS1_11comp_targetILNS1_3genE10ELNS1_11target_archE1201ELNS1_3gpuE5ELNS1_3repE0EEENS1_30default_config_static_selectorELNS0_4arch9wavefront6targetE0EEEvT1_.has_dyn_sized_stack, 0
	.set _ZN7rocprim17ROCPRIM_400000_NS6detail17trampoline_kernelINS0_14default_configENS1_33run_length_encode_config_selectorIN3c108BFloat16EjNS0_4plusIjEEEEZZNS1_33reduce_by_key_impl_wrapped_configILNS1_25lookback_scan_determinismE0ES3_S9_PKS6_NS0_17constant_iteratorIjlEEPS6_PlSH_S8_NS0_8equal_toIS6_EEEE10hipError_tPvRmT2_T3_mT4_T5_T6_T7_T8_P12ihipStream_tbENKUlT_T0_E_clISt17integral_constantIbLb0EES11_EEDaSW_SX_EUlSW_E_NS1_11comp_targetILNS1_3genE10ELNS1_11target_archE1201ELNS1_3gpuE5ELNS1_3repE0EEENS1_30default_config_static_selectorELNS0_4arch9wavefront6targetE0EEEvT1_.has_recursion, 0
	.set _ZN7rocprim17ROCPRIM_400000_NS6detail17trampoline_kernelINS0_14default_configENS1_33run_length_encode_config_selectorIN3c108BFloat16EjNS0_4plusIjEEEEZZNS1_33reduce_by_key_impl_wrapped_configILNS1_25lookback_scan_determinismE0ES3_S9_PKS6_NS0_17constant_iteratorIjlEEPS6_PlSH_S8_NS0_8equal_toIS6_EEEE10hipError_tPvRmT2_T3_mT4_T5_T6_T7_T8_P12ihipStream_tbENKUlT_T0_E_clISt17integral_constantIbLb0EES11_EEDaSW_SX_EUlSW_E_NS1_11comp_targetILNS1_3genE10ELNS1_11target_archE1201ELNS1_3gpuE5ELNS1_3repE0EEENS1_30default_config_static_selectorELNS0_4arch9wavefront6targetE0EEEvT1_.has_indirect_call, 0
	.section	.AMDGPU.csdata,"",@progbits
; Kernel info:
; codeLenInByte = 0
; TotalNumSgprs: 0
; NumVgprs: 0
; ScratchSize: 0
; MemoryBound: 0
; FloatMode: 240
; IeeeMode: 1
; LDSByteSize: 0 bytes/workgroup (compile time only)
; SGPRBlocks: 0
; VGPRBlocks: 0
; NumSGPRsForWavesPerEU: 1
; NumVGPRsForWavesPerEU: 1
; NamedBarCnt: 0
; Occupancy: 16
; WaveLimiterHint : 0
; COMPUTE_PGM_RSRC2:SCRATCH_EN: 0
; COMPUTE_PGM_RSRC2:USER_SGPR: 2
; COMPUTE_PGM_RSRC2:TRAP_HANDLER: 0
; COMPUTE_PGM_RSRC2:TGID_X_EN: 1
; COMPUTE_PGM_RSRC2:TGID_Y_EN: 0
; COMPUTE_PGM_RSRC2:TGID_Z_EN: 0
; COMPUTE_PGM_RSRC2:TIDIG_COMP_CNT: 0
	.section	.text._ZN7rocprim17ROCPRIM_400000_NS6detail17trampoline_kernelINS0_14default_configENS1_33run_length_encode_config_selectorIN3c108BFloat16EjNS0_4plusIjEEEEZZNS1_33reduce_by_key_impl_wrapped_configILNS1_25lookback_scan_determinismE0ES3_S9_PKS6_NS0_17constant_iteratorIjlEEPS6_PlSH_S8_NS0_8equal_toIS6_EEEE10hipError_tPvRmT2_T3_mT4_T5_T6_T7_T8_P12ihipStream_tbENKUlT_T0_E_clISt17integral_constantIbLb0EES11_EEDaSW_SX_EUlSW_E_NS1_11comp_targetILNS1_3genE10ELNS1_11target_archE1200ELNS1_3gpuE4ELNS1_3repE0EEENS1_30default_config_static_selectorELNS0_4arch9wavefront6targetE0EEEvT1_,"axG",@progbits,_ZN7rocprim17ROCPRIM_400000_NS6detail17trampoline_kernelINS0_14default_configENS1_33run_length_encode_config_selectorIN3c108BFloat16EjNS0_4plusIjEEEEZZNS1_33reduce_by_key_impl_wrapped_configILNS1_25lookback_scan_determinismE0ES3_S9_PKS6_NS0_17constant_iteratorIjlEEPS6_PlSH_S8_NS0_8equal_toIS6_EEEE10hipError_tPvRmT2_T3_mT4_T5_T6_T7_T8_P12ihipStream_tbENKUlT_T0_E_clISt17integral_constantIbLb0EES11_EEDaSW_SX_EUlSW_E_NS1_11comp_targetILNS1_3genE10ELNS1_11target_archE1200ELNS1_3gpuE4ELNS1_3repE0EEENS1_30default_config_static_selectorELNS0_4arch9wavefront6targetE0EEEvT1_,comdat
	.protected	_ZN7rocprim17ROCPRIM_400000_NS6detail17trampoline_kernelINS0_14default_configENS1_33run_length_encode_config_selectorIN3c108BFloat16EjNS0_4plusIjEEEEZZNS1_33reduce_by_key_impl_wrapped_configILNS1_25lookback_scan_determinismE0ES3_S9_PKS6_NS0_17constant_iteratorIjlEEPS6_PlSH_S8_NS0_8equal_toIS6_EEEE10hipError_tPvRmT2_T3_mT4_T5_T6_T7_T8_P12ihipStream_tbENKUlT_T0_E_clISt17integral_constantIbLb0EES11_EEDaSW_SX_EUlSW_E_NS1_11comp_targetILNS1_3genE10ELNS1_11target_archE1200ELNS1_3gpuE4ELNS1_3repE0EEENS1_30default_config_static_selectorELNS0_4arch9wavefront6targetE0EEEvT1_ ; -- Begin function _ZN7rocprim17ROCPRIM_400000_NS6detail17trampoline_kernelINS0_14default_configENS1_33run_length_encode_config_selectorIN3c108BFloat16EjNS0_4plusIjEEEEZZNS1_33reduce_by_key_impl_wrapped_configILNS1_25lookback_scan_determinismE0ES3_S9_PKS6_NS0_17constant_iteratorIjlEEPS6_PlSH_S8_NS0_8equal_toIS6_EEEE10hipError_tPvRmT2_T3_mT4_T5_T6_T7_T8_P12ihipStream_tbENKUlT_T0_E_clISt17integral_constantIbLb0EES11_EEDaSW_SX_EUlSW_E_NS1_11comp_targetILNS1_3genE10ELNS1_11target_archE1200ELNS1_3gpuE4ELNS1_3repE0EEENS1_30default_config_static_selectorELNS0_4arch9wavefront6targetE0EEEvT1_
	.globl	_ZN7rocprim17ROCPRIM_400000_NS6detail17trampoline_kernelINS0_14default_configENS1_33run_length_encode_config_selectorIN3c108BFloat16EjNS0_4plusIjEEEEZZNS1_33reduce_by_key_impl_wrapped_configILNS1_25lookback_scan_determinismE0ES3_S9_PKS6_NS0_17constant_iteratorIjlEEPS6_PlSH_S8_NS0_8equal_toIS6_EEEE10hipError_tPvRmT2_T3_mT4_T5_T6_T7_T8_P12ihipStream_tbENKUlT_T0_E_clISt17integral_constantIbLb0EES11_EEDaSW_SX_EUlSW_E_NS1_11comp_targetILNS1_3genE10ELNS1_11target_archE1200ELNS1_3gpuE4ELNS1_3repE0EEENS1_30default_config_static_selectorELNS0_4arch9wavefront6targetE0EEEvT1_
	.p2align	8
	.type	_ZN7rocprim17ROCPRIM_400000_NS6detail17trampoline_kernelINS0_14default_configENS1_33run_length_encode_config_selectorIN3c108BFloat16EjNS0_4plusIjEEEEZZNS1_33reduce_by_key_impl_wrapped_configILNS1_25lookback_scan_determinismE0ES3_S9_PKS6_NS0_17constant_iteratorIjlEEPS6_PlSH_S8_NS0_8equal_toIS6_EEEE10hipError_tPvRmT2_T3_mT4_T5_T6_T7_T8_P12ihipStream_tbENKUlT_T0_E_clISt17integral_constantIbLb0EES11_EEDaSW_SX_EUlSW_E_NS1_11comp_targetILNS1_3genE10ELNS1_11target_archE1200ELNS1_3gpuE4ELNS1_3repE0EEENS1_30default_config_static_selectorELNS0_4arch9wavefront6targetE0EEEvT1_,@function
_ZN7rocprim17ROCPRIM_400000_NS6detail17trampoline_kernelINS0_14default_configENS1_33run_length_encode_config_selectorIN3c108BFloat16EjNS0_4plusIjEEEEZZNS1_33reduce_by_key_impl_wrapped_configILNS1_25lookback_scan_determinismE0ES3_S9_PKS6_NS0_17constant_iteratorIjlEEPS6_PlSH_S8_NS0_8equal_toIS6_EEEE10hipError_tPvRmT2_T3_mT4_T5_T6_T7_T8_P12ihipStream_tbENKUlT_T0_E_clISt17integral_constantIbLb0EES11_EEDaSW_SX_EUlSW_E_NS1_11comp_targetILNS1_3genE10ELNS1_11target_archE1200ELNS1_3gpuE4ELNS1_3repE0EEENS1_30default_config_static_selectorELNS0_4arch9wavefront6targetE0EEEvT1_: ; @_ZN7rocprim17ROCPRIM_400000_NS6detail17trampoline_kernelINS0_14default_configENS1_33run_length_encode_config_selectorIN3c108BFloat16EjNS0_4plusIjEEEEZZNS1_33reduce_by_key_impl_wrapped_configILNS1_25lookback_scan_determinismE0ES3_S9_PKS6_NS0_17constant_iteratorIjlEEPS6_PlSH_S8_NS0_8equal_toIS6_EEEE10hipError_tPvRmT2_T3_mT4_T5_T6_T7_T8_P12ihipStream_tbENKUlT_T0_E_clISt17integral_constantIbLb0EES11_EEDaSW_SX_EUlSW_E_NS1_11comp_targetILNS1_3genE10ELNS1_11target_archE1200ELNS1_3gpuE4ELNS1_3repE0EEENS1_30default_config_static_selectorELNS0_4arch9wavefront6targetE0EEEvT1_
; %bb.0:
	.section	.rodata,"a",@progbits
	.p2align	6, 0x0
	.amdhsa_kernel _ZN7rocprim17ROCPRIM_400000_NS6detail17trampoline_kernelINS0_14default_configENS1_33run_length_encode_config_selectorIN3c108BFloat16EjNS0_4plusIjEEEEZZNS1_33reduce_by_key_impl_wrapped_configILNS1_25lookback_scan_determinismE0ES3_S9_PKS6_NS0_17constant_iteratorIjlEEPS6_PlSH_S8_NS0_8equal_toIS6_EEEE10hipError_tPvRmT2_T3_mT4_T5_T6_T7_T8_P12ihipStream_tbENKUlT_T0_E_clISt17integral_constantIbLb0EES11_EEDaSW_SX_EUlSW_E_NS1_11comp_targetILNS1_3genE10ELNS1_11target_archE1200ELNS1_3gpuE4ELNS1_3repE0EEENS1_30default_config_static_selectorELNS0_4arch9wavefront6targetE0EEEvT1_
		.amdhsa_group_segment_fixed_size 0
		.amdhsa_private_segment_fixed_size 0
		.amdhsa_kernarg_size 128
		.amdhsa_user_sgpr_count 2
		.amdhsa_user_sgpr_dispatch_ptr 0
		.amdhsa_user_sgpr_queue_ptr 0
		.amdhsa_user_sgpr_kernarg_segment_ptr 1
		.amdhsa_user_sgpr_dispatch_id 0
		.amdhsa_user_sgpr_kernarg_preload_length 0
		.amdhsa_user_sgpr_kernarg_preload_offset 0
		.amdhsa_user_sgpr_private_segment_size 0
		.amdhsa_wavefront_size32 1
		.amdhsa_uses_dynamic_stack 0
		.amdhsa_enable_private_segment 0
		.amdhsa_system_sgpr_workgroup_id_x 1
		.amdhsa_system_sgpr_workgroup_id_y 0
		.amdhsa_system_sgpr_workgroup_id_z 0
		.amdhsa_system_sgpr_workgroup_info 0
		.amdhsa_system_vgpr_workitem_id 0
		.amdhsa_next_free_vgpr 1
		.amdhsa_next_free_sgpr 1
		.amdhsa_named_barrier_count 0
		.amdhsa_reserve_vcc 0
		.amdhsa_float_round_mode_32 0
		.amdhsa_float_round_mode_16_64 0
		.amdhsa_float_denorm_mode_32 3
		.amdhsa_float_denorm_mode_16_64 3
		.amdhsa_fp16_overflow 0
		.amdhsa_memory_ordered 1
		.amdhsa_forward_progress 1
		.amdhsa_inst_pref_size 0
		.amdhsa_round_robin_scheduling 0
		.amdhsa_exception_fp_ieee_invalid_op 0
		.amdhsa_exception_fp_denorm_src 0
		.amdhsa_exception_fp_ieee_div_zero 0
		.amdhsa_exception_fp_ieee_overflow 0
		.amdhsa_exception_fp_ieee_underflow 0
		.amdhsa_exception_fp_ieee_inexact 0
		.amdhsa_exception_int_div_zero 0
	.end_amdhsa_kernel
	.section	.text._ZN7rocprim17ROCPRIM_400000_NS6detail17trampoline_kernelINS0_14default_configENS1_33run_length_encode_config_selectorIN3c108BFloat16EjNS0_4plusIjEEEEZZNS1_33reduce_by_key_impl_wrapped_configILNS1_25lookback_scan_determinismE0ES3_S9_PKS6_NS0_17constant_iteratorIjlEEPS6_PlSH_S8_NS0_8equal_toIS6_EEEE10hipError_tPvRmT2_T3_mT4_T5_T6_T7_T8_P12ihipStream_tbENKUlT_T0_E_clISt17integral_constantIbLb0EES11_EEDaSW_SX_EUlSW_E_NS1_11comp_targetILNS1_3genE10ELNS1_11target_archE1200ELNS1_3gpuE4ELNS1_3repE0EEENS1_30default_config_static_selectorELNS0_4arch9wavefront6targetE0EEEvT1_,"axG",@progbits,_ZN7rocprim17ROCPRIM_400000_NS6detail17trampoline_kernelINS0_14default_configENS1_33run_length_encode_config_selectorIN3c108BFloat16EjNS0_4plusIjEEEEZZNS1_33reduce_by_key_impl_wrapped_configILNS1_25lookback_scan_determinismE0ES3_S9_PKS6_NS0_17constant_iteratorIjlEEPS6_PlSH_S8_NS0_8equal_toIS6_EEEE10hipError_tPvRmT2_T3_mT4_T5_T6_T7_T8_P12ihipStream_tbENKUlT_T0_E_clISt17integral_constantIbLb0EES11_EEDaSW_SX_EUlSW_E_NS1_11comp_targetILNS1_3genE10ELNS1_11target_archE1200ELNS1_3gpuE4ELNS1_3repE0EEENS1_30default_config_static_selectorELNS0_4arch9wavefront6targetE0EEEvT1_,comdat
.Lfunc_end862:
	.size	_ZN7rocprim17ROCPRIM_400000_NS6detail17trampoline_kernelINS0_14default_configENS1_33run_length_encode_config_selectorIN3c108BFloat16EjNS0_4plusIjEEEEZZNS1_33reduce_by_key_impl_wrapped_configILNS1_25lookback_scan_determinismE0ES3_S9_PKS6_NS0_17constant_iteratorIjlEEPS6_PlSH_S8_NS0_8equal_toIS6_EEEE10hipError_tPvRmT2_T3_mT4_T5_T6_T7_T8_P12ihipStream_tbENKUlT_T0_E_clISt17integral_constantIbLb0EES11_EEDaSW_SX_EUlSW_E_NS1_11comp_targetILNS1_3genE10ELNS1_11target_archE1200ELNS1_3gpuE4ELNS1_3repE0EEENS1_30default_config_static_selectorELNS0_4arch9wavefront6targetE0EEEvT1_, .Lfunc_end862-_ZN7rocprim17ROCPRIM_400000_NS6detail17trampoline_kernelINS0_14default_configENS1_33run_length_encode_config_selectorIN3c108BFloat16EjNS0_4plusIjEEEEZZNS1_33reduce_by_key_impl_wrapped_configILNS1_25lookback_scan_determinismE0ES3_S9_PKS6_NS0_17constant_iteratorIjlEEPS6_PlSH_S8_NS0_8equal_toIS6_EEEE10hipError_tPvRmT2_T3_mT4_T5_T6_T7_T8_P12ihipStream_tbENKUlT_T0_E_clISt17integral_constantIbLb0EES11_EEDaSW_SX_EUlSW_E_NS1_11comp_targetILNS1_3genE10ELNS1_11target_archE1200ELNS1_3gpuE4ELNS1_3repE0EEENS1_30default_config_static_selectorELNS0_4arch9wavefront6targetE0EEEvT1_
                                        ; -- End function
	.set _ZN7rocprim17ROCPRIM_400000_NS6detail17trampoline_kernelINS0_14default_configENS1_33run_length_encode_config_selectorIN3c108BFloat16EjNS0_4plusIjEEEEZZNS1_33reduce_by_key_impl_wrapped_configILNS1_25lookback_scan_determinismE0ES3_S9_PKS6_NS0_17constant_iteratorIjlEEPS6_PlSH_S8_NS0_8equal_toIS6_EEEE10hipError_tPvRmT2_T3_mT4_T5_T6_T7_T8_P12ihipStream_tbENKUlT_T0_E_clISt17integral_constantIbLb0EES11_EEDaSW_SX_EUlSW_E_NS1_11comp_targetILNS1_3genE10ELNS1_11target_archE1200ELNS1_3gpuE4ELNS1_3repE0EEENS1_30default_config_static_selectorELNS0_4arch9wavefront6targetE0EEEvT1_.num_vgpr, 0
	.set _ZN7rocprim17ROCPRIM_400000_NS6detail17trampoline_kernelINS0_14default_configENS1_33run_length_encode_config_selectorIN3c108BFloat16EjNS0_4plusIjEEEEZZNS1_33reduce_by_key_impl_wrapped_configILNS1_25lookback_scan_determinismE0ES3_S9_PKS6_NS0_17constant_iteratorIjlEEPS6_PlSH_S8_NS0_8equal_toIS6_EEEE10hipError_tPvRmT2_T3_mT4_T5_T6_T7_T8_P12ihipStream_tbENKUlT_T0_E_clISt17integral_constantIbLb0EES11_EEDaSW_SX_EUlSW_E_NS1_11comp_targetILNS1_3genE10ELNS1_11target_archE1200ELNS1_3gpuE4ELNS1_3repE0EEENS1_30default_config_static_selectorELNS0_4arch9wavefront6targetE0EEEvT1_.num_agpr, 0
	.set _ZN7rocprim17ROCPRIM_400000_NS6detail17trampoline_kernelINS0_14default_configENS1_33run_length_encode_config_selectorIN3c108BFloat16EjNS0_4plusIjEEEEZZNS1_33reduce_by_key_impl_wrapped_configILNS1_25lookback_scan_determinismE0ES3_S9_PKS6_NS0_17constant_iteratorIjlEEPS6_PlSH_S8_NS0_8equal_toIS6_EEEE10hipError_tPvRmT2_T3_mT4_T5_T6_T7_T8_P12ihipStream_tbENKUlT_T0_E_clISt17integral_constantIbLb0EES11_EEDaSW_SX_EUlSW_E_NS1_11comp_targetILNS1_3genE10ELNS1_11target_archE1200ELNS1_3gpuE4ELNS1_3repE0EEENS1_30default_config_static_selectorELNS0_4arch9wavefront6targetE0EEEvT1_.numbered_sgpr, 0
	.set _ZN7rocprim17ROCPRIM_400000_NS6detail17trampoline_kernelINS0_14default_configENS1_33run_length_encode_config_selectorIN3c108BFloat16EjNS0_4plusIjEEEEZZNS1_33reduce_by_key_impl_wrapped_configILNS1_25lookback_scan_determinismE0ES3_S9_PKS6_NS0_17constant_iteratorIjlEEPS6_PlSH_S8_NS0_8equal_toIS6_EEEE10hipError_tPvRmT2_T3_mT4_T5_T6_T7_T8_P12ihipStream_tbENKUlT_T0_E_clISt17integral_constantIbLb0EES11_EEDaSW_SX_EUlSW_E_NS1_11comp_targetILNS1_3genE10ELNS1_11target_archE1200ELNS1_3gpuE4ELNS1_3repE0EEENS1_30default_config_static_selectorELNS0_4arch9wavefront6targetE0EEEvT1_.num_named_barrier, 0
	.set _ZN7rocprim17ROCPRIM_400000_NS6detail17trampoline_kernelINS0_14default_configENS1_33run_length_encode_config_selectorIN3c108BFloat16EjNS0_4plusIjEEEEZZNS1_33reduce_by_key_impl_wrapped_configILNS1_25lookback_scan_determinismE0ES3_S9_PKS6_NS0_17constant_iteratorIjlEEPS6_PlSH_S8_NS0_8equal_toIS6_EEEE10hipError_tPvRmT2_T3_mT4_T5_T6_T7_T8_P12ihipStream_tbENKUlT_T0_E_clISt17integral_constantIbLb0EES11_EEDaSW_SX_EUlSW_E_NS1_11comp_targetILNS1_3genE10ELNS1_11target_archE1200ELNS1_3gpuE4ELNS1_3repE0EEENS1_30default_config_static_selectorELNS0_4arch9wavefront6targetE0EEEvT1_.private_seg_size, 0
	.set _ZN7rocprim17ROCPRIM_400000_NS6detail17trampoline_kernelINS0_14default_configENS1_33run_length_encode_config_selectorIN3c108BFloat16EjNS0_4plusIjEEEEZZNS1_33reduce_by_key_impl_wrapped_configILNS1_25lookback_scan_determinismE0ES3_S9_PKS6_NS0_17constant_iteratorIjlEEPS6_PlSH_S8_NS0_8equal_toIS6_EEEE10hipError_tPvRmT2_T3_mT4_T5_T6_T7_T8_P12ihipStream_tbENKUlT_T0_E_clISt17integral_constantIbLb0EES11_EEDaSW_SX_EUlSW_E_NS1_11comp_targetILNS1_3genE10ELNS1_11target_archE1200ELNS1_3gpuE4ELNS1_3repE0EEENS1_30default_config_static_selectorELNS0_4arch9wavefront6targetE0EEEvT1_.uses_vcc, 0
	.set _ZN7rocprim17ROCPRIM_400000_NS6detail17trampoline_kernelINS0_14default_configENS1_33run_length_encode_config_selectorIN3c108BFloat16EjNS0_4plusIjEEEEZZNS1_33reduce_by_key_impl_wrapped_configILNS1_25lookback_scan_determinismE0ES3_S9_PKS6_NS0_17constant_iteratorIjlEEPS6_PlSH_S8_NS0_8equal_toIS6_EEEE10hipError_tPvRmT2_T3_mT4_T5_T6_T7_T8_P12ihipStream_tbENKUlT_T0_E_clISt17integral_constantIbLb0EES11_EEDaSW_SX_EUlSW_E_NS1_11comp_targetILNS1_3genE10ELNS1_11target_archE1200ELNS1_3gpuE4ELNS1_3repE0EEENS1_30default_config_static_selectorELNS0_4arch9wavefront6targetE0EEEvT1_.uses_flat_scratch, 0
	.set _ZN7rocprim17ROCPRIM_400000_NS6detail17trampoline_kernelINS0_14default_configENS1_33run_length_encode_config_selectorIN3c108BFloat16EjNS0_4plusIjEEEEZZNS1_33reduce_by_key_impl_wrapped_configILNS1_25lookback_scan_determinismE0ES3_S9_PKS6_NS0_17constant_iteratorIjlEEPS6_PlSH_S8_NS0_8equal_toIS6_EEEE10hipError_tPvRmT2_T3_mT4_T5_T6_T7_T8_P12ihipStream_tbENKUlT_T0_E_clISt17integral_constantIbLb0EES11_EEDaSW_SX_EUlSW_E_NS1_11comp_targetILNS1_3genE10ELNS1_11target_archE1200ELNS1_3gpuE4ELNS1_3repE0EEENS1_30default_config_static_selectorELNS0_4arch9wavefront6targetE0EEEvT1_.has_dyn_sized_stack, 0
	.set _ZN7rocprim17ROCPRIM_400000_NS6detail17trampoline_kernelINS0_14default_configENS1_33run_length_encode_config_selectorIN3c108BFloat16EjNS0_4plusIjEEEEZZNS1_33reduce_by_key_impl_wrapped_configILNS1_25lookback_scan_determinismE0ES3_S9_PKS6_NS0_17constant_iteratorIjlEEPS6_PlSH_S8_NS0_8equal_toIS6_EEEE10hipError_tPvRmT2_T3_mT4_T5_T6_T7_T8_P12ihipStream_tbENKUlT_T0_E_clISt17integral_constantIbLb0EES11_EEDaSW_SX_EUlSW_E_NS1_11comp_targetILNS1_3genE10ELNS1_11target_archE1200ELNS1_3gpuE4ELNS1_3repE0EEENS1_30default_config_static_selectorELNS0_4arch9wavefront6targetE0EEEvT1_.has_recursion, 0
	.set _ZN7rocprim17ROCPRIM_400000_NS6detail17trampoline_kernelINS0_14default_configENS1_33run_length_encode_config_selectorIN3c108BFloat16EjNS0_4plusIjEEEEZZNS1_33reduce_by_key_impl_wrapped_configILNS1_25lookback_scan_determinismE0ES3_S9_PKS6_NS0_17constant_iteratorIjlEEPS6_PlSH_S8_NS0_8equal_toIS6_EEEE10hipError_tPvRmT2_T3_mT4_T5_T6_T7_T8_P12ihipStream_tbENKUlT_T0_E_clISt17integral_constantIbLb0EES11_EEDaSW_SX_EUlSW_E_NS1_11comp_targetILNS1_3genE10ELNS1_11target_archE1200ELNS1_3gpuE4ELNS1_3repE0EEENS1_30default_config_static_selectorELNS0_4arch9wavefront6targetE0EEEvT1_.has_indirect_call, 0
	.section	.AMDGPU.csdata,"",@progbits
; Kernel info:
; codeLenInByte = 0
; TotalNumSgprs: 0
; NumVgprs: 0
; ScratchSize: 0
; MemoryBound: 0
; FloatMode: 240
; IeeeMode: 1
; LDSByteSize: 0 bytes/workgroup (compile time only)
; SGPRBlocks: 0
; VGPRBlocks: 0
; NumSGPRsForWavesPerEU: 1
; NumVGPRsForWavesPerEU: 1
; NamedBarCnt: 0
; Occupancy: 16
; WaveLimiterHint : 0
; COMPUTE_PGM_RSRC2:SCRATCH_EN: 0
; COMPUTE_PGM_RSRC2:USER_SGPR: 2
; COMPUTE_PGM_RSRC2:TRAP_HANDLER: 0
; COMPUTE_PGM_RSRC2:TGID_X_EN: 1
; COMPUTE_PGM_RSRC2:TGID_Y_EN: 0
; COMPUTE_PGM_RSRC2:TGID_Z_EN: 0
; COMPUTE_PGM_RSRC2:TIDIG_COMP_CNT: 0
	.section	.text._ZN7rocprim17ROCPRIM_400000_NS6detail17trampoline_kernelINS0_14default_configENS1_33run_length_encode_config_selectorIN3c108BFloat16EjNS0_4plusIjEEEEZZNS1_33reduce_by_key_impl_wrapped_configILNS1_25lookback_scan_determinismE0ES3_S9_PKS6_NS0_17constant_iteratorIjlEEPS6_PlSH_S8_NS0_8equal_toIS6_EEEE10hipError_tPvRmT2_T3_mT4_T5_T6_T7_T8_P12ihipStream_tbENKUlT_T0_E_clISt17integral_constantIbLb0EES11_EEDaSW_SX_EUlSW_E_NS1_11comp_targetILNS1_3genE9ELNS1_11target_archE1100ELNS1_3gpuE3ELNS1_3repE0EEENS1_30default_config_static_selectorELNS0_4arch9wavefront6targetE0EEEvT1_,"axG",@progbits,_ZN7rocprim17ROCPRIM_400000_NS6detail17trampoline_kernelINS0_14default_configENS1_33run_length_encode_config_selectorIN3c108BFloat16EjNS0_4plusIjEEEEZZNS1_33reduce_by_key_impl_wrapped_configILNS1_25lookback_scan_determinismE0ES3_S9_PKS6_NS0_17constant_iteratorIjlEEPS6_PlSH_S8_NS0_8equal_toIS6_EEEE10hipError_tPvRmT2_T3_mT4_T5_T6_T7_T8_P12ihipStream_tbENKUlT_T0_E_clISt17integral_constantIbLb0EES11_EEDaSW_SX_EUlSW_E_NS1_11comp_targetILNS1_3genE9ELNS1_11target_archE1100ELNS1_3gpuE3ELNS1_3repE0EEENS1_30default_config_static_selectorELNS0_4arch9wavefront6targetE0EEEvT1_,comdat
	.protected	_ZN7rocprim17ROCPRIM_400000_NS6detail17trampoline_kernelINS0_14default_configENS1_33run_length_encode_config_selectorIN3c108BFloat16EjNS0_4plusIjEEEEZZNS1_33reduce_by_key_impl_wrapped_configILNS1_25lookback_scan_determinismE0ES3_S9_PKS6_NS0_17constant_iteratorIjlEEPS6_PlSH_S8_NS0_8equal_toIS6_EEEE10hipError_tPvRmT2_T3_mT4_T5_T6_T7_T8_P12ihipStream_tbENKUlT_T0_E_clISt17integral_constantIbLb0EES11_EEDaSW_SX_EUlSW_E_NS1_11comp_targetILNS1_3genE9ELNS1_11target_archE1100ELNS1_3gpuE3ELNS1_3repE0EEENS1_30default_config_static_selectorELNS0_4arch9wavefront6targetE0EEEvT1_ ; -- Begin function _ZN7rocprim17ROCPRIM_400000_NS6detail17trampoline_kernelINS0_14default_configENS1_33run_length_encode_config_selectorIN3c108BFloat16EjNS0_4plusIjEEEEZZNS1_33reduce_by_key_impl_wrapped_configILNS1_25lookback_scan_determinismE0ES3_S9_PKS6_NS0_17constant_iteratorIjlEEPS6_PlSH_S8_NS0_8equal_toIS6_EEEE10hipError_tPvRmT2_T3_mT4_T5_T6_T7_T8_P12ihipStream_tbENKUlT_T0_E_clISt17integral_constantIbLb0EES11_EEDaSW_SX_EUlSW_E_NS1_11comp_targetILNS1_3genE9ELNS1_11target_archE1100ELNS1_3gpuE3ELNS1_3repE0EEENS1_30default_config_static_selectorELNS0_4arch9wavefront6targetE0EEEvT1_
	.globl	_ZN7rocprim17ROCPRIM_400000_NS6detail17trampoline_kernelINS0_14default_configENS1_33run_length_encode_config_selectorIN3c108BFloat16EjNS0_4plusIjEEEEZZNS1_33reduce_by_key_impl_wrapped_configILNS1_25lookback_scan_determinismE0ES3_S9_PKS6_NS0_17constant_iteratorIjlEEPS6_PlSH_S8_NS0_8equal_toIS6_EEEE10hipError_tPvRmT2_T3_mT4_T5_T6_T7_T8_P12ihipStream_tbENKUlT_T0_E_clISt17integral_constantIbLb0EES11_EEDaSW_SX_EUlSW_E_NS1_11comp_targetILNS1_3genE9ELNS1_11target_archE1100ELNS1_3gpuE3ELNS1_3repE0EEENS1_30default_config_static_selectorELNS0_4arch9wavefront6targetE0EEEvT1_
	.p2align	8
	.type	_ZN7rocprim17ROCPRIM_400000_NS6detail17trampoline_kernelINS0_14default_configENS1_33run_length_encode_config_selectorIN3c108BFloat16EjNS0_4plusIjEEEEZZNS1_33reduce_by_key_impl_wrapped_configILNS1_25lookback_scan_determinismE0ES3_S9_PKS6_NS0_17constant_iteratorIjlEEPS6_PlSH_S8_NS0_8equal_toIS6_EEEE10hipError_tPvRmT2_T3_mT4_T5_T6_T7_T8_P12ihipStream_tbENKUlT_T0_E_clISt17integral_constantIbLb0EES11_EEDaSW_SX_EUlSW_E_NS1_11comp_targetILNS1_3genE9ELNS1_11target_archE1100ELNS1_3gpuE3ELNS1_3repE0EEENS1_30default_config_static_selectorELNS0_4arch9wavefront6targetE0EEEvT1_,@function
_ZN7rocprim17ROCPRIM_400000_NS6detail17trampoline_kernelINS0_14default_configENS1_33run_length_encode_config_selectorIN3c108BFloat16EjNS0_4plusIjEEEEZZNS1_33reduce_by_key_impl_wrapped_configILNS1_25lookback_scan_determinismE0ES3_S9_PKS6_NS0_17constant_iteratorIjlEEPS6_PlSH_S8_NS0_8equal_toIS6_EEEE10hipError_tPvRmT2_T3_mT4_T5_T6_T7_T8_P12ihipStream_tbENKUlT_T0_E_clISt17integral_constantIbLb0EES11_EEDaSW_SX_EUlSW_E_NS1_11comp_targetILNS1_3genE9ELNS1_11target_archE1100ELNS1_3gpuE3ELNS1_3repE0EEENS1_30default_config_static_selectorELNS0_4arch9wavefront6targetE0EEEvT1_: ; @_ZN7rocprim17ROCPRIM_400000_NS6detail17trampoline_kernelINS0_14default_configENS1_33run_length_encode_config_selectorIN3c108BFloat16EjNS0_4plusIjEEEEZZNS1_33reduce_by_key_impl_wrapped_configILNS1_25lookback_scan_determinismE0ES3_S9_PKS6_NS0_17constant_iteratorIjlEEPS6_PlSH_S8_NS0_8equal_toIS6_EEEE10hipError_tPvRmT2_T3_mT4_T5_T6_T7_T8_P12ihipStream_tbENKUlT_T0_E_clISt17integral_constantIbLb0EES11_EEDaSW_SX_EUlSW_E_NS1_11comp_targetILNS1_3genE9ELNS1_11target_archE1100ELNS1_3gpuE3ELNS1_3repE0EEENS1_30default_config_static_selectorELNS0_4arch9wavefront6targetE0EEEvT1_
; %bb.0:
	.section	.rodata,"a",@progbits
	.p2align	6, 0x0
	.amdhsa_kernel _ZN7rocprim17ROCPRIM_400000_NS6detail17trampoline_kernelINS0_14default_configENS1_33run_length_encode_config_selectorIN3c108BFloat16EjNS0_4plusIjEEEEZZNS1_33reduce_by_key_impl_wrapped_configILNS1_25lookback_scan_determinismE0ES3_S9_PKS6_NS0_17constant_iteratorIjlEEPS6_PlSH_S8_NS0_8equal_toIS6_EEEE10hipError_tPvRmT2_T3_mT4_T5_T6_T7_T8_P12ihipStream_tbENKUlT_T0_E_clISt17integral_constantIbLb0EES11_EEDaSW_SX_EUlSW_E_NS1_11comp_targetILNS1_3genE9ELNS1_11target_archE1100ELNS1_3gpuE3ELNS1_3repE0EEENS1_30default_config_static_selectorELNS0_4arch9wavefront6targetE0EEEvT1_
		.amdhsa_group_segment_fixed_size 0
		.amdhsa_private_segment_fixed_size 0
		.amdhsa_kernarg_size 128
		.amdhsa_user_sgpr_count 2
		.amdhsa_user_sgpr_dispatch_ptr 0
		.amdhsa_user_sgpr_queue_ptr 0
		.amdhsa_user_sgpr_kernarg_segment_ptr 1
		.amdhsa_user_sgpr_dispatch_id 0
		.amdhsa_user_sgpr_kernarg_preload_length 0
		.amdhsa_user_sgpr_kernarg_preload_offset 0
		.amdhsa_user_sgpr_private_segment_size 0
		.amdhsa_wavefront_size32 1
		.amdhsa_uses_dynamic_stack 0
		.amdhsa_enable_private_segment 0
		.amdhsa_system_sgpr_workgroup_id_x 1
		.amdhsa_system_sgpr_workgroup_id_y 0
		.amdhsa_system_sgpr_workgroup_id_z 0
		.amdhsa_system_sgpr_workgroup_info 0
		.amdhsa_system_vgpr_workitem_id 0
		.amdhsa_next_free_vgpr 1
		.amdhsa_next_free_sgpr 1
		.amdhsa_named_barrier_count 0
		.amdhsa_reserve_vcc 0
		.amdhsa_float_round_mode_32 0
		.amdhsa_float_round_mode_16_64 0
		.amdhsa_float_denorm_mode_32 3
		.amdhsa_float_denorm_mode_16_64 3
		.amdhsa_fp16_overflow 0
		.amdhsa_memory_ordered 1
		.amdhsa_forward_progress 1
		.amdhsa_inst_pref_size 0
		.amdhsa_round_robin_scheduling 0
		.amdhsa_exception_fp_ieee_invalid_op 0
		.amdhsa_exception_fp_denorm_src 0
		.amdhsa_exception_fp_ieee_div_zero 0
		.amdhsa_exception_fp_ieee_overflow 0
		.amdhsa_exception_fp_ieee_underflow 0
		.amdhsa_exception_fp_ieee_inexact 0
		.amdhsa_exception_int_div_zero 0
	.end_amdhsa_kernel
	.section	.text._ZN7rocprim17ROCPRIM_400000_NS6detail17trampoline_kernelINS0_14default_configENS1_33run_length_encode_config_selectorIN3c108BFloat16EjNS0_4plusIjEEEEZZNS1_33reduce_by_key_impl_wrapped_configILNS1_25lookback_scan_determinismE0ES3_S9_PKS6_NS0_17constant_iteratorIjlEEPS6_PlSH_S8_NS0_8equal_toIS6_EEEE10hipError_tPvRmT2_T3_mT4_T5_T6_T7_T8_P12ihipStream_tbENKUlT_T0_E_clISt17integral_constantIbLb0EES11_EEDaSW_SX_EUlSW_E_NS1_11comp_targetILNS1_3genE9ELNS1_11target_archE1100ELNS1_3gpuE3ELNS1_3repE0EEENS1_30default_config_static_selectorELNS0_4arch9wavefront6targetE0EEEvT1_,"axG",@progbits,_ZN7rocprim17ROCPRIM_400000_NS6detail17trampoline_kernelINS0_14default_configENS1_33run_length_encode_config_selectorIN3c108BFloat16EjNS0_4plusIjEEEEZZNS1_33reduce_by_key_impl_wrapped_configILNS1_25lookback_scan_determinismE0ES3_S9_PKS6_NS0_17constant_iteratorIjlEEPS6_PlSH_S8_NS0_8equal_toIS6_EEEE10hipError_tPvRmT2_T3_mT4_T5_T6_T7_T8_P12ihipStream_tbENKUlT_T0_E_clISt17integral_constantIbLb0EES11_EEDaSW_SX_EUlSW_E_NS1_11comp_targetILNS1_3genE9ELNS1_11target_archE1100ELNS1_3gpuE3ELNS1_3repE0EEENS1_30default_config_static_selectorELNS0_4arch9wavefront6targetE0EEEvT1_,comdat
.Lfunc_end863:
	.size	_ZN7rocprim17ROCPRIM_400000_NS6detail17trampoline_kernelINS0_14default_configENS1_33run_length_encode_config_selectorIN3c108BFloat16EjNS0_4plusIjEEEEZZNS1_33reduce_by_key_impl_wrapped_configILNS1_25lookback_scan_determinismE0ES3_S9_PKS6_NS0_17constant_iteratorIjlEEPS6_PlSH_S8_NS0_8equal_toIS6_EEEE10hipError_tPvRmT2_T3_mT4_T5_T6_T7_T8_P12ihipStream_tbENKUlT_T0_E_clISt17integral_constantIbLb0EES11_EEDaSW_SX_EUlSW_E_NS1_11comp_targetILNS1_3genE9ELNS1_11target_archE1100ELNS1_3gpuE3ELNS1_3repE0EEENS1_30default_config_static_selectorELNS0_4arch9wavefront6targetE0EEEvT1_, .Lfunc_end863-_ZN7rocprim17ROCPRIM_400000_NS6detail17trampoline_kernelINS0_14default_configENS1_33run_length_encode_config_selectorIN3c108BFloat16EjNS0_4plusIjEEEEZZNS1_33reduce_by_key_impl_wrapped_configILNS1_25lookback_scan_determinismE0ES3_S9_PKS6_NS0_17constant_iteratorIjlEEPS6_PlSH_S8_NS0_8equal_toIS6_EEEE10hipError_tPvRmT2_T3_mT4_T5_T6_T7_T8_P12ihipStream_tbENKUlT_T0_E_clISt17integral_constantIbLb0EES11_EEDaSW_SX_EUlSW_E_NS1_11comp_targetILNS1_3genE9ELNS1_11target_archE1100ELNS1_3gpuE3ELNS1_3repE0EEENS1_30default_config_static_selectorELNS0_4arch9wavefront6targetE0EEEvT1_
                                        ; -- End function
	.set _ZN7rocprim17ROCPRIM_400000_NS6detail17trampoline_kernelINS0_14default_configENS1_33run_length_encode_config_selectorIN3c108BFloat16EjNS0_4plusIjEEEEZZNS1_33reduce_by_key_impl_wrapped_configILNS1_25lookback_scan_determinismE0ES3_S9_PKS6_NS0_17constant_iteratorIjlEEPS6_PlSH_S8_NS0_8equal_toIS6_EEEE10hipError_tPvRmT2_T3_mT4_T5_T6_T7_T8_P12ihipStream_tbENKUlT_T0_E_clISt17integral_constantIbLb0EES11_EEDaSW_SX_EUlSW_E_NS1_11comp_targetILNS1_3genE9ELNS1_11target_archE1100ELNS1_3gpuE3ELNS1_3repE0EEENS1_30default_config_static_selectorELNS0_4arch9wavefront6targetE0EEEvT1_.num_vgpr, 0
	.set _ZN7rocprim17ROCPRIM_400000_NS6detail17trampoline_kernelINS0_14default_configENS1_33run_length_encode_config_selectorIN3c108BFloat16EjNS0_4plusIjEEEEZZNS1_33reduce_by_key_impl_wrapped_configILNS1_25lookback_scan_determinismE0ES3_S9_PKS6_NS0_17constant_iteratorIjlEEPS6_PlSH_S8_NS0_8equal_toIS6_EEEE10hipError_tPvRmT2_T3_mT4_T5_T6_T7_T8_P12ihipStream_tbENKUlT_T0_E_clISt17integral_constantIbLb0EES11_EEDaSW_SX_EUlSW_E_NS1_11comp_targetILNS1_3genE9ELNS1_11target_archE1100ELNS1_3gpuE3ELNS1_3repE0EEENS1_30default_config_static_selectorELNS0_4arch9wavefront6targetE0EEEvT1_.num_agpr, 0
	.set _ZN7rocprim17ROCPRIM_400000_NS6detail17trampoline_kernelINS0_14default_configENS1_33run_length_encode_config_selectorIN3c108BFloat16EjNS0_4plusIjEEEEZZNS1_33reduce_by_key_impl_wrapped_configILNS1_25lookback_scan_determinismE0ES3_S9_PKS6_NS0_17constant_iteratorIjlEEPS6_PlSH_S8_NS0_8equal_toIS6_EEEE10hipError_tPvRmT2_T3_mT4_T5_T6_T7_T8_P12ihipStream_tbENKUlT_T0_E_clISt17integral_constantIbLb0EES11_EEDaSW_SX_EUlSW_E_NS1_11comp_targetILNS1_3genE9ELNS1_11target_archE1100ELNS1_3gpuE3ELNS1_3repE0EEENS1_30default_config_static_selectorELNS0_4arch9wavefront6targetE0EEEvT1_.numbered_sgpr, 0
	.set _ZN7rocprim17ROCPRIM_400000_NS6detail17trampoline_kernelINS0_14default_configENS1_33run_length_encode_config_selectorIN3c108BFloat16EjNS0_4plusIjEEEEZZNS1_33reduce_by_key_impl_wrapped_configILNS1_25lookback_scan_determinismE0ES3_S9_PKS6_NS0_17constant_iteratorIjlEEPS6_PlSH_S8_NS0_8equal_toIS6_EEEE10hipError_tPvRmT2_T3_mT4_T5_T6_T7_T8_P12ihipStream_tbENKUlT_T0_E_clISt17integral_constantIbLb0EES11_EEDaSW_SX_EUlSW_E_NS1_11comp_targetILNS1_3genE9ELNS1_11target_archE1100ELNS1_3gpuE3ELNS1_3repE0EEENS1_30default_config_static_selectorELNS0_4arch9wavefront6targetE0EEEvT1_.num_named_barrier, 0
	.set _ZN7rocprim17ROCPRIM_400000_NS6detail17trampoline_kernelINS0_14default_configENS1_33run_length_encode_config_selectorIN3c108BFloat16EjNS0_4plusIjEEEEZZNS1_33reduce_by_key_impl_wrapped_configILNS1_25lookback_scan_determinismE0ES3_S9_PKS6_NS0_17constant_iteratorIjlEEPS6_PlSH_S8_NS0_8equal_toIS6_EEEE10hipError_tPvRmT2_T3_mT4_T5_T6_T7_T8_P12ihipStream_tbENKUlT_T0_E_clISt17integral_constantIbLb0EES11_EEDaSW_SX_EUlSW_E_NS1_11comp_targetILNS1_3genE9ELNS1_11target_archE1100ELNS1_3gpuE3ELNS1_3repE0EEENS1_30default_config_static_selectorELNS0_4arch9wavefront6targetE0EEEvT1_.private_seg_size, 0
	.set _ZN7rocprim17ROCPRIM_400000_NS6detail17trampoline_kernelINS0_14default_configENS1_33run_length_encode_config_selectorIN3c108BFloat16EjNS0_4plusIjEEEEZZNS1_33reduce_by_key_impl_wrapped_configILNS1_25lookback_scan_determinismE0ES3_S9_PKS6_NS0_17constant_iteratorIjlEEPS6_PlSH_S8_NS0_8equal_toIS6_EEEE10hipError_tPvRmT2_T3_mT4_T5_T6_T7_T8_P12ihipStream_tbENKUlT_T0_E_clISt17integral_constantIbLb0EES11_EEDaSW_SX_EUlSW_E_NS1_11comp_targetILNS1_3genE9ELNS1_11target_archE1100ELNS1_3gpuE3ELNS1_3repE0EEENS1_30default_config_static_selectorELNS0_4arch9wavefront6targetE0EEEvT1_.uses_vcc, 0
	.set _ZN7rocprim17ROCPRIM_400000_NS6detail17trampoline_kernelINS0_14default_configENS1_33run_length_encode_config_selectorIN3c108BFloat16EjNS0_4plusIjEEEEZZNS1_33reduce_by_key_impl_wrapped_configILNS1_25lookback_scan_determinismE0ES3_S9_PKS6_NS0_17constant_iteratorIjlEEPS6_PlSH_S8_NS0_8equal_toIS6_EEEE10hipError_tPvRmT2_T3_mT4_T5_T6_T7_T8_P12ihipStream_tbENKUlT_T0_E_clISt17integral_constantIbLb0EES11_EEDaSW_SX_EUlSW_E_NS1_11comp_targetILNS1_3genE9ELNS1_11target_archE1100ELNS1_3gpuE3ELNS1_3repE0EEENS1_30default_config_static_selectorELNS0_4arch9wavefront6targetE0EEEvT1_.uses_flat_scratch, 0
	.set _ZN7rocprim17ROCPRIM_400000_NS6detail17trampoline_kernelINS0_14default_configENS1_33run_length_encode_config_selectorIN3c108BFloat16EjNS0_4plusIjEEEEZZNS1_33reduce_by_key_impl_wrapped_configILNS1_25lookback_scan_determinismE0ES3_S9_PKS6_NS0_17constant_iteratorIjlEEPS6_PlSH_S8_NS0_8equal_toIS6_EEEE10hipError_tPvRmT2_T3_mT4_T5_T6_T7_T8_P12ihipStream_tbENKUlT_T0_E_clISt17integral_constantIbLb0EES11_EEDaSW_SX_EUlSW_E_NS1_11comp_targetILNS1_3genE9ELNS1_11target_archE1100ELNS1_3gpuE3ELNS1_3repE0EEENS1_30default_config_static_selectorELNS0_4arch9wavefront6targetE0EEEvT1_.has_dyn_sized_stack, 0
	.set _ZN7rocprim17ROCPRIM_400000_NS6detail17trampoline_kernelINS0_14default_configENS1_33run_length_encode_config_selectorIN3c108BFloat16EjNS0_4plusIjEEEEZZNS1_33reduce_by_key_impl_wrapped_configILNS1_25lookback_scan_determinismE0ES3_S9_PKS6_NS0_17constant_iteratorIjlEEPS6_PlSH_S8_NS0_8equal_toIS6_EEEE10hipError_tPvRmT2_T3_mT4_T5_T6_T7_T8_P12ihipStream_tbENKUlT_T0_E_clISt17integral_constantIbLb0EES11_EEDaSW_SX_EUlSW_E_NS1_11comp_targetILNS1_3genE9ELNS1_11target_archE1100ELNS1_3gpuE3ELNS1_3repE0EEENS1_30default_config_static_selectorELNS0_4arch9wavefront6targetE0EEEvT1_.has_recursion, 0
	.set _ZN7rocprim17ROCPRIM_400000_NS6detail17trampoline_kernelINS0_14default_configENS1_33run_length_encode_config_selectorIN3c108BFloat16EjNS0_4plusIjEEEEZZNS1_33reduce_by_key_impl_wrapped_configILNS1_25lookback_scan_determinismE0ES3_S9_PKS6_NS0_17constant_iteratorIjlEEPS6_PlSH_S8_NS0_8equal_toIS6_EEEE10hipError_tPvRmT2_T3_mT4_T5_T6_T7_T8_P12ihipStream_tbENKUlT_T0_E_clISt17integral_constantIbLb0EES11_EEDaSW_SX_EUlSW_E_NS1_11comp_targetILNS1_3genE9ELNS1_11target_archE1100ELNS1_3gpuE3ELNS1_3repE0EEENS1_30default_config_static_selectorELNS0_4arch9wavefront6targetE0EEEvT1_.has_indirect_call, 0
	.section	.AMDGPU.csdata,"",@progbits
; Kernel info:
; codeLenInByte = 0
; TotalNumSgprs: 0
; NumVgprs: 0
; ScratchSize: 0
; MemoryBound: 0
; FloatMode: 240
; IeeeMode: 1
; LDSByteSize: 0 bytes/workgroup (compile time only)
; SGPRBlocks: 0
; VGPRBlocks: 0
; NumSGPRsForWavesPerEU: 1
; NumVGPRsForWavesPerEU: 1
; NamedBarCnt: 0
; Occupancy: 16
; WaveLimiterHint : 0
; COMPUTE_PGM_RSRC2:SCRATCH_EN: 0
; COMPUTE_PGM_RSRC2:USER_SGPR: 2
; COMPUTE_PGM_RSRC2:TRAP_HANDLER: 0
; COMPUTE_PGM_RSRC2:TGID_X_EN: 1
; COMPUTE_PGM_RSRC2:TGID_Y_EN: 0
; COMPUTE_PGM_RSRC2:TGID_Z_EN: 0
; COMPUTE_PGM_RSRC2:TIDIG_COMP_CNT: 0
	.section	.text._ZN7rocprim17ROCPRIM_400000_NS6detail17trampoline_kernelINS0_14default_configENS1_33run_length_encode_config_selectorIN3c108BFloat16EjNS0_4plusIjEEEEZZNS1_33reduce_by_key_impl_wrapped_configILNS1_25lookback_scan_determinismE0ES3_S9_PKS6_NS0_17constant_iteratorIjlEEPS6_PlSH_S8_NS0_8equal_toIS6_EEEE10hipError_tPvRmT2_T3_mT4_T5_T6_T7_T8_P12ihipStream_tbENKUlT_T0_E_clISt17integral_constantIbLb0EES11_EEDaSW_SX_EUlSW_E_NS1_11comp_targetILNS1_3genE8ELNS1_11target_archE1030ELNS1_3gpuE2ELNS1_3repE0EEENS1_30default_config_static_selectorELNS0_4arch9wavefront6targetE0EEEvT1_,"axG",@progbits,_ZN7rocprim17ROCPRIM_400000_NS6detail17trampoline_kernelINS0_14default_configENS1_33run_length_encode_config_selectorIN3c108BFloat16EjNS0_4plusIjEEEEZZNS1_33reduce_by_key_impl_wrapped_configILNS1_25lookback_scan_determinismE0ES3_S9_PKS6_NS0_17constant_iteratorIjlEEPS6_PlSH_S8_NS0_8equal_toIS6_EEEE10hipError_tPvRmT2_T3_mT4_T5_T6_T7_T8_P12ihipStream_tbENKUlT_T0_E_clISt17integral_constantIbLb0EES11_EEDaSW_SX_EUlSW_E_NS1_11comp_targetILNS1_3genE8ELNS1_11target_archE1030ELNS1_3gpuE2ELNS1_3repE0EEENS1_30default_config_static_selectorELNS0_4arch9wavefront6targetE0EEEvT1_,comdat
	.protected	_ZN7rocprim17ROCPRIM_400000_NS6detail17trampoline_kernelINS0_14default_configENS1_33run_length_encode_config_selectorIN3c108BFloat16EjNS0_4plusIjEEEEZZNS1_33reduce_by_key_impl_wrapped_configILNS1_25lookback_scan_determinismE0ES3_S9_PKS6_NS0_17constant_iteratorIjlEEPS6_PlSH_S8_NS0_8equal_toIS6_EEEE10hipError_tPvRmT2_T3_mT4_T5_T6_T7_T8_P12ihipStream_tbENKUlT_T0_E_clISt17integral_constantIbLb0EES11_EEDaSW_SX_EUlSW_E_NS1_11comp_targetILNS1_3genE8ELNS1_11target_archE1030ELNS1_3gpuE2ELNS1_3repE0EEENS1_30default_config_static_selectorELNS0_4arch9wavefront6targetE0EEEvT1_ ; -- Begin function _ZN7rocprim17ROCPRIM_400000_NS6detail17trampoline_kernelINS0_14default_configENS1_33run_length_encode_config_selectorIN3c108BFloat16EjNS0_4plusIjEEEEZZNS1_33reduce_by_key_impl_wrapped_configILNS1_25lookback_scan_determinismE0ES3_S9_PKS6_NS0_17constant_iteratorIjlEEPS6_PlSH_S8_NS0_8equal_toIS6_EEEE10hipError_tPvRmT2_T3_mT4_T5_T6_T7_T8_P12ihipStream_tbENKUlT_T0_E_clISt17integral_constantIbLb0EES11_EEDaSW_SX_EUlSW_E_NS1_11comp_targetILNS1_3genE8ELNS1_11target_archE1030ELNS1_3gpuE2ELNS1_3repE0EEENS1_30default_config_static_selectorELNS0_4arch9wavefront6targetE0EEEvT1_
	.globl	_ZN7rocprim17ROCPRIM_400000_NS6detail17trampoline_kernelINS0_14default_configENS1_33run_length_encode_config_selectorIN3c108BFloat16EjNS0_4plusIjEEEEZZNS1_33reduce_by_key_impl_wrapped_configILNS1_25lookback_scan_determinismE0ES3_S9_PKS6_NS0_17constant_iteratorIjlEEPS6_PlSH_S8_NS0_8equal_toIS6_EEEE10hipError_tPvRmT2_T3_mT4_T5_T6_T7_T8_P12ihipStream_tbENKUlT_T0_E_clISt17integral_constantIbLb0EES11_EEDaSW_SX_EUlSW_E_NS1_11comp_targetILNS1_3genE8ELNS1_11target_archE1030ELNS1_3gpuE2ELNS1_3repE0EEENS1_30default_config_static_selectorELNS0_4arch9wavefront6targetE0EEEvT1_
	.p2align	8
	.type	_ZN7rocprim17ROCPRIM_400000_NS6detail17trampoline_kernelINS0_14default_configENS1_33run_length_encode_config_selectorIN3c108BFloat16EjNS0_4plusIjEEEEZZNS1_33reduce_by_key_impl_wrapped_configILNS1_25lookback_scan_determinismE0ES3_S9_PKS6_NS0_17constant_iteratorIjlEEPS6_PlSH_S8_NS0_8equal_toIS6_EEEE10hipError_tPvRmT2_T3_mT4_T5_T6_T7_T8_P12ihipStream_tbENKUlT_T0_E_clISt17integral_constantIbLb0EES11_EEDaSW_SX_EUlSW_E_NS1_11comp_targetILNS1_3genE8ELNS1_11target_archE1030ELNS1_3gpuE2ELNS1_3repE0EEENS1_30default_config_static_selectorELNS0_4arch9wavefront6targetE0EEEvT1_,@function
_ZN7rocprim17ROCPRIM_400000_NS6detail17trampoline_kernelINS0_14default_configENS1_33run_length_encode_config_selectorIN3c108BFloat16EjNS0_4plusIjEEEEZZNS1_33reduce_by_key_impl_wrapped_configILNS1_25lookback_scan_determinismE0ES3_S9_PKS6_NS0_17constant_iteratorIjlEEPS6_PlSH_S8_NS0_8equal_toIS6_EEEE10hipError_tPvRmT2_T3_mT4_T5_T6_T7_T8_P12ihipStream_tbENKUlT_T0_E_clISt17integral_constantIbLb0EES11_EEDaSW_SX_EUlSW_E_NS1_11comp_targetILNS1_3genE8ELNS1_11target_archE1030ELNS1_3gpuE2ELNS1_3repE0EEENS1_30default_config_static_selectorELNS0_4arch9wavefront6targetE0EEEvT1_: ; @_ZN7rocprim17ROCPRIM_400000_NS6detail17trampoline_kernelINS0_14default_configENS1_33run_length_encode_config_selectorIN3c108BFloat16EjNS0_4plusIjEEEEZZNS1_33reduce_by_key_impl_wrapped_configILNS1_25lookback_scan_determinismE0ES3_S9_PKS6_NS0_17constant_iteratorIjlEEPS6_PlSH_S8_NS0_8equal_toIS6_EEEE10hipError_tPvRmT2_T3_mT4_T5_T6_T7_T8_P12ihipStream_tbENKUlT_T0_E_clISt17integral_constantIbLb0EES11_EEDaSW_SX_EUlSW_E_NS1_11comp_targetILNS1_3genE8ELNS1_11target_archE1030ELNS1_3gpuE2ELNS1_3repE0EEENS1_30default_config_static_selectorELNS0_4arch9wavefront6targetE0EEEvT1_
; %bb.0:
	.section	.rodata,"a",@progbits
	.p2align	6, 0x0
	.amdhsa_kernel _ZN7rocprim17ROCPRIM_400000_NS6detail17trampoline_kernelINS0_14default_configENS1_33run_length_encode_config_selectorIN3c108BFloat16EjNS0_4plusIjEEEEZZNS1_33reduce_by_key_impl_wrapped_configILNS1_25lookback_scan_determinismE0ES3_S9_PKS6_NS0_17constant_iteratorIjlEEPS6_PlSH_S8_NS0_8equal_toIS6_EEEE10hipError_tPvRmT2_T3_mT4_T5_T6_T7_T8_P12ihipStream_tbENKUlT_T0_E_clISt17integral_constantIbLb0EES11_EEDaSW_SX_EUlSW_E_NS1_11comp_targetILNS1_3genE8ELNS1_11target_archE1030ELNS1_3gpuE2ELNS1_3repE0EEENS1_30default_config_static_selectorELNS0_4arch9wavefront6targetE0EEEvT1_
		.amdhsa_group_segment_fixed_size 0
		.amdhsa_private_segment_fixed_size 0
		.amdhsa_kernarg_size 128
		.amdhsa_user_sgpr_count 2
		.amdhsa_user_sgpr_dispatch_ptr 0
		.amdhsa_user_sgpr_queue_ptr 0
		.amdhsa_user_sgpr_kernarg_segment_ptr 1
		.amdhsa_user_sgpr_dispatch_id 0
		.amdhsa_user_sgpr_kernarg_preload_length 0
		.amdhsa_user_sgpr_kernarg_preload_offset 0
		.amdhsa_user_sgpr_private_segment_size 0
		.amdhsa_wavefront_size32 1
		.amdhsa_uses_dynamic_stack 0
		.amdhsa_enable_private_segment 0
		.amdhsa_system_sgpr_workgroup_id_x 1
		.amdhsa_system_sgpr_workgroup_id_y 0
		.amdhsa_system_sgpr_workgroup_id_z 0
		.amdhsa_system_sgpr_workgroup_info 0
		.amdhsa_system_vgpr_workitem_id 0
		.amdhsa_next_free_vgpr 1
		.amdhsa_next_free_sgpr 1
		.amdhsa_named_barrier_count 0
		.amdhsa_reserve_vcc 0
		.amdhsa_float_round_mode_32 0
		.amdhsa_float_round_mode_16_64 0
		.amdhsa_float_denorm_mode_32 3
		.amdhsa_float_denorm_mode_16_64 3
		.amdhsa_fp16_overflow 0
		.amdhsa_memory_ordered 1
		.amdhsa_forward_progress 1
		.amdhsa_inst_pref_size 0
		.amdhsa_round_robin_scheduling 0
		.amdhsa_exception_fp_ieee_invalid_op 0
		.amdhsa_exception_fp_denorm_src 0
		.amdhsa_exception_fp_ieee_div_zero 0
		.amdhsa_exception_fp_ieee_overflow 0
		.amdhsa_exception_fp_ieee_underflow 0
		.amdhsa_exception_fp_ieee_inexact 0
		.amdhsa_exception_int_div_zero 0
	.end_amdhsa_kernel
	.section	.text._ZN7rocprim17ROCPRIM_400000_NS6detail17trampoline_kernelINS0_14default_configENS1_33run_length_encode_config_selectorIN3c108BFloat16EjNS0_4plusIjEEEEZZNS1_33reduce_by_key_impl_wrapped_configILNS1_25lookback_scan_determinismE0ES3_S9_PKS6_NS0_17constant_iteratorIjlEEPS6_PlSH_S8_NS0_8equal_toIS6_EEEE10hipError_tPvRmT2_T3_mT4_T5_T6_T7_T8_P12ihipStream_tbENKUlT_T0_E_clISt17integral_constantIbLb0EES11_EEDaSW_SX_EUlSW_E_NS1_11comp_targetILNS1_3genE8ELNS1_11target_archE1030ELNS1_3gpuE2ELNS1_3repE0EEENS1_30default_config_static_selectorELNS0_4arch9wavefront6targetE0EEEvT1_,"axG",@progbits,_ZN7rocprim17ROCPRIM_400000_NS6detail17trampoline_kernelINS0_14default_configENS1_33run_length_encode_config_selectorIN3c108BFloat16EjNS0_4plusIjEEEEZZNS1_33reduce_by_key_impl_wrapped_configILNS1_25lookback_scan_determinismE0ES3_S9_PKS6_NS0_17constant_iteratorIjlEEPS6_PlSH_S8_NS0_8equal_toIS6_EEEE10hipError_tPvRmT2_T3_mT4_T5_T6_T7_T8_P12ihipStream_tbENKUlT_T0_E_clISt17integral_constantIbLb0EES11_EEDaSW_SX_EUlSW_E_NS1_11comp_targetILNS1_3genE8ELNS1_11target_archE1030ELNS1_3gpuE2ELNS1_3repE0EEENS1_30default_config_static_selectorELNS0_4arch9wavefront6targetE0EEEvT1_,comdat
.Lfunc_end864:
	.size	_ZN7rocprim17ROCPRIM_400000_NS6detail17trampoline_kernelINS0_14default_configENS1_33run_length_encode_config_selectorIN3c108BFloat16EjNS0_4plusIjEEEEZZNS1_33reduce_by_key_impl_wrapped_configILNS1_25lookback_scan_determinismE0ES3_S9_PKS6_NS0_17constant_iteratorIjlEEPS6_PlSH_S8_NS0_8equal_toIS6_EEEE10hipError_tPvRmT2_T3_mT4_T5_T6_T7_T8_P12ihipStream_tbENKUlT_T0_E_clISt17integral_constantIbLb0EES11_EEDaSW_SX_EUlSW_E_NS1_11comp_targetILNS1_3genE8ELNS1_11target_archE1030ELNS1_3gpuE2ELNS1_3repE0EEENS1_30default_config_static_selectorELNS0_4arch9wavefront6targetE0EEEvT1_, .Lfunc_end864-_ZN7rocprim17ROCPRIM_400000_NS6detail17trampoline_kernelINS0_14default_configENS1_33run_length_encode_config_selectorIN3c108BFloat16EjNS0_4plusIjEEEEZZNS1_33reduce_by_key_impl_wrapped_configILNS1_25lookback_scan_determinismE0ES3_S9_PKS6_NS0_17constant_iteratorIjlEEPS6_PlSH_S8_NS0_8equal_toIS6_EEEE10hipError_tPvRmT2_T3_mT4_T5_T6_T7_T8_P12ihipStream_tbENKUlT_T0_E_clISt17integral_constantIbLb0EES11_EEDaSW_SX_EUlSW_E_NS1_11comp_targetILNS1_3genE8ELNS1_11target_archE1030ELNS1_3gpuE2ELNS1_3repE0EEENS1_30default_config_static_selectorELNS0_4arch9wavefront6targetE0EEEvT1_
                                        ; -- End function
	.set _ZN7rocprim17ROCPRIM_400000_NS6detail17trampoline_kernelINS0_14default_configENS1_33run_length_encode_config_selectorIN3c108BFloat16EjNS0_4plusIjEEEEZZNS1_33reduce_by_key_impl_wrapped_configILNS1_25lookback_scan_determinismE0ES3_S9_PKS6_NS0_17constant_iteratorIjlEEPS6_PlSH_S8_NS0_8equal_toIS6_EEEE10hipError_tPvRmT2_T3_mT4_T5_T6_T7_T8_P12ihipStream_tbENKUlT_T0_E_clISt17integral_constantIbLb0EES11_EEDaSW_SX_EUlSW_E_NS1_11comp_targetILNS1_3genE8ELNS1_11target_archE1030ELNS1_3gpuE2ELNS1_3repE0EEENS1_30default_config_static_selectorELNS0_4arch9wavefront6targetE0EEEvT1_.num_vgpr, 0
	.set _ZN7rocprim17ROCPRIM_400000_NS6detail17trampoline_kernelINS0_14default_configENS1_33run_length_encode_config_selectorIN3c108BFloat16EjNS0_4plusIjEEEEZZNS1_33reduce_by_key_impl_wrapped_configILNS1_25lookback_scan_determinismE0ES3_S9_PKS6_NS0_17constant_iteratorIjlEEPS6_PlSH_S8_NS0_8equal_toIS6_EEEE10hipError_tPvRmT2_T3_mT4_T5_T6_T7_T8_P12ihipStream_tbENKUlT_T0_E_clISt17integral_constantIbLb0EES11_EEDaSW_SX_EUlSW_E_NS1_11comp_targetILNS1_3genE8ELNS1_11target_archE1030ELNS1_3gpuE2ELNS1_3repE0EEENS1_30default_config_static_selectorELNS0_4arch9wavefront6targetE0EEEvT1_.num_agpr, 0
	.set _ZN7rocprim17ROCPRIM_400000_NS6detail17trampoline_kernelINS0_14default_configENS1_33run_length_encode_config_selectorIN3c108BFloat16EjNS0_4plusIjEEEEZZNS1_33reduce_by_key_impl_wrapped_configILNS1_25lookback_scan_determinismE0ES3_S9_PKS6_NS0_17constant_iteratorIjlEEPS6_PlSH_S8_NS0_8equal_toIS6_EEEE10hipError_tPvRmT2_T3_mT4_T5_T6_T7_T8_P12ihipStream_tbENKUlT_T0_E_clISt17integral_constantIbLb0EES11_EEDaSW_SX_EUlSW_E_NS1_11comp_targetILNS1_3genE8ELNS1_11target_archE1030ELNS1_3gpuE2ELNS1_3repE0EEENS1_30default_config_static_selectorELNS0_4arch9wavefront6targetE0EEEvT1_.numbered_sgpr, 0
	.set _ZN7rocprim17ROCPRIM_400000_NS6detail17trampoline_kernelINS0_14default_configENS1_33run_length_encode_config_selectorIN3c108BFloat16EjNS0_4plusIjEEEEZZNS1_33reduce_by_key_impl_wrapped_configILNS1_25lookback_scan_determinismE0ES3_S9_PKS6_NS0_17constant_iteratorIjlEEPS6_PlSH_S8_NS0_8equal_toIS6_EEEE10hipError_tPvRmT2_T3_mT4_T5_T6_T7_T8_P12ihipStream_tbENKUlT_T0_E_clISt17integral_constantIbLb0EES11_EEDaSW_SX_EUlSW_E_NS1_11comp_targetILNS1_3genE8ELNS1_11target_archE1030ELNS1_3gpuE2ELNS1_3repE0EEENS1_30default_config_static_selectorELNS0_4arch9wavefront6targetE0EEEvT1_.num_named_barrier, 0
	.set _ZN7rocprim17ROCPRIM_400000_NS6detail17trampoline_kernelINS0_14default_configENS1_33run_length_encode_config_selectorIN3c108BFloat16EjNS0_4plusIjEEEEZZNS1_33reduce_by_key_impl_wrapped_configILNS1_25lookback_scan_determinismE0ES3_S9_PKS6_NS0_17constant_iteratorIjlEEPS6_PlSH_S8_NS0_8equal_toIS6_EEEE10hipError_tPvRmT2_T3_mT4_T5_T6_T7_T8_P12ihipStream_tbENKUlT_T0_E_clISt17integral_constantIbLb0EES11_EEDaSW_SX_EUlSW_E_NS1_11comp_targetILNS1_3genE8ELNS1_11target_archE1030ELNS1_3gpuE2ELNS1_3repE0EEENS1_30default_config_static_selectorELNS0_4arch9wavefront6targetE0EEEvT1_.private_seg_size, 0
	.set _ZN7rocprim17ROCPRIM_400000_NS6detail17trampoline_kernelINS0_14default_configENS1_33run_length_encode_config_selectorIN3c108BFloat16EjNS0_4plusIjEEEEZZNS1_33reduce_by_key_impl_wrapped_configILNS1_25lookback_scan_determinismE0ES3_S9_PKS6_NS0_17constant_iteratorIjlEEPS6_PlSH_S8_NS0_8equal_toIS6_EEEE10hipError_tPvRmT2_T3_mT4_T5_T6_T7_T8_P12ihipStream_tbENKUlT_T0_E_clISt17integral_constantIbLb0EES11_EEDaSW_SX_EUlSW_E_NS1_11comp_targetILNS1_3genE8ELNS1_11target_archE1030ELNS1_3gpuE2ELNS1_3repE0EEENS1_30default_config_static_selectorELNS0_4arch9wavefront6targetE0EEEvT1_.uses_vcc, 0
	.set _ZN7rocprim17ROCPRIM_400000_NS6detail17trampoline_kernelINS0_14default_configENS1_33run_length_encode_config_selectorIN3c108BFloat16EjNS0_4plusIjEEEEZZNS1_33reduce_by_key_impl_wrapped_configILNS1_25lookback_scan_determinismE0ES3_S9_PKS6_NS0_17constant_iteratorIjlEEPS6_PlSH_S8_NS0_8equal_toIS6_EEEE10hipError_tPvRmT2_T3_mT4_T5_T6_T7_T8_P12ihipStream_tbENKUlT_T0_E_clISt17integral_constantIbLb0EES11_EEDaSW_SX_EUlSW_E_NS1_11comp_targetILNS1_3genE8ELNS1_11target_archE1030ELNS1_3gpuE2ELNS1_3repE0EEENS1_30default_config_static_selectorELNS0_4arch9wavefront6targetE0EEEvT1_.uses_flat_scratch, 0
	.set _ZN7rocprim17ROCPRIM_400000_NS6detail17trampoline_kernelINS0_14default_configENS1_33run_length_encode_config_selectorIN3c108BFloat16EjNS0_4plusIjEEEEZZNS1_33reduce_by_key_impl_wrapped_configILNS1_25lookback_scan_determinismE0ES3_S9_PKS6_NS0_17constant_iteratorIjlEEPS6_PlSH_S8_NS0_8equal_toIS6_EEEE10hipError_tPvRmT2_T3_mT4_T5_T6_T7_T8_P12ihipStream_tbENKUlT_T0_E_clISt17integral_constantIbLb0EES11_EEDaSW_SX_EUlSW_E_NS1_11comp_targetILNS1_3genE8ELNS1_11target_archE1030ELNS1_3gpuE2ELNS1_3repE0EEENS1_30default_config_static_selectorELNS0_4arch9wavefront6targetE0EEEvT1_.has_dyn_sized_stack, 0
	.set _ZN7rocprim17ROCPRIM_400000_NS6detail17trampoline_kernelINS0_14default_configENS1_33run_length_encode_config_selectorIN3c108BFloat16EjNS0_4plusIjEEEEZZNS1_33reduce_by_key_impl_wrapped_configILNS1_25lookback_scan_determinismE0ES3_S9_PKS6_NS0_17constant_iteratorIjlEEPS6_PlSH_S8_NS0_8equal_toIS6_EEEE10hipError_tPvRmT2_T3_mT4_T5_T6_T7_T8_P12ihipStream_tbENKUlT_T0_E_clISt17integral_constantIbLb0EES11_EEDaSW_SX_EUlSW_E_NS1_11comp_targetILNS1_3genE8ELNS1_11target_archE1030ELNS1_3gpuE2ELNS1_3repE0EEENS1_30default_config_static_selectorELNS0_4arch9wavefront6targetE0EEEvT1_.has_recursion, 0
	.set _ZN7rocprim17ROCPRIM_400000_NS6detail17trampoline_kernelINS0_14default_configENS1_33run_length_encode_config_selectorIN3c108BFloat16EjNS0_4plusIjEEEEZZNS1_33reduce_by_key_impl_wrapped_configILNS1_25lookback_scan_determinismE0ES3_S9_PKS6_NS0_17constant_iteratorIjlEEPS6_PlSH_S8_NS0_8equal_toIS6_EEEE10hipError_tPvRmT2_T3_mT4_T5_T6_T7_T8_P12ihipStream_tbENKUlT_T0_E_clISt17integral_constantIbLb0EES11_EEDaSW_SX_EUlSW_E_NS1_11comp_targetILNS1_3genE8ELNS1_11target_archE1030ELNS1_3gpuE2ELNS1_3repE0EEENS1_30default_config_static_selectorELNS0_4arch9wavefront6targetE0EEEvT1_.has_indirect_call, 0
	.section	.AMDGPU.csdata,"",@progbits
; Kernel info:
; codeLenInByte = 0
; TotalNumSgprs: 0
; NumVgprs: 0
; ScratchSize: 0
; MemoryBound: 0
; FloatMode: 240
; IeeeMode: 1
; LDSByteSize: 0 bytes/workgroup (compile time only)
; SGPRBlocks: 0
; VGPRBlocks: 0
; NumSGPRsForWavesPerEU: 1
; NumVGPRsForWavesPerEU: 1
; NamedBarCnt: 0
; Occupancy: 16
; WaveLimiterHint : 0
; COMPUTE_PGM_RSRC2:SCRATCH_EN: 0
; COMPUTE_PGM_RSRC2:USER_SGPR: 2
; COMPUTE_PGM_RSRC2:TRAP_HANDLER: 0
; COMPUTE_PGM_RSRC2:TGID_X_EN: 1
; COMPUTE_PGM_RSRC2:TGID_Y_EN: 0
; COMPUTE_PGM_RSRC2:TGID_Z_EN: 0
; COMPUTE_PGM_RSRC2:TIDIG_COMP_CNT: 0
	.section	.text._ZN7rocprim17ROCPRIM_400000_NS6detail17trampoline_kernelINS0_14default_configENS1_33run_length_encode_config_selectorIN3c108BFloat16EjNS0_4plusIjEEEEZZNS1_33reduce_by_key_impl_wrapped_configILNS1_25lookback_scan_determinismE0ES3_S9_PKS6_NS0_17constant_iteratorIjlEEPS6_PlSH_S8_NS0_8equal_toIS6_EEEE10hipError_tPvRmT2_T3_mT4_T5_T6_T7_T8_P12ihipStream_tbENKUlT_T0_E_clISt17integral_constantIbLb1EES11_EEDaSW_SX_EUlSW_E_NS1_11comp_targetILNS1_3genE0ELNS1_11target_archE4294967295ELNS1_3gpuE0ELNS1_3repE0EEENS1_30default_config_static_selectorELNS0_4arch9wavefront6targetE0EEEvT1_,"axG",@progbits,_ZN7rocprim17ROCPRIM_400000_NS6detail17trampoline_kernelINS0_14default_configENS1_33run_length_encode_config_selectorIN3c108BFloat16EjNS0_4plusIjEEEEZZNS1_33reduce_by_key_impl_wrapped_configILNS1_25lookback_scan_determinismE0ES3_S9_PKS6_NS0_17constant_iteratorIjlEEPS6_PlSH_S8_NS0_8equal_toIS6_EEEE10hipError_tPvRmT2_T3_mT4_T5_T6_T7_T8_P12ihipStream_tbENKUlT_T0_E_clISt17integral_constantIbLb1EES11_EEDaSW_SX_EUlSW_E_NS1_11comp_targetILNS1_3genE0ELNS1_11target_archE4294967295ELNS1_3gpuE0ELNS1_3repE0EEENS1_30default_config_static_selectorELNS0_4arch9wavefront6targetE0EEEvT1_,comdat
	.protected	_ZN7rocprim17ROCPRIM_400000_NS6detail17trampoline_kernelINS0_14default_configENS1_33run_length_encode_config_selectorIN3c108BFloat16EjNS0_4plusIjEEEEZZNS1_33reduce_by_key_impl_wrapped_configILNS1_25lookback_scan_determinismE0ES3_S9_PKS6_NS0_17constant_iteratorIjlEEPS6_PlSH_S8_NS0_8equal_toIS6_EEEE10hipError_tPvRmT2_T3_mT4_T5_T6_T7_T8_P12ihipStream_tbENKUlT_T0_E_clISt17integral_constantIbLb1EES11_EEDaSW_SX_EUlSW_E_NS1_11comp_targetILNS1_3genE0ELNS1_11target_archE4294967295ELNS1_3gpuE0ELNS1_3repE0EEENS1_30default_config_static_selectorELNS0_4arch9wavefront6targetE0EEEvT1_ ; -- Begin function _ZN7rocprim17ROCPRIM_400000_NS6detail17trampoline_kernelINS0_14default_configENS1_33run_length_encode_config_selectorIN3c108BFloat16EjNS0_4plusIjEEEEZZNS1_33reduce_by_key_impl_wrapped_configILNS1_25lookback_scan_determinismE0ES3_S9_PKS6_NS0_17constant_iteratorIjlEEPS6_PlSH_S8_NS0_8equal_toIS6_EEEE10hipError_tPvRmT2_T3_mT4_T5_T6_T7_T8_P12ihipStream_tbENKUlT_T0_E_clISt17integral_constantIbLb1EES11_EEDaSW_SX_EUlSW_E_NS1_11comp_targetILNS1_3genE0ELNS1_11target_archE4294967295ELNS1_3gpuE0ELNS1_3repE0EEENS1_30default_config_static_selectorELNS0_4arch9wavefront6targetE0EEEvT1_
	.globl	_ZN7rocprim17ROCPRIM_400000_NS6detail17trampoline_kernelINS0_14default_configENS1_33run_length_encode_config_selectorIN3c108BFloat16EjNS0_4plusIjEEEEZZNS1_33reduce_by_key_impl_wrapped_configILNS1_25lookback_scan_determinismE0ES3_S9_PKS6_NS0_17constant_iteratorIjlEEPS6_PlSH_S8_NS0_8equal_toIS6_EEEE10hipError_tPvRmT2_T3_mT4_T5_T6_T7_T8_P12ihipStream_tbENKUlT_T0_E_clISt17integral_constantIbLb1EES11_EEDaSW_SX_EUlSW_E_NS1_11comp_targetILNS1_3genE0ELNS1_11target_archE4294967295ELNS1_3gpuE0ELNS1_3repE0EEENS1_30default_config_static_selectorELNS0_4arch9wavefront6targetE0EEEvT1_
	.p2align	8
	.type	_ZN7rocprim17ROCPRIM_400000_NS6detail17trampoline_kernelINS0_14default_configENS1_33run_length_encode_config_selectorIN3c108BFloat16EjNS0_4plusIjEEEEZZNS1_33reduce_by_key_impl_wrapped_configILNS1_25lookback_scan_determinismE0ES3_S9_PKS6_NS0_17constant_iteratorIjlEEPS6_PlSH_S8_NS0_8equal_toIS6_EEEE10hipError_tPvRmT2_T3_mT4_T5_T6_T7_T8_P12ihipStream_tbENKUlT_T0_E_clISt17integral_constantIbLb1EES11_EEDaSW_SX_EUlSW_E_NS1_11comp_targetILNS1_3genE0ELNS1_11target_archE4294967295ELNS1_3gpuE0ELNS1_3repE0EEENS1_30default_config_static_selectorELNS0_4arch9wavefront6targetE0EEEvT1_,@function
_ZN7rocprim17ROCPRIM_400000_NS6detail17trampoline_kernelINS0_14default_configENS1_33run_length_encode_config_selectorIN3c108BFloat16EjNS0_4plusIjEEEEZZNS1_33reduce_by_key_impl_wrapped_configILNS1_25lookback_scan_determinismE0ES3_S9_PKS6_NS0_17constant_iteratorIjlEEPS6_PlSH_S8_NS0_8equal_toIS6_EEEE10hipError_tPvRmT2_T3_mT4_T5_T6_T7_T8_P12ihipStream_tbENKUlT_T0_E_clISt17integral_constantIbLb1EES11_EEDaSW_SX_EUlSW_E_NS1_11comp_targetILNS1_3genE0ELNS1_11target_archE4294967295ELNS1_3gpuE0ELNS1_3repE0EEENS1_30default_config_static_selectorELNS0_4arch9wavefront6targetE0EEEvT1_: ; @_ZN7rocprim17ROCPRIM_400000_NS6detail17trampoline_kernelINS0_14default_configENS1_33run_length_encode_config_selectorIN3c108BFloat16EjNS0_4plusIjEEEEZZNS1_33reduce_by_key_impl_wrapped_configILNS1_25lookback_scan_determinismE0ES3_S9_PKS6_NS0_17constant_iteratorIjlEEPS6_PlSH_S8_NS0_8equal_toIS6_EEEE10hipError_tPvRmT2_T3_mT4_T5_T6_T7_T8_P12ihipStream_tbENKUlT_T0_E_clISt17integral_constantIbLb1EES11_EEDaSW_SX_EUlSW_E_NS1_11comp_targetILNS1_3genE0ELNS1_11target_archE4294967295ELNS1_3gpuE0ELNS1_3repE0EEENS1_30default_config_static_selectorELNS0_4arch9wavefront6targetE0EEEvT1_
; %bb.0:
	s_endpgm
	.section	.rodata,"a",@progbits
	.p2align	6, 0x0
	.amdhsa_kernel _ZN7rocprim17ROCPRIM_400000_NS6detail17trampoline_kernelINS0_14default_configENS1_33run_length_encode_config_selectorIN3c108BFloat16EjNS0_4plusIjEEEEZZNS1_33reduce_by_key_impl_wrapped_configILNS1_25lookback_scan_determinismE0ES3_S9_PKS6_NS0_17constant_iteratorIjlEEPS6_PlSH_S8_NS0_8equal_toIS6_EEEE10hipError_tPvRmT2_T3_mT4_T5_T6_T7_T8_P12ihipStream_tbENKUlT_T0_E_clISt17integral_constantIbLb1EES11_EEDaSW_SX_EUlSW_E_NS1_11comp_targetILNS1_3genE0ELNS1_11target_archE4294967295ELNS1_3gpuE0ELNS1_3repE0EEENS1_30default_config_static_selectorELNS0_4arch9wavefront6targetE0EEEvT1_
		.amdhsa_group_segment_fixed_size 0
		.amdhsa_private_segment_fixed_size 0
		.amdhsa_kernarg_size 128
		.amdhsa_user_sgpr_count 2
		.amdhsa_user_sgpr_dispatch_ptr 0
		.amdhsa_user_sgpr_queue_ptr 0
		.amdhsa_user_sgpr_kernarg_segment_ptr 1
		.amdhsa_user_sgpr_dispatch_id 0
		.amdhsa_user_sgpr_kernarg_preload_length 0
		.amdhsa_user_sgpr_kernarg_preload_offset 0
		.amdhsa_user_sgpr_private_segment_size 0
		.amdhsa_wavefront_size32 1
		.amdhsa_uses_dynamic_stack 0
		.amdhsa_enable_private_segment 0
		.amdhsa_system_sgpr_workgroup_id_x 1
		.amdhsa_system_sgpr_workgroup_id_y 0
		.amdhsa_system_sgpr_workgroup_id_z 0
		.amdhsa_system_sgpr_workgroup_info 0
		.amdhsa_system_vgpr_workitem_id 0
		.amdhsa_next_free_vgpr 1
		.amdhsa_next_free_sgpr 1
		.amdhsa_named_barrier_count 0
		.amdhsa_reserve_vcc 0
		.amdhsa_float_round_mode_32 0
		.amdhsa_float_round_mode_16_64 0
		.amdhsa_float_denorm_mode_32 3
		.amdhsa_float_denorm_mode_16_64 3
		.amdhsa_fp16_overflow 0
		.amdhsa_memory_ordered 1
		.amdhsa_forward_progress 1
		.amdhsa_inst_pref_size 1
		.amdhsa_round_robin_scheduling 0
		.amdhsa_exception_fp_ieee_invalid_op 0
		.amdhsa_exception_fp_denorm_src 0
		.amdhsa_exception_fp_ieee_div_zero 0
		.amdhsa_exception_fp_ieee_overflow 0
		.amdhsa_exception_fp_ieee_underflow 0
		.amdhsa_exception_fp_ieee_inexact 0
		.amdhsa_exception_int_div_zero 0
	.end_amdhsa_kernel
	.section	.text._ZN7rocprim17ROCPRIM_400000_NS6detail17trampoline_kernelINS0_14default_configENS1_33run_length_encode_config_selectorIN3c108BFloat16EjNS0_4plusIjEEEEZZNS1_33reduce_by_key_impl_wrapped_configILNS1_25lookback_scan_determinismE0ES3_S9_PKS6_NS0_17constant_iteratorIjlEEPS6_PlSH_S8_NS0_8equal_toIS6_EEEE10hipError_tPvRmT2_T3_mT4_T5_T6_T7_T8_P12ihipStream_tbENKUlT_T0_E_clISt17integral_constantIbLb1EES11_EEDaSW_SX_EUlSW_E_NS1_11comp_targetILNS1_3genE0ELNS1_11target_archE4294967295ELNS1_3gpuE0ELNS1_3repE0EEENS1_30default_config_static_selectorELNS0_4arch9wavefront6targetE0EEEvT1_,"axG",@progbits,_ZN7rocprim17ROCPRIM_400000_NS6detail17trampoline_kernelINS0_14default_configENS1_33run_length_encode_config_selectorIN3c108BFloat16EjNS0_4plusIjEEEEZZNS1_33reduce_by_key_impl_wrapped_configILNS1_25lookback_scan_determinismE0ES3_S9_PKS6_NS0_17constant_iteratorIjlEEPS6_PlSH_S8_NS0_8equal_toIS6_EEEE10hipError_tPvRmT2_T3_mT4_T5_T6_T7_T8_P12ihipStream_tbENKUlT_T0_E_clISt17integral_constantIbLb1EES11_EEDaSW_SX_EUlSW_E_NS1_11comp_targetILNS1_3genE0ELNS1_11target_archE4294967295ELNS1_3gpuE0ELNS1_3repE0EEENS1_30default_config_static_selectorELNS0_4arch9wavefront6targetE0EEEvT1_,comdat
.Lfunc_end865:
	.size	_ZN7rocprim17ROCPRIM_400000_NS6detail17trampoline_kernelINS0_14default_configENS1_33run_length_encode_config_selectorIN3c108BFloat16EjNS0_4plusIjEEEEZZNS1_33reduce_by_key_impl_wrapped_configILNS1_25lookback_scan_determinismE0ES3_S9_PKS6_NS0_17constant_iteratorIjlEEPS6_PlSH_S8_NS0_8equal_toIS6_EEEE10hipError_tPvRmT2_T3_mT4_T5_T6_T7_T8_P12ihipStream_tbENKUlT_T0_E_clISt17integral_constantIbLb1EES11_EEDaSW_SX_EUlSW_E_NS1_11comp_targetILNS1_3genE0ELNS1_11target_archE4294967295ELNS1_3gpuE0ELNS1_3repE0EEENS1_30default_config_static_selectorELNS0_4arch9wavefront6targetE0EEEvT1_, .Lfunc_end865-_ZN7rocprim17ROCPRIM_400000_NS6detail17trampoline_kernelINS0_14default_configENS1_33run_length_encode_config_selectorIN3c108BFloat16EjNS0_4plusIjEEEEZZNS1_33reduce_by_key_impl_wrapped_configILNS1_25lookback_scan_determinismE0ES3_S9_PKS6_NS0_17constant_iteratorIjlEEPS6_PlSH_S8_NS0_8equal_toIS6_EEEE10hipError_tPvRmT2_T3_mT4_T5_T6_T7_T8_P12ihipStream_tbENKUlT_T0_E_clISt17integral_constantIbLb1EES11_EEDaSW_SX_EUlSW_E_NS1_11comp_targetILNS1_3genE0ELNS1_11target_archE4294967295ELNS1_3gpuE0ELNS1_3repE0EEENS1_30default_config_static_selectorELNS0_4arch9wavefront6targetE0EEEvT1_
                                        ; -- End function
	.set _ZN7rocprim17ROCPRIM_400000_NS6detail17trampoline_kernelINS0_14default_configENS1_33run_length_encode_config_selectorIN3c108BFloat16EjNS0_4plusIjEEEEZZNS1_33reduce_by_key_impl_wrapped_configILNS1_25lookback_scan_determinismE0ES3_S9_PKS6_NS0_17constant_iteratorIjlEEPS6_PlSH_S8_NS0_8equal_toIS6_EEEE10hipError_tPvRmT2_T3_mT4_T5_T6_T7_T8_P12ihipStream_tbENKUlT_T0_E_clISt17integral_constantIbLb1EES11_EEDaSW_SX_EUlSW_E_NS1_11comp_targetILNS1_3genE0ELNS1_11target_archE4294967295ELNS1_3gpuE0ELNS1_3repE0EEENS1_30default_config_static_selectorELNS0_4arch9wavefront6targetE0EEEvT1_.num_vgpr, 0
	.set _ZN7rocprim17ROCPRIM_400000_NS6detail17trampoline_kernelINS0_14default_configENS1_33run_length_encode_config_selectorIN3c108BFloat16EjNS0_4plusIjEEEEZZNS1_33reduce_by_key_impl_wrapped_configILNS1_25lookback_scan_determinismE0ES3_S9_PKS6_NS0_17constant_iteratorIjlEEPS6_PlSH_S8_NS0_8equal_toIS6_EEEE10hipError_tPvRmT2_T3_mT4_T5_T6_T7_T8_P12ihipStream_tbENKUlT_T0_E_clISt17integral_constantIbLb1EES11_EEDaSW_SX_EUlSW_E_NS1_11comp_targetILNS1_3genE0ELNS1_11target_archE4294967295ELNS1_3gpuE0ELNS1_3repE0EEENS1_30default_config_static_selectorELNS0_4arch9wavefront6targetE0EEEvT1_.num_agpr, 0
	.set _ZN7rocprim17ROCPRIM_400000_NS6detail17trampoline_kernelINS0_14default_configENS1_33run_length_encode_config_selectorIN3c108BFloat16EjNS0_4plusIjEEEEZZNS1_33reduce_by_key_impl_wrapped_configILNS1_25lookback_scan_determinismE0ES3_S9_PKS6_NS0_17constant_iteratorIjlEEPS6_PlSH_S8_NS0_8equal_toIS6_EEEE10hipError_tPvRmT2_T3_mT4_T5_T6_T7_T8_P12ihipStream_tbENKUlT_T0_E_clISt17integral_constantIbLb1EES11_EEDaSW_SX_EUlSW_E_NS1_11comp_targetILNS1_3genE0ELNS1_11target_archE4294967295ELNS1_3gpuE0ELNS1_3repE0EEENS1_30default_config_static_selectorELNS0_4arch9wavefront6targetE0EEEvT1_.numbered_sgpr, 0
	.set _ZN7rocprim17ROCPRIM_400000_NS6detail17trampoline_kernelINS0_14default_configENS1_33run_length_encode_config_selectorIN3c108BFloat16EjNS0_4plusIjEEEEZZNS1_33reduce_by_key_impl_wrapped_configILNS1_25lookback_scan_determinismE0ES3_S9_PKS6_NS0_17constant_iteratorIjlEEPS6_PlSH_S8_NS0_8equal_toIS6_EEEE10hipError_tPvRmT2_T3_mT4_T5_T6_T7_T8_P12ihipStream_tbENKUlT_T0_E_clISt17integral_constantIbLb1EES11_EEDaSW_SX_EUlSW_E_NS1_11comp_targetILNS1_3genE0ELNS1_11target_archE4294967295ELNS1_3gpuE0ELNS1_3repE0EEENS1_30default_config_static_selectorELNS0_4arch9wavefront6targetE0EEEvT1_.num_named_barrier, 0
	.set _ZN7rocprim17ROCPRIM_400000_NS6detail17trampoline_kernelINS0_14default_configENS1_33run_length_encode_config_selectorIN3c108BFloat16EjNS0_4plusIjEEEEZZNS1_33reduce_by_key_impl_wrapped_configILNS1_25lookback_scan_determinismE0ES3_S9_PKS6_NS0_17constant_iteratorIjlEEPS6_PlSH_S8_NS0_8equal_toIS6_EEEE10hipError_tPvRmT2_T3_mT4_T5_T6_T7_T8_P12ihipStream_tbENKUlT_T0_E_clISt17integral_constantIbLb1EES11_EEDaSW_SX_EUlSW_E_NS1_11comp_targetILNS1_3genE0ELNS1_11target_archE4294967295ELNS1_3gpuE0ELNS1_3repE0EEENS1_30default_config_static_selectorELNS0_4arch9wavefront6targetE0EEEvT1_.private_seg_size, 0
	.set _ZN7rocprim17ROCPRIM_400000_NS6detail17trampoline_kernelINS0_14default_configENS1_33run_length_encode_config_selectorIN3c108BFloat16EjNS0_4plusIjEEEEZZNS1_33reduce_by_key_impl_wrapped_configILNS1_25lookback_scan_determinismE0ES3_S9_PKS6_NS0_17constant_iteratorIjlEEPS6_PlSH_S8_NS0_8equal_toIS6_EEEE10hipError_tPvRmT2_T3_mT4_T5_T6_T7_T8_P12ihipStream_tbENKUlT_T0_E_clISt17integral_constantIbLb1EES11_EEDaSW_SX_EUlSW_E_NS1_11comp_targetILNS1_3genE0ELNS1_11target_archE4294967295ELNS1_3gpuE0ELNS1_3repE0EEENS1_30default_config_static_selectorELNS0_4arch9wavefront6targetE0EEEvT1_.uses_vcc, 0
	.set _ZN7rocprim17ROCPRIM_400000_NS6detail17trampoline_kernelINS0_14default_configENS1_33run_length_encode_config_selectorIN3c108BFloat16EjNS0_4plusIjEEEEZZNS1_33reduce_by_key_impl_wrapped_configILNS1_25lookback_scan_determinismE0ES3_S9_PKS6_NS0_17constant_iteratorIjlEEPS6_PlSH_S8_NS0_8equal_toIS6_EEEE10hipError_tPvRmT2_T3_mT4_T5_T6_T7_T8_P12ihipStream_tbENKUlT_T0_E_clISt17integral_constantIbLb1EES11_EEDaSW_SX_EUlSW_E_NS1_11comp_targetILNS1_3genE0ELNS1_11target_archE4294967295ELNS1_3gpuE0ELNS1_3repE0EEENS1_30default_config_static_selectorELNS0_4arch9wavefront6targetE0EEEvT1_.uses_flat_scratch, 0
	.set _ZN7rocprim17ROCPRIM_400000_NS6detail17trampoline_kernelINS0_14default_configENS1_33run_length_encode_config_selectorIN3c108BFloat16EjNS0_4plusIjEEEEZZNS1_33reduce_by_key_impl_wrapped_configILNS1_25lookback_scan_determinismE0ES3_S9_PKS6_NS0_17constant_iteratorIjlEEPS6_PlSH_S8_NS0_8equal_toIS6_EEEE10hipError_tPvRmT2_T3_mT4_T5_T6_T7_T8_P12ihipStream_tbENKUlT_T0_E_clISt17integral_constantIbLb1EES11_EEDaSW_SX_EUlSW_E_NS1_11comp_targetILNS1_3genE0ELNS1_11target_archE4294967295ELNS1_3gpuE0ELNS1_3repE0EEENS1_30default_config_static_selectorELNS0_4arch9wavefront6targetE0EEEvT1_.has_dyn_sized_stack, 0
	.set _ZN7rocprim17ROCPRIM_400000_NS6detail17trampoline_kernelINS0_14default_configENS1_33run_length_encode_config_selectorIN3c108BFloat16EjNS0_4plusIjEEEEZZNS1_33reduce_by_key_impl_wrapped_configILNS1_25lookback_scan_determinismE0ES3_S9_PKS6_NS0_17constant_iteratorIjlEEPS6_PlSH_S8_NS0_8equal_toIS6_EEEE10hipError_tPvRmT2_T3_mT4_T5_T6_T7_T8_P12ihipStream_tbENKUlT_T0_E_clISt17integral_constantIbLb1EES11_EEDaSW_SX_EUlSW_E_NS1_11comp_targetILNS1_3genE0ELNS1_11target_archE4294967295ELNS1_3gpuE0ELNS1_3repE0EEENS1_30default_config_static_selectorELNS0_4arch9wavefront6targetE0EEEvT1_.has_recursion, 0
	.set _ZN7rocprim17ROCPRIM_400000_NS6detail17trampoline_kernelINS0_14default_configENS1_33run_length_encode_config_selectorIN3c108BFloat16EjNS0_4plusIjEEEEZZNS1_33reduce_by_key_impl_wrapped_configILNS1_25lookback_scan_determinismE0ES3_S9_PKS6_NS0_17constant_iteratorIjlEEPS6_PlSH_S8_NS0_8equal_toIS6_EEEE10hipError_tPvRmT2_T3_mT4_T5_T6_T7_T8_P12ihipStream_tbENKUlT_T0_E_clISt17integral_constantIbLb1EES11_EEDaSW_SX_EUlSW_E_NS1_11comp_targetILNS1_3genE0ELNS1_11target_archE4294967295ELNS1_3gpuE0ELNS1_3repE0EEENS1_30default_config_static_selectorELNS0_4arch9wavefront6targetE0EEEvT1_.has_indirect_call, 0
	.section	.AMDGPU.csdata,"",@progbits
; Kernel info:
; codeLenInByte = 4
; TotalNumSgprs: 0
; NumVgprs: 0
; ScratchSize: 0
; MemoryBound: 0
; FloatMode: 240
; IeeeMode: 1
; LDSByteSize: 0 bytes/workgroup (compile time only)
; SGPRBlocks: 0
; VGPRBlocks: 0
; NumSGPRsForWavesPerEU: 1
; NumVGPRsForWavesPerEU: 1
; NamedBarCnt: 0
; Occupancy: 16
; WaveLimiterHint : 0
; COMPUTE_PGM_RSRC2:SCRATCH_EN: 0
; COMPUTE_PGM_RSRC2:USER_SGPR: 2
; COMPUTE_PGM_RSRC2:TRAP_HANDLER: 0
; COMPUTE_PGM_RSRC2:TGID_X_EN: 1
; COMPUTE_PGM_RSRC2:TGID_Y_EN: 0
; COMPUTE_PGM_RSRC2:TGID_Z_EN: 0
; COMPUTE_PGM_RSRC2:TIDIG_COMP_CNT: 0
	.section	.text._ZN7rocprim17ROCPRIM_400000_NS6detail17trampoline_kernelINS0_14default_configENS1_33run_length_encode_config_selectorIN3c108BFloat16EjNS0_4plusIjEEEEZZNS1_33reduce_by_key_impl_wrapped_configILNS1_25lookback_scan_determinismE0ES3_S9_PKS6_NS0_17constant_iteratorIjlEEPS6_PlSH_S8_NS0_8equal_toIS6_EEEE10hipError_tPvRmT2_T3_mT4_T5_T6_T7_T8_P12ihipStream_tbENKUlT_T0_E_clISt17integral_constantIbLb1EES11_EEDaSW_SX_EUlSW_E_NS1_11comp_targetILNS1_3genE5ELNS1_11target_archE942ELNS1_3gpuE9ELNS1_3repE0EEENS1_30default_config_static_selectorELNS0_4arch9wavefront6targetE0EEEvT1_,"axG",@progbits,_ZN7rocprim17ROCPRIM_400000_NS6detail17trampoline_kernelINS0_14default_configENS1_33run_length_encode_config_selectorIN3c108BFloat16EjNS0_4plusIjEEEEZZNS1_33reduce_by_key_impl_wrapped_configILNS1_25lookback_scan_determinismE0ES3_S9_PKS6_NS0_17constant_iteratorIjlEEPS6_PlSH_S8_NS0_8equal_toIS6_EEEE10hipError_tPvRmT2_T3_mT4_T5_T6_T7_T8_P12ihipStream_tbENKUlT_T0_E_clISt17integral_constantIbLb1EES11_EEDaSW_SX_EUlSW_E_NS1_11comp_targetILNS1_3genE5ELNS1_11target_archE942ELNS1_3gpuE9ELNS1_3repE0EEENS1_30default_config_static_selectorELNS0_4arch9wavefront6targetE0EEEvT1_,comdat
	.protected	_ZN7rocprim17ROCPRIM_400000_NS6detail17trampoline_kernelINS0_14default_configENS1_33run_length_encode_config_selectorIN3c108BFloat16EjNS0_4plusIjEEEEZZNS1_33reduce_by_key_impl_wrapped_configILNS1_25lookback_scan_determinismE0ES3_S9_PKS6_NS0_17constant_iteratorIjlEEPS6_PlSH_S8_NS0_8equal_toIS6_EEEE10hipError_tPvRmT2_T3_mT4_T5_T6_T7_T8_P12ihipStream_tbENKUlT_T0_E_clISt17integral_constantIbLb1EES11_EEDaSW_SX_EUlSW_E_NS1_11comp_targetILNS1_3genE5ELNS1_11target_archE942ELNS1_3gpuE9ELNS1_3repE0EEENS1_30default_config_static_selectorELNS0_4arch9wavefront6targetE0EEEvT1_ ; -- Begin function _ZN7rocprim17ROCPRIM_400000_NS6detail17trampoline_kernelINS0_14default_configENS1_33run_length_encode_config_selectorIN3c108BFloat16EjNS0_4plusIjEEEEZZNS1_33reduce_by_key_impl_wrapped_configILNS1_25lookback_scan_determinismE0ES3_S9_PKS6_NS0_17constant_iteratorIjlEEPS6_PlSH_S8_NS0_8equal_toIS6_EEEE10hipError_tPvRmT2_T3_mT4_T5_T6_T7_T8_P12ihipStream_tbENKUlT_T0_E_clISt17integral_constantIbLb1EES11_EEDaSW_SX_EUlSW_E_NS1_11comp_targetILNS1_3genE5ELNS1_11target_archE942ELNS1_3gpuE9ELNS1_3repE0EEENS1_30default_config_static_selectorELNS0_4arch9wavefront6targetE0EEEvT1_
	.globl	_ZN7rocprim17ROCPRIM_400000_NS6detail17trampoline_kernelINS0_14default_configENS1_33run_length_encode_config_selectorIN3c108BFloat16EjNS0_4plusIjEEEEZZNS1_33reduce_by_key_impl_wrapped_configILNS1_25lookback_scan_determinismE0ES3_S9_PKS6_NS0_17constant_iteratorIjlEEPS6_PlSH_S8_NS0_8equal_toIS6_EEEE10hipError_tPvRmT2_T3_mT4_T5_T6_T7_T8_P12ihipStream_tbENKUlT_T0_E_clISt17integral_constantIbLb1EES11_EEDaSW_SX_EUlSW_E_NS1_11comp_targetILNS1_3genE5ELNS1_11target_archE942ELNS1_3gpuE9ELNS1_3repE0EEENS1_30default_config_static_selectorELNS0_4arch9wavefront6targetE0EEEvT1_
	.p2align	8
	.type	_ZN7rocprim17ROCPRIM_400000_NS6detail17trampoline_kernelINS0_14default_configENS1_33run_length_encode_config_selectorIN3c108BFloat16EjNS0_4plusIjEEEEZZNS1_33reduce_by_key_impl_wrapped_configILNS1_25lookback_scan_determinismE0ES3_S9_PKS6_NS0_17constant_iteratorIjlEEPS6_PlSH_S8_NS0_8equal_toIS6_EEEE10hipError_tPvRmT2_T3_mT4_T5_T6_T7_T8_P12ihipStream_tbENKUlT_T0_E_clISt17integral_constantIbLb1EES11_EEDaSW_SX_EUlSW_E_NS1_11comp_targetILNS1_3genE5ELNS1_11target_archE942ELNS1_3gpuE9ELNS1_3repE0EEENS1_30default_config_static_selectorELNS0_4arch9wavefront6targetE0EEEvT1_,@function
_ZN7rocprim17ROCPRIM_400000_NS6detail17trampoline_kernelINS0_14default_configENS1_33run_length_encode_config_selectorIN3c108BFloat16EjNS0_4plusIjEEEEZZNS1_33reduce_by_key_impl_wrapped_configILNS1_25lookback_scan_determinismE0ES3_S9_PKS6_NS0_17constant_iteratorIjlEEPS6_PlSH_S8_NS0_8equal_toIS6_EEEE10hipError_tPvRmT2_T3_mT4_T5_T6_T7_T8_P12ihipStream_tbENKUlT_T0_E_clISt17integral_constantIbLb1EES11_EEDaSW_SX_EUlSW_E_NS1_11comp_targetILNS1_3genE5ELNS1_11target_archE942ELNS1_3gpuE9ELNS1_3repE0EEENS1_30default_config_static_selectorELNS0_4arch9wavefront6targetE0EEEvT1_: ; @_ZN7rocprim17ROCPRIM_400000_NS6detail17trampoline_kernelINS0_14default_configENS1_33run_length_encode_config_selectorIN3c108BFloat16EjNS0_4plusIjEEEEZZNS1_33reduce_by_key_impl_wrapped_configILNS1_25lookback_scan_determinismE0ES3_S9_PKS6_NS0_17constant_iteratorIjlEEPS6_PlSH_S8_NS0_8equal_toIS6_EEEE10hipError_tPvRmT2_T3_mT4_T5_T6_T7_T8_P12ihipStream_tbENKUlT_T0_E_clISt17integral_constantIbLb1EES11_EEDaSW_SX_EUlSW_E_NS1_11comp_targetILNS1_3genE5ELNS1_11target_archE942ELNS1_3gpuE9ELNS1_3repE0EEENS1_30default_config_static_selectorELNS0_4arch9wavefront6targetE0EEEvT1_
; %bb.0:
	.section	.rodata,"a",@progbits
	.p2align	6, 0x0
	.amdhsa_kernel _ZN7rocprim17ROCPRIM_400000_NS6detail17trampoline_kernelINS0_14default_configENS1_33run_length_encode_config_selectorIN3c108BFloat16EjNS0_4plusIjEEEEZZNS1_33reduce_by_key_impl_wrapped_configILNS1_25lookback_scan_determinismE0ES3_S9_PKS6_NS0_17constant_iteratorIjlEEPS6_PlSH_S8_NS0_8equal_toIS6_EEEE10hipError_tPvRmT2_T3_mT4_T5_T6_T7_T8_P12ihipStream_tbENKUlT_T0_E_clISt17integral_constantIbLb1EES11_EEDaSW_SX_EUlSW_E_NS1_11comp_targetILNS1_3genE5ELNS1_11target_archE942ELNS1_3gpuE9ELNS1_3repE0EEENS1_30default_config_static_selectorELNS0_4arch9wavefront6targetE0EEEvT1_
		.amdhsa_group_segment_fixed_size 0
		.amdhsa_private_segment_fixed_size 0
		.amdhsa_kernarg_size 128
		.amdhsa_user_sgpr_count 2
		.amdhsa_user_sgpr_dispatch_ptr 0
		.amdhsa_user_sgpr_queue_ptr 0
		.amdhsa_user_sgpr_kernarg_segment_ptr 1
		.amdhsa_user_sgpr_dispatch_id 0
		.amdhsa_user_sgpr_kernarg_preload_length 0
		.amdhsa_user_sgpr_kernarg_preload_offset 0
		.amdhsa_user_sgpr_private_segment_size 0
		.amdhsa_wavefront_size32 1
		.amdhsa_uses_dynamic_stack 0
		.amdhsa_enable_private_segment 0
		.amdhsa_system_sgpr_workgroup_id_x 1
		.amdhsa_system_sgpr_workgroup_id_y 0
		.amdhsa_system_sgpr_workgroup_id_z 0
		.amdhsa_system_sgpr_workgroup_info 0
		.amdhsa_system_vgpr_workitem_id 0
		.amdhsa_next_free_vgpr 1
		.amdhsa_next_free_sgpr 1
		.amdhsa_named_barrier_count 0
		.amdhsa_reserve_vcc 0
		.amdhsa_float_round_mode_32 0
		.amdhsa_float_round_mode_16_64 0
		.amdhsa_float_denorm_mode_32 3
		.amdhsa_float_denorm_mode_16_64 3
		.amdhsa_fp16_overflow 0
		.amdhsa_memory_ordered 1
		.amdhsa_forward_progress 1
		.amdhsa_inst_pref_size 0
		.amdhsa_round_robin_scheduling 0
		.amdhsa_exception_fp_ieee_invalid_op 0
		.amdhsa_exception_fp_denorm_src 0
		.amdhsa_exception_fp_ieee_div_zero 0
		.amdhsa_exception_fp_ieee_overflow 0
		.amdhsa_exception_fp_ieee_underflow 0
		.amdhsa_exception_fp_ieee_inexact 0
		.amdhsa_exception_int_div_zero 0
	.end_amdhsa_kernel
	.section	.text._ZN7rocprim17ROCPRIM_400000_NS6detail17trampoline_kernelINS0_14default_configENS1_33run_length_encode_config_selectorIN3c108BFloat16EjNS0_4plusIjEEEEZZNS1_33reduce_by_key_impl_wrapped_configILNS1_25lookback_scan_determinismE0ES3_S9_PKS6_NS0_17constant_iteratorIjlEEPS6_PlSH_S8_NS0_8equal_toIS6_EEEE10hipError_tPvRmT2_T3_mT4_T5_T6_T7_T8_P12ihipStream_tbENKUlT_T0_E_clISt17integral_constantIbLb1EES11_EEDaSW_SX_EUlSW_E_NS1_11comp_targetILNS1_3genE5ELNS1_11target_archE942ELNS1_3gpuE9ELNS1_3repE0EEENS1_30default_config_static_selectorELNS0_4arch9wavefront6targetE0EEEvT1_,"axG",@progbits,_ZN7rocprim17ROCPRIM_400000_NS6detail17trampoline_kernelINS0_14default_configENS1_33run_length_encode_config_selectorIN3c108BFloat16EjNS0_4plusIjEEEEZZNS1_33reduce_by_key_impl_wrapped_configILNS1_25lookback_scan_determinismE0ES3_S9_PKS6_NS0_17constant_iteratorIjlEEPS6_PlSH_S8_NS0_8equal_toIS6_EEEE10hipError_tPvRmT2_T3_mT4_T5_T6_T7_T8_P12ihipStream_tbENKUlT_T0_E_clISt17integral_constantIbLb1EES11_EEDaSW_SX_EUlSW_E_NS1_11comp_targetILNS1_3genE5ELNS1_11target_archE942ELNS1_3gpuE9ELNS1_3repE0EEENS1_30default_config_static_selectorELNS0_4arch9wavefront6targetE0EEEvT1_,comdat
.Lfunc_end866:
	.size	_ZN7rocprim17ROCPRIM_400000_NS6detail17trampoline_kernelINS0_14default_configENS1_33run_length_encode_config_selectorIN3c108BFloat16EjNS0_4plusIjEEEEZZNS1_33reduce_by_key_impl_wrapped_configILNS1_25lookback_scan_determinismE0ES3_S9_PKS6_NS0_17constant_iteratorIjlEEPS6_PlSH_S8_NS0_8equal_toIS6_EEEE10hipError_tPvRmT2_T3_mT4_T5_T6_T7_T8_P12ihipStream_tbENKUlT_T0_E_clISt17integral_constantIbLb1EES11_EEDaSW_SX_EUlSW_E_NS1_11comp_targetILNS1_3genE5ELNS1_11target_archE942ELNS1_3gpuE9ELNS1_3repE0EEENS1_30default_config_static_selectorELNS0_4arch9wavefront6targetE0EEEvT1_, .Lfunc_end866-_ZN7rocprim17ROCPRIM_400000_NS6detail17trampoline_kernelINS0_14default_configENS1_33run_length_encode_config_selectorIN3c108BFloat16EjNS0_4plusIjEEEEZZNS1_33reduce_by_key_impl_wrapped_configILNS1_25lookback_scan_determinismE0ES3_S9_PKS6_NS0_17constant_iteratorIjlEEPS6_PlSH_S8_NS0_8equal_toIS6_EEEE10hipError_tPvRmT2_T3_mT4_T5_T6_T7_T8_P12ihipStream_tbENKUlT_T0_E_clISt17integral_constantIbLb1EES11_EEDaSW_SX_EUlSW_E_NS1_11comp_targetILNS1_3genE5ELNS1_11target_archE942ELNS1_3gpuE9ELNS1_3repE0EEENS1_30default_config_static_selectorELNS0_4arch9wavefront6targetE0EEEvT1_
                                        ; -- End function
	.set _ZN7rocprim17ROCPRIM_400000_NS6detail17trampoline_kernelINS0_14default_configENS1_33run_length_encode_config_selectorIN3c108BFloat16EjNS0_4plusIjEEEEZZNS1_33reduce_by_key_impl_wrapped_configILNS1_25lookback_scan_determinismE0ES3_S9_PKS6_NS0_17constant_iteratorIjlEEPS6_PlSH_S8_NS0_8equal_toIS6_EEEE10hipError_tPvRmT2_T3_mT4_T5_T6_T7_T8_P12ihipStream_tbENKUlT_T0_E_clISt17integral_constantIbLb1EES11_EEDaSW_SX_EUlSW_E_NS1_11comp_targetILNS1_3genE5ELNS1_11target_archE942ELNS1_3gpuE9ELNS1_3repE0EEENS1_30default_config_static_selectorELNS0_4arch9wavefront6targetE0EEEvT1_.num_vgpr, 0
	.set _ZN7rocprim17ROCPRIM_400000_NS6detail17trampoline_kernelINS0_14default_configENS1_33run_length_encode_config_selectorIN3c108BFloat16EjNS0_4plusIjEEEEZZNS1_33reduce_by_key_impl_wrapped_configILNS1_25lookback_scan_determinismE0ES3_S9_PKS6_NS0_17constant_iteratorIjlEEPS6_PlSH_S8_NS0_8equal_toIS6_EEEE10hipError_tPvRmT2_T3_mT4_T5_T6_T7_T8_P12ihipStream_tbENKUlT_T0_E_clISt17integral_constantIbLb1EES11_EEDaSW_SX_EUlSW_E_NS1_11comp_targetILNS1_3genE5ELNS1_11target_archE942ELNS1_3gpuE9ELNS1_3repE0EEENS1_30default_config_static_selectorELNS0_4arch9wavefront6targetE0EEEvT1_.num_agpr, 0
	.set _ZN7rocprim17ROCPRIM_400000_NS6detail17trampoline_kernelINS0_14default_configENS1_33run_length_encode_config_selectorIN3c108BFloat16EjNS0_4plusIjEEEEZZNS1_33reduce_by_key_impl_wrapped_configILNS1_25lookback_scan_determinismE0ES3_S9_PKS6_NS0_17constant_iteratorIjlEEPS6_PlSH_S8_NS0_8equal_toIS6_EEEE10hipError_tPvRmT2_T3_mT4_T5_T6_T7_T8_P12ihipStream_tbENKUlT_T0_E_clISt17integral_constantIbLb1EES11_EEDaSW_SX_EUlSW_E_NS1_11comp_targetILNS1_3genE5ELNS1_11target_archE942ELNS1_3gpuE9ELNS1_3repE0EEENS1_30default_config_static_selectorELNS0_4arch9wavefront6targetE0EEEvT1_.numbered_sgpr, 0
	.set _ZN7rocprim17ROCPRIM_400000_NS6detail17trampoline_kernelINS0_14default_configENS1_33run_length_encode_config_selectorIN3c108BFloat16EjNS0_4plusIjEEEEZZNS1_33reduce_by_key_impl_wrapped_configILNS1_25lookback_scan_determinismE0ES3_S9_PKS6_NS0_17constant_iteratorIjlEEPS6_PlSH_S8_NS0_8equal_toIS6_EEEE10hipError_tPvRmT2_T3_mT4_T5_T6_T7_T8_P12ihipStream_tbENKUlT_T0_E_clISt17integral_constantIbLb1EES11_EEDaSW_SX_EUlSW_E_NS1_11comp_targetILNS1_3genE5ELNS1_11target_archE942ELNS1_3gpuE9ELNS1_3repE0EEENS1_30default_config_static_selectorELNS0_4arch9wavefront6targetE0EEEvT1_.num_named_barrier, 0
	.set _ZN7rocprim17ROCPRIM_400000_NS6detail17trampoline_kernelINS0_14default_configENS1_33run_length_encode_config_selectorIN3c108BFloat16EjNS0_4plusIjEEEEZZNS1_33reduce_by_key_impl_wrapped_configILNS1_25lookback_scan_determinismE0ES3_S9_PKS6_NS0_17constant_iteratorIjlEEPS6_PlSH_S8_NS0_8equal_toIS6_EEEE10hipError_tPvRmT2_T3_mT4_T5_T6_T7_T8_P12ihipStream_tbENKUlT_T0_E_clISt17integral_constantIbLb1EES11_EEDaSW_SX_EUlSW_E_NS1_11comp_targetILNS1_3genE5ELNS1_11target_archE942ELNS1_3gpuE9ELNS1_3repE0EEENS1_30default_config_static_selectorELNS0_4arch9wavefront6targetE0EEEvT1_.private_seg_size, 0
	.set _ZN7rocprim17ROCPRIM_400000_NS6detail17trampoline_kernelINS0_14default_configENS1_33run_length_encode_config_selectorIN3c108BFloat16EjNS0_4plusIjEEEEZZNS1_33reduce_by_key_impl_wrapped_configILNS1_25lookback_scan_determinismE0ES3_S9_PKS6_NS0_17constant_iteratorIjlEEPS6_PlSH_S8_NS0_8equal_toIS6_EEEE10hipError_tPvRmT2_T3_mT4_T5_T6_T7_T8_P12ihipStream_tbENKUlT_T0_E_clISt17integral_constantIbLb1EES11_EEDaSW_SX_EUlSW_E_NS1_11comp_targetILNS1_3genE5ELNS1_11target_archE942ELNS1_3gpuE9ELNS1_3repE0EEENS1_30default_config_static_selectorELNS0_4arch9wavefront6targetE0EEEvT1_.uses_vcc, 0
	.set _ZN7rocprim17ROCPRIM_400000_NS6detail17trampoline_kernelINS0_14default_configENS1_33run_length_encode_config_selectorIN3c108BFloat16EjNS0_4plusIjEEEEZZNS1_33reduce_by_key_impl_wrapped_configILNS1_25lookback_scan_determinismE0ES3_S9_PKS6_NS0_17constant_iteratorIjlEEPS6_PlSH_S8_NS0_8equal_toIS6_EEEE10hipError_tPvRmT2_T3_mT4_T5_T6_T7_T8_P12ihipStream_tbENKUlT_T0_E_clISt17integral_constantIbLb1EES11_EEDaSW_SX_EUlSW_E_NS1_11comp_targetILNS1_3genE5ELNS1_11target_archE942ELNS1_3gpuE9ELNS1_3repE0EEENS1_30default_config_static_selectorELNS0_4arch9wavefront6targetE0EEEvT1_.uses_flat_scratch, 0
	.set _ZN7rocprim17ROCPRIM_400000_NS6detail17trampoline_kernelINS0_14default_configENS1_33run_length_encode_config_selectorIN3c108BFloat16EjNS0_4plusIjEEEEZZNS1_33reduce_by_key_impl_wrapped_configILNS1_25lookback_scan_determinismE0ES3_S9_PKS6_NS0_17constant_iteratorIjlEEPS6_PlSH_S8_NS0_8equal_toIS6_EEEE10hipError_tPvRmT2_T3_mT4_T5_T6_T7_T8_P12ihipStream_tbENKUlT_T0_E_clISt17integral_constantIbLb1EES11_EEDaSW_SX_EUlSW_E_NS1_11comp_targetILNS1_3genE5ELNS1_11target_archE942ELNS1_3gpuE9ELNS1_3repE0EEENS1_30default_config_static_selectorELNS0_4arch9wavefront6targetE0EEEvT1_.has_dyn_sized_stack, 0
	.set _ZN7rocprim17ROCPRIM_400000_NS6detail17trampoline_kernelINS0_14default_configENS1_33run_length_encode_config_selectorIN3c108BFloat16EjNS0_4plusIjEEEEZZNS1_33reduce_by_key_impl_wrapped_configILNS1_25lookback_scan_determinismE0ES3_S9_PKS6_NS0_17constant_iteratorIjlEEPS6_PlSH_S8_NS0_8equal_toIS6_EEEE10hipError_tPvRmT2_T3_mT4_T5_T6_T7_T8_P12ihipStream_tbENKUlT_T0_E_clISt17integral_constantIbLb1EES11_EEDaSW_SX_EUlSW_E_NS1_11comp_targetILNS1_3genE5ELNS1_11target_archE942ELNS1_3gpuE9ELNS1_3repE0EEENS1_30default_config_static_selectorELNS0_4arch9wavefront6targetE0EEEvT1_.has_recursion, 0
	.set _ZN7rocprim17ROCPRIM_400000_NS6detail17trampoline_kernelINS0_14default_configENS1_33run_length_encode_config_selectorIN3c108BFloat16EjNS0_4plusIjEEEEZZNS1_33reduce_by_key_impl_wrapped_configILNS1_25lookback_scan_determinismE0ES3_S9_PKS6_NS0_17constant_iteratorIjlEEPS6_PlSH_S8_NS0_8equal_toIS6_EEEE10hipError_tPvRmT2_T3_mT4_T5_T6_T7_T8_P12ihipStream_tbENKUlT_T0_E_clISt17integral_constantIbLb1EES11_EEDaSW_SX_EUlSW_E_NS1_11comp_targetILNS1_3genE5ELNS1_11target_archE942ELNS1_3gpuE9ELNS1_3repE0EEENS1_30default_config_static_selectorELNS0_4arch9wavefront6targetE0EEEvT1_.has_indirect_call, 0
	.section	.AMDGPU.csdata,"",@progbits
; Kernel info:
; codeLenInByte = 0
; TotalNumSgprs: 0
; NumVgprs: 0
; ScratchSize: 0
; MemoryBound: 0
; FloatMode: 240
; IeeeMode: 1
; LDSByteSize: 0 bytes/workgroup (compile time only)
; SGPRBlocks: 0
; VGPRBlocks: 0
; NumSGPRsForWavesPerEU: 1
; NumVGPRsForWavesPerEU: 1
; NamedBarCnt: 0
; Occupancy: 16
; WaveLimiterHint : 0
; COMPUTE_PGM_RSRC2:SCRATCH_EN: 0
; COMPUTE_PGM_RSRC2:USER_SGPR: 2
; COMPUTE_PGM_RSRC2:TRAP_HANDLER: 0
; COMPUTE_PGM_RSRC2:TGID_X_EN: 1
; COMPUTE_PGM_RSRC2:TGID_Y_EN: 0
; COMPUTE_PGM_RSRC2:TGID_Z_EN: 0
; COMPUTE_PGM_RSRC2:TIDIG_COMP_CNT: 0
	.section	.text._ZN7rocprim17ROCPRIM_400000_NS6detail17trampoline_kernelINS0_14default_configENS1_33run_length_encode_config_selectorIN3c108BFloat16EjNS0_4plusIjEEEEZZNS1_33reduce_by_key_impl_wrapped_configILNS1_25lookback_scan_determinismE0ES3_S9_PKS6_NS0_17constant_iteratorIjlEEPS6_PlSH_S8_NS0_8equal_toIS6_EEEE10hipError_tPvRmT2_T3_mT4_T5_T6_T7_T8_P12ihipStream_tbENKUlT_T0_E_clISt17integral_constantIbLb1EES11_EEDaSW_SX_EUlSW_E_NS1_11comp_targetILNS1_3genE4ELNS1_11target_archE910ELNS1_3gpuE8ELNS1_3repE0EEENS1_30default_config_static_selectorELNS0_4arch9wavefront6targetE0EEEvT1_,"axG",@progbits,_ZN7rocprim17ROCPRIM_400000_NS6detail17trampoline_kernelINS0_14default_configENS1_33run_length_encode_config_selectorIN3c108BFloat16EjNS0_4plusIjEEEEZZNS1_33reduce_by_key_impl_wrapped_configILNS1_25lookback_scan_determinismE0ES3_S9_PKS6_NS0_17constant_iteratorIjlEEPS6_PlSH_S8_NS0_8equal_toIS6_EEEE10hipError_tPvRmT2_T3_mT4_T5_T6_T7_T8_P12ihipStream_tbENKUlT_T0_E_clISt17integral_constantIbLb1EES11_EEDaSW_SX_EUlSW_E_NS1_11comp_targetILNS1_3genE4ELNS1_11target_archE910ELNS1_3gpuE8ELNS1_3repE0EEENS1_30default_config_static_selectorELNS0_4arch9wavefront6targetE0EEEvT1_,comdat
	.protected	_ZN7rocprim17ROCPRIM_400000_NS6detail17trampoline_kernelINS0_14default_configENS1_33run_length_encode_config_selectorIN3c108BFloat16EjNS0_4plusIjEEEEZZNS1_33reduce_by_key_impl_wrapped_configILNS1_25lookback_scan_determinismE0ES3_S9_PKS6_NS0_17constant_iteratorIjlEEPS6_PlSH_S8_NS0_8equal_toIS6_EEEE10hipError_tPvRmT2_T3_mT4_T5_T6_T7_T8_P12ihipStream_tbENKUlT_T0_E_clISt17integral_constantIbLb1EES11_EEDaSW_SX_EUlSW_E_NS1_11comp_targetILNS1_3genE4ELNS1_11target_archE910ELNS1_3gpuE8ELNS1_3repE0EEENS1_30default_config_static_selectorELNS0_4arch9wavefront6targetE0EEEvT1_ ; -- Begin function _ZN7rocprim17ROCPRIM_400000_NS6detail17trampoline_kernelINS0_14default_configENS1_33run_length_encode_config_selectorIN3c108BFloat16EjNS0_4plusIjEEEEZZNS1_33reduce_by_key_impl_wrapped_configILNS1_25lookback_scan_determinismE0ES3_S9_PKS6_NS0_17constant_iteratorIjlEEPS6_PlSH_S8_NS0_8equal_toIS6_EEEE10hipError_tPvRmT2_T3_mT4_T5_T6_T7_T8_P12ihipStream_tbENKUlT_T0_E_clISt17integral_constantIbLb1EES11_EEDaSW_SX_EUlSW_E_NS1_11comp_targetILNS1_3genE4ELNS1_11target_archE910ELNS1_3gpuE8ELNS1_3repE0EEENS1_30default_config_static_selectorELNS0_4arch9wavefront6targetE0EEEvT1_
	.globl	_ZN7rocprim17ROCPRIM_400000_NS6detail17trampoline_kernelINS0_14default_configENS1_33run_length_encode_config_selectorIN3c108BFloat16EjNS0_4plusIjEEEEZZNS1_33reduce_by_key_impl_wrapped_configILNS1_25lookback_scan_determinismE0ES3_S9_PKS6_NS0_17constant_iteratorIjlEEPS6_PlSH_S8_NS0_8equal_toIS6_EEEE10hipError_tPvRmT2_T3_mT4_T5_T6_T7_T8_P12ihipStream_tbENKUlT_T0_E_clISt17integral_constantIbLb1EES11_EEDaSW_SX_EUlSW_E_NS1_11comp_targetILNS1_3genE4ELNS1_11target_archE910ELNS1_3gpuE8ELNS1_3repE0EEENS1_30default_config_static_selectorELNS0_4arch9wavefront6targetE0EEEvT1_
	.p2align	8
	.type	_ZN7rocprim17ROCPRIM_400000_NS6detail17trampoline_kernelINS0_14default_configENS1_33run_length_encode_config_selectorIN3c108BFloat16EjNS0_4plusIjEEEEZZNS1_33reduce_by_key_impl_wrapped_configILNS1_25lookback_scan_determinismE0ES3_S9_PKS6_NS0_17constant_iteratorIjlEEPS6_PlSH_S8_NS0_8equal_toIS6_EEEE10hipError_tPvRmT2_T3_mT4_T5_T6_T7_T8_P12ihipStream_tbENKUlT_T0_E_clISt17integral_constantIbLb1EES11_EEDaSW_SX_EUlSW_E_NS1_11comp_targetILNS1_3genE4ELNS1_11target_archE910ELNS1_3gpuE8ELNS1_3repE0EEENS1_30default_config_static_selectorELNS0_4arch9wavefront6targetE0EEEvT1_,@function
_ZN7rocprim17ROCPRIM_400000_NS6detail17trampoline_kernelINS0_14default_configENS1_33run_length_encode_config_selectorIN3c108BFloat16EjNS0_4plusIjEEEEZZNS1_33reduce_by_key_impl_wrapped_configILNS1_25lookback_scan_determinismE0ES3_S9_PKS6_NS0_17constant_iteratorIjlEEPS6_PlSH_S8_NS0_8equal_toIS6_EEEE10hipError_tPvRmT2_T3_mT4_T5_T6_T7_T8_P12ihipStream_tbENKUlT_T0_E_clISt17integral_constantIbLb1EES11_EEDaSW_SX_EUlSW_E_NS1_11comp_targetILNS1_3genE4ELNS1_11target_archE910ELNS1_3gpuE8ELNS1_3repE0EEENS1_30default_config_static_selectorELNS0_4arch9wavefront6targetE0EEEvT1_: ; @_ZN7rocprim17ROCPRIM_400000_NS6detail17trampoline_kernelINS0_14default_configENS1_33run_length_encode_config_selectorIN3c108BFloat16EjNS0_4plusIjEEEEZZNS1_33reduce_by_key_impl_wrapped_configILNS1_25lookback_scan_determinismE0ES3_S9_PKS6_NS0_17constant_iteratorIjlEEPS6_PlSH_S8_NS0_8equal_toIS6_EEEE10hipError_tPvRmT2_T3_mT4_T5_T6_T7_T8_P12ihipStream_tbENKUlT_T0_E_clISt17integral_constantIbLb1EES11_EEDaSW_SX_EUlSW_E_NS1_11comp_targetILNS1_3genE4ELNS1_11target_archE910ELNS1_3gpuE8ELNS1_3repE0EEENS1_30default_config_static_selectorELNS0_4arch9wavefront6targetE0EEEvT1_
; %bb.0:
	.section	.rodata,"a",@progbits
	.p2align	6, 0x0
	.amdhsa_kernel _ZN7rocprim17ROCPRIM_400000_NS6detail17trampoline_kernelINS0_14default_configENS1_33run_length_encode_config_selectorIN3c108BFloat16EjNS0_4plusIjEEEEZZNS1_33reduce_by_key_impl_wrapped_configILNS1_25lookback_scan_determinismE0ES3_S9_PKS6_NS0_17constant_iteratorIjlEEPS6_PlSH_S8_NS0_8equal_toIS6_EEEE10hipError_tPvRmT2_T3_mT4_T5_T6_T7_T8_P12ihipStream_tbENKUlT_T0_E_clISt17integral_constantIbLb1EES11_EEDaSW_SX_EUlSW_E_NS1_11comp_targetILNS1_3genE4ELNS1_11target_archE910ELNS1_3gpuE8ELNS1_3repE0EEENS1_30default_config_static_selectorELNS0_4arch9wavefront6targetE0EEEvT1_
		.amdhsa_group_segment_fixed_size 0
		.amdhsa_private_segment_fixed_size 0
		.amdhsa_kernarg_size 128
		.amdhsa_user_sgpr_count 2
		.amdhsa_user_sgpr_dispatch_ptr 0
		.amdhsa_user_sgpr_queue_ptr 0
		.amdhsa_user_sgpr_kernarg_segment_ptr 1
		.amdhsa_user_sgpr_dispatch_id 0
		.amdhsa_user_sgpr_kernarg_preload_length 0
		.amdhsa_user_sgpr_kernarg_preload_offset 0
		.amdhsa_user_sgpr_private_segment_size 0
		.amdhsa_wavefront_size32 1
		.amdhsa_uses_dynamic_stack 0
		.amdhsa_enable_private_segment 0
		.amdhsa_system_sgpr_workgroup_id_x 1
		.amdhsa_system_sgpr_workgroup_id_y 0
		.amdhsa_system_sgpr_workgroup_id_z 0
		.amdhsa_system_sgpr_workgroup_info 0
		.amdhsa_system_vgpr_workitem_id 0
		.amdhsa_next_free_vgpr 1
		.amdhsa_next_free_sgpr 1
		.amdhsa_named_barrier_count 0
		.amdhsa_reserve_vcc 0
		.amdhsa_float_round_mode_32 0
		.amdhsa_float_round_mode_16_64 0
		.amdhsa_float_denorm_mode_32 3
		.amdhsa_float_denorm_mode_16_64 3
		.amdhsa_fp16_overflow 0
		.amdhsa_memory_ordered 1
		.amdhsa_forward_progress 1
		.amdhsa_inst_pref_size 0
		.amdhsa_round_robin_scheduling 0
		.amdhsa_exception_fp_ieee_invalid_op 0
		.amdhsa_exception_fp_denorm_src 0
		.amdhsa_exception_fp_ieee_div_zero 0
		.amdhsa_exception_fp_ieee_overflow 0
		.amdhsa_exception_fp_ieee_underflow 0
		.amdhsa_exception_fp_ieee_inexact 0
		.amdhsa_exception_int_div_zero 0
	.end_amdhsa_kernel
	.section	.text._ZN7rocprim17ROCPRIM_400000_NS6detail17trampoline_kernelINS0_14default_configENS1_33run_length_encode_config_selectorIN3c108BFloat16EjNS0_4plusIjEEEEZZNS1_33reduce_by_key_impl_wrapped_configILNS1_25lookback_scan_determinismE0ES3_S9_PKS6_NS0_17constant_iteratorIjlEEPS6_PlSH_S8_NS0_8equal_toIS6_EEEE10hipError_tPvRmT2_T3_mT4_T5_T6_T7_T8_P12ihipStream_tbENKUlT_T0_E_clISt17integral_constantIbLb1EES11_EEDaSW_SX_EUlSW_E_NS1_11comp_targetILNS1_3genE4ELNS1_11target_archE910ELNS1_3gpuE8ELNS1_3repE0EEENS1_30default_config_static_selectorELNS0_4arch9wavefront6targetE0EEEvT1_,"axG",@progbits,_ZN7rocprim17ROCPRIM_400000_NS6detail17trampoline_kernelINS0_14default_configENS1_33run_length_encode_config_selectorIN3c108BFloat16EjNS0_4plusIjEEEEZZNS1_33reduce_by_key_impl_wrapped_configILNS1_25lookback_scan_determinismE0ES3_S9_PKS6_NS0_17constant_iteratorIjlEEPS6_PlSH_S8_NS0_8equal_toIS6_EEEE10hipError_tPvRmT2_T3_mT4_T5_T6_T7_T8_P12ihipStream_tbENKUlT_T0_E_clISt17integral_constantIbLb1EES11_EEDaSW_SX_EUlSW_E_NS1_11comp_targetILNS1_3genE4ELNS1_11target_archE910ELNS1_3gpuE8ELNS1_3repE0EEENS1_30default_config_static_selectorELNS0_4arch9wavefront6targetE0EEEvT1_,comdat
.Lfunc_end867:
	.size	_ZN7rocprim17ROCPRIM_400000_NS6detail17trampoline_kernelINS0_14default_configENS1_33run_length_encode_config_selectorIN3c108BFloat16EjNS0_4plusIjEEEEZZNS1_33reduce_by_key_impl_wrapped_configILNS1_25lookback_scan_determinismE0ES3_S9_PKS6_NS0_17constant_iteratorIjlEEPS6_PlSH_S8_NS0_8equal_toIS6_EEEE10hipError_tPvRmT2_T3_mT4_T5_T6_T7_T8_P12ihipStream_tbENKUlT_T0_E_clISt17integral_constantIbLb1EES11_EEDaSW_SX_EUlSW_E_NS1_11comp_targetILNS1_3genE4ELNS1_11target_archE910ELNS1_3gpuE8ELNS1_3repE0EEENS1_30default_config_static_selectorELNS0_4arch9wavefront6targetE0EEEvT1_, .Lfunc_end867-_ZN7rocprim17ROCPRIM_400000_NS6detail17trampoline_kernelINS0_14default_configENS1_33run_length_encode_config_selectorIN3c108BFloat16EjNS0_4plusIjEEEEZZNS1_33reduce_by_key_impl_wrapped_configILNS1_25lookback_scan_determinismE0ES3_S9_PKS6_NS0_17constant_iteratorIjlEEPS6_PlSH_S8_NS0_8equal_toIS6_EEEE10hipError_tPvRmT2_T3_mT4_T5_T6_T7_T8_P12ihipStream_tbENKUlT_T0_E_clISt17integral_constantIbLb1EES11_EEDaSW_SX_EUlSW_E_NS1_11comp_targetILNS1_3genE4ELNS1_11target_archE910ELNS1_3gpuE8ELNS1_3repE0EEENS1_30default_config_static_selectorELNS0_4arch9wavefront6targetE0EEEvT1_
                                        ; -- End function
	.set _ZN7rocprim17ROCPRIM_400000_NS6detail17trampoline_kernelINS0_14default_configENS1_33run_length_encode_config_selectorIN3c108BFloat16EjNS0_4plusIjEEEEZZNS1_33reduce_by_key_impl_wrapped_configILNS1_25lookback_scan_determinismE0ES3_S9_PKS6_NS0_17constant_iteratorIjlEEPS6_PlSH_S8_NS0_8equal_toIS6_EEEE10hipError_tPvRmT2_T3_mT4_T5_T6_T7_T8_P12ihipStream_tbENKUlT_T0_E_clISt17integral_constantIbLb1EES11_EEDaSW_SX_EUlSW_E_NS1_11comp_targetILNS1_3genE4ELNS1_11target_archE910ELNS1_3gpuE8ELNS1_3repE0EEENS1_30default_config_static_selectorELNS0_4arch9wavefront6targetE0EEEvT1_.num_vgpr, 0
	.set _ZN7rocprim17ROCPRIM_400000_NS6detail17trampoline_kernelINS0_14default_configENS1_33run_length_encode_config_selectorIN3c108BFloat16EjNS0_4plusIjEEEEZZNS1_33reduce_by_key_impl_wrapped_configILNS1_25lookback_scan_determinismE0ES3_S9_PKS6_NS0_17constant_iteratorIjlEEPS6_PlSH_S8_NS0_8equal_toIS6_EEEE10hipError_tPvRmT2_T3_mT4_T5_T6_T7_T8_P12ihipStream_tbENKUlT_T0_E_clISt17integral_constantIbLb1EES11_EEDaSW_SX_EUlSW_E_NS1_11comp_targetILNS1_3genE4ELNS1_11target_archE910ELNS1_3gpuE8ELNS1_3repE0EEENS1_30default_config_static_selectorELNS0_4arch9wavefront6targetE0EEEvT1_.num_agpr, 0
	.set _ZN7rocprim17ROCPRIM_400000_NS6detail17trampoline_kernelINS0_14default_configENS1_33run_length_encode_config_selectorIN3c108BFloat16EjNS0_4plusIjEEEEZZNS1_33reduce_by_key_impl_wrapped_configILNS1_25lookback_scan_determinismE0ES3_S9_PKS6_NS0_17constant_iteratorIjlEEPS6_PlSH_S8_NS0_8equal_toIS6_EEEE10hipError_tPvRmT2_T3_mT4_T5_T6_T7_T8_P12ihipStream_tbENKUlT_T0_E_clISt17integral_constantIbLb1EES11_EEDaSW_SX_EUlSW_E_NS1_11comp_targetILNS1_3genE4ELNS1_11target_archE910ELNS1_3gpuE8ELNS1_3repE0EEENS1_30default_config_static_selectorELNS0_4arch9wavefront6targetE0EEEvT1_.numbered_sgpr, 0
	.set _ZN7rocprim17ROCPRIM_400000_NS6detail17trampoline_kernelINS0_14default_configENS1_33run_length_encode_config_selectorIN3c108BFloat16EjNS0_4plusIjEEEEZZNS1_33reduce_by_key_impl_wrapped_configILNS1_25lookback_scan_determinismE0ES3_S9_PKS6_NS0_17constant_iteratorIjlEEPS6_PlSH_S8_NS0_8equal_toIS6_EEEE10hipError_tPvRmT2_T3_mT4_T5_T6_T7_T8_P12ihipStream_tbENKUlT_T0_E_clISt17integral_constantIbLb1EES11_EEDaSW_SX_EUlSW_E_NS1_11comp_targetILNS1_3genE4ELNS1_11target_archE910ELNS1_3gpuE8ELNS1_3repE0EEENS1_30default_config_static_selectorELNS0_4arch9wavefront6targetE0EEEvT1_.num_named_barrier, 0
	.set _ZN7rocprim17ROCPRIM_400000_NS6detail17trampoline_kernelINS0_14default_configENS1_33run_length_encode_config_selectorIN3c108BFloat16EjNS0_4plusIjEEEEZZNS1_33reduce_by_key_impl_wrapped_configILNS1_25lookback_scan_determinismE0ES3_S9_PKS6_NS0_17constant_iteratorIjlEEPS6_PlSH_S8_NS0_8equal_toIS6_EEEE10hipError_tPvRmT2_T3_mT4_T5_T6_T7_T8_P12ihipStream_tbENKUlT_T0_E_clISt17integral_constantIbLb1EES11_EEDaSW_SX_EUlSW_E_NS1_11comp_targetILNS1_3genE4ELNS1_11target_archE910ELNS1_3gpuE8ELNS1_3repE0EEENS1_30default_config_static_selectorELNS0_4arch9wavefront6targetE0EEEvT1_.private_seg_size, 0
	.set _ZN7rocprim17ROCPRIM_400000_NS6detail17trampoline_kernelINS0_14default_configENS1_33run_length_encode_config_selectorIN3c108BFloat16EjNS0_4plusIjEEEEZZNS1_33reduce_by_key_impl_wrapped_configILNS1_25lookback_scan_determinismE0ES3_S9_PKS6_NS0_17constant_iteratorIjlEEPS6_PlSH_S8_NS0_8equal_toIS6_EEEE10hipError_tPvRmT2_T3_mT4_T5_T6_T7_T8_P12ihipStream_tbENKUlT_T0_E_clISt17integral_constantIbLb1EES11_EEDaSW_SX_EUlSW_E_NS1_11comp_targetILNS1_3genE4ELNS1_11target_archE910ELNS1_3gpuE8ELNS1_3repE0EEENS1_30default_config_static_selectorELNS0_4arch9wavefront6targetE0EEEvT1_.uses_vcc, 0
	.set _ZN7rocprim17ROCPRIM_400000_NS6detail17trampoline_kernelINS0_14default_configENS1_33run_length_encode_config_selectorIN3c108BFloat16EjNS0_4plusIjEEEEZZNS1_33reduce_by_key_impl_wrapped_configILNS1_25lookback_scan_determinismE0ES3_S9_PKS6_NS0_17constant_iteratorIjlEEPS6_PlSH_S8_NS0_8equal_toIS6_EEEE10hipError_tPvRmT2_T3_mT4_T5_T6_T7_T8_P12ihipStream_tbENKUlT_T0_E_clISt17integral_constantIbLb1EES11_EEDaSW_SX_EUlSW_E_NS1_11comp_targetILNS1_3genE4ELNS1_11target_archE910ELNS1_3gpuE8ELNS1_3repE0EEENS1_30default_config_static_selectorELNS0_4arch9wavefront6targetE0EEEvT1_.uses_flat_scratch, 0
	.set _ZN7rocprim17ROCPRIM_400000_NS6detail17trampoline_kernelINS0_14default_configENS1_33run_length_encode_config_selectorIN3c108BFloat16EjNS0_4plusIjEEEEZZNS1_33reduce_by_key_impl_wrapped_configILNS1_25lookback_scan_determinismE0ES3_S9_PKS6_NS0_17constant_iteratorIjlEEPS6_PlSH_S8_NS0_8equal_toIS6_EEEE10hipError_tPvRmT2_T3_mT4_T5_T6_T7_T8_P12ihipStream_tbENKUlT_T0_E_clISt17integral_constantIbLb1EES11_EEDaSW_SX_EUlSW_E_NS1_11comp_targetILNS1_3genE4ELNS1_11target_archE910ELNS1_3gpuE8ELNS1_3repE0EEENS1_30default_config_static_selectorELNS0_4arch9wavefront6targetE0EEEvT1_.has_dyn_sized_stack, 0
	.set _ZN7rocprim17ROCPRIM_400000_NS6detail17trampoline_kernelINS0_14default_configENS1_33run_length_encode_config_selectorIN3c108BFloat16EjNS0_4plusIjEEEEZZNS1_33reduce_by_key_impl_wrapped_configILNS1_25lookback_scan_determinismE0ES3_S9_PKS6_NS0_17constant_iteratorIjlEEPS6_PlSH_S8_NS0_8equal_toIS6_EEEE10hipError_tPvRmT2_T3_mT4_T5_T6_T7_T8_P12ihipStream_tbENKUlT_T0_E_clISt17integral_constantIbLb1EES11_EEDaSW_SX_EUlSW_E_NS1_11comp_targetILNS1_3genE4ELNS1_11target_archE910ELNS1_3gpuE8ELNS1_3repE0EEENS1_30default_config_static_selectorELNS0_4arch9wavefront6targetE0EEEvT1_.has_recursion, 0
	.set _ZN7rocprim17ROCPRIM_400000_NS6detail17trampoline_kernelINS0_14default_configENS1_33run_length_encode_config_selectorIN3c108BFloat16EjNS0_4plusIjEEEEZZNS1_33reduce_by_key_impl_wrapped_configILNS1_25lookback_scan_determinismE0ES3_S9_PKS6_NS0_17constant_iteratorIjlEEPS6_PlSH_S8_NS0_8equal_toIS6_EEEE10hipError_tPvRmT2_T3_mT4_T5_T6_T7_T8_P12ihipStream_tbENKUlT_T0_E_clISt17integral_constantIbLb1EES11_EEDaSW_SX_EUlSW_E_NS1_11comp_targetILNS1_3genE4ELNS1_11target_archE910ELNS1_3gpuE8ELNS1_3repE0EEENS1_30default_config_static_selectorELNS0_4arch9wavefront6targetE0EEEvT1_.has_indirect_call, 0
	.section	.AMDGPU.csdata,"",@progbits
; Kernel info:
; codeLenInByte = 0
; TotalNumSgprs: 0
; NumVgprs: 0
; ScratchSize: 0
; MemoryBound: 0
; FloatMode: 240
; IeeeMode: 1
; LDSByteSize: 0 bytes/workgroup (compile time only)
; SGPRBlocks: 0
; VGPRBlocks: 0
; NumSGPRsForWavesPerEU: 1
; NumVGPRsForWavesPerEU: 1
; NamedBarCnt: 0
; Occupancy: 16
; WaveLimiterHint : 0
; COMPUTE_PGM_RSRC2:SCRATCH_EN: 0
; COMPUTE_PGM_RSRC2:USER_SGPR: 2
; COMPUTE_PGM_RSRC2:TRAP_HANDLER: 0
; COMPUTE_PGM_RSRC2:TGID_X_EN: 1
; COMPUTE_PGM_RSRC2:TGID_Y_EN: 0
; COMPUTE_PGM_RSRC2:TGID_Z_EN: 0
; COMPUTE_PGM_RSRC2:TIDIG_COMP_CNT: 0
	.section	.text._ZN7rocprim17ROCPRIM_400000_NS6detail17trampoline_kernelINS0_14default_configENS1_33run_length_encode_config_selectorIN3c108BFloat16EjNS0_4plusIjEEEEZZNS1_33reduce_by_key_impl_wrapped_configILNS1_25lookback_scan_determinismE0ES3_S9_PKS6_NS0_17constant_iteratorIjlEEPS6_PlSH_S8_NS0_8equal_toIS6_EEEE10hipError_tPvRmT2_T3_mT4_T5_T6_T7_T8_P12ihipStream_tbENKUlT_T0_E_clISt17integral_constantIbLb1EES11_EEDaSW_SX_EUlSW_E_NS1_11comp_targetILNS1_3genE3ELNS1_11target_archE908ELNS1_3gpuE7ELNS1_3repE0EEENS1_30default_config_static_selectorELNS0_4arch9wavefront6targetE0EEEvT1_,"axG",@progbits,_ZN7rocprim17ROCPRIM_400000_NS6detail17trampoline_kernelINS0_14default_configENS1_33run_length_encode_config_selectorIN3c108BFloat16EjNS0_4plusIjEEEEZZNS1_33reduce_by_key_impl_wrapped_configILNS1_25lookback_scan_determinismE0ES3_S9_PKS6_NS0_17constant_iteratorIjlEEPS6_PlSH_S8_NS0_8equal_toIS6_EEEE10hipError_tPvRmT2_T3_mT4_T5_T6_T7_T8_P12ihipStream_tbENKUlT_T0_E_clISt17integral_constantIbLb1EES11_EEDaSW_SX_EUlSW_E_NS1_11comp_targetILNS1_3genE3ELNS1_11target_archE908ELNS1_3gpuE7ELNS1_3repE0EEENS1_30default_config_static_selectorELNS0_4arch9wavefront6targetE0EEEvT1_,comdat
	.protected	_ZN7rocprim17ROCPRIM_400000_NS6detail17trampoline_kernelINS0_14default_configENS1_33run_length_encode_config_selectorIN3c108BFloat16EjNS0_4plusIjEEEEZZNS1_33reduce_by_key_impl_wrapped_configILNS1_25lookback_scan_determinismE0ES3_S9_PKS6_NS0_17constant_iteratorIjlEEPS6_PlSH_S8_NS0_8equal_toIS6_EEEE10hipError_tPvRmT2_T3_mT4_T5_T6_T7_T8_P12ihipStream_tbENKUlT_T0_E_clISt17integral_constantIbLb1EES11_EEDaSW_SX_EUlSW_E_NS1_11comp_targetILNS1_3genE3ELNS1_11target_archE908ELNS1_3gpuE7ELNS1_3repE0EEENS1_30default_config_static_selectorELNS0_4arch9wavefront6targetE0EEEvT1_ ; -- Begin function _ZN7rocprim17ROCPRIM_400000_NS6detail17trampoline_kernelINS0_14default_configENS1_33run_length_encode_config_selectorIN3c108BFloat16EjNS0_4plusIjEEEEZZNS1_33reduce_by_key_impl_wrapped_configILNS1_25lookback_scan_determinismE0ES3_S9_PKS6_NS0_17constant_iteratorIjlEEPS6_PlSH_S8_NS0_8equal_toIS6_EEEE10hipError_tPvRmT2_T3_mT4_T5_T6_T7_T8_P12ihipStream_tbENKUlT_T0_E_clISt17integral_constantIbLb1EES11_EEDaSW_SX_EUlSW_E_NS1_11comp_targetILNS1_3genE3ELNS1_11target_archE908ELNS1_3gpuE7ELNS1_3repE0EEENS1_30default_config_static_selectorELNS0_4arch9wavefront6targetE0EEEvT1_
	.globl	_ZN7rocprim17ROCPRIM_400000_NS6detail17trampoline_kernelINS0_14default_configENS1_33run_length_encode_config_selectorIN3c108BFloat16EjNS0_4plusIjEEEEZZNS1_33reduce_by_key_impl_wrapped_configILNS1_25lookback_scan_determinismE0ES3_S9_PKS6_NS0_17constant_iteratorIjlEEPS6_PlSH_S8_NS0_8equal_toIS6_EEEE10hipError_tPvRmT2_T3_mT4_T5_T6_T7_T8_P12ihipStream_tbENKUlT_T0_E_clISt17integral_constantIbLb1EES11_EEDaSW_SX_EUlSW_E_NS1_11comp_targetILNS1_3genE3ELNS1_11target_archE908ELNS1_3gpuE7ELNS1_3repE0EEENS1_30default_config_static_selectorELNS0_4arch9wavefront6targetE0EEEvT1_
	.p2align	8
	.type	_ZN7rocprim17ROCPRIM_400000_NS6detail17trampoline_kernelINS0_14default_configENS1_33run_length_encode_config_selectorIN3c108BFloat16EjNS0_4plusIjEEEEZZNS1_33reduce_by_key_impl_wrapped_configILNS1_25lookback_scan_determinismE0ES3_S9_PKS6_NS0_17constant_iteratorIjlEEPS6_PlSH_S8_NS0_8equal_toIS6_EEEE10hipError_tPvRmT2_T3_mT4_T5_T6_T7_T8_P12ihipStream_tbENKUlT_T0_E_clISt17integral_constantIbLb1EES11_EEDaSW_SX_EUlSW_E_NS1_11comp_targetILNS1_3genE3ELNS1_11target_archE908ELNS1_3gpuE7ELNS1_3repE0EEENS1_30default_config_static_selectorELNS0_4arch9wavefront6targetE0EEEvT1_,@function
_ZN7rocprim17ROCPRIM_400000_NS6detail17trampoline_kernelINS0_14default_configENS1_33run_length_encode_config_selectorIN3c108BFloat16EjNS0_4plusIjEEEEZZNS1_33reduce_by_key_impl_wrapped_configILNS1_25lookback_scan_determinismE0ES3_S9_PKS6_NS0_17constant_iteratorIjlEEPS6_PlSH_S8_NS0_8equal_toIS6_EEEE10hipError_tPvRmT2_T3_mT4_T5_T6_T7_T8_P12ihipStream_tbENKUlT_T0_E_clISt17integral_constantIbLb1EES11_EEDaSW_SX_EUlSW_E_NS1_11comp_targetILNS1_3genE3ELNS1_11target_archE908ELNS1_3gpuE7ELNS1_3repE0EEENS1_30default_config_static_selectorELNS0_4arch9wavefront6targetE0EEEvT1_: ; @_ZN7rocprim17ROCPRIM_400000_NS6detail17trampoline_kernelINS0_14default_configENS1_33run_length_encode_config_selectorIN3c108BFloat16EjNS0_4plusIjEEEEZZNS1_33reduce_by_key_impl_wrapped_configILNS1_25lookback_scan_determinismE0ES3_S9_PKS6_NS0_17constant_iteratorIjlEEPS6_PlSH_S8_NS0_8equal_toIS6_EEEE10hipError_tPvRmT2_T3_mT4_T5_T6_T7_T8_P12ihipStream_tbENKUlT_T0_E_clISt17integral_constantIbLb1EES11_EEDaSW_SX_EUlSW_E_NS1_11comp_targetILNS1_3genE3ELNS1_11target_archE908ELNS1_3gpuE7ELNS1_3repE0EEENS1_30default_config_static_selectorELNS0_4arch9wavefront6targetE0EEEvT1_
; %bb.0:
	.section	.rodata,"a",@progbits
	.p2align	6, 0x0
	.amdhsa_kernel _ZN7rocprim17ROCPRIM_400000_NS6detail17trampoline_kernelINS0_14default_configENS1_33run_length_encode_config_selectorIN3c108BFloat16EjNS0_4plusIjEEEEZZNS1_33reduce_by_key_impl_wrapped_configILNS1_25lookback_scan_determinismE0ES3_S9_PKS6_NS0_17constant_iteratorIjlEEPS6_PlSH_S8_NS0_8equal_toIS6_EEEE10hipError_tPvRmT2_T3_mT4_T5_T6_T7_T8_P12ihipStream_tbENKUlT_T0_E_clISt17integral_constantIbLb1EES11_EEDaSW_SX_EUlSW_E_NS1_11comp_targetILNS1_3genE3ELNS1_11target_archE908ELNS1_3gpuE7ELNS1_3repE0EEENS1_30default_config_static_selectorELNS0_4arch9wavefront6targetE0EEEvT1_
		.amdhsa_group_segment_fixed_size 0
		.amdhsa_private_segment_fixed_size 0
		.amdhsa_kernarg_size 128
		.amdhsa_user_sgpr_count 2
		.amdhsa_user_sgpr_dispatch_ptr 0
		.amdhsa_user_sgpr_queue_ptr 0
		.amdhsa_user_sgpr_kernarg_segment_ptr 1
		.amdhsa_user_sgpr_dispatch_id 0
		.amdhsa_user_sgpr_kernarg_preload_length 0
		.amdhsa_user_sgpr_kernarg_preload_offset 0
		.amdhsa_user_sgpr_private_segment_size 0
		.amdhsa_wavefront_size32 1
		.amdhsa_uses_dynamic_stack 0
		.amdhsa_enable_private_segment 0
		.amdhsa_system_sgpr_workgroup_id_x 1
		.amdhsa_system_sgpr_workgroup_id_y 0
		.amdhsa_system_sgpr_workgroup_id_z 0
		.amdhsa_system_sgpr_workgroup_info 0
		.amdhsa_system_vgpr_workitem_id 0
		.amdhsa_next_free_vgpr 1
		.amdhsa_next_free_sgpr 1
		.amdhsa_named_barrier_count 0
		.amdhsa_reserve_vcc 0
		.amdhsa_float_round_mode_32 0
		.amdhsa_float_round_mode_16_64 0
		.amdhsa_float_denorm_mode_32 3
		.amdhsa_float_denorm_mode_16_64 3
		.amdhsa_fp16_overflow 0
		.amdhsa_memory_ordered 1
		.amdhsa_forward_progress 1
		.amdhsa_inst_pref_size 0
		.amdhsa_round_robin_scheduling 0
		.amdhsa_exception_fp_ieee_invalid_op 0
		.amdhsa_exception_fp_denorm_src 0
		.amdhsa_exception_fp_ieee_div_zero 0
		.amdhsa_exception_fp_ieee_overflow 0
		.amdhsa_exception_fp_ieee_underflow 0
		.amdhsa_exception_fp_ieee_inexact 0
		.amdhsa_exception_int_div_zero 0
	.end_amdhsa_kernel
	.section	.text._ZN7rocprim17ROCPRIM_400000_NS6detail17trampoline_kernelINS0_14default_configENS1_33run_length_encode_config_selectorIN3c108BFloat16EjNS0_4plusIjEEEEZZNS1_33reduce_by_key_impl_wrapped_configILNS1_25lookback_scan_determinismE0ES3_S9_PKS6_NS0_17constant_iteratorIjlEEPS6_PlSH_S8_NS0_8equal_toIS6_EEEE10hipError_tPvRmT2_T3_mT4_T5_T6_T7_T8_P12ihipStream_tbENKUlT_T0_E_clISt17integral_constantIbLb1EES11_EEDaSW_SX_EUlSW_E_NS1_11comp_targetILNS1_3genE3ELNS1_11target_archE908ELNS1_3gpuE7ELNS1_3repE0EEENS1_30default_config_static_selectorELNS0_4arch9wavefront6targetE0EEEvT1_,"axG",@progbits,_ZN7rocprim17ROCPRIM_400000_NS6detail17trampoline_kernelINS0_14default_configENS1_33run_length_encode_config_selectorIN3c108BFloat16EjNS0_4plusIjEEEEZZNS1_33reduce_by_key_impl_wrapped_configILNS1_25lookback_scan_determinismE0ES3_S9_PKS6_NS0_17constant_iteratorIjlEEPS6_PlSH_S8_NS0_8equal_toIS6_EEEE10hipError_tPvRmT2_T3_mT4_T5_T6_T7_T8_P12ihipStream_tbENKUlT_T0_E_clISt17integral_constantIbLb1EES11_EEDaSW_SX_EUlSW_E_NS1_11comp_targetILNS1_3genE3ELNS1_11target_archE908ELNS1_3gpuE7ELNS1_3repE0EEENS1_30default_config_static_selectorELNS0_4arch9wavefront6targetE0EEEvT1_,comdat
.Lfunc_end868:
	.size	_ZN7rocprim17ROCPRIM_400000_NS6detail17trampoline_kernelINS0_14default_configENS1_33run_length_encode_config_selectorIN3c108BFloat16EjNS0_4plusIjEEEEZZNS1_33reduce_by_key_impl_wrapped_configILNS1_25lookback_scan_determinismE0ES3_S9_PKS6_NS0_17constant_iteratorIjlEEPS6_PlSH_S8_NS0_8equal_toIS6_EEEE10hipError_tPvRmT2_T3_mT4_T5_T6_T7_T8_P12ihipStream_tbENKUlT_T0_E_clISt17integral_constantIbLb1EES11_EEDaSW_SX_EUlSW_E_NS1_11comp_targetILNS1_3genE3ELNS1_11target_archE908ELNS1_3gpuE7ELNS1_3repE0EEENS1_30default_config_static_selectorELNS0_4arch9wavefront6targetE0EEEvT1_, .Lfunc_end868-_ZN7rocprim17ROCPRIM_400000_NS6detail17trampoline_kernelINS0_14default_configENS1_33run_length_encode_config_selectorIN3c108BFloat16EjNS0_4plusIjEEEEZZNS1_33reduce_by_key_impl_wrapped_configILNS1_25lookback_scan_determinismE0ES3_S9_PKS6_NS0_17constant_iteratorIjlEEPS6_PlSH_S8_NS0_8equal_toIS6_EEEE10hipError_tPvRmT2_T3_mT4_T5_T6_T7_T8_P12ihipStream_tbENKUlT_T0_E_clISt17integral_constantIbLb1EES11_EEDaSW_SX_EUlSW_E_NS1_11comp_targetILNS1_3genE3ELNS1_11target_archE908ELNS1_3gpuE7ELNS1_3repE0EEENS1_30default_config_static_selectorELNS0_4arch9wavefront6targetE0EEEvT1_
                                        ; -- End function
	.set _ZN7rocprim17ROCPRIM_400000_NS6detail17trampoline_kernelINS0_14default_configENS1_33run_length_encode_config_selectorIN3c108BFloat16EjNS0_4plusIjEEEEZZNS1_33reduce_by_key_impl_wrapped_configILNS1_25lookback_scan_determinismE0ES3_S9_PKS6_NS0_17constant_iteratorIjlEEPS6_PlSH_S8_NS0_8equal_toIS6_EEEE10hipError_tPvRmT2_T3_mT4_T5_T6_T7_T8_P12ihipStream_tbENKUlT_T0_E_clISt17integral_constantIbLb1EES11_EEDaSW_SX_EUlSW_E_NS1_11comp_targetILNS1_3genE3ELNS1_11target_archE908ELNS1_3gpuE7ELNS1_3repE0EEENS1_30default_config_static_selectorELNS0_4arch9wavefront6targetE0EEEvT1_.num_vgpr, 0
	.set _ZN7rocprim17ROCPRIM_400000_NS6detail17trampoline_kernelINS0_14default_configENS1_33run_length_encode_config_selectorIN3c108BFloat16EjNS0_4plusIjEEEEZZNS1_33reduce_by_key_impl_wrapped_configILNS1_25lookback_scan_determinismE0ES3_S9_PKS6_NS0_17constant_iteratorIjlEEPS6_PlSH_S8_NS0_8equal_toIS6_EEEE10hipError_tPvRmT2_T3_mT4_T5_T6_T7_T8_P12ihipStream_tbENKUlT_T0_E_clISt17integral_constantIbLb1EES11_EEDaSW_SX_EUlSW_E_NS1_11comp_targetILNS1_3genE3ELNS1_11target_archE908ELNS1_3gpuE7ELNS1_3repE0EEENS1_30default_config_static_selectorELNS0_4arch9wavefront6targetE0EEEvT1_.num_agpr, 0
	.set _ZN7rocprim17ROCPRIM_400000_NS6detail17trampoline_kernelINS0_14default_configENS1_33run_length_encode_config_selectorIN3c108BFloat16EjNS0_4plusIjEEEEZZNS1_33reduce_by_key_impl_wrapped_configILNS1_25lookback_scan_determinismE0ES3_S9_PKS6_NS0_17constant_iteratorIjlEEPS6_PlSH_S8_NS0_8equal_toIS6_EEEE10hipError_tPvRmT2_T3_mT4_T5_T6_T7_T8_P12ihipStream_tbENKUlT_T0_E_clISt17integral_constantIbLb1EES11_EEDaSW_SX_EUlSW_E_NS1_11comp_targetILNS1_3genE3ELNS1_11target_archE908ELNS1_3gpuE7ELNS1_3repE0EEENS1_30default_config_static_selectorELNS0_4arch9wavefront6targetE0EEEvT1_.numbered_sgpr, 0
	.set _ZN7rocprim17ROCPRIM_400000_NS6detail17trampoline_kernelINS0_14default_configENS1_33run_length_encode_config_selectorIN3c108BFloat16EjNS0_4plusIjEEEEZZNS1_33reduce_by_key_impl_wrapped_configILNS1_25lookback_scan_determinismE0ES3_S9_PKS6_NS0_17constant_iteratorIjlEEPS6_PlSH_S8_NS0_8equal_toIS6_EEEE10hipError_tPvRmT2_T3_mT4_T5_T6_T7_T8_P12ihipStream_tbENKUlT_T0_E_clISt17integral_constantIbLb1EES11_EEDaSW_SX_EUlSW_E_NS1_11comp_targetILNS1_3genE3ELNS1_11target_archE908ELNS1_3gpuE7ELNS1_3repE0EEENS1_30default_config_static_selectorELNS0_4arch9wavefront6targetE0EEEvT1_.num_named_barrier, 0
	.set _ZN7rocprim17ROCPRIM_400000_NS6detail17trampoline_kernelINS0_14default_configENS1_33run_length_encode_config_selectorIN3c108BFloat16EjNS0_4plusIjEEEEZZNS1_33reduce_by_key_impl_wrapped_configILNS1_25lookback_scan_determinismE0ES3_S9_PKS6_NS0_17constant_iteratorIjlEEPS6_PlSH_S8_NS0_8equal_toIS6_EEEE10hipError_tPvRmT2_T3_mT4_T5_T6_T7_T8_P12ihipStream_tbENKUlT_T0_E_clISt17integral_constantIbLb1EES11_EEDaSW_SX_EUlSW_E_NS1_11comp_targetILNS1_3genE3ELNS1_11target_archE908ELNS1_3gpuE7ELNS1_3repE0EEENS1_30default_config_static_selectorELNS0_4arch9wavefront6targetE0EEEvT1_.private_seg_size, 0
	.set _ZN7rocprim17ROCPRIM_400000_NS6detail17trampoline_kernelINS0_14default_configENS1_33run_length_encode_config_selectorIN3c108BFloat16EjNS0_4plusIjEEEEZZNS1_33reduce_by_key_impl_wrapped_configILNS1_25lookback_scan_determinismE0ES3_S9_PKS6_NS0_17constant_iteratorIjlEEPS6_PlSH_S8_NS0_8equal_toIS6_EEEE10hipError_tPvRmT2_T3_mT4_T5_T6_T7_T8_P12ihipStream_tbENKUlT_T0_E_clISt17integral_constantIbLb1EES11_EEDaSW_SX_EUlSW_E_NS1_11comp_targetILNS1_3genE3ELNS1_11target_archE908ELNS1_3gpuE7ELNS1_3repE0EEENS1_30default_config_static_selectorELNS0_4arch9wavefront6targetE0EEEvT1_.uses_vcc, 0
	.set _ZN7rocprim17ROCPRIM_400000_NS6detail17trampoline_kernelINS0_14default_configENS1_33run_length_encode_config_selectorIN3c108BFloat16EjNS0_4plusIjEEEEZZNS1_33reduce_by_key_impl_wrapped_configILNS1_25lookback_scan_determinismE0ES3_S9_PKS6_NS0_17constant_iteratorIjlEEPS6_PlSH_S8_NS0_8equal_toIS6_EEEE10hipError_tPvRmT2_T3_mT4_T5_T6_T7_T8_P12ihipStream_tbENKUlT_T0_E_clISt17integral_constantIbLb1EES11_EEDaSW_SX_EUlSW_E_NS1_11comp_targetILNS1_3genE3ELNS1_11target_archE908ELNS1_3gpuE7ELNS1_3repE0EEENS1_30default_config_static_selectorELNS0_4arch9wavefront6targetE0EEEvT1_.uses_flat_scratch, 0
	.set _ZN7rocprim17ROCPRIM_400000_NS6detail17trampoline_kernelINS0_14default_configENS1_33run_length_encode_config_selectorIN3c108BFloat16EjNS0_4plusIjEEEEZZNS1_33reduce_by_key_impl_wrapped_configILNS1_25lookback_scan_determinismE0ES3_S9_PKS6_NS0_17constant_iteratorIjlEEPS6_PlSH_S8_NS0_8equal_toIS6_EEEE10hipError_tPvRmT2_T3_mT4_T5_T6_T7_T8_P12ihipStream_tbENKUlT_T0_E_clISt17integral_constantIbLb1EES11_EEDaSW_SX_EUlSW_E_NS1_11comp_targetILNS1_3genE3ELNS1_11target_archE908ELNS1_3gpuE7ELNS1_3repE0EEENS1_30default_config_static_selectorELNS0_4arch9wavefront6targetE0EEEvT1_.has_dyn_sized_stack, 0
	.set _ZN7rocprim17ROCPRIM_400000_NS6detail17trampoline_kernelINS0_14default_configENS1_33run_length_encode_config_selectorIN3c108BFloat16EjNS0_4plusIjEEEEZZNS1_33reduce_by_key_impl_wrapped_configILNS1_25lookback_scan_determinismE0ES3_S9_PKS6_NS0_17constant_iteratorIjlEEPS6_PlSH_S8_NS0_8equal_toIS6_EEEE10hipError_tPvRmT2_T3_mT4_T5_T6_T7_T8_P12ihipStream_tbENKUlT_T0_E_clISt17integral_constantIbLb1EES11_EEDaSW_SX_EUlSW_E_NS1_11comp_targetILNS1_3genE3ELNS1_11target_archE908ELNS1_3gpuE7ELNS1_3repE0EEENS1_30default_config_static_selectorELNS0_4arch9wavefront6targetE0EEEvT1_.has_recursion, 0
	.set _ZN7rocprim17ROCPRIM_400000_NS6detail17trampoline_kernelINS0_14default_configENS1_33run_length_encode_config_selectorIN3c108BFloat16EjNS0_4plusIjEEEEZZNS1_33reduce_by_key_impl_wrapped_configILNS1_25lookback_scan_determinismE0ES3_S9_PKS6_NS0_17constant_iteratorIjlEEPS6_PlSH_S8_NS0_8equal_toIS6_EEEE10hipError_tPvRmT2_T3_mT4_T5_T6_T7_T8_P12ihipStream_tbENKUlT_T0_E_clISt17integral_constantIbLb1EES11_EEDaSW_SX_EUlSW_E_NS1_11comp_targetILNS1_3genE3ELNS1_11target_archE908ELNS1_3gpuE7ELNS1_3repE0EEENS1_30default_config_static_selectorELNS0_4arch9wavefront6targetE0EEEvT1_.has_indirect_call, 0
	.section	.AMDGPU.csdata,"",@progbits
; Kernel info:
; codeLenInByte = 0
; TotalNumSgprs: 0
; NumVgprs: 0
; ScratchSize: 0
; MemoryBound: 0
; FloatMode: 240
; IeeeMode: 1
; LDSByteSize: 0 bytes/workgroup (compile time only)
; SGPRBlocks: 0
; VGPRBlocks: 0
; NumSGPRsForWavesPerEU: 1
; NumVGPRsForWavesPerEU: 1
; NamedBarCnt: 0
; Occupancy: 16
; WaveLimiterHint : 0
; COMPUTE_PGM_RSRC2:SCRATCH_EN: 0
; COMPUTE_PGM_RSRC2:USER_SGPR: 2
; COMPUTE_PGM_RSRC2:TRAP_HANDLER: 0
; COMPUTE_PGM_RSRC2:TGID_X_EN: 1
; COMPUTE_PGM_RSRC2:TGID_Y_EN: 0
; COMPUTE_PGM_RSRC2:TGID_Z_EN: 0
; COMPUTE_PGM_RSRC2:TIDIG_COMP_CNT: 0
	.section	.text._ZN7rocprim17ROCPRIM_400000_NS6detail17trampoline_kernelINS0_14default_configENS1_33run_length_encode_config_selectorIN3c108BFloat16EjNS0_4plusIjEEEEZZNS1_33reduce_by_key_impl_wrapped_configILNS1_25lookback_scan_determinismE0ES3_S9_PKS6_NS0_17constant_iteratorIjlEEPS6_PlSH_S8_NS0_8equal_toIS6_EEEE10hipError_tPvRmT2_T3_mT4_T5_T6_T7_T8_P12ihipStream_tbENKUlT_T0_E_clISt17integral_constantIbLb1EES11_EEDaSW_SX_EUlSW_E_NS1_11comp_targetILNS1_3genE2ELNS1_11target_archE906ELNS1_3gpuE6ELNS1_3repE0EEENS1_30default_config_static_selectorELNS0_4arch9wavefront6targetE0EEEvT1_,"axG",@progbits,_ZN7rocprim17ROCPRIM_400000_NS6detail17trampoline_kernelINS0_14default_configENS1_33run_length_encode_config_selectorIN3c108BFloat16EjNS0_4plusIjEEEEZZNS1_33reduce_by_key_impl_wrapped_configILNS1_25lookback_scan_determinismE0ES3_S9_PKS6_NS0_17constant_iteratorIjlEEPS6_PlSH_S8_NS0_8equal_toIS6_EEEE10hipError_tPvRmT2_T3_mT4_T5_T6_T7_T8_P12ihipStream_tbENKUlT_T0_E_clISt17integral_constantIbLb1EES11_EEDaSW_SX_EUlSW_E_NS1_11comp_targetILNS1_3genE2ELNS1_11target_archE906ELNS1_3gpuE6ELNS1_3repE0EEENS1_30default_config_static_selectorELNS0_4arch9wavefront6targetE0EEEvT1_,comdat
	.protected	_ZN7rocprim17ROCPRIM_400000_NS6detail17trampoline_kernelINS0_14default_configENS1_33run_length_encode_config_selectorIN3c108BFloat16EjNS0_4plusIjEEEEZZNS1_33reduce_by_key_impl_wrapped_configILNS1_25lookback_scan_determinismE0ES3_S9_PKS6_NS0_17constant_iteratorIjlEEPS6_PlSH_S8_NS0_8equal_toIS6_EEEE10hipError_tPvRmT2_T3_mT4_T5_T6_T7_T8_P12ihipStream_tbENKUlT_T0_E_clISt17integral_constantIbLb1EES11_EEDaSW_SX_EUlSW_E_NS1_11comp_targetILNS1_3genE2ELNS1_11target_archE906ELNS1_3gpuE6ELNS1_3repE0EEENS1_30default_config_static_selectorELNS0_4arch9wavefront6targetE0EEEvT1_ ; -- Begin function _ZN7rocprim17ROCPRIM_400000_NS6detail17trampoline_kernelINS0_14default_configENS1_33run_length_encode_config_selectorIN3c108BFloat16EjNS0_4plusIjEEEEZZNS1_33reduce_by_key_impl_wrapped_configILNS1_25lookback_scan_determinismE0ES3_S9_PKS6_NS0_17constant_iteratorIjlEEPS6_PlSH_S8_NS0_8equal_toIS6_EEEE10hipError_tPvRmT2_T3_mT4_T5_T6_T7_T8_P12ihipStream_tbENKUlT_T0_E_clISt17integral_constantIbLb1EES11_EEDaSW_SX_EUlSW_E_NS1_11comp_targetILNS1_3genE2ELNS1_11target_archE906ELNS1_3gpuE6ELNS1_3repE0EEENS1_30default_config_static_selectorELNS0_4arch9wavefront6targetE0EEEvT1_
	.globl	_ZN7rocprim17ROCPRIM_400000_NS6detail17trampoline_kernelINS0_14default_configENS1_33run_length_encode_config_selectorIN3c108BFloat16EjNS0_4plusIjEEEEZZNS1_33reduce_by_key_impl_wrapped_configILNS1_25lookback_scan_determinismE0ES3_S9_PKS6_NS0_17constant_iteratorIjlEEPS6_PlSH_S8_NS0_8equal_toIS6_EEEE10hipError_tPvRmT2_T3_mT4_T5_T6_T7_T8_P12ihipStream_tbENKUlT_T0_E_clISt17integral_constantIbLb1EES11_EEDaSW_SX_EUlSW_E_NS1_11comp_targetILNS1_3genE2ELNS1_11target_archE906ELNS1_3gpuE6ELNS1_3repE0EEENS1_30default_config_static_selectorELNS0_4arch9wavefront6targetE0EEEvT1_
	.p2align	8
	.type	_ZN7rocprim17ROCPRIM_400000_NS6detail17trampoline_kernelINS0_14default_configENS1_33run_length_encode_config_selectorIN3c108BFloat16EjNS0_4plusIjEEEEZZNS1_33reduce_by_key_impl_wrapped_configILNS1_25lookback_scan_determinismE0ES3_S9_PKS6_NS0_17constant_iteratorIjlEEPS6_PlSH_S8_NS0_8equal_toIS6_EEEE10hipError_tPvRmT2_T3_mT4_T5_T6_T7_T8_P12ihipStream_tbENKUlT_T0_E_clISt17integral_constantIbLb1EES11_EEDaSW_SX_EUlSW_E_NS1_11comp_targetILNS1_3genE2ELNS1_11target_archE906ELNS1_3gpuE6ELNS1_3repE0EEENS1_30default_config_static_selectorELNS0_4arch9wavefront6targetE0EEEvT1_,@function
_ZN7rocprim17ROCPRIM_400000_NS6detail17trampoline_kernelINS0_14default_configENS1_33run_length_encode_config_selectorIN3c108BFloat16EjNS0_4plusIjEEEEZZNS1_33reduce_by_key_impl_wrapped_configILNS1_25lookback_scan_determinismE0ES3_S9_PKS6_NS0_17constant_iteratorIjlEEPS6_PlSH_S8_NS0_8equal_toIS6_EEEE10hipError_tPvRmT2_T3_mT4_T5_T6_T7_T8_P12ihipStream_tbENKUlT_T0_E_clISt17integral_constantIbLb1EES11_EEDaSW_SX_EUlSW_E_NS1_11comp_targetILNS1_3genE2ELNS1_11target_archE906ELNS1_3gpuE6ELNS1_3repE0EEENS1_30default_config_static_selectorELNS0_4arch9wavefront6targetE0EEEvT1_: ; @_ZN7rocprim17ROCPRIM_400000_NS6detail17trampoline_kernelINS0_14default_configENS1_33run_length_encode_config_selectorIN3c108BFloat16EjNS0_4plusIjEEEEZZNS1_33reduce_by_key_impl_wrapped_configILNS1_25lookback_scan_determinismE0ES3_S9_PKS6_NS0_17constant_iteratorIjlEEPS6_PlSH_S8_NS0_8equal_toIS6_EEEE10hipError_tPvRmT2_T3_mT4_T5_T6_T7_T8_P12ihipStream_tbENKUlT_T0_E_clISt17integral_constantIbLb1EES11_EEDaSW_SX_EUlSW_E_NS1_11comp_targetILNS1_3genE2ELNS1_11target_archE906ELNS1_3gpuE6ELNS1_3repE0EEENS1_30default_config_static_selectorELNS0_4arch9wavefront6targetE0EEEvT1_
; %bb.0:
	.section	.rodata,"a",@progbits
	.p2align	6, 0x0
	.amdhsa_kernel _ZN7rocprim17ROCPRIM_400000_NS6detail17trampoline_kernelINS0_14default_configENS1_33run_length_encode_config_selectorIN3c108BFloat16EjNS0_4plusIjEEEEZZNS1_33reduce_by_key_impl_wrapped_configILNS1_25lookback_scan_determinismE0ES3_S9_PKS6_NS0_17constant_iteratorIjlEEPS6_PlSH_S8_NS0_8equal_toIS6_EEEE10hipError_tPvRmT2_T3_mT4_T5_T6_T7_T8_P12ihipStream_tbENKUlT_T0_E_clISt17integral_constantIbLb1EES11_EEDaSW_SX_EUlSW_E_NS1_11comp_targetILNS1_3genE2ELNS1_11target_archE906ELNS1_3gpuE6ELNS1_3repE0EEENS1_30default_config_static_selectorELNS0_4arch9wavefront6targetE0EEEvT1_
		.amdhsa_group_segment_fixed_size 0
		.amdhsa_private_segment_fixed_size 0
		.amdhsa_kernarg_size 128
		.amdhsa_user_sgpr_count 2
		.amdhsa_user_sgpr_dispatch_ptr 0
		.amdhsa_user_sgpr_queue_ptr 0
		.amdhsa_user_sgpr_kernarg_segment_ptr 1
		.amdhsa_user_sgpr_dispatch_id 0
		.amdhsa_user_sgpr_kernarg_preload_length 0
		.amdhsa_user_sgpr_kernarg_preload_offset 0
		.amdhsa_user_sgpr_private_segment_size 0
		.amdhsa_wavefront_size32 1
		.amdhsa_uses_dynamic_stack 0
		.amdhsa_enable_private_segment 0
		.amdhsa_system_sgpr_workgroup_id_x 1
		.amdhsa_system_sgpr_workgroup_id_y 0
		.amdhsa_system_sgpr_workgroup_id_z 0
		.amdhsa_system_sgpr_workgroup_info 0
		.amdhsa_system_vgpr_workitem_id 0
		.amdhsa_next_free_vgpr 1
		.amdhsa_next_free_sgpr 1
		.amdhsa_named_barrier_count 0
		.amdhsa_reserve_vcc 0
		.amdhsa_float_round_mode_32 0
		.amdhsa_float_round_mode_16_64 0
		.amdhsa_float_denorm_mode_32 3
		.amdhsa_float_denorm_mode_16_64 3
		.amdhsa_fp16_overflow 0
		.amdhsa_memory_ordered 1
		.amdhsa_forward_progress 1
		.amdhsa_inst_pref_size 0
		.amdhsa_round_robin_scheduling 0
		.amdhsa_exception_fp_ieee_invalid_op 0
		.amdhsa_exception_fp_denorm_src 0
		.amdhsa_exception_fp_ieee_div_zero 0
		.amdhsa_exception_fp_ieee_overflow 0
		.amdhsa_exception_fp_ieee_underflow 0
		.amdhsa_exception_fp_ieee_inexact 0
		.amdhsa_exception_int_div_zero 0
	.end_amdhsa_kernel
	.section	.text._ZN7rocprim17ROCPRIM_400000_NS6detail17trampoline_kernelINS0_14default_configENS1_33run_length_encode_config_selectorIN3c108BFloat16EjNS0_4plusIjEEEEZZNS1_33reduce_by_key_impl_wrapped_configILNS1_25lookback_scan_determinismE0ES3_S9_PKS6_NS0_17constant_iteratorIjlEEPS6_PlSH_S8_NS0_8equal_toIS6_EEEE10hipError_tPvRmT2_T3_mT4_T5_T6_T7_T8_P12ihipStream_tbENKUlT_T0_E_clISt17integral_constantIbLb1EES11_EEDaSW_SX_EUlSW_E_NS1_11comp_targetILNS1_3genE2ELNS1_11target_archE906ELNS1_3gpuE6ELNS1_3repE0EEENS1_30default_config_static_selectorELNS0_4arch9wavefront6targetE0EEEvT1_,"axG",@progbits,_ZN7rocprim17ROCPRIM_400000_NS6detail17trampoline_kernelINS0_14default_configENS1_33run_length_encode_config_selectorIN3c108BFloat16EjNS0_4plusIjEEEEZZNS1_33reduce_by_key_impl_wrapped_configILNS1_25lookback_scan_determinismE0ES3_S9_PKS6_NS0_17constant_iteratorIjlEEPS6_PlSH_S8_NS0_8equal_toIS6_EEEE10hipError_tPvRmT2_T3_mT4_T5_T6_T7_T8_P12ihipStream_tbENKUlT_T0_E_clISt17integral_constantIbLb1EES11_EEDaSW_SX_EUlSW_E_NS1_11comp_targetILNS1_3genE2ELNS1_11target_archE906ELNS1_3gpuE6ELNS1_3repE0EEENS1_30default_config_static_selectorELNS0_4arch9wavefront6targetE0EEEvT1_,comdat
.Lfunc_end869:
	.size	_ZN7rocprim17ROCPRIM_400000_NS6detail17trampoline_kernelINS0_14default_configENS1_33run_length_encode_config_selectorIN3c108BFloat16EjNS0_4plusIjEEEEZZNS1_33reduce_by_key_impl_wrapped_configILNS1_25lookback_scan_determinismE0ES3_S9_PKS6_NS0_17constant_iteratorIjlEEPS6_PlSH_S8_NS0_8equal_toIS6_EEEE10hipError_tPvRmT2_T3_mT4_T5_T6_T7_T8_P12ihipStream_tbENKUlT_T0_E_clISt17integral_constantIbLb1EES11_EEDaSW_SX_EUlSW_E_NS1_11comp_targetILNS1_3genE2ELNS1_11target_archE906ELNS1_3gpuE6ELNS1_3repE0EEENS1_30default_config_static_selectorELNS0_4arch9wavefront6targetE0EEEvT1_, .Lfunc_end869-_ZN7rocprim17ROCPRIM_400000_NS6detail17trampoline_kernelINS0_14default_configENS1_33run_length_encode_config_selectorIN3c108BFloat16EjNS0_4plusIjEEEEZZNS1_33reduce_by_key_impl_wrapped_configILNS1_25lookback_scan_determinismE0ES3_S9_PKS6_NS0_17constant_iteratorIjlEEPS6_PlSH_S8_NS0_8equal_toIS6_EEEE10hipError_tPvRmT2_T3_mT4_T5_T6_T7_T8_P12ihipStream_tbENKUlT_T0_E_clISt17integral_constantIbLb1EES11_EEDaSW_SX_EUlSW_E_NS1_11comp_targetILNS1_3genE2ELNS1_11target_archE906ELNS1_3gpuE6ELNS1_3repE0EEENS1_30default_config_static_selectorELNS0_4arch9wavefront6targetE0EEEvT1_
                                        ; -- End function
	.set _ZN7rocprim17ROCPRIM_400000_NS6detail17trampoline_kernelINS0_14default_configENS1_33run_length_encode_config_selectorIN3c108BFloat16EjNS0_4plusIjEEEEZZNS1_33reduce_by_key_impl_wrapped_configILNS1_25lookback_scan_determinismE0ES3_S9_PKS6_NS0_17constant_iteratorIjlEEPS6_PlSH_S8_NS0_8equal_toIS6_EEEE10hipError_tPvRmT2_T3_mT4_T5_T6_T7_T8_P12ihipStream_tbENKUlT_T0_E_clISt17integral_constantIbLb1EES11_EEDaSW_SX_EUlSW_E_NS1_11comp_targetILNS1_3genE2ELNS1_11target_archE906ELNS1_3gpuE6ELNS1_3repE0EEENS1_30default_config_static_selectorELNS0_4arch9wavefront6targetE0EEEvT1_.num_vgpr, 0
	.set _ZN7rocprim17ROCPRIM_400000_NS6detail17trampoline_kernelINS0_14default_configENS1_33run_length_encode_config_selectorIN3c108BFloat16EjNS0_4plusIjEEEEZZNS1_33reduce_by_key_impl_wrapped_configILNS1_25lookback_scan_determinismE0ES3_S9_PKS6_NS0_17constant_iteratorIjlEEPS6_PlSH_S8_NS0_8equal_toIS6_EEEE10hipError_tPvRmT2_T3_mT4_T5_T6_T7_T8_P12ihipStream_tbENKUlT_T0_E_clISt17integral_constantIbLb1EES11_EEDaSW_SX_EUlSW_E_NS1_11comp_targetILNS1_3genE2ELNS1_11target_archE906ELNS1_3gpuE6ELNS1_3repE0EEENS1_30default_config_static_selectorELNS0_4arch9wavefront6targetE0EEEvT1_.num_agpr, 0
	.set _ZN7rocprim17ROCPRIM_400000_NS6detail17trampoline_kernelINS0_14default_configENS1_33run_length_encode_config_selectorIN3c108BFloat16EjNS0_4plusIjEEEEZZNS1_33reduce_by_key_impl_wrapped_configILNS1_25lookback_scan_determinismE0ES3_S9_PKS6_NS0_17constant_iteratorIjlEEPS6_PlSH_S8_NS0_8equal_toIS6_EEEE10hipError_tPvRmT2_T3_mT4_T5_T6_T7_T8_P12ihipStream_tbENKUlT_T0_E_clISt17integral_constantIbLb1EES11_EEDaSW_SX_EUlSW_E_NS1_11comp_targetILNS1_3genE2ELNS1_11target_archE906ELNS1_3gpuE6ELNS1_3repE0EEENS1_30default_config_static_selectorELNS0_4arch9wavefront6targetE0EEEvT1_.numbered_sgpr, 0
	.set _ZN7rocprim17ROCPRIM_400000_NS6detail17trampoline_kernelINS0_14default_configENS1_33run_length_encode_config_selectorIN3c108BFloat16EjNS0_4plusIjEEEEZZNS1_33reduce_by_key_impl_wrapped_configILNS1_25lookback_scan_determinismE0ES3_S9_PKS6_NS0_17constant_iteratorIjlEEPS6_PlSH_S8_NS0_8equal_toIS6_EEEE10hipError_tPvRmT2_T3_mT4_T5_T6_T7_T8_P12ihipStream_tbENKUlT_T0_E_clISt17integral_constantIbLb1EES11_EEDaSW_SX_EUlSW_E_NS1_11comp_targetILNS1_3genE2ELNS1_11target_archE906ELNS1_3gpuE6ELNS1_3repE0EEENS1_30default_config_static_selectorELNS0_4arch9wavefront6targetE0EEEvT1_.num_named_barrier, 0
	.set _ZN7rocprim17ROCPRIM_400000_NS6detail17trampoline_kernelINS0_14default_configENS1_33run_length_encode_config_selectorIN3c108BFloat16EjNS0_4plusIjEEEEZZNS1_33reduce_by_key_impl_wrapped_configILNS1_25lookback_scan_determinismE0ES3_S9_PKS6_NS0_17constant_iteratorIjlEEPS6_PlSH_S8_NS0_8equal_toIS6_EEEE10hipError_tPvRmT2_T3_mT4_T5_T6_T7_T8_P12ihipStream_tbENKUlT_T0_E_clISt17integral_constantIbLb1EES11_EEDaSW_SX_EUlSW_E_NS1_11comp_targetILNS1_3genE2ELNS1_11target_archE906ELNS1_3gpuE6ELNS1_3repE0EEENS1_30default_config_static_selectorELNS0_4arch9wavefront6targetE0EEEvT1_.private_seg_size, 0
	.set _ZN7rocprim17ROCPRIM_400000_NS6detail17trampoline_kernelINS0_14default_configENS1_33run_length_encode_config_selectorIN3c108BFloat16EjNS0_4plusIjEEEEZZNS1_33reduce_by_key_impl_wrapped_configILNS1_25lookback_scan_determinismE0ES3_S9_PKS6_NS0_17constant_iteratorIjlEEPS6_PlSH_S8_NS0_8equal_toIS6_EEEE10hipError_tPvRmT2_T3_mT4_T5_T6_T7_T8_P12ihipStream_tbENKUlT_T0_E_clISt17integral_constantIbLb1EES11_EEDaSW_SX_EUlSW_E_NS1_11comp_targetILNS1_3genE2ELNS1_11target_archE906ELNS1_3gpuE6ELNS1_3repE0EEENS1_30default_config_static_selectorELNS0_4arch9wavefront6targetE0EEEvT1_.uses_vcc, 0
	.set _ZN7rocprim17ROCPRIM_400000_NS6detail17trampoline_kernelINS0_14default_configENS1_33run_length_encode_config_selectorIN3c108BFloat16EjNS0_4plusIjEEEEZZNS1_33reduce_by_key_impl_wrapped_configILNS1_25lookback_scan_determinismE0ES3_S9_PKS6_NS0_17constant_iteratorIjlEEPS6_PlSH_S8_NS0_8equal_toIS6_EEEE10hipError_tPvRmT2_T3_mT4_T5_T6_T7_T8_P12ihipStream_tbENKUlT_T0_E_clISt17integral_constantIbLb1EES11_EEDaSW_SX_EUlSW_E_NS1_11comp_targetILNS1_3genE2ELNS1_11target_archE906ELNS1_3gpuE6ELNS1_3repE0EEENS1_30default_config_static_selectorELNS0_4arch9wavefront6targetE0EEEvT1_.uses_flat_scratch, 0
	.set _ZN7rocprim17ROCPRIM_400000_NS6detail17trampoline_kernelINS0_14default_configENS1_33run_length_encode_config_selectorIN3c108BFloat16EjNS0_4plusIjEEEEZZNS1_33reduce_by_key_impl_wrapped_configILNS1_25lookback_scan_determinismE0ES3_S9_PKS6_NS0_17constant_iteratorIjlEEPS6_PlSH_S8_NS0_8equal_toIS6_EEEE10hipError_tPvRmT2_T3_mT4_T5_T6_T7_T8_P12ihipStream_tbENKUlT_T0_E_clISt17integral_constantIbLb1EES11_EEDaSW_SX_EUlSW_E_NS1_11comp_targetILNS1_3genE2ELNS1_11target_archE906ELNS1_3gpuE6ELNS1_3repE0EEENS1_30default_config_static_selectorELNS0_4arch9wavefront6targetE0EEEvT1_.has_dyn_sized_stack, 0
	.set _ZN7rocprim17ROCPRIM_400000_NS6detail17trampoline_kernelINS0_14default_configENS1_33run_length_encode_config_selectorIN3c108BFloat16EjNS0_4plusIjEEEEZZNS1_33reduce_by_key_impl_wrapped_configILNS1_25lookback_scan_determinismE0ES3_S9_PKS6_NS0_17constant_iteratorIjlEEPS6_PlSH_S8_NS0_8equal_toIS6_EEEE10hipError_tPvRmT2_T3_mT4_T5_T6_T7_T8_P12ihipStream_tbENKUlT_T0_E_clISt17integral_constantIbLb1EES11_EEDaSW_SX_EUlSW_E_NS1_11comp_targetILNS1_3genE2ELNS1_11target_archE906ELNS1_3gpuE6ELNS1_3repE0EEENS1_30default_config_static_selectorELNS0_4arch9wavefront6targetE0EEEvT1_.has_recursion, 0
	.set _ZN7rocprim17ROCPRIM_400000_NS6detail17trampoline_kernelINS0_14default_configENS1_33run_length_encode_config_selectorIN3c108BFloat16EjNS0_4plusIjEEEEZZNS1_33reduce_by_key_impl_wrapped_configILNS1_25lookback_scan_determinismE0ES3_S9_PKS6_NS0_17constant_iteratorIjlEEPS6_PlSH_S8_NS0_8equal_toIS6_EEEE10hipError_tPvRmT2_T3_mT4_T5_T6_T7_T8_P12ihipStream_tbENKUlT_T0_E_clISt17integral_constantIbLb1EES11_EEDaSW_SX_EUlSW_E_NS1_11comp_targetILNS1_3genE2ELNS1_11target_archE906ELNS1_3gpuE6ELNS1_3repE0EEENS1_30default_config_static_selectorELNS0_4arch9wavefront6targetE0EEEvT1_.has_indirect_call, 0
	.section	.AMDGPU.csdata,"",@progbits
; Kernel info:
; codeLenInByte = 0
; TotalNumSgprs: 0
; NumVgprs: 0
; ScratchSize: 0
; MemoryBound: 0
; FloatMode: 240
; IeeeMode: 1
; LDSByteSize: 0 bytes/workgroup (compile time only)
; SGPRBlocks: 0
; VGPRBlocks: 0
; NumSGPRsForWavesPerEU: 1
; NumVGPRsForWavesPerEU: 1
; NamedBarCnt: 0
; Occupancy: 16
; WaveLimiterHint : 0
; COMPUTE_PGM_RSRC2:SCRATCH_EN: 0
; COMPUTE_PGM_RSRC2:USER_SGPR: 2
; COMPUTE_PGM_RSRC2:TRAP_HANDLER: 0
; COMPUTE_PGM_RSRC2:TGID_X_EN: 1
; COMPUTE_PGM_RSRC2:TGID_Y_EN: 0
; COMPUTE_PGM_RSRC2:TGID_Z_EN: 0
; COMPUTE_PGM_RSRC2:TIDIG_COMP_CNT: 0
	.section	.text._ZN7rocprim17ROCPRIM_400000_NS6detail17trampoline_kernelINS0_14default_configENS1_33run_length_encode_config_selectorIN3c108BFloat16EjNS0_4plusIjEEEEZZNS1_33reduce_by_key_impl_wrapped_configILNS1_25lookback_scan_determinismE0ES3_S9_PKS6_NS0_17constant_iteratorIjlEEPS6_PlSH_S8_NS0_8equal_toIS6_EEEE10hipError_tPvRmT2_T3_mT4_T5_T6_T7_T8_P12ihipStream_tbENKUlT_T0_E_clISt17integral_constantIbLb1EES11_EEDaSW_SX_EUlSW_E_NS1_11comp_targetILNS1_3genE10ELNS1_11target_archE1201ELNS1_3gpuE5ELNS1_3repE0EEENS1_30default_config_static_selectorELNS0_4arch9wavefront6targetE0EEEvT1_,"axG",@progbits,_ZN7rocprim17ROCPRIM_400000_NS6detail17trampoline_kernelINS0_14default_configENS1_33run_length_encode_config_selectorIN3c108BFloat16EjNS0_4plusIjEEEEZZNS1_33reduce_by_key_impl_wrapped_configILNS1_25lookback_scan_determinismE0ES3_S9_PKS6_NS0_17constant_iteratorIjlEEPS6_PlSH_S8_NS0_8equal_toIS6_EEEE10hipError_tPvRmT2_T3_mT4_T5_T6_T7_T8_P12ihipStream_tbENKUlT_T0_E_clISt17integral_constantIbLb1EES11_EEDaSW_SX_EUlSW_E_NS1_11comp_targetILNS1_3genE10ELNS1_11target_archE1201ELNS1_3gpuE5ELNS1_3repE0EEENS1_30default_config_static_selectorELNS0_4arch9wavefront6targetE0EEEvT1_,comdat
	.protected	_ZN7rocprim17ROCPRIM_400000_NS6detail17trampoline_kernelINS0_14default_configENS1_33run_length_encode_config_selectorIN3c108BFloat16EjNS0_4plusIjEEEEZZNS1_33reduce_by_key_impl_wrapped_configILNS1_25lookback_scan_determinismE0ES3_S9_PKS6_NS0_17constant_iteratorIjlEEPS6_PlSH_S8_NS0_8equal_toIS6_EEEE10hipError_tPvRmT2_T3_mT4_T5_T6_T7_T8_P12ihipStream_tbENKUlT_T0_E_clISt17integral_constantIbLb1EES11_EEDaSW_SX_EUlSW_E_NS1_11comp_targetILNS1_3genE10ELNS1_11target_archE1201ELNS1_3gpuE5ELNS1_3repE0EEENS1_30default_config_static_selectorELNS0_4arch9wavefront6targetE0EEEvT1_ ; -- Begin function _ZN7rocprim17ROCPRIM_400000_NS6detail17trampoline_kernelINS0_14default_configENS1_33run_length_encode_config_selectorIN3c108BFloat16EjNS0_4plusIjEEEEZZNS1_33reduce_by_key_impl_wrapped_configILNS1_25lookback_scan_determinismE0ES3_S9_PKS6_NS0_17constant_iteratorIjlEEPS6_PlSH_S8_NS0_8equal_toIS6_EEEE10hipError_tPvRmT2_T3_mT4_T5_T6_T7_T8_P12ihipStream_tbENKUlT_T0_E_clISt17integral_constantIbLb1EES11_EEDaSW_SX_EUlSW_E_NS1_11comp_targetILNS1_3genE10ELNS1_11target_archE1201ELNS1_3gpuE5ELNS1_3repE0EEENS1_30default_config_static_selectorELNS0_4arch9wavefront6targetE0EEEvT1_
	.globl	_ZN7rocprim17ROCPRIM_400000_NS6detail17trampoline_kernelINS0_14default_configENS1_33run_length_encode_config_selectorIN3c108BFloat16EjNS0_4plusIjEEEEZZNS1_33reduce_by_key_impl_wrapped_configILNS1_25lookback_scan_determinismE0ES3_S9_PKS6_NS0_17constant_iteratorIjlEEPS6_PlSH_S8_NS0_8equal_toIS6_EEEE10hipError_tPvRmT2_T3_mT4_T5_T6_T7_T8_P12ihipStream_tbENKUlT_T0_E_clISt17integral_constantIbLb1EES11_EEDaSW_SX_EUlSW_E_NS1_11comp_targetILNS1_3genE10ELNS1_11target_archE1201ELNS1_3gpuE5ELNS1_3repE0EEENS1_30default_config_static_selectorELNS0_4arch9wavefront6targetE0EEEvT1_
	.p2align	8
	.type	_ZN7rocprim17ROCPRIM_400000_NS6detail17trampoline_kernelINS0_14default_configENS1_33run_length_encode_config_selectorIN3c108BFloat16EjNS0_4plusIjEEEEZZNS1_33reduce_by_key_impl_wrapped_configILNS1_25lookback_scan_determinismE0ES3_S9_PKS6_NS0_17constant_iteratorIjlEEPS6_PlSH_S8_NS0_8equal_toIS6_EEEE10hipError_tPvRmT2_T3_mT4_T5_T6_T7_T8_P12ihipStream_tbENKUlT_T0_E_clISt17integral_constantIbLb1EES11_EEDaSW_SX_EUlSW_E_NS1_11comp_targetILNS1_3genE10ELNS1_11target_archE1201ELNS1_3gpuE5ELNS1_3repE0EEENS1_30default_config_static_selectorELNS0_4arch9wavefront6targetE0EEEvT1_,@function
_ZN7rocprim17ROCPRIM_400000_NS6detail17trampoline_kernelINS0_14default_configENS1_33run_length_encode_config_selectorIN3c108BFloat16EjNS0_4plusIjEEEEZZNS1_33reduce_by_key_impl_wrapped_configILNS1_25lookback_scan_determinismE0ES3_S9_PKS6_NS0_17constant_iteratorIjlEEPS6_PlSH_S8_NS0_8equal_toIS6_EEEE10hipError_tPvRmT2_T3_mT4_T5_T6_T7_T8_P12ihipStream_tbENKUlT_T0_E_clISt17integral_constantIbLb1EES11_EEDaSW_SX_EUlSW_E_NS1_11comp_targetILNS1_3genE10ELNS1_11target_archE1201ELNS1_3gpuE5ELNS1_3repE0EEENS1_30default_config_static_selectorELNS0_4arch9wavefront6targetE0EEEvT1_: ; @_ZN7rocprim17ROCPRIM_400000_NS6detail17trampoline_kernelINS0_14default_configENS1_33run_length_encode_config_selectorIN3c108BFloat16EjNS0_4plusIjEEEEZZNS1_33reduce_by_key_impl_wrapped_configILNS1_25lookback_scan_determinismE0ES3_S9_PKS6_NS0_17constant_iteratorIjlEEPS6_PlSH_S8_NS0_8equal_toIS6_EEEE10hipError_tPvRmT2_T3_mT4_T5_T6_T7_T8_P12ihipStream_tbENKUlT_T0_E_clISt17integral_constantIbLb1EES11_EEDaSW_SX_EUlSW_E_NS1_11comp_targetILNS1_3genE10ELNS1_11target_archE1201ELNS1_3gpuE5ELNS1_3repE0EEENS1_30default_config_static_selectorELNS0_4arch9wavefront6targetE0EEEvT1_
; %bb.0:
	.section	.rodata,"a",@progbits
	.p2align	6, 0x0
	.amdhsa_kernel _ZN7rocprim17ROCPRIM_400000_NS6detail17trampoline_kernelINS0_14default_configENS1_33run_length_encode_config_selectorIN3c108BFloat16EjNS0_4plusIjEEEEZZNS1_33reduce_by_key_impl_wrapped_configILNS1_25lookback_scan_determinismE0ES3_S9_PKS6_NS0_17constant_iteratorIjlEEPS6_PlSH_S8_NS0_8equal_toIS6_EEEE10hipError_tPvRmT2_T3_mT4_T5_T6_T7_T8_P12ihipStream_tbENKUlT_T0_E_clISt17integral_constantIbLb1EES11_EEDaSW_SX_EUlSW_E_NS1_11comp_targetILNS1_3genE10ELNS1_11target_archE1201ELNS1_3gpuE5ELNS1_3repE0EEENS1_30default_config_static_selectorELNS0_4arch9wavefront6targetE0EEEvT1_
		.amdhsa_group_segment_fixed_size 0
		.amdhsa_private_segment_fixed_size 0
		.amdhsa_kernarg_size 128
		.amdhsa_user_sgpr_count 2
		.amdhsa_user_sgpr_dispatch_ptr 0
		.amdhsa_user_sgpr_queue_ptr 0
		.amdhsa_user_sgpr_kernarg_segment_ptr 1
		.amdhsa_user_sgpr_dispatch_id 0
		.amdhsa_user_sgpr_kernarg_preload_length 0
		.amdhsa_user_sgpr_kernarg_preload_offset 0
		.amdhsa_user_sgpr_private_segment_size 0
		.amdhsa_wavefront_size32 1
		.amdhsa_uses_dynamic_stack 0
		.amdhsa_enable_private_segment 0
		.amdhsa_system_sgpr_workgroup_id_x 1
		.amdhsa_system_sgpr_workgroup_id_y 0
		.amdhsa_system_sgpr_workgroup_id_z 0
		.amdhsa_system_sgpr_workgroup_info 0
		.amdhsa_system_vgpr_workitem_id 0
		.amdhsa_next_free_vgpr 1
		.amdhsa_next_free_sgpr 1
		.amdhsa_named_barrier_count 0
		.amdhsa_reserve_vcc 0
		.amdhsa_float_round_mode_32 0
		.amdhsa_float_round_mode_16_64 0
		.amdhsa_float_denorm_mode_32 3
		.amdhsa_float_denorm_mode_16_64 3
		.amdhsa_fp16_overflow 0
		.amdhsa_memory_ordered 1
		.amdhsa_forward_progress 1
		.amdhsa_inst_pref_size 0
		.amdhsa_round_robin_scheduling 0
		.amdhsa_exception_fp_ieee_invalid_op 0
		.amdhsa_exception_fp_denorm_src 0
		.amdhsa_exception_fp_ieee_div_zero 0
		.amdhsa_exception_fp_ieee_overflow 0
		.amdhsa_exception_fp_ieee_underflow 0
		.amdhsa_exception_fp_ieee_inexact 0
		.amdhsa_exception_int_div_zero 0
	.end_amdhsa_kernel
	.section	.text._ZN7rocprim17ROCPRIM_400000_NS6detail17trampoline_kernelINS0_14default_configENS1_33run_length_encode_config_selectorIN3c108BFloat16EjNS0_4plusIjEEEEZZNS1_33reduce_by_key_impl_wrapped_configILNS1_25lookback_scan_determinismE0ES3_S9_PKS6_NS0_17constant_iteratorIjlEEPS6_PlSH_S8_NS0_8equal_toIS6_EEEE10hipError_tPvRmT2_T3_mT4_T5_T6_T7_T8_P12ihipStream_tbENKUlT_T0_E_clISt17integral_constantIbLb1EES11_EEDaSW_SX_EUlSW_E_NS1_11comp_targetILNS1_3genE10ELNS1_11target_archE1201ELNS1_3gpuE5ELNS1_3repE0EEENS1_30default_config_static_selectorELNS0_4arch9wavefront6targetE0EEEvT1_,"axG",@progbits,_ZN7rocprim17ROCPRIM_400000_NS6detail17trampoline_kernelINS0_14default_configENS1_33run_length_encode_config_selectorIN3c108BFloat16EjNS0_4plusIjEEEEZZNS1_33reduce_by_key_impl_wrapped_configILNS1_25lookback_scan_determinismE0ES3_S9_PKS6_NS0_17constant_iteratorIjlEEPS6_PlSH_S8_NS0_8equal_toIS6_EEEE10hipError_tPvRmT2_T3_mT4_T5_T6_T7_T8_P12ihipStream_tbENKUlT_T0_E_clISt17integral_constantIbLb1EES11_EEDaSW_SX_EUlSW_E_NS1_11comp_targetILNS1_3genE10ELNS1_11target_archE1201ELNS1_3gpuE5ELNS1_3repE0EEENS1_30default_config_static_selectorELNS0_4arch9wavefront6targetE0EEEvT1_,comdat
.Lfunc_end870:
	.size	_ZN7rocprim17ROCPRIM_400000_NS6detail17trampoline_kernelINS0_14default_configENS1_33run_length_encode_config_selectorIN3c108BFloat16EjNS0_4plusIjEEEEZZNS1_33reduce_by_key_impl_wrapped_configILNS1_25lookback_scan_determinismE0ES3_S9_PKS6_NS0_17constant_iteratorIjlEEPS6_PlSH_S8_NS0_8equal_toIS6_EEEE10hipError_tPvRmT2_T3_mT4_T5_T6_T7_T8_P12ihipStream_tbENKUlT_T0_E_clISt17integral_constantIbLb1EES11_EEDaSW_SX_EUlSW_E_NS1_11comp_targetILNS1_3genE10ELNS1_11target_archE1201ELNS1_3gpuE5ELNS1_3repE0EEENS1_30default_config_static_selectorELNS0_4arch9wavefront6targetE0EEEvT1_, .Lfunc_end870-_ZN7rocprim17ROCPRIM_400000_NS6detail17trampoline_kernelINS0_14default_configENS1_33run_length_encode_config_selectorIN3c108BFloat16EjNS0_4plusIjEEEEZZNS1_33reduce_by_key_impl_wrapped_configILNS1_25lookback_scan_determinismE0ES3_S9_PKS6_NS0_17constant_iteratorIjlEEPS6_PlSH_S8_NS0_8equal_toIS6_EEEE10hipError_tPvRmT2_T3_mT4_T5_T6_T7_T8_P12ihipStream_tbENKUlT_T0_E_clISt17integral_constantIbLb1EES11_EEDaSW_SX_EUlSW_E_NS1_11comp_targetILNS1_3genE10ELNS1_11target_archE1201ELNS1_3gpuE5ELNS1_3repE0EEENS1_30default_config_static_selectorELNS0_4arch9wavefront6targetE0EEEvT1_
                                        ; -- End function
	.set _ZN7rocprim17ROCPRIM_400000_NS6detail17trampoline_kernelINS0_14default_configENS1_33run_length_encode_config_selectorIN3c108BFloat16EjNS0_4plusIjEEEEZZNS1_33reduce_by_key_impl_wrapped_configILNS1_25lookback_scan_determinismE0ES3_S9_PKS6_NS0_17constant_iteratorIjlEEPS6_PlSH_S8_NS0_8equal_toIS6_EEEE10hipError_tPvRmT2_T3_mT4_T5_T6_T7_T8_P12ihipStream_tbENKUlT_T0_E_clISt17integral_constantIbLb1EES11_EEDaSW_SX_EUlSW_E_NS1_11comp_targetILNS1_3genE10ELNS1_11target_archE1201ELNS1_3gpuE5ELNS1_3repE0EEENS1_30default_config_static_selectorELNS0_4arch9wavefront6targetE0EEEvT1_.num_vgpr, 0
	.set _ZN7rocprim17ROCPRIM_400000_NS6detail17trampoline_kernelINS0_14default_configENS1_33run_length_encode_config_selectorIN3c108BFloat16EjNS0_4plusIjEEEEZZNS1_33reduce_by_key_impl_wrapped_configILNS1_25lookback_scan_determinismE0ES3_S9_PKS6_NS0_17constant_iteratorIjlEEPS6_PlSH_S8_NS0_8equal_toIS6_EEEE10hipError_tPvRmT2_T3_mT4_T5_T6_T7_T8_P12ihipStream_tbENKUlT_T0_E_clISt17integral_constantIbLb1EES11_EEDaSW_SX_EUlSW_E_NS1_11comp_targetILNS1_3genE10ELNS1_11target_archE1201ELNS1_3gpuE5ELNS1_3repE0EEENS1_30default_config_static_selectorELNS0_4arch9wavefront6targetE0EEEvT1_.num_agpr, 0
	.set _ZN7rocprim17ROCPRIM_400000_NS6detail17trampoline_kernelINS0_14default_configENS1_33run_length_encode_config_selectorIN3c108BFloat16EjNS0_4plusIjEEEEZZNS1_33reduce_by_key_impl_wrapped_configILNS1_25lookback_scan_determinismE0ES3_S9_PKS6_NS0_17constant_iteratorIjlEEPS6_PlSH_S8_NS0_8equal_toIS6_EEEE10hipError_tPvRmT2_T3_mT4_T5_T6_T7_T8_P12ihipStream_tbENKUlT_T0_E_clISt17integral_constantIbLb1EES11_EEDaSW_SX_EUlSW_E_NS1_11comp_targetILNS1_3genE10ELNS1_11target_archE1201ELNS1_3gpuE5ELNS1_3repE0EEENS1_30default_config_static_selectorELNS0_4arch9wavefront6targetE0EEEvT1_.numbered_sgpr, 0
	.set _ZN7rocprim17ROCPRIM_400000_NS6detail17trampoline_kernelINS0_14default_configENS1_33run_length_encode_config_selectorIN3c108BFloat16EjNS0_4plusIjEEEEZZNS1_33reduce_by_key_impl_wrapped_configILNS1_25lookback_scan_determinismE0ES3_S9_PKS6_NS0_17constant_iteratorIjlEEPS6_PlSH_S8_NS0_8equal_toIS6_EEEE10hipError_tPvRmT2_T3_mT4_T5_T6_T7_T8_P12ihipStream_tbENKUlT_T0_E_clISt17integral_constantIbLb1EES11_EEDaSW_SX_EUlSW_E_NS1_11comp_targetILNS1_3genE10ELNS1_11target_archE1201ELNS1_3gpuE5ELNS1_3repE0EEENS1_30default_config_static_selectorELNS0_4arch9wavefront6targetE0EEEvT1_.num_named_barrier, 0
	.set _ZN7rocprim17ROCPRIM_400000_NS6detail17trampoline_kernelINS0_14default_configENS1_33run_length_encode_config_selectorIN3c108BFloat16EjNS0_4plusIjEEEEZZNS1_33reduce_by_key_impl_wrapped_configILNS1_25lookback_scan_determinismE0ES3_S9_PKS6_NS0_17constant_iteratorIjlEEPS6_PlSH_S8_NS0_8equal_toIS6_EEEE10hipError_tPvRmT2_T3_mT4_T5_T6_T7_T8_P12ihipStream_tbENKUlT_T0_E_clISt17integral_constantIbLb1EES11_EEDaSW_SX_EUlSW_E_NS1_11comp_targetILNS1_3genE10ELNS1_11target_archE1201ELNS1_3gpuE5ELNS1_3repE0EEENS1_30default_config_static_selectorELNS0_4arch9wavefront6targetE0EEEvT1_.private_seg_size, 0
	.set _ZN7rocprim17ROCPRIM_400000_NS6detail17trampoline_kernelINS0_14default_configENS1_33run_length_encode_config_selectorIN3c108BFloat16EjNS0_4plusIjEEEEZZNS1_33reduce_by_key_impl_wrapped_configILNS1_25lookback_scan_determinismE0ES3_S9_PKS6_NS0_17constant_iteratorIjlEEPS6_PlSH_S8_NS0_8equal_toIS6_EEEE10hipError_tPvRmT2_T3_mT4_T5_T6_T7_T8_P12ihipStream_tbENKUlT_T0_E_clISt17integral_constantIbLb1EES11_EEDaSW_SX_EUlSW_E_NS1_11comp_targetILNS1_3genE10ELNS1_11target_archE1201ELNS1_3gpuE5ELNS1_3repE0EEENS1_30default_config_static_selectorELNS0_4arch9wavefront6targetE0EEEvT1_.uses_vcc, 0
	.set _ZN7rocprim17ROCPRIM_400000_NS6detail17trampoline_kernelINS0_14default_configENS1_33run_length_encode_config_selectorIN3c108BFloat16EjNS0_4plusIjEEEEZZNS1_33reduce_by_key_impl_wrapped_configILNS1_25lookback_scan_determinismE0ES3_S9_PKS6_NS0_17constant_iteratorIjlEEPS6_PlSH_S8_NS0_8equal_toIS6_EEEE10hipError_tPvRmT2_T3_mT4_T5_T6_T7_T8_P12ihipStream_tbENKUlT_T0_E_clISt17integral_constantIbLb1EES11_EEDaSW_SX_EUlSW_E_NS1_11comp_targetILNS1_3genE10ELNS1_11target_archE1201ELNS1_3gpuE5ELNS1_3repE0EEENS1_30default_config_static_selectorELNS0_4arch9wavefront6targetE0EEEvT1_.uses_flat_scratch, 0
	.set _ZN7rocprim17ROCPRIM_400000_NS6detail17trampoline_kernelINS0_14default_configENS1_33run_length_encode_config_selectorIN3c108BFloat16EjNS0_4plusIjEEEEZZNS1_33reduce_by_key_impl_wrapped_configILNS1_25lookback_scan_determinismE0ES3_S9_PKS6_NS0_17constant_iteratorIjlEEPS6_PlSH_S8_NS0_8equal_toIS6_EEEE10hipError_tPvRmT2_T3_mT4_T5_T6_T7_T8_P12ihipStream_tbENKUlT_T0_E_clISt17integral_constantIbLb1EES11_EEDaSW_SX_EUlSW_E_NS1_11comp_targetILNS1_3genE10ELNS1_11target_archE1201ELNS1_3gpuE5ELNS1_3repE0EEENS1_30default_config_static_selectorELNS0_4arch9wavefront6targetE0EEEvT1_.has_dyn_sized_stack, 0
	.set _ZN7rocprim17ROCPRIM_400000_NS6detail17trampoline_kernelINS0_14default_configENS1_33run_length_encode_config_selectorIN3c108BFloat16EjNS0_4plusIjEEEEZZNS1_33reduce_by_key_impl_wrapped_configILNS1_25lookback_scan_determinismE0ES3_S9_PKS6_NS0_17constant_iteratorIjlEEPS6_PlSH_S8_NS0_8equal_toIS6_EEEE10hipError_tPvRmT2_T3_mT4_T5_T6_T7_T8_P12ihipStream_tbENKUlT_T0_E_clISt17integral_constantIbLb1EES11_EEDaSW_SX_EUlSW_E_NS1_11comp_targetILNS1_3genE10ELNS1_11target_archE1201ELNS1_3gpuE5ELNS1_3repE0EEENS1_30default_config_static_selectorELNS0_4arch9wavefront6targetE0EEEvT1_.has_recursion, 0
	.set _ZN7rocprim17ROCPRIM_400000_NS6detail17trampoline_kernelINS0_14default_configENS1_33run_length_encode_config_selectorIN3c108BFloat16EjNS0_4plusIjEEEEZZNS1_33reduce_by_key_impl_wrapped_configILNS1_25lookback_scan_determinismE0ES3_S9_PKS6_NS0_17constant_iteratorIjlEEPS6_PlSH_S8_NS0_8equal_toIS6_EEEE10hipError_tPvRmT2_T3_mT4_T5_T6_T7_T8_P12ihipStream_tbENKUlT_T0_E_clISt17integral_constantIbLb1EES11_EEDaSW_SX_EUlSW_E_NS1_11comp_targetILNS1_3genE10ELNS1_11target_archE1201ELNS1_3gpuE5ELNS1_3repE0EEENS1_30default_config_static_selectorELNS0_4arch9wavefront6targetE0EEEvT1_.has_indirect_call, 0
	.section	.AMDGPU.csdata,"",@progbits
; Kernel info:
; codeLenInByte = 0
; TotalNumSgprs: 0
; NumVgprs: 0
; ScratchSize: 0
; MemoryBound: 0
; FloatMode: 240
; IeeeMode: 1
; LDSByteSize: 0 bytes/workgroup (compile time only)
; SGPRBlocks: 0
; VGPRBlocks: 0
; NumSGPRsForWavesPerEU: 1
; NumVGPRsForWavesPerEU: 1
; NamedBarCnt: 0
; Occupancy: 16
; WaveLimiterHint : 0
; COMPUTE_PGM_RSRC2:SCRATCH_EN: 0
; COMPUTE_PGM_RSRC2:USER_SGPR: 2
; COMPUTE_PGM_RSRC2:TRAP_HANDLER: 0
; COMPUTE_PGM_RSRC2:TGID_X_EN: 1
; COMPUTE_PGM_RSRC2:TGID_Y_EN: 0
; COMPUTE_PGM_RSRC2:TGID_Z_EN: 0
; COMPUTE_PGM_RSRC2:TIDIG_COMP_CNT: 0
	.section	.text._ZN7rocprim17ROCPRIM_400000_NS6detail17trampoline_kernelINS0_14default_configENS1_33run_length_encode_config_selectorIN3c108BFloat16EjNS0_4plusIjEEEEZZNS1_33reduce_by_key_impl_wrapped_configILNS1_25lookback_scan_determinismE0ES3_S9_PKS6_NS0_17constant_iteratorIjlEEPS6_PlSH_S8_NS0_8equal_toIS6_EEEE10hipError_tPvRmT2_T3_mT4_T5_T6_T7_T8_P12ihipStream_tbENKUlT_T0_E_clISt17integral_constantIbLb1EES11_EEDaSW_SX_EUlSW_E_NS1_11comp_targetILNS1_3genE10ELNS1_11target_archE1200ELNS1_3gpuE4ELNS1_3repE0EEENS1_30default_config_static_selectorELNS0_4arch9wavefront6targetE0EEEvT1_,"axG",@progbits,_ZN7rocprim17ROCPRIM_400000_NS6detail17trampoline_kernelINS0_14default_configENS1_33run_length_encode_config_selectorIN3c108BFloat16EjNS0_4plusIjEEEEZZNS1_33reduce_by_key_impl_wrapped_configILNS1_25lookback_scan_determinismE0ES3_S9_PKS6_NS0_17constant_iteratorIjlEEPS6_PlSH_S8_NS0_8equal_toIS6_EEEE10hipError_tPvRmT2_T3_mT4_T5_T6_T7_T8_P12ihipStream_tbENKUlT_T0_E_clISt17integral_constantIbLb1EES11_EEDaSW_SX_EUlSW_E_NS1_11comp_targetILNS1_3genE10ELNS1_11target_archE1200ELNS1_3gpuE4ELNS1_3repE0EEENS1_30default_config_static_selectorELNS0_4arch9wavefront6targetE0EEEvT1_,comdat
	.protected	_ZN7rocprim17ROCPRIM_400000_NS6detail17trampoline_kernelINS0_14default_configENS1_33run_length_encode_config_selectorIN3c108BFloat16EjNS0_4plusIjEEEEZZNS1_33reduce_by_key_impl_wrapped_configILNS1_25lookback_scan_determinismE0ES3_S9_PKS6_NS0_17constant_iteratorIjlEEPS6_PlSH_S8_NS0_8equal_toIS6_EEEE10hipError_tPvRmT2_T3_mT4_T5_T6_T7_T8_P12ihipStream_tbENKUlT_T0_E_clISt17integral_constantIbLb1EES11_EEDaSW_SX_EUlSW_E_NS1_11comp_targetILNS1_3genE10ELNS1_11target_archE1200ELNS1_3gpuE4ELNS1_3repE0EEENS1_30default_config_static_selectorELNS0_4arch9wavefront6targetE0EEEvT1_ ; -- Begin function _ZN7rocprim17ROCPRIM_400000_NS6detail17trampoline_kernelINS0_14default_configENS1_33run_length_encode_config_selectorIN3c108BFloat16EjNS0_4plusIjEEEEZZNS1_33reduce_by_key_impl_wrapped_configILNS1_25lookback_scan_determinismE0ES3_S9_PKS6_NS0_17constant_iteratorIjlEEPS6_PlSH_S8_NS0_8equal_toIS6_EEEE10hipError_tPvRmT2_T3_mT4_T5_T6_T7_T8_P12ihipStream_tbENKUlT_T0_E_clISt17integral_constantIbLb1EES11_EEDaSW_SX_EUlSW_E_NS1_11comp_targetILNS1_3genE10ELNS1_11target_archE1200ELNS1_3gpuE4ELNS1_3repE0EEENS1_30default_config_static_selectorELNS0_4arch9wavefront6targetE0EEEvT1_
	.globl	_ZN7rocprim17ROCPRIM_400000_NS6detail17trampoline_kernelINS0_14default_configENS1_33run_length_encode_config_selectorIN3c108BFloat16EjNS0_4plusIjEEEEZZNS1_33reduce_by_key_impl_wrapped_configILNS1_25lookback_scan_determinismE0ES3_S9_PKS6_NS0_17constant_iteratorIjlEEPS6_PlSH_S8_NS0_8equal_toIS6_EEEE10hipError_tPvRmT2_T3_mT4_T5_T6_T7_T8_P12ihipStream_tbENKUlT_T0_E_clISt17integral_constantIbLb1EES11_EEDaSW_SX_EUlSW_E_NS1_11comp_targetILNS1_3genE10ELNS1_11target_archE1200ELNS1_3gpuE4ELNS1_3repE0EEENS1_30default_config_static_selectorELNS0_4arch9wavefront6targetE0EEEvT1_
	.p2align	8
	.type	_ZN7rocprim17ROCPRIM_400000_NS6detail17trampoline_kernelINS0_14default_configENS1_33run_length_encode_config_selectorIN3c108BFloat16EjNS0_4plusIjEEEEZZNS1_33reduce_by_key_impl_wrapped_configILNS1_25lookback_scan_determinismE0ES3_S9_PKS6_NS0_17constant_iteratorIjlEEPS6_PlSH_S8_NS0_8equal_toIS6_EEEE10hipError_tPvRmT2_T3_mT4_T5_T6_T7_T8_P12ihipStream_tbENKUlT_T0_E_clISt17integral_constantIbLb1EES11_EEDaSW_SX_EUlSW_E_NS1_11comp_targetILNS1_3genE10ELNS1_11target_archE1200ELNS1_3gpuE4ELNS1_3repE0EEENS1_30default_config_static_selectorELNS0_4arch9wavefront6targetE0EEEvT1_,@function
_ZN7rocprim17ROCPRIM_400000_NS6detail17trampoline_kernelINS0_14default_configENS1_33run_length_encode_config_selectorIN3c108BFloat16EjNS0_4plusIjEEEEZZNS1_33reduce_by_key_impl_wrapped_configILNS1_25lookback_scan_determinismE0ES3_S9_PKS6_NS0_17constant_iteratorIjlEEPS6_PlSH_S8_NS0_8equal_toIS6_EEEE10hipError_tPvRmT2_T3_mT4_T5_T6_T7_T8_P12ihipStream_tbENKUlT_T0_E_clISt17integral_constantIbLb1EES11_EEDaSW_SX_EUlSW_E_NS1_11comp_targetILNS1_3genE10ELNS1_11target_archE1200ELNS1_3gpuE4ELNS1_3repE0EEENS1_30default_config_static_selectorELNS0_4arch9wavefront6targetE0EEEvT1_: ; @_ZN7rocprim17ROCPRIM_400000_NS6detail17trampoline_kernelINS0_14default_configENS1_33run_length_encode_config_selectorIN3c108BFloat16EjNS0_4plusIjEEEEZZNS1_33reduce_by_key_impl_wrapped_configILNS1_25lookback_scan_determinismE0ES3_S9_PKS6_NS0_17constant_iteratorIjlEEPS6_PlSH_S8_NS0_8equal_toIS6_EEEE10hipError_tPvRmT2_T3_mT4_T5_T6_T7_T8_P12ihipStream_tbENKUlT_T0_E_clISt17integral_constantIbLb1EES11_EEDaSW_SX_EUlSW_E_NS1_11comp_targetILNS1_3genE10ELNS1_11target_archE1200ELNS1_3gpuE4ELNS1_3repE0EEENS1_30default_config_static_selectorELNS0_4arch9wavefront6targetE0EEEvT1_
; %bb.0:
	.section	.rodata,"a",@progbits
	.p2align	6, 0x0
	.amdhsa_kernel _ZN7rocprim17ROCPRIM_400000_NS6detail17trampoline_kernelINS0_14default_configENS1_33run_length_encode_config_selectorIN3c108BFloat16EjNS0_4plusIjEEEEZZNS1_33reduce_by_key_impl_wrapped_configILNS1_25lookback_scan_determinismE0ES3_S9_PKS6_NS0_17constant_iteratorIjlEEPS6_PlSH_S8_NS0_8equal_toIS6_EEEE10hipError_tPvRmT2_T3_mT4_T5_T6_T7_T8_P12ihipStream_tbENKUlT_T0_E_clISt17integral_constantIbLb1EES11_EEDaSW_SX_EUlSW_E_NS1_11comp_targetILNS1_3genE10ELNS1_11target_archE1200ELNS1_3gpuE4ELNS1_3repE0EEENS1_30default_config_static_selectorELNS0_4arch9wavefront6targetE0EEEvT1_
		.amdhsa_group_segment_fixed_size 0
		.amdhsa_private_segment_fixed_size 0
		.amdhsa_kernarg_size 128
		.amdhsa_user_sgpr_count 2
		.amdhsa_user_sgpr_dispatch_ptr 0
		.amdhsa_user_sgpr_queue_ptr 0
		.amdhsa_user_sgpr_kernarg_segment_ptr 1
		.amdhsa_user_sgpr_dispatch_id 0
		.amdhsa_user_sgpr_kernarg_preload_length 0
		.amdhsa_user_sgpr_kernarg_preload_offset 0
		.amdhsa_user_sgpr_private_segment_size 0
		.amdhsa_wavefront_size32 1
		.amdhsa_uses_dynamic_stack 0
		.amdhsa_enable_private_segment 0
		.amdhsa_system_sgpr_workgroup_id_x 1
		.amdhsa_system_sgpr_workgroup_id_y 0
		.amdhsa_system_sgpr_workgroup_id_z 0
		.amdhsa_system_sgpr_workgroup_info 0
		.amdhsa_system_vgpr_workitem_id 0
		.amdhsa_next_free_vgpr 1
		.amdhsa_next_free_sgpr 1
		.amdhsa_named_barrier_count 0
		.amdhsa_reserve_vcc 0
		.amdhsa_float_round_mode_32 0
		.amdhsa_float_round_mode_16_64 0
		.amdhsa_float_denorm_mode_32 3
		.amdhsa_float_denorm_mode_16_64 3
		.amdhsa_fp16_overflow 0
		.amdhsa_memory_ordered 1
		.amdhsa_forward_progress 1
		.amdhsa_inst_pref_size 0
		.amdhsa_round_robin_scheduling 0
		.amdhsa_exception_fp_ieee_invalid_op 0
		.amdhsa_exception_fp_denorm_src 0
		.amdhsa_exception_fp_ieee_div_zero 0
		.amdhsa_exception_fp_ieee_overflow 0
		.amdhsa_exception_fp_ieee_underflow 0
		.amdhsa_exception_fp_ieee_inexact 0
		.amdhsa_exception_int_div_zero 0
	.end_amdhsa_kernel
	.section	.text._ZN7rocprim17ROCPRIM_400000_NS6detail17trampoline_kernelINS0_14default_configENS1_33run_length_encode_config_selectorIN3c108BFloat16EjNS0_4plusIjEEEEZZNS1_33reduce_by_key_impl_wrapped_configILNS1_25lookback_scan_determinismE0ES3_S9_PKS6_NS0_17constant_iteratorIjlEEPS6_PlSH_S8_NS0_8equal_toIS6_EEEE10hipError_tPvRmT2_T3_mT4_T5_T6_T7_T8_P12ihipStream_tbENKUlT_T0_E_clISt17integral_constantIbLb1EES11_EEDaSW_SX_EUlSW_E_NS1_11comp_targetILNS1_3genE10ELNS1_11target_archE1200ELNS1_3gpuE4ELNS1_3repE0EEENS1_30default_config_static_selectorELNS0_4arch9wavefront6targetE0EEEvT1_,"axG",@progbits,_ZN7rocprim17ROCPRIM_400000_NS6detail17trampoline_kernelINS0_14default_configENS1_33run_length_encode_config_selectorIN3c108BFloat16EjNS0_4plusIjEEEEZZNS1_33reduce_by_key_impl_wrapped_configILNS1_25lookback_scan_determinismE0ES3_S9_PKS6_NS0_17constant_iteratorIjlEEPS6_PlSH_S8_NS0_8equal_toIS6_EEEE10hipError_tPvRmT2_T3_mT4_T5_T6_T7_T8_P12ihipStream_tbENKUlT_T0_E_clISt17integral_constantIbLb1EES11_EEDaSW_SX_EUlSW_E_NS1_11comp_targetILNS1_3genE10ELNS1_11target_archE1200ELNS1_3gpuE4ELNS1_3repE0EEENS1_30default_config_static_selectorELNS0_4arch9wavefront6targetE0EEEvT1_,comdat
.Lfunc_end871:
	.size	_ZN7rocprim17ROCPRIM_400000_NS6detail17trampoline_kernelINS0_14default_configENS1_33run_length_encode_config_selectorIN3c108BFloat16EjNS0_4plusIjEEEEZZNS1_33reduce_by_key_impl_wrapped_configILNS1_25lookback_scan_determinismE0ES3_S9_PKS6_NS0_17constant_iteratorIjlEEPS6_PlSH_S8_NS0_8equal_toIS6_EEEE10hipError_tPvRmT2_T3_mT4_T5_T6_T7_T8_P12ihipStream_tbENKUlT_T0_E_clISt17integral_constantIbLb1EES11_EEDaSW_SX_EUlSW_E_NS1_11comp_targetILNS1_3genE10ELNS1_11target_archE1200ELNS1_3gpuE4ELNS1_3repE0EEENS1_30default_config_static_selectorELNS0_4arch9wavefront6targetE0EEEvT1_, .Lfunc_end871-_ZN7rocprim17ROCPRIM_400000_NS6detail17trampoline_kernelINS0_14default_configENS1_33run_length_encode_config_selectorIN3c108BFloat16EjNS0_4plusIjEEEEZZNS1_33reduce_by_key_impl_wrapped_configILNS1_25lookback_scan_determinismE0ES3_S9_PKS6_NS0_17constant_iteratorIjlEEPS6_PlSH_S8_NS0_8equal_toIS6_EEEE10hipError_tPvRmT2_T3_mT4_T5_T6_T7_T8_P12ihipStream_tbENKUlT_T0_E_clISt17integral_constantIbLb1EES11_EEDaSW_SX_EUlSW_E_NS1_11comp_targetILNS1_3genE10ELNS1_11target_archE1200ELNS1_3gpuE4ELNS1_3repE0EEENS1_30default_config_static_selectorELNS0_4arch9wavefront6targetE0EEEvT1_
                                        ; -- End function
	.set _ZN7rocprim17ROCPRIM_400000_NS6detail17trampoline_kernelINS0_14default_configENS1_33run_length_encode_config_selectorIN3c108BFloat16EjNS0_4plusIjEEEEZZNS1_33reduce_by_key_impl_wrapped_configILNS1_25lookback_scan_determinismE0ES3_S9_PKS6_NS0_17constant_iteratorIjlEEPS6_PlSH_S8_NS0_8equal_toIS6_EEEE10hipError_tPvRmT2_T3_mT4_T5_T6_T7_T8_P12ihipStream_tbENKUlT_T0_E_clISt17integral_constantIbLb1EES11_EEDaSW_SX_EUlSW_E_NS1_11comp_targetILNS1_3genE10ELNS1_11target_archE1200ELNS1_3gpuE4ELNS1_3repE0EEENS1_30default_config_static_selectorELNS0_4arch9wavefront6targetE0EEEvT1_.num_vgpr, 0
	.set _ZN7rocprim17ROCPRIM_400000_NS6detail17trampoline_kernelINS0_14default_configENS1_33run_length_encode_config_selectorIN3c108BFloat16EjNS0_4plusIjEEEEZZNS1_33reduce_by_key_impl_wrapped_configILNS1_25lookback_scan_determinismE0ES3_S9_PKS6_NS0_17constant_iteratorIjlEEPS6_PlSH_S8_NS0_8equal_toIS6_EEEE10hipError_tPvRmT2_T3_mT4_T5_T6_T7_T8_P12ihipStream_tbENKUlT_T0_E_clISt17integral_constantIbLb1EES11_EEDaSW_SX_EUlSW_E_NS1_11comp_targetILNS1_3genE10ELNS1_11target_archE1200ELNS1_3gpuE4ELNS1_3repE0EEENS1_30default_config_static_selectorELNS0_4arch9wavefront6targetE0EEEvT1_.num_agpr, 0
	.set _ZN7rocprim17ROCPRIM_400000_NS6detail17trampoline_kernelINS0_14default_configENS1_33run_length_encode_config_selectorIN3c108BFloat16EjNS0_4plusIjEEEEZZNS1_33reduce_by_key_impl_wrapped_configILNS1_25lookback_scan_determinismE0ES3_S9_PKS6_NS0_17constant_iteratorIjlEEPS6_PlSH_S8_NS0_8equal_toIS6_EEEE10hipError_tPvRmT2_T3_mT4_T5_T6_T7_T8_P12ihipStream_tbENKUlT_T0_E_clISt17integral_constantIbLb1EES11_EEDaSW_SX_EUlSW_E_NS1_11comp_targetILNS1_3genE10ELNS1_11target_archE1200ELNS1_3gpuE4ELNS1_3repE0EEENS1_30default_config_static_selectorELNS0_4arch9wavefront6targetE0EEEvT1_.numbered_sgpr, 0
	.set _ZN7rocprim17ROCPRIM_400000_NS6detail17trampoline_kernelINS0_14default_configENS1_33run_length_encode_config_selectorIN3c108BFloat16EjNS0_4plusIjEEEEZZNS1_33reduce_by_key_impl_wrapped_configILNS1_25lookback_scan_determinismE0ES3_S9_PKS6_NS0_17constant_iteratorIjlEEPS6_PlSH_S8_NS0_8equal_toIS6_EEEE10hipError_tPvRmT2_T3_mT4_T5_T6_T7_T8_P12ihipStream_tbENKUlT_T0_E_clISt17integral_constantIbLb1EES11_EEDaSW_SX_EUlSW_E_NS1_11comp_targetILNS1_3genE10ELNS1_11target_archE1200ELNS1_3gpuE4ELNS1_3repE0EEENS1_30default_config_static_selectorELNS0_4arch9wavefront6targetE0EEEvT1_.num_named_barrier, 0
	.set _ZN7rocprim17ROCPRIM_400000_NS6detail17trampoline_kernelINS0_14default_configENS1_33run_length_encode_config_selectorIN3c108BFloat16EjNS0_4plusIjEEEEZZNS1_33reduce_by_key_impl_wrapped_configILNS1_25lookback_scan_determinismE0ES3_S9_PKS6_NS0_17constant_iteratorIjlEEPS6_PlSH_S8_NS0_8equal_toIS6_EEEE10hipError_tPvRmT2_T3_mT4_T5_T6_T7_T8_P12ihipStream_tbENKUlT_T0_E_clISt17integral_constantIbLb1EES11_EEDaSW_SX_EUlSW_E_NS1_11comp_targetILNS1_3genE10ELNS1_11target_archE1200ELNS1_3gpuE4ELNS1_3repE0EEENS1_30default_config_static_selectorELNS0_4arch9wavefront6targetE0EEEvT1_.private_seg_size, 0
	.set _ZN7rocprim17ROCPRIM_400000_NS6detail17trampoline_kernelINS0_14default_configENS1_33run_length_encode_config_selectorIN3c108BFloat16EjNS0_4plusIjEEEEZZNS1_33reduce_by_key_impl_wrapped_configILNS1_25lookback_scan_determinismE0ES3_S9_PKS6_NS0_17constant_iteratorIjlEEPS6_PlSH_S8_NS0_8equal_toIS6_EEEE10hipError_tPvRmT2_T3_mT4_T5_T6_T7_T8_P12ihipStream_tbENKUlT_T0_E_clISt17integral_constantIbLb1EES11_EEDaSW_SX_EUlSW_E_NS1_11comp_targetILNS1_3genE10ELNS1_11target_archE1200ELNS1_3gpuE4ELNS1_3repE0EEENS1_30default_config_static_selectorELNS0_4arch9wavefront6targetE0EEEvT1_.uses_vcc, 0
	.set _ZN7rocprim17ROCPRIM_400000_NS6detail17trampoline_kernelINS0_14default_configENS1_33run_length_encode_config_selectorIN3c108BFloat16EjNS0_4plusIjEEEEZZNS1_33reduce_by_key_impl_wrapped_configILNS1_25lookback_scan_determinismE0ES3_S9_PKS6_NS0_17constant_iteratorIjlEEPS6_PlSH_S8_NS0_8equal_toIS6_EEEE10hipError_tPvRmT2_T3_mT4_T5_T6_T7_T8_P12ihipStream_tbENKUlT_T0_E_clISt17integral_constantIbLb1EES11_EEDaSW_SX_EUlSW_E_NS1_11comp_targetILNS1_3genE10ELNS1_11target_archE1200ELNS1_3gpuE4ELNS1_3repE0EEENS1_30default_config_static_selectorELNS0_4arch9wavefront6targetE0EEEvT1_.uses_flat_scratch, 0
	.set _ZN7rocprim17ROCPRIM_400000_NS6detail17trampoline_kernelINS0_14default_configENS1_33run_length_encode_config_selectorIN3c108BFloat16EjNS0_4plusIjEEEEZZNS1_33reduce_by_key_impl_wrapped_configILNS1_25lookback_scan_determinismE0ES3_S9_PKS6_NS0_17constant_iteratorIjlEEPS6_PlSH_S8_NS0_8equal_toIS6_EEEE10hipError_tPvRmT2_T3_mT4_T5_T6_T7_T8_P12ihipStream_tbENKUlT_T0_E_clISt17integral_constantIbLb1EES11_EEDaSW_SX_EUlSW_E_NS1_11comp_targetILNS1_3genE10ELNS1_11target_archE1200ELNS1_3gpuE4ELNS1_3repE0EEENS1_30default_config_static_selectorELNS0_4arch9wavefront6targetE0EEEvT1_.has_dyn_sized_stack, 0
	.set _ZN7rocprim17ROCPRIM_400000_NS6detail17trampoline_kernelINS0_14default_configENS1_33run_length_encode_config_selectorIN3c108BFloat16EjNS0_4plusIjEEEEZZNS1_33reduce_by_key_impl_wrapped_configILNS1_25lookback_scan_determinismE0ES3_S9_PKS6_NS0_17constant_iteratorIjlEEPS6_PlSH_S8_NS0_8equal_toIS6_EEEE10hipError_tPvRmT2_T3_mT4_T5_T6_T7_T8_P12ihipStream_tbENKUlT_T0_E_clISt17integral_constantIbLb1EES11_EEDaSW_SX_EUlSW_E_NS1_11comp_targetILNS1_3genE10ELNS1_11target_archE1200ELNS1_3gpuE4ELNS1_3repE0EEENS1_30default_config_static_selectorELNS0_4arch9wavefront6targetE0EEEvT1_.has_recursion, 0
	.set _ZN7rocprim17ROCPRIM_400000_NS6detail17trampoline_kernelINS0_14default_configENS1_33run_length_encode_config_selectorIN3c108BFloat16EjNS0_4plusIjEEEEZZNS1_33reduce_by_key_impl_wrapped_configILNS1_25lookback_scan_determinismE0ES3_S9_PKS6_NS0_17constant_iteratorIjlEEPS6_PlSH_S8_NS0_8equal_toIS6_EEEE10hipError_tPvRmT2_T3_mT4_T5_T6_T7_T8_P12ihipStream_tbENKUlT_T0_E_clISt17integral_constantIbLb1EES11_EEDaSW_SX_EUlSW_E_NS1_11comp_targetILNS1_3genE10ELNS1_11target_archE1200ELNS1_3gpuE4ELNS1_3repE0EEENS1_30default_config_static_selectorELNS0_4arch9wavefront6targetE0EEEvT1_.has_indirect_call, 0
	.section	.AMDGPU.csdata,"",@progbits
; Kernel info:
; codeLenInByte = 0
; TotalNumSgprs: 0
; NumVgprs: 0
; ScratchSize: 0
; MemoryBound: 0
; FloatMode: 240
; IeeeMode: 1
; LDSByteSize: 0 bytes/workgroup (compile time only)
; SGPRBlocks: 0
; VGPRBlocks: 0
; NumSGPRsForWavesPerEU: 1
; NumVGPRsForWavesPerEU: 1
; NamedBarCnt: 0
; Occupancy: 16
; WaveLimiterHint : 0
; COMPUTE_PGM_RSRC2:SCRATCH_EN: 0
; COMPUTE_PGM_RSRC2:USER_SGPR: 2
; COMPUTE_PGM_RSRC2:TRAP_HANDLER: 0
; COMPUTE_PGM_RSRC2:TGID_X_EN: 1
; COMPUTE_PGM_RSRC2:TGID_Y_EN: 0
; COMPUTE_PGM_RSRC2:TGID_Z_EN: 0
; COMPUTE_PGM_RSRC2:TIDIG_COMP_CNT: 0
	.section	.text._ZN7rocprim17ROCPRIM_400000_NS6detail17trampoline_kernelINS0_14default_configENS1_33run_length_encode_config_selectorIN3c108BFloat16EjNS0_4plusIjEEEEZZNS1_33reduce_by_key_impl_wrapped_configILNS1_25lookback_scan_determinismE0ES3_S9_PKS6_NS0_17constant_iteratorIjlEEPS6_PlSH_S8_NS0_8equal_toIS6_EEEE10hipError_tPvRmT2_T3_mT4_T5_T6_T7_T8_P12ihipStream_tbENKUlT_T0_E_clISt17integral_constantIbLb1EES11_EEDaSW_SX_EUlSW_E_NS1_11comp_targetILNS1_3genE9ELNS1_11target_archE1100ELNS1_3gpuE3ELNS1_3repE0EEENS1_30default_config_static_selectorELNS0_4arch9wavefront6targetE0EEEvT1_,"axG",@progbits,_ZN7rocprim17ROCPRIM_400000_NS6detail17trampoline_kernelINS0_14default_configENS1_33run_length_encode_config_selectorIN3c108BFloat16EjNS0_4plusIjEEEEZZNS1_33reduce_by_key_impl_wrapped_configILNS1_25lookback_scan_determinismE0ES3_S9_PKS6_NS0_17constant_iteratorIjlEEPS6_PlSH_S8_NS0_8equal_toIS6_EEEE10hipError_tPvRmT2_T3_mT4_T5_T6_T7_T8_P12ihipStream_tbENKUlT_T0_E_clISt17integral_constantIbLb1EES11_EEDaSW_SX_EUlSW_E_NS1_11comp_targetILNS1_3genE9ELNS1_11target_archE1100ELNS1_3gpuE3ELNS1_3repE0EEENS1_30default_config_static_selectorELNS0_4arch9wavefront6targetE0EEEvT1_,comdat
	.protected	_ZN7rocprim17ROCPRIM_400000_NS6detail17trampoline_kernelINS0_14default_configENS1_33run_length_encode_config_selectorIN3c108BFloat16EjNS0_4plusIjEEEEZZNS1_33reduce_by_key_impl_wrapped_configILNS1_25lookback_scan_determinismE0ES3_S9_PKS6_NS0_17constant_iteratorIjlEEPS6_PlSH_S8_NS0_8equal_toIS6_EEEE10hipError_tPvRmT2_T3_mT4_T5_T6_T7_T8_P12ihipStream_tbENKUlT_T0_E_clISt17integral_constantIbLb1EES11_EEDaSW_SX_EUlSW_E_NS1_11comp_targetILNS1_3genE9ELNS1_11target_archE1100ELNS1_3gpuE3ELNS1_3repE0EEENS1_30default_config_static_selectorELNS0_4arch9wavefront6targetE0EEEvT1_ ; -- Begin function _ZN7rocprim17ROCPRIM_400000_NS6detail17trampoline_kernelINS0_14default_configENS1_33run_length_encode_config_selectorIN3c108BFloat16EjNS0_4plusIjEEEEZZNS1_33reduce_by_key_impl_wrapped_configILNS1_25lookback_scan_determinismE0ES3_S9_PKS6_NS0_17constant_iteratorIjlEEPS6_PlSH_S8_NS0_8equal_toIS6_EEEE10hipError_tPvRmT2_T3_mT4_T5_T6_T7_T8_P12ihipStream_tbENKUlT_T0_E_clISt17integral_constantIbLb1EES11_EEDaSW_SX_EUlSW_E_NS1_11comp_targetILNS1_3genE9ELNS1_11target_archE1100ELNS1_3gpuE3ELNS1_3repE0EEENS1_30default_config_static_selectorELNS0_4arch9wavefront6targetE0EEEvT1_
	.globl	_ZN7rocprim17ROCPRIM_400000_NS6detail17trampoline_kernelINS0_14default_configENS1_33run_length_encode_config_selectorIN3c108BFloat16EjNS0_4plusIjEEEEZZNS1_33reduce_by_key_impl_wrapped_configILNS1_25lookback_scan_determinismE0ES3_S9_PKS6_NS0_17constant_iteratorIjlEEPS6_PlSH_S8_NS0_8equal_toIS6_EEEE10hipError_tPvRmT2_T3_mT4_T5_T6_T7_T8_P12ihipStream_tbENKUlT_T0_E_clISt17integral_constantIbLb1EES11_EEDaSW_SX_EUlSW_E_NS1_11comp_targetILNS1_3genE9ELNS1_11target_archE1100ELNS1_3gpuE3ELNS1_3repE0EEENS1_30default_config_static_selectorELNS0_4arch9wavefront6targetE0EEEvT1_
	.p2align	8
	.type	_ZN7rocprim17ROCPRIM_400000_NS6detail17trampoline_kernelINS0_14default_configENS1_33run_length_encode_config_selectorIN3c108BFloat16EjNS0_4plusIjEEEEZZNS1_33reduce_by_key_impl_wrapped_configILNS1_25lookback_scan_determinismE0ES3_S9_PKS6_NS0_17constant_iteratorIjlEEPS6_PlSH_S8_NS0_8equal_toIS6_EEEE10hipError_tPvRmT2_T3_mT4_T5_T6_T7_T8_P12ihipStream_tbENKUlT_T0_E_clISt17integral_constantIbLb1EES11_EEDaSW_SX_EUlSW_E_NS1_11comp_targetILNS1_3genE9ELNS1_11target_archE1100ELNS1_3gpuE3ELNS1_3repE0EEENS1_30default_config_static_selectorELNS0_4arch9wavefront6targetE0EEEvT1_,@function
_ZN7rocprim17ROCPRIM_400000_NS6detail17trampoline_kernelINS0_14default_configENS1_33run_length_encode_config_selectorIN3c108BFloat16EjNS0_4plusIjEEEEZZNS1_33reduce_by_key_impl_wrapped_configILNS1_25lookback_scan_determinismE0ES3_S9_PKS6_NS0_17constant_iteratorIjlEEPS6_PlSH_S8_NS0_8equal_toIS6_EEEE10hipError_tPvRmT2_T3_mT4_T5_T6_T7_T8_P12ihipStream_tbENKUlT_T0_E_clISt17integral_constantIbLb1EES11_EEDaSW_SX_EUlSW_E_NS1_11comp_targetILNS1_3genE9ELNS1_11target_archE1100ELNS1_3gpuE3ELNS1_3repE0EEENS1_30default_config_static_selectorELNS0_4arch9wavefront6targetE0EEEvT1_: ; @_ZN7rocprim17ROCPRIM_400000_NS6detail17trampoline_kernelINS0_14default_configENS1_33run_length_encode_config_selectorIN3c108BFloat16EjNS0_4plusIjEEEEZZNS1_33reduce_by_key_impl_wrapped_configILNS1_25lookback_scan_determinismE0ES3_S9_PKS6_NS0_17constant_iteratorIjlEEPS6_PlSH_S8_NS0_8equal_toIS6_EEEE10hipError_tPvRmT2_T3_mT4_T5_T6_T7_T8_P12ihipStream_tbENKUlT_T0_E_clISt17integral_constantIbLb1EES11_EEDaSW_SX_EUlSW_E_NS1_11comp_targetILNS1_3genE9ELNS1_11target_archE1100ELNS1_3gpuE3ELNS1_3repE0EEENS1_30default_config_static_selectorELNS0_4arch9wavefront6targetE0EEEvT1_
; %bb.0:
	.section	.rodata,"a",@progbits
	.p2align	6, 0x0
	.amdhsa_kernel _ZN7rocprim17ROCPRIM_400000_NS6detail17trampoline_kernelINS0_14default_configENS1_33run_length_encode_config_selectorIN3c108BFloat16EjNS0_4plusIjEEEEZZNS1_33reduce_by_key_impl_wrapped_configILNS1_25lookback_scan_determinismE0ES3_S9_PKS6_NS0_17constant_iteratorIjlEEPS6_PlSH_S8_NS0_8equal_toIS6_EEEE10hipError_tPvRmT2_T3_mT4_T5_T6_T7_T8_P12ihipStream_tbENKUlT_T0_E_clISt17integral_constantIbLb1EES11_EEDaSW_SX_EUlSW_E_NS1_11comp_targetILNS1_3genE9ELNS1_11target_archE1100ELNS1_3gpuE3ELNS1_3repE0EEENS1_30default_config_static_selectorELNS0_4arch9wavefront6targetE0EEEvT1_
		.amdhsa_group_segment_fixed_size 0
		.amdhsa_private_segment_fixed_size 0
		.amdhsa_kernarg_size 128
		.amdhsa_user_sgpr_count 2
		.amdhsa_user_sgpr_dispatch_ptr 0
		.amdhsa_user_sgpr_queue_ptr 0
		.amdhsa_user_sgpr_kernarg_segment_ptr 1
		.amdhsa_user_sgpr_dispatch_id 0
		.amdhsa_user_sgpr_kernarg_preload_length 0
		.amdhsa_user_sgpr_kernarg_preload_offset 0
		.amdhsa_user_sgpr_private_segment_size 0
		.amdhsa_wavefront_size32 1
		.amdhsa_uses_dynamic_stack 0
		.amdhsa_enable_private_segment 0
		.amdhsa_system_sgpr_workgroup_id_x 1
		.amdhsa_system_sgpr_workgroup_id_y 0
		.amdhsa_system_sgpr_workgroup_id_z 0
		.amdhsa_system_sgpr_workgroup_info 0
		.amdhsa_system_vgpr_workitem_id 0
		.amdhsa_next_free_vgpr 1
		.amdhsa_next_free_sgpr 1
		.amdhsa_named_barrier_count 0
		.amdhsa_reserve_vcc 0
		.amdhsa_float_round_mode_32 0
		.amdhsa_float_round_mode_16_64 0
		.amdhsa_float_denorm_mode_32 3
		.amdhsa_float_denorm_mode_16_64 3
		.amdhsa_fp16_overflow 0
		.amdhsa_memory_ordered 1
		.amdhsa_forward_progress 1
		.amdhsa_inst_pref_size 0
		.amdhsa_round_robin_scheduling 0
		.amdhsa_exception_fp_ieee_invalid_op 0
		.amdhsa_exception_fp_denorm_src 0
		.amdhsa_exception_fp_ieee_div_zero 0
		.amdhsa_exception_fp_ieee_overflow 0
		.amdhsa_exception_fp_ieee_underflow 0
		.amdhsa_exception_fp_ieee_inexact 0
		.amdhsa_exception_int_div_zero 0
	.end_amdhsa_kernel
	.section	.text._ZN7rocprim17ROCPRIM_400000_NS6detail17trampoline_kernelINS0_14default_configENS1_33run_length_encode_config_selectorIN3c108BFloat16EjNS0_4plusIjEEEEZZNS1_33reduce_by_key_impl_wrapped_configILNS1_25lookback_scan_determinismE0ES3_S9_PKS6_NS0_17constant_iteratorIjlEEPS6_PlSH_S8_NS0_8equal_toIS6_EEEE10hipError_tPvRmT2_T3_mT4_T5_T6_T7_T8_P12ihipStream_tbENKUlT_T0_E_clISt17integral_constantIbLb1EES11_EEDaSW_SX_EUlSW_E_NS1_11comp_targetILNS1_3genE9ELNS1_11target_archE1100ELNS1_3gpuE3ELNS1_3repE0EEENS1_30default_config_static_selectorELNS0_4arch9wavefront6targetE0EEEvT1_,"axG",@progbits,_ZN7rocprim17ROCPRIM_400000_NS6detail17trampoline_kernelINS0_14default_configENS1_33run_length_encode_config_selectorIN3c108BFloat16EjNS0_4plusIjEEEEZZNS1_33reduce_by_key_impl_wrapped_configILNS1_25lookback_scan_determinismE0ES3_S9_PKS6_NS0_17constant_iteratorIjlEEPS6_PlSH_S8_NS0_8equal_toIS6_EEEE10hipError_tPvRmT2_T3_mT4_T5_T6_T7_T8_P12ihipStream_tbENKUlT_T0_E_clISt17integral_constantIbLb1EES11_EEDaSW_SX_EUlSW_E_NS1_11comp_targetILNS1_3genE9ELNS1_11target_archE1100ELNS1_3gpuE3ELNS1_3repE0EEENS1_30default_config_static_selectorELNS0_4arch9wavefront6targetE0EEEvT1_,comdat
.Lfunc_end872:
	.size	_ZN7rocprim17ROCPRIM_400000_NS6detail17trampoline_kernelINS0_14default_configENS1_33run_length_encode_config_selectorIN3c108BFloat16EjNS0_4plusIjEEEEZZNS1_33reduce_by_key_impl_wrapped_configILNS1_25lookback_scan_determinismE0ES3_S9_PKS6_NS0_17constant_iteratorIjlEEPS6_PlSH_S8_NS0_8equal_toIS6_EEEE10hipError_tPvRmT2_T3_mT4_T5_T6_T7_T8_P12ihipStream_tbENKUlT_T0_E_clISt17integral_constantIbLb1EES11_EEDaSW_SX_EUlSW_E_NS1_11comp_targetILNS1_3genE9ELNS1_11target_archE1100ELNS1_3gpuE3ELNS1_3repE0EEENS1_30default_config_static_selectorELNS0_4arch9wavefront6targetE0EEEvT1_, .Lfunc_end872-_ZN7rocprim17ROCPRIM_400000_NS6detail17trampoline_kernelINS0_14default_configENS1_33run_length_encode_config_selectorIN3c108BFloat16EjNS0_4plusIjEEEEZZNS1_33reduce_by_key_impl_wrapped_configILNS1_25lookback_scan_determinismE0ES3_S9_PKS6_NS0_17constant_iteratorIjlEEPS6_PlSH_S8_NS0_8equal_toIS6_EEEE10hipError_tPvRmT2_T3_mT4_T5_T6_T7_T8_P12ihipStream_tbENKUlT_T0_E_clISt17integral_constantIbLb1EES11_EEDaSW_SX_EUlSW_E_NS1_11comp_targetILNS1_3genE9ELNS1_11target_archE1100ELNS1_3gpuE3ELNS1_3repE0EEENS1_30default_config_static_selectorELNS0_4arch9wavefront6targetE0EEEvT1_
                                        ; -- End function
	.set _ZN7rocprim17ROCPRIM_400000_NS6detail17trampoline_kernelINS0_14default_configENS1_33run_length_encode_config_selectorIN3c108BFloat16EjNS0_4plusIjEEEEZZNS1_33reduce_by_key_impl_wrapped_configILNS1_25lookback_scan_determinismE0ES3_S9_PKS6_NS0_17constant_iteratorIjlEEPS6_PlSH_S8_NS0_8equal_toIS6_EEEE10hipError_tPvRmT2_T3_mT4_T5_T6_T7_T8_P12ihipStream_tbENKUlT_T0_E_clISt17integral_constantIbLb1EES11_EEDaSW_SX_EUlSW_E_NS1_11comp_targetILNS1_3genE9ELNS1_11target_archE1100ELNS1_3gpuE3ELNS1_3repE0EEENS1_30default_config_static_selectorELNS0_4arch9wavefront6targetE0EEEvT1_.num_vgpr, 0
	.set _ZN7rocprim17ROCPRIM_400000_NS6detail17trampoline_kernelINS0_14default_configENS1_33run_length_encode_config_selectorIN3c108BFloat16EjNS0_4plusIjEEEEZZNS1_33reduce_by_key_impl_wrapped_configILNS1_25lookback_scan_determinismE0ES3_S9_PKS6_NS0_17constant_iteratorIjlEEPS6_PlSH_S8_NS0_8equal_toIS6_EEEE10hipError_tPvRmT2_T3_mT4_T5_T6_T7_T8_P12ihipStream_tbENKUlT_T0_E_clISt17integral_constantIbLb1EES11_EEDaSW_SX_EUlSW_E_NS1_11comp_targetILNS1_3genE9ELNS1_11target_archE1100ELNS1_3gpuE3ELNS1_3repE0EEENS1_30default_config_static_selectorELNS0_4arch9wavefront6targetE0EEEvT1_.num_agpr, 0
	.set _ZN7rocprim17ROCPRIM_400000_NS6detail17trampoline_kernelINS0_14default_configENS1_33run_length_encode_config_selectorIN3c108BFloat16EjNS0_4plusIjEEEEZZNS1_33reduce_by_key_impl_wrapped_configILNS1_25lookback_scan_determinismE0ES3_S9_PKS6_NS0_17constant_iteratorIjlEEPS6_PlSH_S8_NS0_8equal_toIS6_EEEE10hipError_tPvRmT2_T3_mT4_T5_T6_T7_T8_P12ihipStream_tbENKUlT_T0_E_clISt17integral_constantIbLb1EES11_EEDaSW_SX_EUlSW_E_NS1_11comp_targetILNS1_3genE9ELNS1_11target_archE1100ELNS1_3gpuE3ELNS1_3repE0EEENS1_30default_config_static_selectorELNS0_4arch9wavefront6targetE0EEEvT1_.numbered_sgpr, 0
	.set _ZN7rocprim17ROCPRIM_400000_NS6detail17trampoline_kernelINS0_14default_configENS1_33run_length_encode_config_selectorIN3c108BFloat16EjNS0_4plusIjEEEEZZNS1_33reduce_by_key_impl_wrapped_configILNS1_25lookback_scan_determinismE0ES3_S9_PKS6_NS0_17constant_iteratorIjlEEPS6_PlSH_S8_NS0_8equal_toIS6_EEEE10hipError_tPvRmT2_T3_mT4_T5_T6_T7_T8_P12ihipStream_tbENKUlT_T0_E_clISt17integral_constantIbLb1EES11_EEDaSW_SX_EUlSW_E_NS1_11comp_targetILNS1_3genE9ELNS1_11target_archE1100ELNS1_3gpuE3ELNS1_3repE0EEENS1_30default_config_static_selectorELNS0_4arch9wavefront6targetE0EEEvT1_.num_named_barrier, 0
	.set _ZN7rocprim17ROCPRIM_400000_NS6detail17trampoline_kernelINS0_14default_configENS1_33run_length_encode_config_selectorIN3c108BFloat16EjNS0_4plusIjEEEEZZNS1_33reduce_by_key_impl_wrapped_configILNS1_25lookback_scan_determinismE0ES3_S9_PKS6_NS0_17constant_iteratorIjlEEPS6_PlSH_S8_NS0_8equal_toIS6_EEEE10hipError_tPvRmT2_T3_mT4_T5_T6_T7_T8_P12ihipStream_tbENKUlT_T0_E_clISt17integral_constantIbLb1EES11_EEDaSW_SX_EUlSW_E_NS1_11comp_targetILNS1_3genE9ELNS1_11target_archE1100ELNS1_3gpuE3ELNS1_3repE0EEENS1_30default_config_static_selectorELNS0_4arch9wavefront6targetE0EEEvT1_.private_seg_size, 0
	.set _ZN7rocprim17ROCPRIM_400000_NS6detail17trampoline_kernelINS0_14default_configENS1_33run_length_encode_config_selectorIN3c108BFloat16EjNS0_4plusIjEEEEZZNS1_33reduce_by_key_impl_wrapped_configILNS1_25lookback_scan_determinismE0ES3_S9_PKS6_NS0_17constant_iteratorIjlEEPS6_PlSH_S8_NS0_8equal_toIS6_EEEE10hipError_tPvRmT2_T3_mT4_T5_T6_T7_T8_P12ihipStream_tbENKUlT_T0_E_clISt17integral_constantIbLb1EES11_EEDaSW_SX_EUlSW_E_NS1_11comp_targetILNS1_3genE9ELNS1_11target_archE1100ELNS1_3gpuE3ELNS1_3repE0EEENS1_30default_config_static_selectorELNS0_4arch9wavefront6targetE0EEEvT1_.uses_vcc, 0
	.set _ZN7rocprim17ROCPRIM_400000_NS6detail17trampoline_kernelINS0_14default_configENS1_33run_length_encode_config_selectorIN3c108BFloat16EjNS0_4plusIjEEEEZZNS1_33reduce_by_key_impl_wrapped_configILNS1_25lookback_scan_determinismE0ES3_S9_PKS6_NS0_17constant_iteratorIjlEEPS6_PlSH_S8_NS0_8equal_toIS6_EEEE10hipError_tPvRmT2_T3_mT4_T5_T6_T7_T8_P12ihipStream_tbENKUlT_T0_E_clISt17integral_constantIbLb1EES11_EEDaSW_SX_EUlSW_E_NS1_11comp_targetILNS1_3genE9ELNS1_11target_archE1100ELNS1_3gpuE3ELNS1_3repE0EEENS1_30default_config_static_selectorELNS0_4arch9wavefront6targetE0EEEvT1_.uses_flat_scratch, 0
	.set _ZN7rocprim17ROCPRIM_400000_NS6detail17trampoline_kernelINS0_14default_configENS1_33run_length_encode_config_selectorIN3c108BFloat16EjNS0_4plusIjEEEEZZNS1_33reduce_by_key_impl_wrapped_configILNS1_25lookback_scan_determinismE0ES3_S9_PKS6_NS0_17constant_iteratorIjlEEPS6_PlSH_S8_NS0_8equal_toIS6_EEEE10hipError_tPvRmT2_T3_mT4_T5_T6_T7_T8_P12ihipStream_tbENKUlT_T0_E_clISt17integral_constantIbLb1EES11_EEDaSW_SX_EUlSW_E_NS1_11comp_targetILNS1_3genE9ELNS1_11target_archE1100ELNS1_3gpuE3ELNS1_3repE0EEENS1_30default_config_static_selectorELNS0_4arch9wavefront6targetE0EEEvT1_.has_dyn_sized_stack, 0
	.set _ZN7rocprim17ROCPRIM_400000_NS6detail17trampoline_kernelINS0_14default_configENS1_33run_length_encode_config_selectorIN3c108BFloat16EjNS0_4plusIjEEEEZZNS1_33reduce_by_key_impl_wrapped_configILNS1_25lookback_scan_determinismE0ES3_S9_PKS6_NS0_17constant_iteratorIjlEEPS6_PlSH_S8_NS0_8equal_toIS6_EEEE10hipError_tPvRmT2_T3_mT4_T5_T6_T7_T8_P12ihipStream_tbENKUlT_T0_E_clISt17integral_constantIbLb1EES11_EEDaSW_SX_EUlSW_E_NS1_11comp_targetILNS1_3genE9ELNS1_11target_archE1100ELNS1_3gpuE3ELNS1_3repE0EEENS1_30default_config_static_selectorELNS0_4arch9wavefront6targetE0EEEvT1_.has_recursion, 0
	.set _ZN7rocprim17ROCPRIM_400000_NS6detail17trampoline_kernelINS0_14default_configENS1_33run_length_encode_config_selectorIN3c108BFloat16EjNS0_4plusIjEEEEZZNS1_33reduce_by_key_impl_wrapped_configILNS1_25lookback_scan_determinismE0ES3_S9_PKS6_NS0_17constant_iteratorIjlEEPS6_PlSH_S8_NS0_8equal_toIS6_EEEE10hipError_tPvRmT2_T3_mT4_T5_T6_T7_T8_P12ihipStream_tbENKUlT_T0_E_clISt17integral_constantIbLb1EES11_EEDaSW_SX_EUlSW_E_NS1_11comp_targetILNS1_3genE9ELNS1_11target_archE1100ELNS1_3gpuE3ELNS1_3repE0EEENS1_30default_config_static_selectorELNS0_4arch9wavefront6targetE0EEEvT1_.has_indirect_call, 0
	.section	.AMDGPU.csdata,"",@progbits
; Kernel info:
; codeLenInByte = 0
; TotalNumSgprs: 0
; NumVgprs: 0
; ScratchSize: 0
; MemoryBound: 0
; FloatMode: 240
; IeeeMode: 1
; LDSByteSize: 0 bytes/workgroup (compile time only)
; SGPRBlocks: 0
; VGPRBlocks: 0
; NumSGPRsForWavesPerEU: 1
; NumVGPRsForWavesPerEU: 1
; NamedBarCnt: 0
; Occupancy: 16
; WaveLimiterHint : 0
; COMPUTE_PGM_RSRC2:SCRATCH_EN: 0
; COMPUTE_PGM_RSRC2:USER_SGPR: 2
; COMPUTE_PGM_RSRC2:TRAP_HANDLER: 0
; COMPUTE_PGM_RSRC2:TGID_X_EN: 1
; COMPUTE_PGM_RSRC2:TGID_Y_EN: 0
; COMPUTE_PGM_RSRC2:TGID_Z_EN: 0
; COMPUTE_PGM_RSRC2:TIDIG_COMP_CNT: 0
	.section	.text._ZN7rocprim17ROCPRIM_400000_NS6detail17trampoline_kernelINS0_14default_configENS1_33run_length_encode_config_selectorIN3c108BFloat16EjNS0_4plusIjEEEEZZNS1_33reduce_by_key_impl_wrapped_configILNS1_25lookback_scan_determinismE0ES3_S9_PKS6_NS0_17constant_iteratorIjlEEPS6_PlSH_S8_NS0_8equal_toIS6_EEEE10hipError_tPvRmT2_T3_mT4_T5_T6_T7_T8_P12ihipStream_tbENKUlT_T0_E_clISt17integral_constantIbLb1EES11_EEDaSW_SX_EUlSW_E_NS1_11comp_targetILNS1_3genE8ELNS1_11target_archE1030ELNS1_3gpuE2ELNS1_3repE0EEENS1_30default_config_static_selectorELNS0_4arch9wavefront6targetE0EEEvT1_,"axG",@progbits,_ZN7rocprim17ROCPRIM_400000_NS6detail17trampoline_kernelINS0_14default_configENS1_33run_length_encode_config_selectorIN3c108BFloat16EjNS0_4plusIjEEEEZZNS1_33reduce_by_key_impl_wrapped_configILNS1_25lookback_scan_determinismE0ES3_S9_PKS6_NS0_17constant_iteratorIjlEEPS6_PlSH_S8_NS0_8equal_toIS6_EEEE10hipError_tPvRmT2_T3_mT4_T5_T6_T7_T8_P12ihipStream_tbENKUlT_T0_E_clISt17integral_constantIbLb1EES11_EEDaSW_SX_EUlSW_E_NS1_11comp_targetILNS1_3genE8ELNS1_11target_archE1030ELNS1_3gpuE2ELNS1_3repE0EEENS1_30default_config_static_selectorELNS0_4arch9wavefront6targetE0EEEvT1_,comdat
	.protected	_ZN7rocprim17ROCPRIM_400000_NS6detail17trampoline_kernelINS0_14default_configENS1_33run_length_encode_config_selectorIN3c108BFloat16EjNS0_4plusIjEEEEZZNS1_33reduce_by_key_impl_wrapped_configILNS1_25lookback_scan_determinismE0ES3_S9_PKS6_NS0_17constant_iteratorIjlEEPS6_PlSH_S8_NS0_8equal_toIS6_EEEE10hipError_tPvRmT2_T3_mT4_T5_T6_T7_T8_P12ihipStream_tbENKUlT_T0_E_clISt17integral_constantIbLb1EES11_EEDaSW_SX_EUlSW_E_NS1_11comp_targetILNS1_3genE8ELNS1_11target_archE1030ELNS1_3gpuE2ELNS1_3repE0EEENS1_30default_config_static_selectorELNS0_4arch9wavefront6targetE0EEEvT1_ ; -- Begin function _ZN7rocprim17ROCPRIM_400000_NS6detail17trampoline_kernelINS0_14default_configENS1_33run_length_encode_config_selectorIN3c108BFloat16EjNS0_4plusIjEEEEZZNS1_33reduce_by_key_impl_wrapped_configILNS1_25lookback_scan_determinismE0ES3_S9_PKS6_NS0_17constant_iteratorIjlEEPS6_PlSH_S8_NS0_8equal_toIS6_EEEE10hipError_tPvRmT2_T3_mT4_T5_T6_T7_T8_P12ihipStream_tbENKUlT_T0_E_clISt17integral_constantIbLb1EES11_EEDaSW_SX_EUlSW_E_NS1_11comp_targetILNS1_3genE8ELNS1_11target_archE1030ELNS1_3gpuE2ELNS1_3repE0EEENS1_30default_config_static_selectorELNS0_4arch9wavefront6targetE0EEEvT1_
	.globl	_ZN7rocprim17ROCPRIM_400000_NS6detail17trampoline_kernelINS0_14default_configENS1_33run_length_encode_config_selectorIN3c108BFloat16EjNS0_4plusIjEEEEZZNS1_33reduce_by_key_impl_wrapped_configILNS1_25lookback_scan_determinismE0ES3_S9_PKS6_NS0_17constant_iteratorIjlEEPS6_PlSH_S8_NS0_8equal_toIS6_EEEE10hipError_tPvRmT2_T3_mT4_T5_T6_T7_T8_P12ihipStream_tbENKUlT_T0_E_clISt17integral_constantIbLb1EES11_EEDaSW_SX_EUlSW_E_NS1_11comp_targetILNS1_3genE8ELNS1_11target_archE1030ELNS1_3gpuE2ELNS1_3repE0EEENS1_30default_config_static_selectorELNS0_4arch9wavefront6targetE0EEEvT1_
	.p2align	8
	.type	_ZN7rocprim17ROCPRIM_400000_NS6detail17trampoline_kernelINS0_14default_configENS1_33run_length_encode_config_selectorIN3c108BFloat16EjNS0_4plusIjEEEEZZNS1_33reduce_by_key_impl_wrapped_configILNS1_25lookback_scan_determinismE0ES3_S9_PKS6_NS0_17constant_iteratorIjlEEPS6_PlSH_S8_NS0_8equal_toIS6_EEEE10hipError_tPvRmT2_T3_mT4_T5_T6_T7_T8_P12ihipStream_tbENKUlT_T0_E_clISt17integral_constantIbLb1EES11_EEDaSW_SX_EUlSW_E_NS1_11comp_targetILNS1_3genE8ELNS1_11target_archE1030ELNS1_3gpuE2ELNS1_3repE0EEENS1_30default_config_static_selectorELNS0_4arch9wavefront6targetE0EEEvT1_,@function
_ZN7rocprim17ROCPRIM_400000_NS6detail17trampoline_kernelINS0_14default_configENS1_33run_length_encode_config_selectorIN3c108BFloat16EjNS0_4plusIjEEEEZZNS1_33reduce_by_key_impl_wrapped_configILNS1_25lookback_scan_determinismE0ES3_S9_PKS6_NS0_17constant_iteratorIjlEEPS6_PlSH_S8_NS0_8equal_toIS6_EEEE10hipError_tPvRmT2_T3_mT4_T5_T6_T7_T8_P12ihipStream_tbENKUlT_T0_E_clISt17integral_constantIbLb1EES11_EEDaSW_SX_EUlSW_E_NS1_11comp_targetILNS1_3genE8ELNS1_11target_archE1030ELNS1_3gpuE2ELNS1_3repE0EEENS1_30default_config_static_selectorELNS0_4arch9wavefront6targetE0EEEvT1_: ; @_ZN7rocprim17ROCPRIM_400000_NS6detail17trampoline_kernelINS0_14default_configENS1_33run_length_encode_config_selectorIN3c108BFloat16EjNS0_4plusIjEEEEZZNS1_33reduce_by_key_impl_wrapped_configILNS1_25lookback_scan_determinismE0ES3_S9_PKS6_NS0_17constant_iteratorIjlEEPS6_PlSH_S8_NS0_8equal_toIS6_EEEE10hipError_tPvRmT2_T3_mT4_T5_T6_T7_T8_P12ihipStream_tbENKUlT_T0_E_clISt17integral_constantIbLb1EES11_EEDaSW_SX_EUlSW_E_NS1_11comp_targetILNS1_3genE8ELNS1_11target_archE1030ELNS1_3gpuE2ELNS1_3repE0EEENS1_30default_config_static_selectorELNS0_4arch9wavefront6targetE0EEEvT1_
; %bb.0:
	.section	.rodata,"a",@progbits
	.p2align	6, 0x0
	.amdhsa_kernel _ZN7rocprim17ROCPRIM_400000_NS6detail17trampoline_kernelINS0_14default_configENS1_33run_length_encode_config_selectorIN3c108BFloat16EjNS0_4plusIjEEEEZZNS1_33reduce_by_key_impl_wrapped_configILNS1_25lookback_scan_determinismE0ES3_S9_PKS6_NS0_17constant_iteratorIjlEEPS6_PlSH_S8_NS0_8equal_toIS6_EEEE10hipError_tPvRmT2_T3_mT4_T5_T6_T7_T8_P12ihipStream_tbENKUlT_T0_E_clISt17integral_constantIbLb1EES11_EEDaSW_SX_EUlSW_E_NS1_11comp_targetILNS1_3genE8ELNS1_11target_archE1030ELNS1_3gpuE2ELNS1_3repE0EEENS1_30default_config_static_selectorELNS0_4arch9wavefront6targetE0EEEvT1_
		.amdhsa_group_segment_fixed_size 0
		.amdhsa_private_segment_fixed_size 0
		.amdhsa_kernarg_size 128
		.amdhsa_user_sgpr_count 2
		.amdhsa_user_sgpr_dispatch_ptr 0
		.amdhsa_user_sgpr_queue_ptr 0
		.amdhsa_user_sgpr_kernarg_segment_ptr 1
		.amdhsa_user_sgpr_dispatch_id 0
		.amdhsa_user_sgpr_kernarg_preload_length 0
		.amdhsa_user_sgpr_kernarg_preload_offset 0
		.amdhsa_user_sgpr_private_segment_size 0
		.amdhsa_wavefront_size32 1
		.amdhsa_uses_dynamic_stack 0
		.amdhsa_enable_private_segment 0
		.amdhsa_system_sgpr_workgroup_id_x 1
		.amdhsa_system_sgpr_workgroup_id_y 0
		.amdhsa_system_sgpr_workgroup_id_z 0
		.amdhsa_system_sgpr_workgroup_info 0
		.amdhsa_system_vgpr_workitem_id 0
		.amdhsa_next_free_vgpr 1
		.amdhsa_next_free_sgpr 1
		.amdhsa_named_barrier_count 0
		.amdhsa_reserve_vcc 0
		.amdhsa_float_round_mode_32 0
		.amdhsa_float_round_mode_16_64 0
		.amdhsa_float_denorm_mode_32 3
		.amdhsa_float_denorm_mode_16_64 3
		.amdhsa_fp16_overflow 0
		.amdhsa_memory_ordered 1
		.amdhsa_forward_progress 1
		.amdhsa_inst_pref_size 0
		.amdhsa_round_robin_scheduling 0
		.amdhsa_exception_fp_ieee_invalid_op 0
		.amdhsa_exception_fp_denorm_src 0
		.amdhsa_exception_fp_ieee_div_zero 0
		.amdhsa_exception_fp_ieee_overflow 0
		.amdhsa_exception_fp_ieee_underflow 0
		.amdhsa_exception_fp_ieee_inexact 0
		.amdhsa_exception_int_div_zero 0
	.end_amdhsa_kernel
	.section	.text._ZN7rocprim17ROCPRIM_400000_NS6detail17trampoline_kernelINS0_14default_configENS1_33run_length_encode_config_selectorIN3c108BFloat16EjNS0_4plusIjEEEEZZNS1_33reduce_by_key_impl_wrapped_configILNS1_25lookback_scan_determinismE0ES3_S9_PKS6_NS0_17constant_iteratorIjlEEPS6_PlSH_S8_NS0_8equal_toIS6_EEEE10hipError_tPvRmT2_T3_mT4_T5_T6_T7_T8_P12ihipStream_tbENKUlT_T0_E_clISt17integral_constantIbLb1EES11_EEDaSW_SX_EUlSW_E_NS1_11comp_targetILNS1_3genE8ELNS1_11target_archE1030ELNS1_3gpuE2ELNS1_3repE0EEENS1_30default_config_static_selectorELNS0_4arch9wavefront6targetE0EEEvT1_,"axG",@progbits,_ZN7rocprim17ROCPRIM_400000_NS6detail17trampoline_kernelINS0_14default_configENS1_33run_length_encode_config_selectorIN3c108BFloat16EjNS0_4plusIjEEEEZZNS1_33reduce_by_key_impl_wrapped_configILNS1_25lookback_scan_determinismE0ES3_S9_PKS6_NS0_17constant_iteratorIjlEEPS6_PlSH_S8_NS0_8equal_toIS6_EEEE10hipError_tPvRmT2_T3_mT4_T5_T6_T7_T8_P12ihipStream_tbENKUlT_T0_E_clISt17integral_constantIbLb1EES11_EEDaSW_SX_EUlSW_E_NS1_11comp_targetILNS1_3genE8ELNS1_11target_archE1030ELNS1_3gpuE2ELNS1_3repE0EEENS1_30default_config_static_selectorELNS0_4arch9wavefront6targetE0EEEvT1_,comdat
.Lfunc_end873:
	.size	_ZN7rocprim17ROCPRIM_400000_NS6detail17trampoline_kernelINS0_14default_configENS1_33run_length_encode_config_selectorIN3c108BFloat16EjNS0_4plusIjEEEEZZNS1_33reduce_by_key_impl_wrapped_configILNS1_25lookback_scan_determinismE0ES3_S9_PKS6_NS0_17constant_iteratorIjlEEPS6_PlSH_S8_NS0_8equal_toIS6_EEEE10hipError_tPvRmT2_T3_mT4_T5_T6_T7_T8_P12ihipStream_tbENKUlT_T0_E_clISt17integral_constantIbLb1EES11_EEDaSW_SX_EUlSW_E_NS1_11comp_targetILNS1_3genE8ELNS1_11target_archE1030ELNS1_3gpuE2ELNS1_3repE0EEENS1_30default_config_static_selectorELNS0_4arch9wavefront6targetE0EEEvT1_, .Lfunc_end873-_ZN7rocprim17ROCPRIM_400000_NS6detail17trampoline_kernelINS0_14default_configENS1_33run_length_encode_config_selectorIN3c108BFloat16EjNS0_4plusIjEEEEZZNS1_33reduce_by_key_impl_wrapped_configILNS1_25lookback_scan_determinismE0ES3_S9_PKS6_NS0_17constant_iteratorIjlEEPS6_PlSH_S8_NS0_8equal_toIS6_EEEE10hipError_tPvRmT2_T3_mT4_T5_T6_T7_T8_P12ihipStream_tbENKUlT_T0_E_clISt17integral_constantIbLb1EES11_EEDaSW_SX_EUlSW_E_NS1_11comp_targetILNS1_3genE8ELNS1_11target_archE1030ELNS1_3gpuE2ELNS1_3repE0EEENS1_30default_config_static_selectorELNS0_4arch9wavefront6targetE0EEEvT1_
                                        ; -- End function
	.set _ZN7rocprim17ROCPRIM_400000_NS6detail17trampoline_kernelINS0_14default_configENS1_33run_length_encode_config_selectorIN3c108BFloat16EjNS0_4plusIjEEEEZZNS1_33reduce_by_key_impl_wrapped_configILNS1_25lookback_scan_determinismE0ES3_S9_PKS6_NS0_17constant_iteratorIjlEEPS6_PlSH_S8_NS0_8equal_toIS6_EEEE10hipError_tPvRmT2_T3_mT4_T5_T6_T7_T8_P12ihipStream_tbENKUlT_T0_E_clISt17integral_constantIbLb1EES11_EEDaSW_SX_EUlSW_E_NS1_11comp_targetILNS1_3genE8ELNS1_11target_archE1030ELNS1_3gpuE2ELNS1_3repE0EEENS1_30default_config_static_selectorELNS0_4arch9wavefront6targetE0EEEvT1_.num_vgpr, 0
	.set _ZN7rocprim17ROCPRIM_400000_NS6detail17trampoline_kernelINS0_14default_configENS1_33run_length_encode_config_selectorIN3c108BFloat16EjNS0_4plusIjEEEEZZNS1_33reduce_by_key_impl_wrapped_configILNS1_25lookback_scan_determinismE0ES3_S9_PKS6_NS0_17constant_iteratorIjlEEPS6_PlSH_S8_NS0_8equal_toIS6_EEEE10hipError_tPvRmT2_T3_mT4_T5_T6_T7_T8_P12ihipStream_tbENKUlT_T0_E_clISt17integral_constantIbLb1EES11_EEDaSW_SX_EUlSW_E_NS1_11comp_targetILNS1_3genE8ELNS1_11target_archE1030ELNS1_3gpuE2ELNS1_3repE0EEENS1_30default_config_static_selectorELNS0_4arch9wavefront6targetE0EEEvT1_.num_agpr, 0
	.set _ZN7rocprim17ROCPRIM_400000_NS6detail17trampoline_kernelINS0_14default_configENS1_33run_length_encode_config_selectorIN3c108BFloat16EjNS0_4plusIjEEEEZZNS1_33reduce_by_key_impl_wrapped_configILNS1_25lookback_scan_determinismE0ES3_S9_PKS6_NS0_17constant_iteratorIjlEEPS6_PlSH_S8_NS0_8equal_toIS6_EEEE10hipError_tPvRmT2_T3_mT4_T5_T6_T7_T8_P12ihipStream_tbENKUlT_T0_E_clISt17integral_constantIbLb1EES11_EEDaSW_SX_EUlSW_E_NS1_11comp_targetILNS1_3genE8ELNS1_11target_archE1030ELNS1_3gpuE2ELNS1_3repE0EEENS1_30default_config_static_selectorELNS0_4arch9wavefront6targetE0EEEvT1_.numbered_sgpr, 0
	.set _ZN7rocprim17ROCPRIM_400000_NS6detail17trampoline_kernelINS0_14default_configENS1_33run_length_encode_config_selectorIN3c108BFloat16EjNS0_4plusIjEEEEZZNS1_33reduce_by_key_impl_wrapped_configILNS1_25lookback_scan_determinismE0ES3_S9_PKS6_NS0_17constant_iteratorIjlEEPS6_PlSH_S8_NS0_8equal_toIS6_EEEE10hipError_tPvRmT2_T3_mT4_T5_T6_T7_T8_P12ihipStream_tbENKUlT_T0_E_clISt17integral_constantIbLb1EES11_EEDaSW_SX_EUlSW_E_NS1_11comp_targetILNS1_3genE8ELNS1_11target_archE1030ELNS1_3gpuE2ELNS1_3repE0EEENS1_30default_config_static_selectorELNS0_4arch9wavefront6targetE0EEEvT1_.num_named_barrier, 0
	.set _ZN7rocprim17ROCPRIM_400000_NS6detail17trampoline_kernelINS0_14default_configENS1_33run_length_encode_config_selectorIN3c108BFloat16EjNS0_4plusIjEEEEZZNS1_33reduce_by_key_impl_wrapped_configILNS1_25lookback_scan_determinismE0ES3_S9_PKS6_NS0_17constant_iteratorIjlEEPS6_PlSH_S8_NS0_8equal_toIS6_EEEE10hipError_tPvRmT2_T3_mT4_T5_T6_T7_T8_P12ihipStream_tbENKUlT_T0_E_clISt17integral_constantIbLb1EES11_EEDaSW_SX_EUlSW_E_NS1_11comp_targetILNS1_3genE8ELNS1_11target_archE1030ELNS1_3gpuE2ELNS1_3repE0EEENS1_30default_config_static_selectorELNS0_4arch9wavefront6targetE0EEEvT1_.private_seg_size, 0
	.set _ZN7rocprim17ROCPRIM_400000_NS6detail17trampoline_kernelINS0_14default_configENS1_33run_length_encode_config_selectorIN3c108BFloat16EjNS0_4plusIjEEEEZZNS1_33reduce_by_key_impl_wrapped_configILNS1_25lookback_scan_determinismE0ES3_S9_PKS6_NS0_17constant_iteratorIjlEEPS6_PlSH_S8_NS0_8equal_toIS6_EEEE10hipError_tPvRmT2_T3_mT4_T5_T6_T7_T8_P12ihipStream_tbENKUlT_T0_E_clISt17integral_constantIbLb1EES11_EEDaSW_SX_EUlSW_E_NS1_11comp_targetILNS1_3genE8ELNS1_11target_archE1030ELNS1_3gpuE2ELNS1_3repE0EEENS1_30default_config_static_selectorELNS0_4arch9wavefront6targetE0EEEvT1_.uses_vcc, 0
	.set _ZN7rocprim17ROCPRIM_400000_NS6detail17trampoline_kernelINS0_14default_configENS1_33run_length_encode_config_selectorIN3c108BFloat16EjNS0_4plusIjEEEEZZNS1_33reduce_by_key_impl_wrapped_configILNS1_25lookback_scan_determinismE0ES3_S9_PKS6_NS0_17constant_iteratorIjlEEPS6_PlSH_S8_NS0_8equal_toIS6_EEEE10hipError_tPvRmT2_T3_mT4_T5_T6_T7_T8_P12ihipStream_tbENKUlT_T0_E_clISt17integral_constantIbLb1EES11_EEDaSW_SX_EUlSW_E_NS1_11comp_targetILNS1_3genE8ELNS1_11target_archE1030ELNS1_3gpuE2ELNS1_3repE0EEENS1_30default_config_static_selectorELNS0_4arch9wavefront6targetE0EEEvT1_.uses_flat_scratch, 0
	.set _ZN7rocprim17ROCPRIM_400000_NS6detail17trampoline_kernelINS0_14default_configENS1_33run_length_encode_config_selectorIN3c108BFloat16EjNS0_4plusIjEEEEZZNS1_33reduce_by_key_impl_wrapped_configILNS1_25lookback_scan_determinismE0ES3_S9_PKS6_NS0_17constant_iteratorIjlEEPS6_PlSH_S8_NS0_8equal_toIS6_EEEE10hipError_tPvRmT2_T3_mT4_T5_T6_T7_T8_P12ihipStream_tbENKUlT_T0_E_clISt17integral_constantIbLb1EES11_EEDaSW_SX_EUlSW_E_NS1_11comp_targetILNS1_3genE8ELNS1_11target_archE1030ELNS1_3gpuE2ELNS1_3repE0EEENS1_30default_config_static_selectorELNS0_4arch9wavefront6targetE0EEEvT1_.has_dyn_sized_stack, 0
	.set _ZN7rocprim17ROCPRIM_400000_NS6detail17trampoline_kernelINS0_14default_configENS1_33run_length_encode_config_selectorIN3c108BFloat16EjNS0_4plusIjEEEEZZNS1_33reduce_by_key_impl_wrapped_configILNS1_25lookback_scan_determinismE0ES3_S9_PKS6_NS0_17constant_iteratorIjlEEPS6_PlSH_S8_NS0_8equal_toIS6_EEEE10hipError_tPvRmT2_T3_mT4_T5_T6_T7_T8_P12ihipStream_tbENKUlT_T0_E_clISt17integral_constantIbLb1EES11_EEDaSW_SX_EUlSW_E_NS1_11comp_targetILNS1_3genE8ELNS1_11target_archE1030ELNS1_3gpuE2ELNS1_3repE0EEENS1_30default_config_static_selectorELNS0_4arch9wavefront6targetE0EEEvT1_.has_recursion, 0
	.set _ZN7rocprim17ROCPRIM_400000_NS6detail17trampoline_kernelINS0_14default_configENS1_33run_length_encode_config_selectorIN3c108BFloat16EjNS0_4plusIjEEEEZZNS1_33reduce_by_key_impl_wrapped_configILNS1_25lookback_scan_determinismE0ES3_S9_PKS6_NS0_17constant_iteratorIjlEEPS6_PlSH_S8_NS0_8equal_toIS6_EEEE10hipError_tPvRmT2_T3_mT4_T5_T6_T7_T8_P12ihipStream_tbENKUlT_T0_E_clISt17integral_constantIbLb1EES11_EEDaSW_SX_EUlSW_E_NS1_11comp_targetILNS1_3genE8ELNS1_11target_archE1030ELNS1_3gpuE2ELNS1_3repE0EEENS1_30default_config_static_selectorELNS0_4arch9wavefront6targetE0EEEvT1_.has_indirect_call, 0
	.section	.AMDGPU.csdata,"",@progbits
; Kernel info:
; codeLenInByte = 0
; TotalNumSgprs: 0
; NumVgprs: 0
; ScratchSize: 0
; MemoryBound: 0
; FloatMode: 240
; IeeeMode: 1
; LDSByteSize: 0 bytes/workgroup (compile time only)
; SGPRBlocks: 0
; VGPRBlocks: 0
; NumSGPRsForWavesPerEU: 1
; NumVGPRsForWavesPerEU: 1
; NamedBarCnt: 0
; Occupancy: 16
; WaveLimiterHint : 0
; COMPUTE_PGM_RSRC2:SCRATCH_EN: 0
; COMPUTE_PGM_RSRC2:USER_SGPR: 2
; COMPUTE_PGM_RSRC2:TRAP_HANDLER: 0
; COMPUTE_PGM_RSRC2:TGID_X_EN: 1
; COMPUTE_PGM_RSRC2:TGID_Y_EN: 0
; COMPUTE_PGM_RSRC2:TGID_Z_EN: 0
; COMPUTE_PGM_RSRC2:TIDIG_COMP_CNT: 0
	.section	.text._ZN7rocprim17ROCPRIM_400000_NS6detail17trampoline_kernelINS0_14default_configENS1_33run_length_encode_config_selectorIN3c108BFloat16EjNS0_4plusIjEEEEZZNS1_33reduce_by_key_impl_wrapped_configILNS1_25lookback_scan_determinismE0ES3_S9_PKS6_NS0_17constant_iteratorIjlEEPS6_PlSH_S8_NS0_8equal_toIS6_EEEE10hipError_tPvRmT2_T3_mT4_T5_T6_T7_T8_P12ihipStream_tbENKUlT_T0_E_clISt17integral_constantIbLb1EES10_IbLb0EEEEDaSW_SX_EUlSW_E_NS1_11comp_targetILNS1_3genE0ELNS1_11target_archE4294967295ELNS1_3gpuE0ELNS1_3repE0EEENS1_30default_config_static_selectorELNS0_4arch9wavefront6targetE0EEEvT1_,"axG",@progbits,_ZN7rocprim17ROCPRIM_400000_NS6detail17trampoline_kernelINS0_14default_configENS1_33run_length_encode_config_selectorIN3c108BFloat16EjNS0_4plusIjEEEEZZNS1_33reduce_by_key_impl_wrapped_configILNS1_25lookback_scan_determinismE0ES3_S9_PKS6_NS0_17constant_iteratorIjlEEPS6_PlSH_S8_NS0_8equal_toIS6_EEEE10hipError_tPvRmT2_T3_mT4_T5_T6_T7_T8_P12ihipStream_tbENKUlT_T0_E_clISt17integral_constantIbLb1EES10_IbLb0EEEEDaSW_SX_EUlSW_E_NS1_11comp_targetILNS1_3genE0ELNS1_11target_archE4294967295ELNS1_3gpuE0ELNS1_3repE0EEENS1_30default_config_static_selectorELNS0_4arch9wavefront6targetE0EEEvT1_,comdat
	.protected	_ZN7rocprim17ROCPRIM_400000_NS6detail17trampoline_kernelINS0_14default_configENS1_33run_length_encode_config_selectorIN3c108BFloat16EjNS0_4plusIjEEEEZZNS1_33reduce_by_key_impl_wrapped_configILNS1_25lookback_scan_determinismE0ES3_S9_PKS6_NS0_17constant_iteratorIjlEEPS6_PlSH_S8_NS0_8equal_toIS6_EEEE10hipError_tPvRmT2_T3_mT4_T5_T6_T7_T8_P12ihipStream_tbENKUlT_T0_E_clISt17integral_constantIbLb1EES10_IbLb0EEEEDaSW_SX_EUlSW_E_NS1_11comp_targetILNS1_3genE0ELNS1_11target_archE4294967295ELNS1_3gpuE0ELNS1_3repE0EEENS1_30default_config_static_selectorELNS0_4arch9wavefront6targetE0EEEvT1_ ; -- Begin function _ZN7rocprim17ROCPRIM_400000_NS6detail17trampoline_kernelINS0_14default_configENS1_33run_length_encode_config_selectorIN3c108BFloat16EjNS0_4plusIjEEEEZZNS1_33reduce_by_key_impl_wrapped_configILNS1_25lookback_scan_determinismE0ES3_S9_PKS6_NS0_17constant_iteratorIjlEEPS6_PlSH_S8_NS0_8equal_toIS6_EEEE10hipError_tPvRmT2_T3_mT4_T5_T6_T7_T8_P12ihipStream_tbENKUlT_T0_E_clISt17integral_constantIbLb1EES10_IbLb0EEEEDaSW_SX_EUlSW_E_NS1_11comp_targetILNS1_3genE0ELNS1_11target_archE4294967295ELNS1_3gpuE0ELNS1_3repE0EEENS1_30default_config_static_selectorELNS0_4arch9wavefront6targetE0EEEvT1_
	.globl	_ZN7rocprim17ROCPRIM_400000_NS6detail17trampoline_kernelINS0_14default_configENS1_33run_length_encode_config_selectorIN3c108BFloat16EjNS0_4plusIjEEEEZZNS1_33reduce_by_key_impl_wrapped_configILNS1_25lookback_scan_determinismE0ES3_S9_PKS6_NS0_17constant_iteratorIjlEEPS6_PlSH_S8_NS0_8equal_toIS6_EEEE10hipError_tPvRmT2_T3_mT4_T5_T6_T7_T8_P12ihipStream_tbENKUlT_T0_E_clISt17integral_constantIbLb1EES10_IbLb0EEEEDaSW_SX_EUlSW_E_NS1_11comp_targetILNS1_3genE0ELNS1_11target_archE4294967295ELNS1_3gpuE0ELNS1_3repE0EEENS1_30default_config_static_selectorELNS0_4arch9wavefront6targetE0EEEvT1_
	.p2align	8
	.type	_ZN7rocprim17ROCPRIM_400000_NS6detail17trampoline_kernelINS0_14default_configENS1_33run_length_encode_config_selectorIN3c108BFloat16EjNS0_4plusIjEEEEZZNS1_33reduce_by_key_impl_wrapped_configILNS1_25lookback_scan_determinismE0ES3_S9_PKS6_NS0_17constant_iteratorIjlEEPS6_PlSH_S8_NS0_8equal_toIS6_EEEE10hipError_tPvRmT2_T3_mT4_T5_T6_T7_T8_P12ihipStream_tbENKUlT_T0_E_clISt17integral_constantIbLb1EES10_IbLb0EEEEDaSW_SX_EUlSW_E_NS1_11comp_targetILNS1_3genE0ELNS1_11target_archE4294967295ELNS1_3gpuE0ELNS1_3repE0EEENS1_30default_config_static_selectorELNS0_4arch9wavefront6targetE0EEEvT1_,@function
_ZN7rocprim17ROCPRIM_400000_NS6detail17trampoline_kernelINS0_14default_configENS1_33run_length_encode_config_selectorIN3c108BFloat16EjNS0_4plusIjEEEEZZNS1_33reduce_by_key_impl_wrapped_configILNS1_25lookback_scan_determinismE0ES3_S9_PKS6_NS0_17constant_iteratorIjlEEPS6_PlSH_S8_NS0_8equal_toIS6_EEEE10hipError_tPvRmT2_T3_mT4_T5_T6_T7_T8_P12ihipStream_tbENKUlT_T0_E_clISt17integral_constantIbLb1EES10_IbLb0EEEEDaSW_SX_EUlSW_E_NS1_11comp_targetILNS1_3genE0ELNS1_11target_archE4294967295ELNS1_3gpuE0ELNS1_3repE0EEENS1_30default_config_static_selectorELNS0_4arch9wavefront6targetE0EEEvT1_: ; @_ZN7rocprim17ROCPRIM_400000_NS6detail17trampoline_kernelINS0_14default_configENS1_33run_length_encode_config_selectorIN3c108BFloat16EjNS0_4plusIjEEEEZZNS1_33reduce_by_key_impl_wrapped_configILNS1_25lookback_scan_determinismE0ES3_S9_PKS6_NS0_17constant_iteratorIjlEEPS6_PlSH_S8_NS0_8equal_toIS6_EEEE10hipError_tPvRmT2_T3_mT4_T5_T6_T7_T8_P12ihipStream_tbENKUlT_T0_E_clISt17integral_constantIbLb1EES10_IbLb0EEEEDaSW_SX_EUlSW_E_NS1_11comp_targetILNS1_3genE0ELNS1_11target_archE4294967295ELNS1_3gpuE0ELNS1_3repE0EEENS1_30default_config_static_selectorELNS0_4arch9wavefront6targetE0EEEvT1_
; %bb.0:
	s_endpgm
	.section	.rodata,"a",@progbits
	.p2align	6, 0x0
	.amdhsa_kernel _ZN7rocprim17ROCPRIM_400000_NS6detail17trampoline_kernelINS0_14default_configENS1_33run_length_encode_config_selectorIN3c108BFloat16EjNS0_4plusIjEEEEZZNS1_33reduce_by_key_impl_wrapped_configILNS1_25lookback_scan_determinismE0ES3_S9_PKS6_NS0_17constant_iteratorIjlEEPS6_PlSH_S8_NS0_8equal_toIS6_EEEE10hipError_tPvRmT2_T3_mT4_T5_T6_T7_T8_P12ihipStream_tbENKUlT_T0_E_clISt17integral_constantIbLb1EES10_IbLb0EEEEDaSW_SX_EUlSW_E_NS1_11comp_targetILNS1_3genE0ELNS1_11target_archE4294967295ELNS1_3gpuE0ELNS1_3repE0EEENS1_30default_config_static_selectorELNS0_4arch9wavefront6targetE0EEEvT1_
		.amdhsa_group_segment_fixed_size 0
		.amdhsa_private_segment_fixed_size 0
		.amdhsa_kernarg_size 128
		.amdhsa_user_sgpr_count 2
		.amdhsa_user_sgpr_dispatch_ptr 0
		.amdhsa_user_sgpr_queue_ptr 0
		.amdhsa_user_sgpr_kernarg_segment_ptr 1
		.amdhsa_user_sgpr_dispatch_id 0
		.amdhsa_user_sgpr_kernarg_preload_length 0
		.amdhsa_user_sgpr_kernarg_preload_offset 0
		.amdhsa_user_sgpr_private_segment_size 0
		.amdhsa_wavefront_size32 1
		.amdhsa_uses_dynamic_stack 0
		.amdhsa_enable_private_segment 0
		.amdhsa_system_sgpr_workgroup_id_x 1
		.amdhsa_system_sgpr_workgroup_id_y 0
		.amdhsa_system_sgpr_workgroup_id_z 0
		.amdhsa_system_sgpr_workgroup_info 0
		.amdhsa_system_vgpr_workitem_id 0
		.amdhsa_next_free_vgpr 1
		.amdhsa_next_free_sgpr 1
		.amdhsa_named_barrier_count 0
		.amdhsa_reserve_vcc 0
		.amdhsa_float_round_mode_32 0
		.amdhsa_float_round_mode_16_64 0
		.amdhsa_float_denorm_mode_32 3
		.amdhsa_float_denorm_mode_16_64 3
		.amdhsa_fp16_overflow 0
		.amdhsa_memory_ordered 1
		.amdhsa_forward_progress 1
		.amdhsa_inst_pref_size 1
		.amdhsa_round_robin_scheduling 0
		.amdhsa_exception_fp_ieee_invalid_op 0
		.amdhsa_exception_fp_denorm_src 0
		.amdhsa_exception_fp_ieee_div_zero 0
		.amdhsa_exception_fp_ieee_overflow 0
		.amdhsa_exception_fp_ieee_underflow 0
		.amdhsa_exception_fp_ieee_inexact 0
		.amdhsa_exception_int_div_zero 0
	.end_amdhsa_kernel
	.section	.text._ZN7rocprim17ROCPRIM_400000_NS6detail17trampoline_kernelINS0_14default_configENS1_33run_length_encode_config_selectorIN3c108BFloat16EjNS0_4plusIjEEEEZZNS1_33reduce_by_key_impl_wrapped_configILNS1_25lookback_scan_determinismE0ES3_S9_PKS6_NS0_17constant_iteratorIjlEEPS6_PlSH_S8_NS0_8equal_toIS6_EEEE10hipError_tPvRmT2_T3_mT4_T5_T6_T7_T8_P12ihipStream_tbENKUlT_T0_E_clISt17integral_constantIbLb1EES10_IbLb0EEEEDaSW_SX_EUlSW_E_NS1_11comp_targetILNS1_3genE0ELNS1_11target_archE4294967295ELNS1_3gpuE0ELNS1_3repE0EEENS1_30default_config_static_selectorELNS0_4arch9wavefront6targetE0EEEvT1_,"axG",@progbits,_ZN7rocprim17ROCPRIM_400000_NS6detail17trampoline_kernelINS0_14default_configENS1_33run_length_encode_config_selectorIN3c108BFloat16EjNS0_4plusIjEEEEZZNS1_33reduce_by_key_impl_wrapped_configILNS1_25lookback_scan_determinismE0ES3_S9_PKS6_NS0_17constant_iteratorIjlEEPS6_PlSH_S8_NS0_8equal_toIS6_EEEE10hipError_tPvRmT2_T3_mT4_T5_T6_T7_T8_P12ihipStream_tbENKUlT_T0_E_clISt17integral_constantIbLb1EES10_IbLb0EEEEDaSW_SX_EUlSW_E_NS1_11comp_targetILNS1_3genE0ELNS1_11target_archE4294967295ELNS1_3gpuE0ELNS1_3repE0EEENS1_30default_config_static_selectorELNS0_4arch9wavefront6targetE0EEEvT1_,comdat
.Lfunc_end874:
	.size	_ZN7rocprim17ROCPRIM_400000_NS6detail17trampoline_kernelINS0_14default_configENS1_33run_length_encode_config_selectorIN3c108BFloat16EjNS0_4plusIjEEEEZZNS1_33reduce_by_key_impl_wrapped_configILNS1_25lookback_scan_determinismE0ES3_S9_PKS6_NS0_17constant_iteratorIjlEEPS6_PlSH_S8_NS0_8equal_toIS6_EEEE10hipError_tPvRmT2_T3_mT4_T5_T6_T7_T8_P12ihipStream_tbENKUlT_T0_E_clISt17integral_constantIbLb1EES10_IbLb0EEEEDaSW_SX_EUlSW_E_NS1_11comp_targetILNS1_3genE0ELNS1_11target_archE4294967295ELNS1_3gpuE0ELNS1_3repE0EEENS1_30default_config_static_selectorELNS0_4arch9wavefront6targetE0EEEvT1_, .Lfunc_end874-_ZN7rocprim17ROCPRIM_400000_NS6detail17trampoline_kernelINS0_14default_configENS1_33run_length_encode_config_selectorIN3c108BFloat16EjNS0_4plusIjEEEEZZNS1_33reduce_by_key_impl_wrapped_configILNS1_25lookback_scan_determinismE0ES3_S9_PKS6_NS0_17constant_iteratorIjlEEPS6_PlSH_S8_NS0_8equal_toIS6_EEEE10hipError_tPvRmT2_T3_mT4_T5_T6_T7_T8_P12ihipStream_tbENKUlT_T0_E_clISt17integral_constantIbLb1EES10_IbLb0EEEEDaSW_SX_EUlSW_E_NS1_11comp_targetILNS1_3genE0ELNS1_11target_archE4294967295ELNS1_3gpuE0ELNS1_3repE0EEENS1_30default_config_static_selectorELNS0_4arch9wavefront6targetE0EEEvT1_
                                        ; -- End function
	.set _ZN7rocprim17ROCPRIM_400000_NS6detail17trampoline_kernelINS0_14default_configENS1_33run_length_encode_config_selectorIN3c108BFloat16EjNS0_4plusIjEEEEZZNS1_33reduce_by_key_impl_wrapped_configILNS1_25lookback_scan_determinismE0ES3_S9_PKS6_NS0_17constant_iteratorIjlEEPS6_PlSH_S8_NS0_8equal_toIS6_EEEE10hipError_tPvRmT2_T3_mT4_T5_T6_T7_T8_P12ihipStream_tbENKUlT_T0_E_clISt17integral_constantIbLb1EES10_IbLb0EEEEDaSW_SX_EUlSW_E_NS1_11comp_targetILNS1_3genE0ELNS1_11target_archE4294967295ELNS1_3gpuE0ELNS1_3repE0EEENS1_30default_config_static_selectorELNS0_4arch9wavefront6targetE0EEEvT1_.num_vgpr, 0
	.set _ZN7rocprim17ROCPRIM_400000_NS6detail17trampoline_kernelINS0_14default_configENS1_33run_length_encode_config_selectorIN3c108BFloat16EjNS0_4plusIjEEEEZZNS1_33reduce_by_key_impl_wrapped_configILNS1_25lookback_scan_determinismE0ES3_S9_PKS6_NS0_17constant_iteratorIjlEEPS6_PlSH_S8_NS0_8equal_toIS6_EEEE10hipError_tPvRmT2_T3_mT4_T5_T6_T7_T8_P12ihipStream_tbENKUlT_T0_E_clISt17integral_constantIbLb1EES10_IbLb0EEEEDaSW_SX_EUlSW_E_NS1_11comp_targetILNS1_3genE0ELNS1_11target_archE4294967295ELNS1_3gpuE0ELNS1_3repE0EEENS1_30default_config_static_selectorELNS0_4arch9wavefront6targetE0EEEvT1_.num_agpr, 0
	.set _ZN7rocprim17ROCPRIM_400000_NS6detail17trampoline_kernelINS0_14default_configENS1_33run_length_encode_config_selectorIN3c108BFloat16EjNS0_4plusIjEEEEZZNS1_33reduce_by_key_impl_wrapped_configILNS1_25lookback_scan_determinismE0ES3_S9_PKS6_NS0_17constant_iteratorIjlEEPS6_PlSH_S8_NS0_8equal_toIS6_EEEE10hipError_tPvRmT2_T3_mT4_T5_T6_T7_T8_P12ihipStream_tbENKUlT_T0_E_clISt17integral_constantIbLb1EES10_IbLb0EEEEDaSW_SX_EUlSW_E_NS1_11comp_targetILNS1_3genE0ELNS1_11target_archE4294967295ELNS1_3gpuE0ELNS1_3repE0EEENS1_30default_config_static_selectorELNS0_4arch9wavefront6targetE0EEEvT1_.numbered_sgpr, 0
	.set _ZN7rocprim17ROCPRIM_400000_NS6detail17trampoline_kernelINS0_14default_configENS1_33run_length_encode_config_selectorIN3c108BFloat16EjNS0_4plusIjEEEEZZNS1_33reduce_by_key_impl_wrapped_configILNS1_25lookback_scan_determinismE0ES3_S9_PKS6_NS0_17constant_iteratorIjlEEPS6_PlSH_S8_NS0_8equal_toIS6_EEEE10hipError_tPvRmT2_T3_mT4_T5_T6_T7_T8_P12ihipStream_tbENKUlT_T0_E_clISt17integral_constantIbLb1EES10_IbLb0EEEEDaSW_SX_EUlSW_E_NS1_11comp_targetILNS1_3genE0ELNS1_11target_archE4294967295ELNS1_3gpuE0ELNS1_3repE0EEENS1_30default_config_static_selectorELNS0_4arch9wavefront6targetE0EEEvT1_.num_named_barrier, 0
	.set _ZN7rocprim17ROCPRIM_400000_NS6detail17trampoline_kernelINS0_14default_configENS1_33run_length_encode_config_selectorIN3c108BFloat16EjNS0_4plusIjEEEEZZNS1_33reduce_by_key_impl_wrapped_configILNS1_25lookback_scan_determinismE0ES3_S9_PKS6_NS0_17constant_iteratorIjlEEPS6_PlSH_S8_NS0_8equal_toIS6_EEEE10hipError_tPvRmT2_T3_mT4_T5_T6_T7_T8_P12ihipStream_tbENKUlT_T0_E_clISt17integral_constantIbLb1EES10_IbLb0EEEEDaSW_SX_EUlSW_E_NS1_11comp_targetILNS1_3genE0ELNS1_11target_archE4294967295ELNS1_3gpuE0ELNS1_3repE0EEENS1_30default_config_static_selectorELNS0_4arch9wavefront6targetE0EEEvT1_.private_seg_size, 0
	.set _ZN7rocprim17ROCPRIM_400000_NS6detail17trampoline_kernelINS0_14default_configENS1_33run_length_encode_config_selectorIN3c108BFloat16EjNS0_4plusIjEEEEZZNS1_33reduce_by_key_impl_wrapped_configILNS1_25lookback_scan_determinismE0ES3_S9_PKS6_NS0_17constant_iteratorIjlEEPS6_PlSH_S8_NS0_8equal_toIS6_EEEE10hipError_tPvRmT2_T3_mT4_T5_T6_T7_T8_P12ihipStream_tbENKUlT_T0_E_clISt17integral_constantIbLb1EES10_IbLb0EEEEDaSW_SX_EUlSW_E_NS1_11comp_targetILNS1_3genE0ELNS1_11target_archE4294967295ELNS1_3gpuE0ELNS1_3repE0EEENS1_30default_config_static_selectorELNS0_4arch9wavefront6targetE0EEEvT1_.uses_vcc, 0
	.set _ZN7rocprim17ROCPRIM_400000_NS6detail17trampoline_kernelINS0_14default_configENS1_33run_length_encode_config_selectorIN3c108BFloat16EjNS0_4plusIjEEEEZZNS1_33reduce_by_key_impl_wrapped_configILNS1_25lookback_scan_determinismE0ES3_S9_PKS6_NS0_17constant_iteratorIjlEEPS6_PlSH_S8_NS0_8equal_toIS6_EEEE10hipError_tPvRmT2_T3_mT4_T5_T6_T7_T8_P12ihipStream_tbENKUlT_T0_E_clISt17integral_constantIbLb1EES10_IbLb0EEEEDaSW_SX_EUlSW_E_NS1_11comp_targetILNS1_3genE0ELNS1_11target_archE4294967295ELNS1_3gpuE0ELNS1_3repE0EEENS1_30default_config_static_selectorELNS0_4arch9wavefront6targetE0EEEvT1_.uses_flat_scratch, 0
	.set _ZN7rocprim17ROCPRIM_400000_NS6detail17trampoline_kernelINS0_14default_configENS1_33run_length_encode_config_selectorIN3c108BFloat16EjNS0_4plusIjEEEEZZNS1_33reduce_by_key_impl_wrapped_configILNS1_25lookback_scan_determinismE0ES3_S9_PKS6_NS0_17constant_iteratorIjlEEPS6_PlSH_S8_NS0_8equal_toIS6_EEEE10hipError_tPvRmT2_T3_mT4_T5_T6_T7_T8_P12ihipStream_tbENKUlT_T0_E_clISt17integral_constantIbLb1EES10_IbLb0EEEEDaSW_SX_EUlSW_E_NS1_11comp_targetILNS1_3genE0ELNS1_11target_archE4294967295ELNS1_3gpuE0ELNS1_3repE0EEENS1_30default_config_static_selectorELNS0_4arch9wavefront6targetE0EEEvT1_.has_dyn_sized_stack, 0
	.set _ZN7rocprim17ROCPRIM_400000_NS6detail17trampoline_kernelINS0_14default_configENS1_33run_length_encode_config_selectorIN3c108BFloat16EjNS0_4plusIjEEEEZZNS1_33reduce_by_key_impl_wrapped_configILNS1_25lookback_scan_determinismE0ES3_S9_PKS6_NS0_17constant_iteratorIjlEEPS6_PlSH_S8_NS0_8equal_toIS6_EEEE10hipError_tPvRmT2_T3_mT4_T5_T6_T7_T8_P12ihipStream_tbENKUlT_T0_E_clISt17integral_constantIbLb1EES10_IbLb0EEEEDaSW_SX_EUlSW_E_NS1_11comp_targetILNS1_3genE0ELNS1_11target_archE4294967295ELNS1_3gpuE0ELNS1_3repE0EEENS1_30default_config_static_selectorELNS0_4arch9wavefront6targetE0EEEvT1_.has_recursion, 0
	.set _ZN7rocprim17ROCPRIM_400000_NS6detail17trampoline_kernelINS0_14default_configENS1_33run_length_encode_config_selectorIN3c108BFloat16EjNS0_4plusIjEEEEZZNS1_33reduce_by_key_impl_wrapped_configILNS1_25lookback_scan_determinismE0ES3_S9_PKS6_NS0_17constant_iteratorIjlEEPS6_PlSH_S8_NS0_8equal_toIS6_EEEE10hipError_tPvRmT2_T3_mT4_T5_T6_T7_T8_P12ihipStream_tbENKUlT_T0_E_clISt17integral_constantIbLb1EES10_IbLb0EEEEDaSW_SX_EUlSW_E_NS1_11comp_targetILNS1_3genE0ELNS1_11target_archE4294967295ELNS1_3gpuE0ELNS1_3repE0EEENS1_30default_config_static_selectorELNS0_4arch9wavefront6targetE0EEEvT1_.has_indirect_call, 0
	.section	.AMDGPU.csdata,"",@progbits
; Kernel info:
; codeLenInByte = 4
; TotalNumSgprs: 0
; NumVgprs: 0
; ScratchSize: 0
; MemoryBound: 0
; FloatMode: 240
; IeeeMode: 1
; LDSByteSize: 0 bytes/workgroup (compile time only)
; SGPRBlocks: 0
; VGPRBlocks: 0
; NumSGPRsForWavesPerEU: 1
; NumVGPRsForWavesPerEU: 1
; NamedBarCnt: 0
; Occupancy: 16
; WaveLimiterHint : 0
; COMPUTE_PGM_RSRC2:SCRATCH_EN: 0
; COMPUTE_PGM_RSRC2:USER_SGPR: 2
; COMPUTE_PGM_RSRC2:TRAP_HANDLER: 0
; COMPUTE_PGM_RSRC2:TGID_X_EN: 1
; COMPUTE_PGM_RSRC2:TGID_Y_EN: 0
; COMPUTE_PGM_RSRC2:TGID_Z_EN: 0
; COMPUTE_PGM_RSRC2:TIDIG_COMP_CNT: 0
	.section	.text._ZN7rocprim17ROCPRIM_400000_NS6detail17trampoline_kernelINS0_14default_configENS1_33run_length_encode_config_selectorIN3c108BFloat16EjNS0_4plusIjEEEEZZNS1_33reduce_by_key_impl_wrapped_configILNS1_25lookback_scan_determinismE0ES3_S9_PKS6_NS0_17constant_iteratorIjlEEPS6_PlSH_S8_NS0_8equal_toIS6_EEEE10hipError_tPvRmT2_T3_mT4_T5_T6_T7_T8_P12ihipStream_tbENKUlT_T0_E_clISt17integral_constantIbLb1EES10_IbLb0EEEEDaSW_SX_EUlSW_E_NS1_11comp_targetILNS1_3genE5ELNS1_11target_archE942ELNS1_3gpuE9ELNS1_3repE0EEENS1_30default_config_static_selectorELNS0_4arch9wavefront6targetE0EEEvT1_,"axG",@progbits,_ZN7rocprim17ROCPRIM_400000_NS6detail17trampoline_kernelINS0_14default_configENS1_33run_length_encode_config_selectorIN3c108BFloat16EjNS0_4plusIjEEEEZZNS1_33reduce_by_key_impl_wrapped_configILNS1_25lookback_scan_determinismE0ES3_S9_PKS6_NS0_17constant_iteratorIjlEEPS6_PlSH_S8_NS0_8equal_toIS6_EEEE10hipError_tPvRmT2_T3_mT4_T5_T6_T7_T8_P12ihipStream_tbENKUlT_T0_E_clISt17integral_constantIbLb1EES10_IbLb0EEEEDaSW_SX_EUlSW_E_NS1_11comp_targetILNS1_3genE5ELNS1_11target_archE942ELNS1_3gpuE9ELNS1_3repE0EEENS1_30default_config_static_selectorELNS0_4arch9wavefront6targetE0EEEvT1_,comdat
	.protected	_ZN7rocprim17ROCPRIM_400000_NS6detail17trampoline_kernelINS0_14default_configENS1_33run_length_encode_config_selectorIN3c108BFloat16EjNS0_4plusIjEEEEZZNS1_33reduce_by_key_impl_wrapped_configILNS1_25lookback_scan_determinismE0ES3_S9_PKS6_NS0_17constant_iteratorIjlEEPS6_PlSH_S8_NS0_8equal_toIS6_EEEE10hipError_tPvRmT2_T3_mT4_T5_T6_T7_T8_P12ihipStream_tbENKUlT_T0_E_clISt17integral_constantIbLb1EES10_IbLb0EEEEDaSW_SX_EUlSW_E_NS1_11comp_targetILNS1_3genE5ELNS1_11target_archE942ELNS1_3gpuE9ELNS1_3repE0EEENS1_30default_config_static_selectorELNS0_4arch9wavefront6targetE0EEEvT1_ ; -- Begin function _ZN7rocprim17ROCPRIM_400000_NS6detail17trampoline_kernelINS0_14default_configENS1_33run_length_encode_config_selectorIN3c108BFloat16EjNS0_4plusIjEEEEZZNS1_33reduce_by_key_impl_wrapped_configILNS1_25lookback_scan_determinismE0ES3_S9_PKS6_NS0_17constant_iteratorIjlEEPS6_PlSH_S8_NS0_8equal_toIS6_EEEE10hipError_tPvRmT2_T3_mT4_T5_T6_T7_T8_P12ihipStream_tbENKUlT_T0_E_clISt17integral_constantIbLb1EES10_IbLb0EEEEDaSW_SX_EUlSW_E_NS1_11comp_targetILNS1_3genE5ELNS1_11target_archE942ELNS1_3gpuE9ELNS1_3repE0EEENS1_30default_config_static_selectorELNS0_4arch9wavefront6targetE0EEEvT1_
	.globl	_ZN7rocprim17ROCPRIM_400000_NS6detail17trampoline_kernelINS0_14default_configENS1_33run_length_encode_config_selectorIN3c108BFloat16EjNS0_4plusIjEEEEZZNS1_33reduce_by_key_impl_wrapped_configILNS1_25lookback_scan_determinismE0ES3_S9_PKS6_NS0_17constant_iteratorIjlEEPS6_PlSH_S8_NS0_8equal_toIS6_EEEE10hipError_tPvRmT2_T3_mT4_T5_T6_T7_T8_P12ihipStream_tbENKUlT_T0_E_clISt17integral_constantIbLb1EES10_IbLb0EEEEDaSW_SX_EUlSW_E_NS1_11comp_targetILNS1_3genE5ELNS1_11target_archE942ELNS1_3gpuE9ELNS1_3repE0EEENS1_30default_config_static_selectorELNS0_4arch9wavefront6targetE0EEEvT1_
	.p2align	8
	.type	_ZN7rocprim17ROCPRIM_400000_NS6detail17trampoline_kernelINS0_14default_configENS1_33run_length_encode_config_selectorIN3c108BFloat16EjNS0_4plusIjEEEEZZNS1_33reduce_by_key_impl_wrapped_configILNS1_25lookback_scan_determinismE0ES3_S9_PKS6_NS0_17constant_iteratorIjlEEPS6_PlSH_S8_NS0_8equal_toIS6_EEEE10hipError_tPvRmT2_T3_mT4_T5_T6_T7_T8_P12ihipStream_tbENKUlT_T0_E_clISt17integral_constantIbLb1EES10_IbLb0EEEEDaSW_SX_EUlSW_E_NS1_11comp_targetILNS1_3genE5ELNS1_11target_archE942ELNS1_3gpuE9ELNS1_3repE0EEENS1_30default_config_static_selectorELNS0_4arch9wavefront6targetE0EEEvT1_,@function
_ZN7rocprim17ROCPRIM_400000_NS6detail17trampoline_kernelINS0_14default_configENS1_33run_length_encode_config_selectorIN3c108BFloat16EjNS0_4plusIjEEEEZZNS1_33reduce_by_key_impl_wrapped_configILNS1_25lookback_scan_determinismE0ES3_S9_PKS6_NS0_17constant_iteratorIjlEEPS6_PlSH_S8_NS0_8equal_toIS6_EEEE10hipError_tPvRmT2_T3_mT4_T5_T6_T7_T8_P12ihipStream_tbENKUlT_T0_E_clISt17integral_constantIbLb1EES10_IbLb0EEEEDaSW_SX_EUlSW_E_NS1_11comp_targetILNS1_3genE5ELNS1_11target_archE942ELNS1_3gpuE9ELNS1_3repE0EEENS1_30default_config_static_selectorELNS0_4arch9wavefront6targetE0EEEvT1_: ; @_ZN7rocprim17ROCPRIM_400000_NS6detail17trampoline_kernelINS0_14default_configENS1_33run_length_encode_config_selectorIN3c108BFloat16EjNS0_4plusIjEEEEZZNS1_33reduce_by_key_impl_wrapped_configILNS1_25lookback_scan_determinismE0ES3_S9_PKS6_NS0_17constant_iteratorIjlEEPS6_PlSH_S8_NS0_8equal_toIS6_EEEE10hipError_tPvRmT2_T3_mT4_T5_T6_T7_T8_P12ihipStream_tbENKUlT_T0_E_clISt17integral_constantIbLb1EES10_IbLb0EEEEDaSW_SX_EUlSW_E_NS1_11comp_targetILNS1_3genE5ELNS1_11target_archE942ELNS1_3gpuE9ELNS1_3repE0EEENS1_30default_config_static_selectorELNS0_4arch9wavefront6targetE0EEEvT1_
; %bb.0:
	.section	.rodata,"a",@progbits
	.p2align	6, 0x0
	.amdhsa_kernel _ZN7rocprim17ROCPRIM_400000_NS6detail17trampoline_kernelINS0_14default_configENS1_33run_length_encode_config_selectorIN3c108BFloat16EjNS0_4plusIjEEEEZZNS1_33reduce_by_key_impl_wrapped_configILNS1_25lookback_scan_determinismE0ES3_S9_PKS6_NS0_17constant_iteratorIjlEEPS6_PlSH_S8_NS0_8equal_toIS6_EEEE10hipError_tPvRmT2_T3_mT4_T5_T6_T7_T8_P12ihipStream_tbENKUlT_T0_E_clISt17integral_constantIbLb1EES10_IbLb0EEEEDaSW_SX_EUlSW_E_NS1_11comp_targetILNS1_3genE5ELNS1_11target_archE942ELNS1_3gpuE9ELNS1_3repE0EEENS1_30default_config_static_selectorELNS0_4arch9wavefront6targetE0EEEvT1_
		.amdhsa_group_segment_fixed_size 0
		.amdhsa_private_segment_fixed_size 0
		.amdhsa_kernarg_size 128
		.amdhsa_user_sgpr_count 2
		.amdhsa_user_sgpr_dispatch_ptr 0
		.amdhsa_user_sgpr_queue_ptr 0
		.amdhsa_user_sgpr_kernarg_segment_ptr 1
		.amdhsa_user_sgpr_dispatch_id 0
		.amdhsa_user_sgpr_kernarg_preload_length 0
		.amdhsa_user_sgpr_kernarg_preload_offset 0
		.amdhsa_user_sgpr_private_segment_size 0
		.amdhsa_wavefront_size32 1
		.amdhsa_uses_dynamic_stack 0
		.amdhsa_enable_private_segment 0
		.amdhsa_system_sgpr_workgroup_id_x 1
		.amdhsa_system_sgpr_workgroup_id_y 0
		.amdhsa_system_sgpr_workgroup_id_z 0
		.amdhsa_system_sgpr_workgroup_info 0
		.amdhsa_system_vgpr_workitem_id 0
		.amdhsa_next_free_vgpr 1
		.amdhsa_next_free_sgpr 1
		.amdhsa_named_barrier_count 0
		.amdhsa_reserve_vcc 0
		.amdhsa_float_round_mode_32 0
		.amdhsa_float_round_mode_16_64 0
		.amdhsa_float_denorm_mode_32 3
		.amdhsa_float_denorm_mode_16_64 3
		.amdhsa_fp16_overflow 0
		.amdhsa_memory_ordered 1
		.amdhsa_forward_progress 1
		.amdhsa_inst_pref_size 0
		.amdhsa_round_robin_scheduling 0
		.amdhsa_exception_fp_ieee_invalid_op 0
		.amdhsa_exception_fp_denorm_src 0
		.amdhsa_exception_fp_ieee_div_zero 0
		.amdhsa_exception_fp_ieee_overflow 0
		.amdhsa_exception_fp_ieee_underflow 0
		.amdhsa_exception_fp_ieee_inexact 0
		.amdhsa_exception_int_div_zero 0
	.end_amdhsa_kernel
	.section	.text._ZN7rocprim17ROCPRIM_400000_NS6detail17trampoline_kernelINS0_14default_configENS1_33run_length_encode_config_selectorIN3c108BFloat16EjNS0_4plusIjEEEEZZNS1_33reduce_by_key_impl_wrapped_configILNS1_25lookback_scan_determinismE0ES3_S9_PKS6_NS0_17constant_iteratorIjlEEPS6_PlSH_S8_NS0_8equal_toIS6_EEEE10hipError_tPvRmT2_T3_mT4_T5_T6_T7_T8_P12ihipStream_tbENKUlT_T0_E_clISt17integral_constantIbLb1EES10_IbLb0EEEEDaSW_SX_EUlSW_E_NS1_11comp_targetILNS1_3genE5ELNS1_11target_archE942ELNS1_3gpuE9ELNS1_3repE0EEENS1_30default_config_static_selectorELNS0_4arch9wavefront6targetE0EEEvT1_,"axG",@progbits,_ZN7rocprim17ROCPRIM_400000_NS6detail17trampoline_kernelINS0_14default_configENS1_33run_length_encode_config_selectorIN3c108BFloat16EjNS0_4plusIjEEEEZZNS1_33reduce_by_key_impl_wrapped_configILNS1_25lookback_scan_determinismE0ES3_S9_PKS6_NS0_17constant_iteratorIjlEEPS6_PlSH_S8_NS0_8equal_toIS6_EEEE10hipError_tPvRmT2_T3_mT4_T5_T6_T7_T8_P12ihipStream_tbENKUlT_T0_E_clISt17integral_constantIbLb1EES10_IbLb0EEEEDaSW_SX_EUlSW_E_NS1_11comp_targetILNS1_3genE5ELNS1_11target_archE942ELNS1_3gpuE9ELNS1_3repE0EEENS1_30default_config_static_selectorELNS0_4arch9wavefront6targetE0EEEvT1_,comdat
.Lfunc_end875:
	.size	_ZN7rocprim17ROCPRIM_400000_NS6detail17trampoline_kernelINS0_14default_configENS1_33run_length_encode_config_selectorIN3c108BFloat16EjNS0_4plusIjEEEEZZNS1_33reduce_by_key_impl_wrapped_configILNS1_25lookback_scan_determinismE0ES3_S9_PKS6_NS0_17constant_iteratorIjlEEPS6_PlSH_S8_NS0_8equal_toIS6_EEEE10hipError_tPvRmT2_T3_mT4_T5_T6_T7_T8_P12ihipStream_tbENKUlT_T0_E_clISt17integral_constantIbLb1EES10_IbLb0EEEEDaSW_SX_EUlSW_E_NS1_11comp_targetILNS1_3genE5ELNS1_11target_archE942ELNS1_3gpuE9ELNS1_3repE0EEENS1_30default_config_static_selectorELNS0_4arch9wavefront6targetE0EEEvT1_, .Lfunc_end875-_ZN7rocprim17ROCPRIM_400000_NS6detail17trampoline_kernelINS0_14default_configENS1_33run_length_encode_config_selectorIN3c108BFloat16EjNS0_4plusIjEEEEZZNS1_33reduce_by_key_impl_wrapped_configILNS1_25lookback_scan_determinismE0ES3_S9_PKS6_NS0_17constant_iteratorIjlEEPS6_PlSH_S8_NS0_8equal_toIS6_EEEE10hipError_tPvRmT2_T3_mT4_T5_T6_T7_T8_P12ihipStream_tbENKUlT_T0_E_clISt17integral_constantIbLb1EES10_IbLb0EEEEDaSW_SX_EUlSW_E_NS1_11comp_targetILNS1_3genE5ELNS1_11target_archE942ELNS1_3gpuE9ELNS1_3repE0EEENS1_30default_config_static_selectorELNS0_4arch9wavefront6targetE0EEEvT1_
                                        ; -- End function
	.set _ZN7rocprim17ROCPRIM_400000_NS6detail17trampoline_kernelINS0_14default_configENS1_33run_length_encode_config_selectorIN3c108BFloat16EjNS0_4plusIjEEEEZZNS1_33reduce_by_key_impl_wrapped_configILNS1_25lookback_scan_determinismE0ES3_S9_PKS6_NS0_17constant_iteratorIjlEEPS6_PlSH_S8_NS0_8equal_toIS6_EEEE10hipError_tPvRmT2_T3_mT4_T5_T6_T7_T8_P12ihipStream_tbENKUlT_T0_E_clISt17integral_constantIbLb1EES10_IbLb0EEEEDaSW_SX_EUlSW_E_NS1_11comp_targetILNS1_3genE5ELNS1_11target_archE942ELNS1_3gpuE9ELNS1_3repE0EEENS1_30default_config_static_selectorELNS0_4arch9wavefront6targetE0EEEvT1_.num_vgpr, 0
	.set _ZN7rocprim17ROCPRIM_400000_NS6detail17trampoline_kernelINS0_14default_configENS1_33run_length_encode_config_selectorIN3c108BFloat16EjNS0_4plusIjEEEEZZNS1_33reduce_by_key_impl_wrapped_configILNS1_25lookback_scan_determinismE0ES3_S9_PKS6_NS0_17constant_iteratorIjlEEPS6_PlSH_S8_NS0_8equal_toIS6_EEEE10hipError_tPvRmT2_T3_mT4_T5_T6_T7_T8_P12ihipStream_tbENKUlT_T0_E_clISt17integral_constantIbLb1EES10_IbLb0EEEEDaSW_SX_EUlSW_E_NS1_11comp_targetILNS1_3genE5ELNS1_11target_archE942ELNS1_3gpuE9ELNS1_3repE0EEENS1_30default_config_static_selectorELNS0_4arch9wavefront6targetE0EEEvT1_.num_agpr, 0
	.set _ZN7rocprim17ROCPRIM_400000_NS6detail17trampoline_kernelINS0_14default_configENS1_33run_length_encode_config_selectorIN3c108BFloat16EjNS0_4plusIjEEEEZZNS1_33reduce_by_key_impl_wrapped_configILNS1_25lookback_scan_determinismE0ES3_S9_PKS6_NS0_17constant_iteratorIjlEEPS6_PlSH_S8_NS0_8equal_toIS6_EEEE10hipError_tPvRmT2_T3_mT4_T5_T6_T7_T8_P12ihipStream_tbENKUlT_T0_E_clISt17integral_constantIbLb1EES10_IbLb0EEEEDaSW_SX_EUlSW_E_NS1_11comp_targetILNS1_3genE5ELNS1_11target_archE942ELNS1_3gpuE9ELNS1_3repE0EEENS1_30default_config_static_selectorELNS0_4arch9wavefront6targetE0EEEvT1_.numbered_sgpr, 0
	.set _ZN7rocprim17ROCPRIM_400000_NS6detail17trampoline_kernelINS0_14default_configENS1_33run_length_encode_config_selectorIN3c108BFloat16EjNS0_4plusIjEEEEZZNS1_33reduce_by_key_impl_wrapped_configILNS1_25lookback_scan_determinismE0ES3_S9_PKS6_NS0_17constant_iteratorIjlEEPS6_PlSH_S8_NS0_8equal_toIS6_EEEE10hipError_tPvRmT2_T3_mT4_T5_T6_T7_T8_P12ihipStream_tbENKUlT_T0_E_clISt17integral_constantIbLb1EES10_IbLb0EEEEDaSW_SX_EUlSW_E_NS1_11comp_targetILNS1_3genE5ELNS1_11target_archE942ELNS1_3gpuE9ELNS1_3repE0EEENS1_30default_config_static_selectorELNS0_4arch9wavefront6targetE0EEEvT1_.num_named_barrier, 0
	.set _ZN7rocprim17ROCPRIM_400000_NS6detail17trampoline_kernelINS0_14default_configENS1_33run_length_encode_config_selectorIN3c108BFloat16EjNS0_4plusIjEEEEZZNS1_33reduce_by_key_impl_wrapped_configILNS1_25lookback_scan_determinismE0ES3_S9_PKS6_NS0_17constant_iteratorIjlEEPS6_PlSH_S8_NS0_8equal_toIS6_EEEE10hipError_tPvRmT2_T3_mT4_T5_T6_T7_T8_P12ihipStream_tbENKUlT_T0_E_clISt17integral_constantIbLb1EES10_IbLb0EEEEDaSW_SX_EUlSW_E_NS1_11comp_targetILNS1_3genE5ELNS1_11target_archE942ELNS1_3gpuE9ELNS1_3repE0EEENS1_30default_config_static_selectorELNS0_4arch9wavefront6targetE0EEEvT1_.private_seg_size, 0
	.set _ZN7rocprim17ROCPRIM_400000_NS6detail17trampoline_kernelINS0_14default_configENS1_33run_length_encode_config_selectorIN3c108BFloat16EjNS0_4plusIjEEEEZZNS1_33reduce_by_key_impl_wrapped_configILNS1_25lookback_scan_determinismE0ES3_S9_PKS6_NS0_17constant_iteratorIjlEEPS6_PlSH_S8_NS0_8equal_toIS6_EEEE10hipError_tPvRmT2_T3_mT4_T5_T6_T7_T8_P12ihipStream_tbENKUlT_T0_E_clISt17integral_constantIbLb1EES10_IbLb0EEEEDaSW_SX_EUlSW_E_NS1_11comp_targetILNS1_3genE5ELNS1_11target_archE942ELNS1_3gpuE9ELNS1_3repE0EEENS1_30default_config_static_selectorELNS0_4arch9wavefront6targetE0EEEvT1_.uses_vcc, 0
	.set _ZN7rocprim17ROCPRIM_400000_NS6detail17trampoline_kernelINS0_14default_configENS1_33run_length_encode_config_selectorIN3c108BFloat16EjNS0_4plusIjEEEEZZNS1_33reduce_by_key_impl_wrapped_configILNS1_25lookback_scan_determinismE0ES3_S9_PKS6_NS0_17constant_iteratorIjlEEPS6_PlSH_S8_NS0_8equal_toIS6_EEEE10hipError_tPvRmT2_T3_mT4_T5_T6_T7_T8_P12ihipStream_tbENKUlT_T0_E_clISt17integral_constantIbLb1EES10_IbLb0EEEEDaSW_SX_EUlSW_E_NS1_11comp_targetILNS1_3genE5ELNS1_11target_archE942ELNS1_3gpuE9ELNS1_3repE0EEENS1_30default_config_static_selectorELNS0_4arch9wavefront6targetE0EEEvT1_.uses_flat_scratch, 0
	.set _ZN7rocprim17ROCPRIM_400000_NS6detail17trampoline_kernelINS0_14default_configENS1_33run_length_encode_config_selectorIN3c108BFloat16EjNS0_4plusIjEEEEZZNS1_33reduce_by_key_impl_wrapped_configILNS1_25lookback_scan_determinismE0ES3_S9_PKS6_NS0_17constant_iteratorIjlEEPS6_PlSH_S8_NS0_8equal_toIS6_EEEE10hipError_tPvRmT2_T3_mT4_T5_T6_T7_T8_P12ihipStream_tbENKUlT_T0_E_clISt17integral_constantIbLb1EES10_IbLb0EEEEDaSW_SX_EUlSW_E_NS1_11comp_targetILNS1_3genE5ELNS1_11target_archE942ELNS1_3gpuE9ELNS1_3repE0EEENS1_30default_config_static_selectorELNS0_4arch9wavefront6targetE0EEEvT1_.has_dyn_sized_stack, 0
	.set _ZN7rocprim17ROCPRIM_400000_NS6detail17trampoline_kernelINS0_14default_configENS1_33run_length_encode_config_selectorIN3c108BFloat16EjNS0_4plusIjEEEEZZNS1_33reduce_by_key_impl_wrapped_configILNS1_25lookback_scan_determinismE0ES3_S9_PKS6_NS0_17constant_iteratorIjlEEPS6_PlSH_S8_NS0_8equal_toIS6_EEEE10hipError_tPvRmT2_T3_mT4_T5_T6_T7_T8_P12ihipStream_tbENKUlT_T0_E_clISt17integral_constantIbLb1EES10_IbLb0EEEEDaSW_SX_EUlSW_E_NS1_11comp_targetILNS1_3genE5ELNS1_11target_archE942ELNS1_3gpuE9ELNS1_3repE0EEENS1_30default_config_static_selectorELNS0_4arch9wavefront6targetE0EEEvT1_.has_recursion, 0
	.set _ZN7rocprim17ROCPRIM_400000_NS6detail17trampoline_kernelINS0_14default_configENS1_33run_length_encode_config_selectorIN3c108BFloat16EjNS0_4plusIjEEEEZZNS1_33reduce_by_key_impl_wrapped_configILNS1_25lookback_scan_determinismE0ES3_S9_PKS6_NS0_17constant_iteratorIjlEEPS6_PlSH_S8_NS0_8equal_toIS6_EEEE10hipError_tPvRmT2_T3_mT4_T5_T6_T7_T8_P12ihipStream_tbENKUlT_T0_E_clISt17integral_constantIbLb1EES10_IbLb0EEEEDaSW_SX_EUlSW_E_NS1_11comp_targetILNS1_3genE5ELNS1_11target_archE942ELNS1_3gpuE9ELNS1_3repE0EEENS1_30default_config_static_selectorELNS0_4arch9wavefront6targetE0EEEvT1_.has_indirect_call, 0
	.section	.AMDGPU.csdata,"",@progbits
; Kernel info:
; codeLenInByte = 0
; TotalNumSgprs: 0
; NumVgprs: 0
; ScratchSize: 0
; MemoryBound: 0
; FloatMode: 240
; IeeeMode: 1
; LDSByteSize: 0 bytes/workgroup (compile time only)
; SGPRBlocks: 0
; VGPRBlocks: 0
; NumSGPRsForWavesPerEU: 1
; NumVGPRsForWavesPerEU: 1
; NamedBarCnt: 0
; Occupancy: 16
; WaveLimiterHint : 0
; COMPUTE_PGM_RSRC2:SCRATCH_EN: 0
; COMPUTE_PGM_RSRC2:USER_SGPR: 2
; COMPUTE_PGM_RSRC2:TRAP_HANDLER: 0
; COMPUTE_PGM_RSRC2:TGID_X_EN: 1
; COMPUTE_PGM_RSRC2:TGID_Y_EN: 0
; COMPUTE_PGM_RSRC2:TGID_Z_EN: 0
; COMPUTE_PGM_RSRC2:TIDIG_COMP_CNT: 0
	.section	.text._ZN7rocprim17ROCPRIM_400000_NS6detail17trampoline_kernelINS0_14default_configENS1_33run_length_encode_config_selectorIN3c108BFloat16EjNS0_4plusIjEEEEZZNS1_33reduce_by_key_impl_wrapped_configILNS1_25lookback_scan_determinismE0ES3_S9_PKS6_NS0_17constant_iteratorIjlEEPS6_PlSH_S8_NS0_8equal_toIS6_EEEE10hipError_tPvRmT2_T3_mT4_T5_T6_T7_T8_P12ihipStream_tbENKUlT_T0_E_clISt17integral_constantIbLb1EES10_IbLb0EEEEDaSW_SX_EUlSW_E_NS1_11comp_targetILNS1_3genE4ELNS1_11target_archE910ELNS1_3gpuE8ELNS1_3repE0EEENS1_30default_config_static_selectorELNS0_4arch9wavefront6targetE0EEEvT1_,"axG",@progbits,_ZN7rocprim17ROCPRIM_400000_NS6detail17trampoline_kernelINS0_14default_configENS1_33run_length_encode_config_selectorIN3c108BFloat16EjNS0_4plusIjEEEEZZNS1_33reduce_by_key_impl_wrapped_configILNS1_25lookback_scan_determinismE0ES3_S9_PKS6_NS0_17constant_iteratorIjlEEPS6_PlSH_S8_NS0_8equal_toIS6_EEEE10hipError_tPvRmT2_T3_mT4_T5_T6_T7_T8_P12ihipStream_tbENKUlT_T0_E_clISt17integral_constantIbLb1EES10_IbLb0EEEEDaSW_SX_EUlSW_E_NS1_11comp_targetILNS1_3genE4ELNS1_11target_archE910ELNS1_3gpuE8ELNS1_3repE0EEENS1_30default_config_static_selectorELNS0_4arch9wavefront6targetE0EEEvT1_,comdat
	.protected	_ZN7rocprim17ROCPRIM_400000_NS6detail17trampoline_kernelINS0_14default_configENS1_33run_length_encode_config_selectorIN3c108BFloat16EjNS0_4plusIjEEEEZZNS1_33reduce_by_key_impl_wrapped_configILNS1_25lookback_scan_determinismE0ES3_S9_PKS6_NS0_17constant_iteratorIjlEEPS6_PlSH_S8_NS0_8equal_toIS6_EEEE10hipError_tPvRmT2_T3_mT4_T5_T6_T7_T8_P12ihipStream_tbENKUlT_T0_E_clISt17integral_constantIbLb1EES10_IbLb0EEEEDaSW_SX_EUlSW_E_NS1_11comp_targetILNS1_3genE4ELNS1_11target_archE910ELNS1_3gpuE8ELNS1_3repE0EEENS1_30default_config_static_selectorELNS0_4arch9wavefront6targetE0EEEvT1_ ; -- Begin function _ZN7rocprim17ROCPRIM_400000_NS6detail17trampoline_kernelINS0_14default_configENS1_33run_length_encode_config_selectorIN3c108BFloat16EjNS0_4plusIjEEEEZZNS1_33reduce_by_key_impl_wrapped_configILNS1_25lookback_scan_determinismE0ES3_S9_PKS6_NS0_17constant_iteratorIjlEEPS6_PlSH_S8_NS0_8equal_toIS6_EEEE10hipError_tPvRmT2_T3_mT4_T5_T6_T7_T8_P12ihipStream_tbENKUlT_T0_E_clISt17integral_constantIbLb1EES10_IbLb0EEEEDaSW_SX_EUlSW_E_NS1_11comp_targetILNS1_3genE4ELNS1_11target_archE910ELNS1_3gpuE8ELNS1_3repE0EEENS1_30default_config_static_selectorELNS0_4arch9wavefront6targetE0EEEvT1_
	.globl	_ZN7rocprim17ROCPRIM_400000_NS6detail17trampoline_kernelINS0_14default_configENS1_33run_length_encode_config_selectorIN3c108BFloat16EjNS0_4plusIjEEEEZZNS1_33reduce_by_key_impl_wrapped_configILNS1_25lookback_scan_determinismE0ES3_S9_PKS6_NS0_17constant_iteratorIjlEEPS6_PlSH_S8_NS0_8equal_toIS6_EEEE10hipError_tPvRmT2_T3_mT4_T5_T6_T7_T8_P12ihipStream_tbENKUlT_T0_E_clISt17integral_constantIbLb1EES10_IbLb0EEEEDaSW_SX_EUlSW_E_NS1_11comp_targetILNS1_3genE4ELNS1_11target_archE910ELNS1_3gpuE8ELNS1_3repE0EEENS1_30default_config_static_selectorELNS0_4arch9wavefront6targetE0EEEvT1_
	.p2align	8
	.type	_ZN7rocprim17ROCPRIM_400000_NS6detail17trampoline_kernelINS0_14default_configENS1_33run_length_encode_config_selectorIN3c108BFloat16EjNS0_4plusIjEEEEZZNS1_33reduce_by_key_impl_wrapped_configILNS1_25lookback_scan_determinismE0ES3_S9_PKS6_NS0_17constant_iteratorIjlEEPS6_PlSH_S8_NS0_8equal_toIS6_EEEE10hipError_tPvRmT2_T3_mT4_T5_T6_T7_T8_P12ihipStream_tbENKUlT_T0_E_clISt17integral_constantIbLb1EES10_IbLb0EEEEDaSW_SX_EUlSW_E_NS1_11comp_targetILNS1_3genE4ELNS1_11target_archE910ELNS1_3gpuE8ELNS1_3repE0EEENS1_30default_config_static_selectorELNS0_4arch9wavefront6targetE0EEEvT1_,@function
_ZN7rocprim17ROCPRIM_400000_NS6detail17trampoline_kernelINS0_14default_configENS1_33run_length_encode_config_selectorIN3c108BFloat16EjNS0_4plusIjEEEEZZNS1_33reduce_by_key_impl_wrapped_configILNS1_25lookback_scan_determinismE0ES3_S9_PKS6_NS0_17constant_iteratorIjlEEPS6_PlSH_S8_NS0_8equal_toIS6_EEEE10hipError_tPvRmT2_T3_mT4_T5_T6_T7_T8_P12ihipStream_tbENKUlT_T0_E_clISt17integral_constantIbLb1EES10_IbLb0EEEEDaSW_SX_EUlSW_E_NS1_11comp_targetILNS1_3genE4ELNS1_11target_archE910ELNS1_3gpuE8ELNS1_3repE0EEENS1_30default_config_static_selectorELNS0_4arch9wavefront6targetE0EEEvT1_: ; @_ZN7rocprim17ROCPRIM_400000_NS6detail17trampoline_kernelINS0_14default_configENS1_33run_length_encode_config_selectorIN3c108BFloat16EjNS0_4plusIjEEEEZZNS1_33reduce_by_key_impl_wrapped_configILNS1_25lookback_scan_determinismE0ES3_S9_PKS6_NS0_17constant_iteratorIjlEEPS6_PlSH_S8_NS0_8equal_toIS6_EEEE10hipError_tPvRmT2_T3_mT4_T5_T6_T7_T8_P12ihipStream_tbENKUlT_T0_E_clISt17integral_constantIbLb1EES10_IbLb0EEEEDaSW_SX_EUlSW_E_NS1_11comp_targetILNS1_3genE4ELNS1_11target_archE910ELNS1_3gpuE8ELNS1_3repE0EEENS1_30default_config_static_selectorELNS0_4arch9wavefront6targetE0EEEvT1_
; %bb.0:
	.section	.rodata,"a",@progbits
	.p2align	6, 0x0
	.amdhsa_kernel _ZN7rocprim17ROCPRIM_400000_NS6detail17trampoline_kernelINS0_14default_configENS1_33run_length_encode_config_selectorIN3c108BFloat16EjNS0_4plusIjEEEEZZNS1_33reduce_by_key_impl_wrapped_configILNS1_25lookback_scan_determinismE0ES3_S9_PKS6_NS0_17constant_iteratorIjlEEPS6_PlSH_S8_NS0_8equal_toIS6_EEEE10hipError_tPvRmT2_T3_mT4_T5_T6_T7_T8_P12ihipStream_tbENKUlT_T0_E_clISt17integral_constantIbLb1EES10_IbLb0EEEEDaSW_SX_EUlSW_E_NS1_11comp_targetILNS1_3genE4ELNS1_11target_archE910ELNS1_3gpuE8ELNS1_3repE0EEENS1_30default_config_static_selectorELNS0_4arch9wavefront6targetE0EEEvT1_
		.amdhsa_group_segment_fixed_size 0
		.amdhsa_private_segment_fixed_size 0
		.amdhsa_kernarg_size 128
		.amdhsa_user_sgpr_count 2
		.amdhsa_user_sgpr_dispatch_ptr 0
		.amdhsa_user_sgpr_queue_ptr 0
		.amdhsa_user_sgpr_kernarg_segment_ptr 1
		.amdhsa_user_sgpr_dispatch_id 0
		.amdhsa_user_sgpr_kernarg_preload_length 0
		.amdhsa_user_sgpr_kernarg_preload_offset 0
		.amdhsa_user_sgpr_private_segment_size 0
		.amdhsa_wavefront_size32 1
		.amdhsa_uses_dynamic_stack 0
		.amdhsa_enable_private_segment 0
		.amdhsa_system_sgpr_workgroup_id_x 1
		.amdhsa_system_sgpr_workgroup_id_y 0
		.amdhsa_system_sgpr_workgroup_id_z 0
		.amdhsa_system_sgpr_workgroup_info 0
		.amdhsa_system_vgpr_workitem_id 0
		.amdhsa_next_free_vgpr 1
		.amdhsa_next_free_sgpr 1
		.amdhsa_named_barrier_count 0
		.amdhsa_reserve_vcc 0
		.amdhsa_float_round_mode_32 0
		.amdhsa_float_round_mode_16_64 0
		.amdhsa_float_denorm_mode_32 3
		.amdhsa_float_denorm_mode_16_64 3
		.amdhsa_fp16_overflow 0
		.amdhsa_memory_ordered 1
		.amdhsa_forward_progress 1
		.amdhsa_inst_pref_size 0
		.amdhsa_round_robin_scheduling 0
		.amdhsa_exception_fp_ieee_invalid_op 0
		.amdhsa_exception_fp_denorm_src 0
		.amdhsa_exception_fp_ieee_div_zero 0
		.amdhsa_exception_fp_ieee_overflow 0
		.amdhsa_exception_fp_ieee_underflow 0
		.amdhsa_exception_fp_ieee_inexact 0
		.amdhsa_exception_int_div_zero 0
	.end_amdhsa_kernel
	.section	.text._ZN7rocprim17ROCPRIM_400000_NS6detail17trampoline_kernelINS0_14default_configENS1_33run_length_encode_config_selectorIN3c108BFloat16EjNS0_4plusIjEEEEZZNS1_33reduce_by_key_impl_wrapped_configILNS1_25lookback_scan_determinismE0ES3_S9_PKS6_NS0_17constant_iteratorIjlEEPS6_PlSH_S8_NS0_8equal_toIS6_EEEE10hipError_tPvRmT2_T3_mT4_T5_T6_T7_T8_P12ihipStream_tbENKUlT_T0_E_clISt17integral_constantIbLb1EES10_IbLb0EEEEDaSW_SX_EUlSW_E_NS1_11comp_targetILNS1_3genE4ELNS1_11target_archE910ELNS1_3gpuE8ELNS1_3repE0EEENS1_30default_config_static_selectorELNS0_4arch9wavefront6targetE0EEEvT1_,"axG",@progbits,_ZN7rocprim17ROCPRIM_400000_NS6detail17trampoline_kernelINS0_14default_configENS1_33run_length_encode_config_selectorIN3c108BFloat16EjNS0_4plusIjEEEEZZNS1_33reduce_by_key_impl_wrapped_configILNS1_25lookback_scan_determinismE0ES3_S9_PKS6_NS0_17constant_iteratorIjlEEPS6_PlSH_S8_NS0_8equal_toIS6_EEEE10hipError_tPvRmT2_T3_mT4_T5_T6_T7_T8_P12ihipStream_tbENKUlT_T0_E_clISt17integral_constantIbLb1EES10_IbLb0EEEEDaSW_SX_EUlSW_E_NS1_11comp_targetILNS1_3genE4ELNS1_11target_archE910ELNS1_3gpuE8ELNS1_3repE0EEENS1_30default_config_static_selectorELNS0_4arch9wavefront6targetE0EEEvT1_,comdat
.Lfunc_end876:
	.size	_ZN7rocprim17ROCPRIM_400000_NS6detail17trampoline_kernelINS0_14default_configENS1_33run_length_encode_config_selectorIN3c108BFloat16EjNS0_4plusIjEEEEZZNS1_33reduce_by_key_impl_wrapped_configILNS1_25lookback_scan_determinismE0ES3_S9_PKS6_NS0_17constant_iteratorIjlEEPS6_PlSH_S8_NS0_8equal_toIS6_EEEE10hipError_tPvRmT2_T3_mT4_T5_T6_T7_T8_P12ihipStream_tbENKUlT_T0_E_clISt17integral_constantIbLb1EES10_IbLb0EEEEDaSW_SX_EUlSW_E_NS1_11comp_targetILNS1_3genE4ELNS1_11target_archE910ELNS1_3gpuE8ELNS1_3repE0EEENS1_30default_config_static_selectorELNS0_4arch9wavefront6targetE0EEEvT1_, .Lfunc_end876-_ZN7rocprim17ROCPRIM_400000_NS6detail17trampoline_kernelINS0_14default_configENS1_33run_length_encode_config_selectorIN3c108BFloat16EjNS0_4plusIjEEEEZZNS1_33reduce_by_key_impl_wrapped_configILNS1_25lookback_scan_determinismE0ES3_S9_PKS6_NS0_17constant_iteratorIjlEEPS6_PlSH_S8_NS0_8equal_toIS6_EEEE10hipError_tPvRmT2_T3_mT4_T5_T6_T7_T8_P12ihipStream_tbENKUlT_T0_E_clISt17integral_constantIbLb1EES10_IbLb0EEEEDaSW_SX_EUlSW_E_NS1_11comp_targetILNS1_3genE4ELNS1_11target_archE910ELNS1_3gpuE8ELNS1_3repE0EEENS1_30default_config_static_selectorELNS0_4arch9wavefront6targetE0EEEvT1_
                                        ; -- End function
	.set _ZN7rocprim17ROCPRIM_400000_NS6detail17trampoline_kernelINS0_14default_configENS1_33run_length_encode_config_selectorIN3c108BFloat16EjNS0_4plusIjEEEEZZNS1_33reduce_by_key_impl_wrapped_configILNS1_25lookback_scan_determinismE0ES3_S9_PKS6_NS0_17constant_iteratorIjlEEPS6_PlSH_S8_NS0_8equal_toIS6_EEEE10hipError_tPvRmT2_T3_mT4_T5_T6_T7_T8_P12ihipStream_tbENKUlT_T0_E_clISt17integral_constantIbLb1EES10_IbLb0EEEEDaSW_SX_EUlSW_E_NS1_11comp_targetILNS1_3genE4ELNS1_11target_archE910ELNS1_3gpuE8ELNS1_3repE0EEENS1_30default_config_static_selectorELNS0_4arch9wavefront6targetE0EEEvT1_.num_vgpr, 0
	.set _ZN7rocprim17ROCPRIM_400000_NS6detail17trampoline_kernelINS0_14default_configENS1_33run_length_encode_config_selectorIN3c108BFloat16EjNS0_4plusIjEEEEZZNS1_33reduce_by_key_impl_wrapped_configILNS1_25lookback_scan_determinismE0ES3_S9_PKS6_NS0_17constant_iteratorIjlEEPS6_PlSH_S8_NS0_8equal_toIS6_EEEE10hipError_tPvRmT2_T3_mT4_T5_T6_T7_T8_P12ihipStream_tbENKUlT_T0_E_clISt17integral_constantIbLb1EES10_IbLb0EEEEDaSW_SX_EUlSW_E_NS1_11comp_targetILNS1_3genE4ELNS1_11target_archE910ELNS1_3gpuE8ELNS1_3repE0EEENS1_30default_config_static_selectorELNS0_4arch9wavefront6targetE0EEEvT1_.num_agpr, 0
	.set _ZN7rocprim17ROCPRIM_400000_NS6detail17trampoline_kernelINS0_14default_configENS1_33run_length_encode_config_selectorIN3c108BFloat16EjNS0_4plusIjEEEEZZNS1_33reduce_by_key_impl_wrapped_configILNS1_25lookback_scan_determinismE0ES3_S9_PKS6_NS0_17constant_iteratorIjlEEPS6_PlSH_S8_NS0_8equal_toIS6_EEEE10hipError_tPvRmT2_T3_mT4_T5_T6_T7_T8_P12ihipStream_tbENKUlT_T0_E_clISt17integral_constantIbLb1EES10_IbLb0EEEEDaSW_SX_EUlSW_E_NS1_11comp_targetILNS1_3genE4ELNS1_11target_archE910ELNS1_3gpuE8ELNS1_3repE0EEENS1_30default_config_static_selectorELNS0_4arch9wavefront6targetE0EEEvT1_.numbered_sgpr, 0
	.set _ZN7rocprim17ROCPRIM_400000_NS6detail17trampoline_kernelINS0_14default_configENS1_33run_length_encode_config_selectorIN3c108BFloat16EjNS0_4plusIjEEEEZZNS1_33reduce_by_key_impl_wrapped_configILNS1_25lookback_scan_determinismE0ES3_S9_PKS6_NS0_17constant_iteratorIjlEEPS6_PlSH_S8_NS0_8equal_toIS6_EEEE10hipError_tPvRmT2_T3_mT4_T5_T6_T7_T8_P12ihipStream_tbENKUlT_T0_E_clISt17integral_constantIbLb1EES10_IbLb0EEEEDaSW_SX_EUlSW_E_NS1_11comp_targetILNS1_3genE4ELNS1_11target_archE910ELNS1_3gpuE8ELNS1_3repE0EEENS1_30default_config_static_selectorELNS0_4arch9wavefront6targetE0EEEvT1_.num_named_barrier, 0
	.set _ZN7rocprim17ROCPRIM_400000_NS6detail17trampoline_kernelINS0_14default_configENS1_33run_length_encode_config_selectorIN3c108BFloat16EjNS0_4plusIjEEEEZZNS1_33reduce_by_key_impl_wrapped_configILNS1_25lookback_scan_determinismE0ES3_S9_PKS6_NS0_17constant_iteratorIjlEEPS6_PlSH_S8_NS0_8equal_toIS6_EEEE10hipError_tPvRmT2_T3_mT4_T5_T6_T7_T8_P12ihipStream_tbENKUlT_T0_E_clISt17integral_constantIbLb1EES10_IbLb0EEEEDaSW_SX_EUlSW_E_NS1_11comp_targetILNS1_3genE4ELNS1_11target_archE910ELNS1_3gpuE8ELNS1_3repE0EEENS1_30default_config_static_selectorELNS0_4arch9wavefront6targetE0EEEvT1_.private_seg_size, 0
	.set _ZN7rocprim17ROCPRIM_400000_NS6detail17trampoline_kernelINS0_14default_configENS1_33run_length_encode_config_selectorIN3c108BFloat16EjNS0_4plusIjEEEEZZNS1_33reduce_by_key_impl_wrapped_configILNS1_25lookback_scan_determinismE0ES3_S9_PKS6_NS0_17constant_iteratorIjlEEPS6_PlSH_S8_NS0_8equal_toIS6_EEEE10hipError_tPvRmT2_T3_mT4_T5_T6_T7_T8_P12ihipStream_tbENKUlT_T0_E_clISt17integral_constantIbLb1EES10_IbLb0EEEEDaSW_SX_EUlSW_E_NS1_11comp_targetILNS1_3genE4ELNS1_11target_archE910ELNS1_3gpuE8ELNS1_3repE0EEENS1_30default_config_static_selectorELNS0_4arch9wavefront6targetE0EEEvT1_.uses_vcc, 0
	.set _ZN7rocprim17ROCPRIM_400000_NS6detail17trampoline_kernelINS0_14default_configENS1_33run_length_encode_config_selectorIN3c108BFloat16EjNS0_4plusIjEEEEZZNS1_33reduce_by_key_impl_wrapped_configILNS1_25lookback_scan_determinismE0ES3_S9_PKS6_NS0_17constant_iteratorIjlEEPS6_PlSH_S8_NS0_8equal_toIS6_EEEE10hipError_tPvRmT2_T3_mT4_T5_T6_T7_T8_P12ihipStream_tbENKUlT_T0_E_clISt17integral_constantIbLb1EES10_IbLb0EEEEDaSW_SX_EUlSW_E_NS1_11comp_targetILNS1_3genE4ELNS1_11target_archE910ELNS1_3gpuE8ELNS1_3repE0EEENS1_30default_config_static_selectorELNS0_4arch9wavefront6targetE0EEEvT1_.uses_flat_scratch, 0
	.set _ZN7rocprim17ROCPRIM_400000_NS6detail17trampoline_kernelINS0_14default_configENS1_33run_length_encode_config_selectorIN3c108BFloat16EjNS0_4plusIjEEEEZZNS1_33reduce_by_key_impl_wrapped_configILNS1_25lookback_scan_determinismE0ES3_S9_PKS6_NS0_17constant_iteratorIjlEEPS6_PlSH_S8_NS0_8equal_toIS6_EEEE10hipError_tPvRmT2_T3_mT4_T5_T6_T7_T8_P12ihipStream_tbENKUlT_T0_E_clISt17integral_constantIbLb1EES10_IbLb0EEEEDaSW_SX_EUlSW_E_NS1_11comp_targetILNS1_3genE4ELNS1_11target_archE910ELNS1_3gpuE8ELNS1_3repE0EEENS1_30default_config_static_selectorELNS0_4arch9wavefront6targetE0EEEvT1_.has_dyn_sized_stack, 0
	.set _ZN7rocprim17ROCPRIM_400000_NS6detail17trampoline_kernelINS0_14default_configENS1_33run_length_encode_config_selectorIN3c108BFloat16EjNS0_4plusIjEEEEZZNS1_33reduce_by_key_impl_wrapped_configILNS1_25lookback_scan_determinismE0ES3_S9_PKS6_NS0_17constant_iteratorIjlEEPS6_PlSH_S8_NS0_8equal_toIS6_EEEE10hipError_tPvRmT2_T3_mT4_T5_T6_T7_T8_P12ihipStream_tbENKUlT_T0_E_clISt17integral_constantIbLb1EES10_IbLb0EEEEDaSW_SX_EUlSW_E_NS1_11comp_targetILNS1_3genE4ELNS1_11target_archE910ELNS1_3gpuE8ELNS1_3repE0EEENS1_30default_config_static_selectorELNS0_4arch9wavefront6targetE0EEEvT1_.has_recursion, 0
	.set _ZN7rocprim17ROCPRIM_400000_NS6detail17trampoline_kernelINS0_14default_configENS1_33run_length_encode_config_selectorIN3c108BFloat16EjNS0_4plusIjEEEEZZNS1_33reduce_by_key_impl_wrapped_configILNS1_25lookback_scan_determinismE0ES3_S9_PKS6_NS0_17constant_iteratorIjlEEPS6_PlSH_S8_NS0_8equal_toIS6_EEEE10hipError_tPvRmT2_T3_mT4_T5_T6_T7_T8_P12ihipStream_tbENKUlT_T0_E_clISt17integral_constantIbLb1EES10_IbLb0EEEEDaSW_SX_EUlSW_E_NS1_11comp_targetILNS1_3genE4ELNS1_11target_archE910ELNS1_3gpuE8ELNS1_3repE0EEENS1_30default_config_static_selectorELNS0_4arch9wavefront6targetE0EEEvT1_.has_indirect_call, 0
	.section	.AMDGPU.csdata,"",@progbits
; Kernel info:
; codeLenInByte = 0
; TotalNumSgprs: 0
; NumVgprs: 0
; ScratchSize: 0
; MemoryBound: 0
; FloatMode: 240
; IeeeMode: 1
; LDSByteSize: 0 bytes/workgroup (compile time only)
; SGPRBlocks: 0
; VGPRBlocks: 0
; NumSGPRsForWavesPerEU: 1
; NumVGPRsForWavesPerEU: 1
; NamedBarCnt: 0
; Occupancy: 16
; WaveLimiterHint : 0
; COMPUTE_PGM_RSRC2:SCRATCH_EN: 0
; COMPUTE_PGM_RSRC2:USER_SGPR: 2
; COMPUTE_PGM_RSRC2:TRAP_HANDLER: 0
; COMPUTE_PGM_RSRC2:TGID_X_EN: 1
; COMPUTE_PGM_RSRC2:TGID_Y_EN: 0
; COMPUTE_PGM_RSRC2:TGID_Z_EN: 0
; COMPUTE_PGM_RSRC2:TIDIG_COMP_CNT: 0
	.section	.text._ZN7rocprim17ROCPRIM_400000_NS6detail17trampoline_kernelINS0_14default_configENS1_33run_length_encode_config_selectorIN3c108BFloat16EjNS0_4plusIjEEEEZZNS1_33reduce_by_key_impl_wrapped_configILNS1_25lookback_scan_determinismE0ES3_S9_PKS6_NS0_17constant_iteratorIjlEEPS6_PlSH_S8_NS0_8equal_toIS6_EEEE10hipError_tPvRmT2_T3_mT4_T5_T6_T7_T8_P12ihipStream_tbENKUlT_T0_E_clISt17integral_constantIbLb1EES10_IbLb0EEEEDaSW_SX_EUlSW_E_NS1_11comp_targetILNS1_3genE3ELNS1_11target_archE908ELNS1_3gpuE7ELNS1_3repE0EEENS1_30default_config_static_selectorELNS0_4arch9wavefront6targetE0EEEvT1_,"axG",@progbits,_ZN7rocprim17ROCPRIM_400000_NS6detail17trampoline_kernelINS0_14default_configENS1_33run_length_encode_config_selectorIN3c108BFloat16EjNS0_4plusIjEEEEZZNS1_33reduce_by_key_impl_wrapped_configILNS1_25lookback_scan_determinismE0ES3_S9_PKS6_NS0_17constant_iteratorIjlEEPS6_PlSH_S8_NS0_8equal_toIS6_EEEE10hipError_tPvRmT2_T3_mT4_T5_T6_T7_T8_P12ihipStream_tbENKUlT_T0_E_clISt17integral_constantIbLb1EES10_IbLb0EEEEDaSW_SX_EUlSW_E_NS1_11comp_targetILNS1_3genE3ELNS1_11target_archE908ELNS1_3gpuE7ELNS1_3repE0EEENS1_30default_config_static_selectorELNS0_4arch9wavefront6targetE0EEEvT1_,comdat
	.protected	_ZN7rocprim17ROCPRIM_400000_NS6detail17trampoline_kernelINS0_14default_configENS1_33run_length_encode_config_selectorIN3c108BFloat16EjNS0_4plusIjEEEEZZNS1_33reduce_by_key_impl_wrapped_configILNS1_25lookback_scan_determinismE0ES3_S9_PKS6_NS0_17constant_iteratorIjlEEPS6_PlSH_S8_NS0_8equal_toIS6_EEEE10hipError_tPvRmT2_T3_mT4_T5_T6_T7_T8_P12ihipStream_tbENKUlT_T0_E_clISt17integral_constantIbLb1EES10_IbLb0EEEEDaSW_SX_EUlSW_E_NS1_11comp_targetILNS1_3genE3ELNS1_11target_archE908ELNS1_3gpuE7ELNS1_3repE0EEENS1_30default_config_static_selectorELNS0_4arch9wavefront6targetE0EEEvT1_ ; -- Begin function _ZN7rocprim17ROCPRIM_400000_NS6detail17trampoline_kernelINS0_14default_configENS1_33run_length_encode_config_selectorIN3c108BFloat16EjNS0_4plusIjEEEEZZNS1_33reduce_by_key_impl_wrapped_configILNS1_25lookback_scan_determinismE0ES3_S9_PKS6_NS0_17constant_iteratorIjlEEPS6_PlSH_S8_NS0_8equal_toIS6_EEEE10hipError_tPvRmT2_T3_mT4_T5_T6_T7_T8_P12ihipStream_tbENKUlT_T0_E_clISt17integral_constantIbLb1EES10_IbLb0EEEEDaSW_SX_EUlSW_E_NS1_11comp_targetILNS1_3genE3ELNS1_11target_archE908ELNS1_3gpuE7ELNS1_3repE0EEENS1_30default_config_static_selectorELNS0_4arch9wavefront6targetE0EEEvT1_
	.globl	_ZN7rocprim17ROCPRIM_400000_NS6detail17trampoline_kernelINS0_14default_configENS1_33run_length_encode_config_selectorIN3c108BFloat16EjNS0_4plusIjEEEEZZNS1_33reduce_by_key_impl_wrapped_configILNS1_25lookback_scan_determinismE0ES3_S9_PKS6_NS0_17constant_iteratorIjlEEPS6_PlSH_S8_NS0_8equal_toIS6_EEEE10hipError_tPvRmT2_T3_mT4_T5_T6_T7_T8_P12ihipStream_tbENKUlT_T0_E_clISt17integral_constantIbLb1EES10_IbLb0EEEEDaSW_SX_EUlSW_E_NS1_11comp_targetILNS1_3genE3ELNS1_11target_archE908ELNS1_3gpuE7ELNS1_3repE0EEENS1_30default_config_static_selectorELNS0_4arch9wavefront6targetE0EEEvT1_
	.p2align	8
	.type	_ZN7rocprim17ROCPRIM_400000_NS6detail17trampoline_kernelINS0_14default_configENS1_33run_length_encode_config_selectorIN3c108BFloat16EjNS0_4plusIjEEEEZZNS1_33reduce_by_key_impl_wrapped_configILNS1_25lookback_scan_determinismE0ES3_S9_PKS6_NS0_17constant_iteratorIjlEEPS6_PlSH_S8_NS0_8equal_toIS6_EEEE10hipError_tPvRmT2_T3_mT4_T5_T6_T7_T8_P12ihipStream_tbENKUlT_T0_E_clISt17integral_constantIbLb1EES10_IbLb0EEEEDaSW_SX_EUlSW_E_NS1_11comp_targetILNS1_3genE3ELNS1_11target_archE908ELNS1_3gpuE7ELNS1_3repE0EEENS1_30default_config_static_selectorELNS0_4arch9wavefront6targetE0EEEvT1_,@function
_ZN7rocprim17ROCPRIM_400000_NS6detail17trampoline_kernelINS0_14default_configENS1_33run_length_encode_config_selectorIN3c108BFloat16EjNS0_4plusIjEEEEZZNS1_33reduce_by_key_impl_wrapped_configILNS1_25lookback_scan_determinismE0ES3_S9_PKS6_NS0_17constant_iteratorIjlEEPS6_PlSH_S8_NS0_8equal_toIS6_EEEE10hipError_tPvRmT2_T3_mT4_T5_T6_T7_T8_P12ihipStream_tbENKUlT_T0_E_clISt17integral_constantIbLb1EES10_IbLb0EEEEDaSW_SX_EUlSW_E_NS1_11comp_targetILNS1_3genE3ELNS1_11target_archE908ELNS1_3gpuE7ELNS1_3repE0EEENS1_30default_config_static_selectorELNS0_4arch9wavefront6targetE0EEEvT1_: ; @_ZN7rocprim17ROCPRIM_400000_NS6detail17trampoline_kernelINS0_14default_configENS1_33run_length_encode_config_selectorIN3c108BFloat16EjNS0_4plusIjEEEEZZNS1_33reduce_by_key_impl_wrapped_configILNS1_25lookback_scan_determinismE0ES3_S9_PKS6_NS0_17constant_iteratorIjlEEPS6_PlSH_S8_NS0_8equal_toIS6_EEEE10hipError_tPvRmT2_T3_mT4_T5_T6_T7_T8_P12ihipStream_tbENKUlT_T0_E_clISt17integral_constantIbLb1EES10_IbLb0EEEEDaSW_SX_EUlSW_E_NS1_11comp_targetILNS1_3genE3ELNS1_11target_archE908ELNS1_3gpuE7ELNS1_3repE0EEENS1_30default_config_static_selectorELNS0_4arch9wavefront6targetE0EEEvT1_
; %bb.0:
	.section	.rodata,"a",@progbits
	.p2align	6, 0x0
	.amdhsa_kernel _ZN7rocprim17ROCPRIM_400000_NS6detail17trampoline_kernelINS0_14default_configENS1_33run_length_encode_config_selectorIN3c108BFloat16EjNS0_4plusIjEEEEZZNS1_33reduce_by_key_impl_wrapped_configILNS1_25lookback_scan_determinismE0ES3_S9_PKS6_NS0_17constant_iteratorIjlEEPS6_PlSH_S8_NS0_8equal_toIS6_EEEE10hipError_tPvRmT2_T3_mT4_T5_T6_T7_T8_P12ihipStream_tbENKUlT_T0_E_clISt17integral_constantIbLb1EES10_IbLb0EEEEDaSW_SX_EUlSW_E_NS1_11comp_targetILNS1_3genE3ELNS1_11target_archE908ELNS1_3gpuE7ELNS1_3repE0EEENS1_30default_config_static_selectorELNS0_4arch9wavefront6targetE0EEEvT1_
		.amdhsa_group_segment_fixed_size 0
		.amdhsa_private_segment_fixed_size 0
		.amdhsa_kernarg_size 128
		.amdhsa_user_sgpr_count 2
		.amdhsa_user_sgpr_dispatch_ptr 0
		.amdhsa_user_sgpr_queue_ptr 0
		.amdhsa_user_sgpr_kernarg_segment_ptr 1
		.amdhsa_user_sgpr_dispatch_id 0
		.amdhsa_user_sgpr_kernarg_preload_length 0
		.amdhsa_user_sgpr_kernarg_preload_offset 0
		.amdhsa_user_sgpr_private_segment_size 0
		.amdhsa_wavefront_size32 1
		.amdhsa_uses_dynamic_stack 0
		.amdhsa_enable_private_segment 0
		.amdhsa_system_sgpr_workgroup_id_x 1
		.amdhsa_system_sgpr_workgroup_id_y 0
		.amdhsa_system_sgpr_workgroup_id_z 0
		.amdhsa_system_sgpr_workgroup_info 0
		.amdhsa_system_vgpr_workitem_id 0
		.amdhsa_next_free_vgpr 1
		.amdhsa_next_free_sgpr 1
		.amdhsa_named_barrier_count 0
		.amdhsa_reserve_vcc 0
		.amdhsa_float_round_mode_32 0
		.amdhsa_float_round_mode_16_64 0
		.amdhsa_float_denorm_mode_32 3
		.amdhsa_float_denorm_mode_16_64 3
		.amdhsa_fp16_overflow 0
		.amdhsa_memory_ordered 1
		.amdhsa_forward_progress 1
		.amdhsa_inst_pref_size 0
		.amdhsa_round_robin_scheduling 0
		.amdhsa_exception_fp_ieee_invalid_op 0
		.amdhsa_exception_fp_denorm_src 0
		.amdhsa_exception_fp_ieee_div_zero 0
		.amdhsa_exception_fp_ieee_overflow 0
		.amdhsa_exception_fp_ieee_underflow 0
		.amdhsa_exception_fp_ieee_inexact 0
		.amdhsa_exception_int_div_zero 0
	.end_amdhsa_kernel
	.section	.text._ZN7rocprim17ROCPRIM_400000_NS6detail17trampoline_kernelINS0_14default_configENS1_33run_length_encode_config_selectorIN3c108BFloat16EjNS0_4plusIjEEEEZZNS1_33reduce_by_key_impl_wrapped_configILNS1_25lookback_scan_determinismE0ES3_S9_PKS6_NS0_17constant_iteratorIjlEEPS6_PlSH_S8_NS0_8equal_toIS6_EEEE10hipError_tPvRmT2_T3_mT4_T5_T6_T7_T8_P12ihipStream_tbENKUlT_T0_E_clISt17integral_constantIbLb1EES10_IbLb0EEEEDaSW_SX_EUlSW_E_NS1_11comp_targetILNS1_3genE3ELNS1_11target_archE908ELNS1_3gpuE7ELNS1_3repE0EEENS1_30default_config_static_selectorELNS0_4arch9wavefront6targetE0EEEvT1_,"axG",@progbits,_ZN7rocprim17ROCPRIM_400000_NS6detail17trampoline_kernelINS0_14default_configENS1_33run_length_encode_config_selectorIN3c108BFloat16EjNS0_4plusIjEEEEZZNS1_33reduce_by_key_impl_wrapped_configILNS1_25lookback_scan_determinismE0ES3_S9_PKS6_NS0_17constant_iteratorIjlEEPS6_PlSH_S8_NS0_8equal_toIS6_EEEE10hipError_tPvRmT2_T3_mT4_T5_T6_T7_T8_P12ihipStream_tbENKUlT_T0_E_clISt17integral_constantIbLb1EES10_IbLb0EEEEDaSW_SX_EUlSW_E_NS1_11comp_targetILNS1_3genE3ELNS1_11target_archE908ELNS1_3gpuE7ELNS1_3repE0EEENS1_30default_config_static_selectorELNS0_4arch9wavefront6targetE0EEEvT1_,comdat
.Lfunc_end877:
	.size	_ZN7rocprim17ROCPRIM_400000_NS6detail17trampoline_kernelINS0_14default_configENS1_33run_length_encode_config_selectorIN3c108BFloat16EjNS0_4plusIjEEEEZZNS1_33reduce_by_key_impl_wrapped_configILNS1_25lookback_scan_determinismE0ES3_S9_PKS6_NS0_17constant_iteratorIjlEEPS6_PlSH_S8_NS0_8equal_toIS6_EEEE10hipError_tPvRmT2_T3_mT4_T5_T6_T7_T8_P12ihipStream_tbENKUlT_T0_E_clISt17integral_constantIbLb1EES10_IbLb0EEEEDaSW_SX_EUlSW_E_NS1_11comp_targetILNS1_3genE3ELNS1_11target_archE908ELNS1_3gpuE7ELNS1_3repE0EEENS1_30default_config_static_selectorELNS0_4arch9wavefront6targetE0EEEvT1_, .Lfunc_end877-_ZN7rocprim17ROCPRIM_400000_NS6detail17trampoline_kernelINS0_14default_configENS1_33run_length_encode_config_selectorIN3c108BFloat16EjNS0_4plusIjEEEEZZNS1_33reduce_by_key_impl_wrapped_configILNS1_25lookback_scan_determinismE0ES3_S9_PKS6_NS0_17constant_iteratorIjlEEPS6_PlSH_S8_NS0_8equal_toIS6_EEEE10hipError_tPvRmT2_T3_mT4_T5_T6_T7_T8_P12ihipStream_tbENKUlT_T0_E_clISt17integral_constantIbLb1EES10_IbLb0EEEEDaSW_SX_EUlSW_E_NS1_11comp_targetILNS1_3genE3ELNS1_11target_archE908ELNS1_3gpuE7ELNS1_3repE0EEENS1_30default_config_static_selectorELNS0_4arch9wavefront6targetE0EEEvT1_
                                        ; -- End function
	.set _ZN7rocprim17ROCPRIM_400000_NS6detail17trampoline_kernelINS0_14default_configENS1_33run_length_encode_config_selectorIN3c108BFloat16EjNS0_4plusIjEEEEZZNS1_33reduce_by_key_impl_wrapped_configILNS1_25lookback_scan_determinismE0ES3_S9_PKS6_NS0_17constant_iteratorIjlEEPS6_PlSH_S8_NS0_8equal_toIS6_EEEE10hipError_tPvRmT2_T3_mT4_T5_T6_T7_T8_P12ihipStream_tbENKUlT_T0_E_clISt17integral_constantIbLb1EES10_IbLb0EEEEDaSW_SX_EUlSW_E_NS1_11comp_targetILNS1_3genE3ELNS1_11target_archE908ELNS1_3gpuE7ELNS1_3repE0EEENS1_30default_config_static_selectorELNS0_4arch9wavefront6targetE0EEEvT1_.num_vgpr, 0
	.set _ZN7rocprim17ROCPRIM_400000_NS6detail17trampoline_kernelINS0_14default_configENS1_33run_length_encode_config_selectorIN3c108BFloat16EjNS0_4plusIjEEEEZZNS1_33reduce_by_key_impl_wrapped_configILNS1_25lookback_scan_determinismE0ES3_S9_PKS6_NS0_17constant_iteratorIjlEEPS6_PlSH_S8_NS0_8equal_toIS6_EEEE10hipError_tPvRmT2_T3_mT4_T5_T6_T7_T8_P12ihipStream_tbENKUlT_T0_E_clISt17integral_constantIbLb1EES10_IbLb0EEEEDaSW_SX_EUlSW_E_NS1_11comp_targetILNS1_3genE3ELNS1_11target_archE908ELNS1_3gpuE7ELNS1_3repE0EEENS1_30default_config_static_selectorELNS0_4arch9wavefront6targetE0EEEvT1_.num_agpr, 0
	.set _ZN7rocprim17ROCPRIM_400000_NS6detail17trampoline_kernelINS0_14default_configENS1_33run_length_encode_config_selectorIN3c108BFloat16EjNS0_4plusIjEEEEZZNS1_33reduce_by_key_impl_wrapped_configILNS1_25lookback_scan_determinismE0ES3_S9_PKS6_NS0_17constant_iteratorIjlEEPS6_PlSH_S8_NS0_8equal_toIS6_EEEE10hipError_tPvRmT2_T3_mT4_T5_T6_T7_T8_P12ihipStream_tbENKUlT_T0_E_clISt17integral_constantIbLb1EES10_IbLb0EEEEDaSW_SX_EUlSW_E_NS1_11comp_targetILNS1_3genE3ELNS1_11target_archE908ELNS1_3gpuE7ELNS1_3repE0EEENS1_30default_config_static_selectorELNS0_4arch9wavefront6targetE0EEEvT1_.numbered_sgpr, 0
	.set _ZN7rocprim17ROCPRIM_400000_NS6detail17trampoline_kernelINS0_14default_configENS1_33run_length_encode_config_selectorIN3c108BFloat16EjNS0_4plusIjEEEEZZNS1_33reduce_by_key_impl_wrapped_configILNS1_25lookback_scan_determinismE0ES3_S9_PKS6_NS0_17constant_iteratorIjlEEPS6_PlSH_S8_NS0_8equal_toIS6_EEEE10hipError_tPvRmT2_T3_mT4_T5_T6_T7_T8_P12ihipStream_tbENKUlT_T0_E_clISt17integral_constantIbLb1EES10_IbLb0EEEEDaSW_SX_EUlSW_E_NS1_11comp_targetILNS1_3genE3ELNS1_11target_archE908ELNS1_3gpuE7ELNS1_3repE0EEENS1_30default_config_static_selectorELNS0_4arch9wavefront6targetE0EEEvT1_.num_named_barrier, 0
	.set _ZN7rocprim17ROCPRIM_400000_NS6detail17trampoline_kernelINS0_14default_configENS1_33run_length_encode_config_selectorIN3c108BFloat16EjNS0_4plusIjEEEEZZNS1_33reduce_by_key_impl_wrapped_configILNS1_25lookback_scan_determinismE0ES3_S9_PKS6_NS0_17constant_iteratorIjlEEPS6_PlSH_S8_NS0_8equal_toIS6_EEEE10hipError_tPvRmT2_T3_mT4_T5_T6_T7_T8_P12ihipStream_tbENKUlT_T0_E_clISt17integral_constantIbLb1EES10_IbLb0EEEEDaSW_SX_EUlSW_E_NS1_11comp_targetILNS1_3genE3ELNS1_11target_archE908ELNS1_3gpuE7ELNS1_3repE0EEENS1_30default_config_static_selectorELNS0_4arch9wavefront6targetE0EEEvT1_.private_seg_size, 0
	.set _ZN7rocprim17ROCPRIM_400000_NS6detail17trampoline_kernelINS0_14default_configENS1_33run_length_encode_config_selectorIN3c108BFloat16EjNS0_4plusIjEEEEZZNS1_33reduce_by_key_impl_wrapped_configILNS1_25lookback_scan_determinismE0ES3_S9_PKS6_NS0_17constant_iteratorIjlEEPS6_PlSH_S8_NS0_8equal_toIS6_EEEE10hipError_tPvRmT2_T3_mT4_T5_T6_T7_T8_P12ihipStream_tbENKUlT_T0_E_clISt17integral_constantIbLb1EES10_IbLb0EEEEDaSW_SX_EUlSW_E_NS1_11comp_targetILNS1_3genE3ELNS1_11target_archE908ELNS1_3gpuE7ELNS1_3repE0EEENS1_30default_config_static_selectorELNS0_4arch9wavefront6targetE0EEEvT1_.uses_vcc, 0
	.set _ZN7rocprim17ROCPRIM_400000_NS6detail17trampoline_kernelINS0_14default_configENS1_33run_length_encode_config_selectorIN3c108BFloat16EjNS0_4plusIjEEEEZZNS1_33reduce_by_key_impl_wrapped_configILNS1_25lookback_scan_determinismE0ES3_S9_PKS6_NS0_17constant_iteratorIjlEEPS6_PlSH_S8_NS0_8equal_toIS6_EEEE10hipError_tPvRmT2_T3_mT4_T5_T6_T7_T8_P12ihipStream_tbENKUlT_T0_E_clISt17integral_constantIbLb1EES10_IbLb0EEEEDaSW_SX_EUlSW_E_NS1_11comp_targetILNS1_3genE3ELNS1_11target_archE908ELNS1_3gpuE7ELNS1_3repE0EEENS1_30default_config_static_selectorELNS0_4arch9wavefront6targetE0EEEvT1_.uses_flat_scratch, 0
	.set _ZN7rocprim17ROCPRIM_400000_NS6detail17trampoline_kernelINS0_14default_configENS1_33run_length_encode_config_selectorIN3c108BFloat16EjNS0_4plusIjEEEEZZNS1_33reduce_by_key_impl_wrapped_configILNS1_25lookback_scan_determinismE0ES3_S9_PKS6_NS0_17constant_iteratorIjlEEPS6_PlSH_S8_NS0_8equal_toIS6_EEEE10hipError_tPvRmT2_T3_mT4_T5_T6_T7_T8_P12ihipStream_tbENKUlT_T0_E_clISt17integral_constantIbLb1EES10_IbLb0EEEEDaSW_SX_EUlSW_E_NS1_11comp_targetILNS1_3genE3ELNS1_11target_archE908ELNS1_3gpuE7ELNS1_3repE0EEENS1_30default_config_static_selectorELNS0_4arch9wavefront6targetE0EEEvT1_.has_dyn_sized_stack, 0
	.set _ZN7rocprim17ROCPRIM_400000_NS6detail17trampoline_kernelINS0_14default_configENS1_33run_length_encode_config_selectorIN3c108BFloat16EjNS0_4plusIjEEEEZZNS1_33reduce_by_key_impl_wrapped_configILNS1_25lookback_scan_determinismE0ES3_S9_PKS6_NS0_17constant_iteratorIjlEEPS6_PlSH_S8_NS0_8equal_toIS6_EEEE10hipError_tPvRmT2_T3_mT4_T5_T6_T7_T8_P12ihipStream_tbENKUlT_T0_E_clISt17integral_constantIbLb1EES10_IbLb0EEEEDaSW_SX_EUlSW_E_NS1_11comp_targetILNS1_3genE3ELNS1_11target_archE908ELNS1_3gpuE7ELNS1_3repE0EEENS1_30default_config_static_selectorELNS0_4arch9wavefront6targetE0EEEvT1_.has_recursion, 0
	.set _ZN7rocprim17ROCPRIM_400000_NS6detail17trampoline_kernelINS0_14default_configENS1_33run_length_encode_config_selectorIN3c108BFloat16EjNS0_4plusIjEEEEZZNS1_33reduce_by_key_impl_wrapped_configILNS1_25lookback_scan_determinismE0ES3_S9_PKS6_NS0_17constant_iteratorIjlEEPS6_PlSH_S8_NS0_8equal_toIS6_EEEE10hipError_tPvRmT2_T3_mT4_T5_T6_T7_T8_P12ihipStream_tbENKUlT_T0_E_clISt17integral_constantIbLb1EES10_IbLb0EEEEDaSW_SX_EUlSW_E_NS1_11comp_targetILNS1_3genE3ELNS1_11target_archE908ELNS1_3gpuE7ELNS1_3repE0EEENS1_30default_config_static_selectorELNS0_4arch9wavefront6targetE0EEEvT1_.has_indirect_call, 0
	.section	.AMDGPU.csdata,"",@progbits
; Kernel info:
; codeLenInByte = 0
; TotalNumSgprs: 0
; NumVgprs: 0
; ScratchSize: 0
; MemoryBound: 0
; FloatMode: 240
; IeeeMode: 1
; LDSByteSize: 0 bytes/workgroup (compile time only)
; SGPRBlocks: 0
; VGPRBlocks: 0
; NumSGPRsForWavesPerEU: 1
; NumVGPRsForWavesPerEU: 1
; NamedBarCnt: 0
; Occupancy: 16
; WaveLimiterHint : 0
; COMPUTE_PGM_RSRC2:SCRATCH_EN: 0
; COMPUTE_PGM_RSRC2:USER_SGPR: 2
; COMPUTE_PGM_RSRC2:TRAP_HANDLER: 0
; COMPUTE_PGM_RSRC2:TGID_X_EN: 1
; COMPUTE_PGM_RSRC2:TGID_Y_EN: 0
; COMPUTE_PGM_RSRC2:TGID_Z_EN: 0
; COMPUTE_PGM_RSRC2:TIDIG_COMP_CNT: 0
	.section	.text._ZN7rocprim17ROCPRIM_400000_NS6detail17trampoline_kernelINS0_14default_configENS1_33run_length_encode_config_selectorIN3c108BFloat16EjNS0_4plusIjEEEEZZNS1_33reduce_by_key_impl_wrapped_configILNS1_25lookback_scan_determinismE0ES3_S9_PKS6_NS0_17constant_iteratorIjlEEPS6_PlSH_S8_NS0_8equal_toIS6_EEEE10hipError_tPvRmT2_T3_mT4_T5_T6_T7_T8_P12ihipStream_tbENKUlT_T0_E_clISt17integral_constantIbLb1EES10_IbLb0EEEEDaSW_SX_EUlSW_E_NS1_11comp_targetILNS1_3genE2ELNS1_11target_archE906ELNS1_3gpuE6ELNS1_3repE0EEENS1_30default_config_static_selectorELNS0_4arch9wavefront6targetE0EEEvT1_,"axG",@progbits,_ZN7rocprim17ROCPRIM_400000_NS6detail17trampoline_kernelINS0_14default_configENS1_33run_length_encode_config_selectorIN3c108BFloat16EjNS0_4plusIjEEEEZZNS1_33reduce_by_key_impl_wrapped_configILNS1_25lookback_scan_determinismE0ES3_S9_PKS6_NS0_17constant_iteratorIjlEEPS6_PlSH_S8_NS0_8equal_toIS6_EEEE10hipError_tPvRmT2_T3_mT4_T5_T6_T7_T8_P12ihipStream_tbENKUlT_T0_E_clISt17integral_constantIbLb1EES10_IbLb0EEEEDaSW_SX_EUlSW_E_NS1_11comp_targetILNS1_3genE2ELNS1_11target_archE906ELNS1_3gpuE6ELNS1_3repE0EEENS1_30default_config_static_selectorELNS0_4arch9wavefront6targetE0EEEvT1_,comdat
	.protected	_ZN7rocprim17ROCPRIM_400000_NS6detail17trampoline_kernelINS0_14default_configENS1_33run_length_encode_config_selectorIN3c108BFloat16EjNS0_4plusIjEEEEZZNS1_33reduce_by_key_impl_wrapped_configILNS1_25lookback_scan_determinismE0ES3_S9_PKS6_NS0_17constant_iteratorIjlEEPS6_PlSH_S8_NS0_8equal_toIS6_EEEE10hipError_tPvRmT2_T3_mT4_T5_T6_T7_T8_P12ihipStream_tbENKUlT_T0_E_clISt17integral_constantIbLb1EES10_IbLb0EEEEDaSW_SX_EUlSW_E_NS1_11comp_targetILNS1_3genE2ELNS1_11target_archE906ELNS1_3gpuE6ELNS1_3repE0EEENS1_30default_config_static_selectorELNS0_4arch9wavefront6targetE0EEEvT1_ ; -- Begin function _ZN7rocprim17ROCPRIM_400000_NS6detail17trampoline_kernelINS0_14default_configENS1_33run_length_encode_config_selectorIN3c108BFloat16EjNS0_4plusIjEEEEZZNS1_33reduce_by_key_impl_wrapped_configILNS1_25lookback_scan_determinismE0ES3_S9_PKS6_NS0_17constant_iteratorIjlEEPS6_PlSH_S8_NS0_8equal_toIS6_EEEE10hipError_tPvRmT2_T3_mT4_T5_T6_T7_T8_P12ihipStream_tbENKUlT_T0_E_clISt17integral_constantIbLb1EES10_IbLb0EEEEDaSW_SX_EUlSW_E_NS1_11comp_targetILNS1_3genE2ELNS1_11target_archE906ELNS1_3gpuE6ELNS1_3repE0EEENS1_30default_config_static_selectorELNS0_4arch9wavefront6targetE0EEEvT1_
	.globl	_ZN7rocprim17ROCPRIM_400000_NS6detail17trampoline_kernelINS0_14default_configENS1_33run_length_encode_config_selectorIN3c108BFloat16EjNS0_4plusIjEEEEZZNS1_33reduce_by_key_impl_wrapped_configILNS1_25lookback_scan_determinismE0ES3_S9_PKS6_NS0_17constant_iteratorIjlEEPS6_PlSH_S8_NS0_8equal_toIS6_EEEE10hipError_tPvRmT2_T3_mT4_T5_T6_T7_T8_P12ihipStream_tbENKUlT_T0_E_clISt17integral_constantIbLb1EES10_IbLb0EEEEDaSW_SX_EUlSW_E_NS1_11comp_targetILNS1_3genE2ELNS1_11target_archE906ELNS1_3gpuE6ELNS1_3repE0EEENS1_30default_config_static_selectorELNS0_4arch9wavefront6targetE0EEEvT1_
	.p2align	8
	.type	_ZN7rocprim17ROCPRIM_400000_NS6detail17trampoline_kernelINS0_14default_configENS1_33run_length_encode_config_selectorIN3c108BFloat16EjNS0_4plusIjEEEEZZNS1_33reduce_by_key_impl_wrapped_configILNS1_25lookback_scan_determinismE0ES3_S9_PKS6_NS0_17constant_iteratorIjlEEPS6_PlSH_S8_NS0_8equal_toIS6_EEEE10hipError_tPvRmT2_T3_mT4_T5_T6_T7_T8_P12ihipStream_tbENKUlT_T0_E_clISt17integral_constantIbLb1EES10_IbLb0EEEEDaSW_SX_EUlSW_E_NS1_11comp_targetILNS1_3genE2ELNS1_11target_archE906ELNS1_3gpuE6ELNS1_3repE0EEENS1_30default_config_static_selectorELNS0_4arch9wavefront6targetE0EEEvT1_,@function
_ZN7rocprim17ROCPRIM_400000_NS6detail17trampoline_kernelINS0_14default_configENS1_33run_length_encode_config_selectorIN3c108BFloat16EjNS0_4plusIjEEEEZZNS1_33reduce_by_key_impl_wrapped_configILNS1_25lookback_scan_determinismE0ES3_S9_PKS6_NS0_17constant_iteratorIjlEEPS6_PlSH_S8_NS0_8equal_toIS6_EEEE10hipError_tPvRmT2_T3_mT4_T5_T6_T7_T8_P12ihipStream_tbENKUlT_T0_E_clISt17integral_constantIbLb1EES10_IbLb0EEEEDaSW_SX_EUlSW_E_NS1_11comp_targetILNS1_3genE2ELNS1_11target_archE906ELNS1_3gpuE6ELNS1_3repE0EEENS1_30default_config_static_selectorELNS0_4arch9wavefront6targetE0EEEvT1_: ; @_ZN7rocprim17ROCPRIM_400000_NS6detail17trampoline_kernelINS0_14default_configENS1_33run_length_encode_config_selectorIN3c108BFloat16EjNS0_4plusIjEEEEZZNS1_33reduce_by_key_impl_wrapped_configILNS1_25lookback_scan_determinismE0ES3_S9_PKS6_NS0_17constant_iteratorIjlEEPS6_PlSH_S8_NS0_8equal_toIS6_EEEE10hipError_tPvRmT2_T3_mT4_T5_T6_T7_T8_P12ihipStream_tbENKUlT_T0_E_clISt17integral_constantIbLb1EES10_IbLb0EEEEDaSW_SX_EUlSW_E_NS1_11comp_targetILNS1_3genE2ELNS1_11target_archE906ELNS1_3gpuE6ELNS1_3repE0EEENS1_30default_config_static_selectorELNS0_4arch9wavefront6targetE0EEEvT1_
; %bb.0:
	.section	.rodata,"a",@progbits
	.p2align	6, 0x0
	.amdhsa_kernel _ZN7rocprim17ROCPRIM_400000_NS6detail17trampoline_kernelINS0_14default_configENS1_33run_length_encode_config_selectorIN3c108BFloat16EjNS0_4plusIjEEEEZZNS1_33reduce_by_key_impl_wrapped_configILNS1_25lookback_scan_determinismE0ES3_S9_PKS6_NS0_17constant_iteratorIjlEEPS6_PlSH_S8_NS0_8equal_toIS6_EEEE10hipError_tPvRmT2_T3_mT4_T5_T6_T7_T8_P12ihipStream_tbENKUlT_T0_E_clISt17integral_constantIbLb1EES10_IbLb0EEEEDaSW_SX_EUlSW_E_NS1_11comp_targetILNS1_3genE2ELNS1_11target_archE906ELNS1_3gpuE6ELNS1_3repE0EEENS1_30default_config_static_selectorELNS0_4arch9wavefront6targetE0EEEvT1_
		.amdhsa_group_segment_fixed_size 0
		.amdhsa_private_segment_fixed_size 0
		.amdhsa_kernarg_size 128
		.amdhsa_user_sgpr_count 2
		.amdhsa_user_sgpr_dispatch_ptr 0
		.amdhsa_user_sgpr_queue_ptr 0
		.amdhsa_user_sgpr_kernarg_segment_ptr 1
		.amdhsa_user_sgpr_dispatch_id 0
		.amdhsa_user_sgpr_kernarg_preload_length 0
		.amdhsa_user_sgpr_kernarg_preload_offset 0
		.amdhsa_user_sgpr_private_segment_size 0
		.amdhsa_wavefront_size32 1
		.amdhsa_uses_dynamic_stack 0
		.amdhsa_enable_private_segment 0
		.amdhsa_system_sgpr_workgroup_id_x 1
		.amdhsa_system_sgpr_workgroup_id_y 0
		.amdhsa_system_sgpr_workgroup_id_z 0
		.amdhsa_system_sgpr_workgroup_info 0
		.amdhsa_system_vgpr_workitem_id 0
		.amdhsa_next_free_vgpr 1
		.amdhsa_next_free_sgpr 1
		.amdhsa_named_barrier_count 0
		.amdhsa_reserve_vcc 0
		.amdhsa_float_round_mode_32 0
		.amdhsa_float_round_mode_16_64 0
		.amdhsa_float_denorm_mode_32 3
		.amdhsa_float_denorm_mode_16_64 3
		.amdhsa_fp16_overflow 0
		.amdhsa_memory_ordered 1
		.amdhsa_forward_progress 1
		.amdhsa_inst_pref_size 0
		.amdhsa_round_robin_scheduling 0
		.amdhsa_exception_fp_ieee_invalid_op 0
		.amdhsa_exception_fp_denorm_src 0
		.amdhsa_exception_fp_ieee_div_zero 0
		.amdhsa_exception_fp_ieee_overflow 0
		.amdhsa_exception_fp_ieee_underflow 0
		.amdhsa_exception_fp_ieee_inexact 0
		.amdhsa_exception_int_div_zero 0
	.end_amdhsa_kernel
	.section	.text._ZN7rocprim17ROCPRIM_400000_NS6detail17trampoline_kernelINS0_14default_configENS1_33run_length_encode_config_selectorIN3c108BFloat16EjNS0_4plusIjEEEEZZNS1_33reduce_by_key_impl_wrapped_configILNS1_25lookback_scan_determinismE0ES3_S9_PKS6_NS0_17constant_iteratorIjlEEPS6_PlSH_S8_NS0_8equal_toIS6_EEEE10hipError_tPvRmT2_T3_mT4_T5_T6_T7_T8_P12ihipStream_tbENKUlT_T0_E_clISt17integral_constantIbLb1EES10_IbLb0EEEEDaSW_SX_EUlSW_E_NS1_11comp_targetILNS1_3genE2ELNS1_11target_archE906ELNS1_3gpuE6ELNS1_3repE0EEENS1_30default_config_static_selectorELNS0_4arch9wavefront6targetE0EEEvT1_,"axG",@progbits,_ZN7rocprim17ROCPRIM_400000_NS6detail17trampoline_kernelINS0_14default_configENS1_33run_length_encode_config_selectorIN3c108BFloat16EjNS0_4plusIjEEEEZZNS1_33reduce_by_key_impl_wrapped_configILNS1_25lookback_scan_determinismE0ES3_S9_PKS6_NS0_17constant_iteratorIjlEEPS6_PlSH_S8_NS0_8equal_toIS6_EEEE10hipError_tPvRmT2_T3_mT4_T5_T6_T7_T8_P12ihipStream_tbENKUlT_T0_E_clISt17integral_constantIbLb1EES10_IbLb0EEEEDaSW_SX_EUlSW_E_NS1_11comp_targetILNS1_3genE2ELNS1_11target_archE906ELNS1_3gpuE6ELNS1_3repE0EEENS1_30default_config_static_selectorELNS0_4arch9wavefront6targetE0EEEvT1_,comdat
.Lfunc_end878:
	.size	_ZN7rocprim17ROCPRIM_400000_NS6detail17trampoline_kernelINS0_14default_configENS1_33run_length_encode_config_selectorIN3c108BFloat16EjNS0_4plusIjEEEEZZNS1_33reduce_by_key_impl_wrapped_configILNS1_25lookback_scan_determinismE0ES3_S9_PKS6_NS0_17constant_iteratorIjlEEPS6_PlSH_S8_NS0_8equal_toIS6_EEEE10hipError_tPvRmT2_T3_mT4_T5_T6_T7_T8_P12ihipStream_tbENKUlT_T0_E_clISt17integral_constantIbLb1EES10_IbLb0EEEEDaSW_SX_EUlSW_E_NS1_11comp_targetILNS1_3genE2ELNS1_11target_archE906ELNS1_3gpuE6ELNS1_3repE0EEENS1_30default_config_static_selectorELNS0_4arch9wavefront6targetE0EEEvT1_, .Lfunc_end878-_ZN7rocprim17ROCPRIM_400000_NS6detail17trampoline_kernelINS0_14default_configENS1_33run_length_encode_config_selectorIN3c108BFloat16EjNS0_4plusIjEEEEZZNS1_33reduce_by_key_impl_wrapped_configILNS1_25lookback_scan_determinismE0ES3_S9_PKS6_NS0_17constant_iteratorIjlEEPS6_PlSH_S8_NS0_8equal_toIS6_EEEE10hipError_tPvRmT2_T3_mT4_T5_T6_T7_T8_P12ihipStream_tbENKUlT_T0_E_clISt17integral_constantIbLb1EES10_IbLb0EEEEDaSW_SX_EUlSW_E_NS1_11comp_targetILNS1_3genE2ELNS1_11target_archE906ELNS1_3gpuE6ELNS1_3repE0EEENS1_30default_config_static_selectorELNS0_4arch9wavefront6targetE0EEEvT1_
                                        ; -- End function
	.set _ZN7rocprim17ROCPRIM_400000_NS6detail17trampoline_kernelINS0_14default_configENS1_33run_length_encode_config_selectorIN3c108BFloat16EjNS0_4plusIjEEEEZZNS1_33reduce_by_key_impl_wrapped_configILNS1_25lookback_scan_determinismE0ES3_S9_PKS6_NS0_17constant_iteratorIjlEEPS6_PlSH_S8_NS0_8equal_toIS6_EEEE10hipError_tPvRmT2_T3_mT4_T5_T6_T7_T8_P12ihipStream_tbENKUlT_T0_E_clISt17integral_constantIbLb1EES10_IbLb0EEEEDaSW_SX_EUlSW_E_NS1_11comp_targetILNS1_3genE2ELNS1_11target_archE906ELNS1_3gpuE6ELNS1_3repE0EEENS1_30default_config_static_selectorELNS0_4arch9wavefront6targetE0EEEvT1_.num_vgpr, 0
	.set _ZN7rocprim17ROCPRIM_400000_NS6detail17trampoline_kernelINS0_14default_configENS1_33run_length_encode_config_selectorIN3c108BFloat16EjNS0_4plusIjEEEEZZNS1_33reduce_by_key_impl_wrapped_configILNS1_25lookback_scan_determinismE0ES3_S9_PKS6_NS0_17constant_iteratorIjlEEPS6_PlSH_S8_NS0_8equal_toIS6_EEEE10hipError_tPvRmT2_T3_mT4_T5_T6_T7_T8_P12ihipStream_tbENKUlT_T0_E_clISt17integral_constantIbLb1EES10_IbLb0EEEEDaSW_SX_EUlSW_E_NS1_11comp_targetILNS1_3genE2ELNS1_11target_archE906ELNS1_3gpuE6ELNS1_3repE0EEENS1_30default_config_static_selectorELNS0_4arch9wavefront6targetE0EEEvT1_.num_agpr, 0
	.set _ZN7rocprim17ROCPRIM_400000_NS6detail17trampoline_kernelINS0_14default_configENS1_33run_length_encode_config_selectorIN3c108BFloat16EjNS0_4plusIjEEEEZZNS1_33reduce_by_key_impl_wrapped_configILNS1_25lookback_scan_determinismE0ES3_S9_PKS6_NS0_17constant_iteratorIjlEEPS6_PlSH_S8_NS0_8equal_toIS6_EEEE10hipError_tPvRmT2_T3_mT4_T5_T6_T7_T8_P12ihipStream_tbENKUlT_T0_E_clISt17integral_constantIbLb1EES10_IbLb0EEEEDaSW_SX_EUlSW_E_NS1_11comp_targetILNS1_3genE2ELNS1_11target_archE906ELNS1_3gpuE6ELNS1_3repE0EEENS1_30default_config_static_selectorELNS0_4arch9wavefront6targetE0EEEvT1_.numbered_sgpr, 0
	.set _ZN7rocprim17ROCPRIM_400000_NS6detail17trampoline_kernelINS0_14default_configENS1_33run_length_encode_config_selectorIN3c108BFloat16EjNS0_4plusIjEEEEZZNS1_33reduce_by_key_impl_wrapped_configILNS1_25lookback_scan_determinismE0ES3_S9_PKS6_NS0_17constant_iteratorIjlEEPS6_PlSH_S8_NS0_8equal_toIS6_EEEE10hipError_tPvRmT2_T3_mT4_T5_T6_T7_T8_P12ihipStream_tbENKUlT_T0_E_clISt17integral_constantIbLb1EES10_IbLb0EEEEDaSW_SX_EUlSW_E_NS1_11comp_targetILNS1_3genE2ELNS1_11target_archE906ELNS1_3gpuE6ELNS1_3repE0EEENS1_30default_config_static_selectorELNS0_4arch9wavefront6targetE0EEEvT1_.num_named_barrier, 0
	.set _ZN7rocprim17ROCPRIM_400000_NS6detail17trampoline_kernelINS0_14default_configENS1_33run_length_encode_config_selectorIN3c108BFloat16EjNS0_4plusIjEEEEZZNS1_33reduce_by_key_impl_wrapped_configILNS1_25lookback_scan_determinismE0ES3_S9_PKS6_NS0_17constant_iteratorIjlEEPS6_PlSH_S8_NS0_8equal_toIS6_EEEE10hipError_tPvRmT2_T3_mT4_T5_T6_T7_T8_P12ihipStream_tbENKUlT_T0_E_clISt17integral_constantIbLb1EES10_IbLb0EEEEDaSW_SX_EUlSW_E_NS1_11comp_targetILNS1_3genE2ELNS1_11target_archE906ELNS1_3gpuE6ELNS1_3repE0EEENS1_30default_config_static_selectorELNS0_4arch9wavefront6targetE0EEEvT1_.private_seg_size, 0
	.set _ZN7rocprim17ROCPRIM_400000_NS6detail17trampoline_kernelINS0_14default_configENS1_33run_length_encode_config_selectorIN3c108BFloat16EjNS0_4plusIjEEEEZZNS1_33reduce_by_key_impl_wrapped_configILNS1_25lookback_scan_determinismE0ES3_S9_PKS6_NS0_17constant_iteratorIjlEEPS6_PlSH_S8_NS0_8equal_toIS6_EEEE10hipError_tPvRmT2_T3_mT4_T5_T6_T7_T8_P12ihipStream_tbENKUlT_T0_E_clISt17integral_constantIbLb1EES10_IbLb0EEEEDaSW_SX_EUlSW_E_NS1_11comp_targetILNS1_3genE2ELNS1_11target_archE906ELNS1_3gpuE6ELNS1_3repE0EEENS1_30default_config_static_selectorELNS0_4arch9wavefront6targetE0EEEvT1_.uses_vcc, 0
	.set _ZN7rocprim17ROCPRIM_400000_NS6detail17trampoline_kernelINS0_14default_configENS1_33run_length_encode_config_selectorIN3c108BFloat16EjNS0_4plusIjEEEEZZNS1_33reduce_by_key_impl_wrapped_configILNS1_25lookback_scan_determinismE0ES3_S9_PKS6_NS0_17constant_iteratorIjlEEPS6_PlSH_S8_NS0_8equal_toIS6_EEEE10hipError_tPvRmT2_T3_mT4_T5_T6_T7_T8_P12ihipStream_tbENKUlT_T0_E_clISt17integral_constantIbLb1EES10_IbLb0EEEEDaSW_SX_EUlSW_E_NS1_11comp_targetILNS1_3genE2ELNS1_11target_archE906ELNS1_3gpuE6ELNS1_3repE0EEENS1_30default_config_static_selectorELNS0_4arch9wavefront6targetE0EEEvT1_.uses_flat_scratch, 0
	.set _ZN7rocprim17ROCPRIM_400000_NS6detail17trampoline_kernelINS0_14default_configENS1_33run_length_encode_config_selectorIN3c108BFloat16EjNS0_4plusIjEEEEZZNS1_33reduce_by_key_impl_wrapped_configILNS1_25lookback_scan_determinismE0ES3_S9_PKS6_NS0_17constant_iteratorIjlEEPS6_PlSH_S8_NS0_8equal_toIS6_EEEE10hipError_tPvRmT2_T3_mT4_T5_T6_T7_T8_P12ihipStream_tbENKUlT_T0_E_clISt17integral_constantIbLb1EES10_IbLb0EEEEDaSW_SX_EUlSW_E_NS1_11comp_targetILNS1_3genE2ELNS1_11target_archE906ELNS1_3gpuE6ELNS1_3repE0EEENS1_30default_config_static_selectorELNS0_4arch9wavefront6targetE0EEEvT1_.has_dyn_sized_stack, 0
	.set _ZN7rocprim17ROCPRIM_400000_NS6detail17trampoline_kernelINS0_14default_configENS1_33run_length_encode_config_selectorIN3c108BFloat16EjNS0_4plusIjEEEEZZNS1_33reduce_by_key_impl_wrapped_configILNS1_25lookback_scan_determinismE0ES3_S9_PKS6_NS0_17constant_iteratorIjlEEPS6_PlSH_S8_NS0_8equal_toIS6_EEEE10hipError_tPvRmT2_T3_mT4_T5_T6_T7_T8_P12ihipStream_tbENKUlT_T0_E_clISt17integral_constantIbLb1EES10_IbLb0EEEEDaSW_SX_EUlSW_E_NS1_11comp_targetILNS1_3genE2ELNS1_11target_archE906ELNS1_3gpuE6ELNS1_3repE0EEENS1_30default_config_static_selectorELNS0_4arch9wavefront6targetE0EEEvT1_.has_recursion, 0
	.set _ZN7rocprim17ROCPRIM_400000_NS6detail17trampoline_kernelINS0_14default_configENS1_33run_length_encode_config_selectorIN3c108BFloat16EjNS0_4plusIjEEEEZZNS1_33reduce_by_key_impl_wrapped_configILNS1_25lookback_scan_determinismE0ES3_S9_PKS6_NS0_17constant_iteratorIjlEEPS6_PlSH_S8_NS0_8equal_toIS6_EEEE10hipError_tPvRmT2_T3_mT4_T5_T6_T7_T8_P12ihipStream_tbENKUlT_T0_E_clISt17integral_constantIbLb1EES10_IbLb0EEEEDaSW_SX_EUlSW_E_NS1_11comp_targetILNS1_3genE2ELNS1_11target_archE906ELNS1_3gpuE6ELNS1_3repE0EEENS1_30default_config_static_selectorELNS0_4arch9wavefront6targetE0EEEvT1_.has_indirect_call, 0
	.section	.AMDGPU.csdata,"",@progbits
; Kernel info:
; codeLenInByte = 0
; TotalNumSgprs: 0
; NumVgprs: 0
; ScratchSize: 0
; MemoryBound: 0
; FloatMode: 240
; IeeeMode: 1
; LDSByteSize: 0 bytes/workgroup (compile time only)
; SGPRBlocks: 0
; VGPRBlocks: 0
; NumSGPRsForWavesPerEU: 1
; NumVGPRsForWavesPerEU: 1
; NamedBarCnt: 0
; Occupancy: 16
; WaveLimiterHint : 0
; COMPUTE_PGM_RSRC2:SCRATCH_EN: 0
; COMPUTE_PGM_RSRC2:USER_SGPR: 2
; COMPUTE_PGM_RSRC2:TRAP_HANDLER: 0
; COMPUTE_PGM_RSRC2:TGID_X_EN: 1
; COMPUTE_PGM_RSRC2:TGID_Y_EN: 0
; COMPUTE_PGM_RSRC2:TGID_Z_EN: 0
; COMPUTE_PGM_RSRC2:TIDIG_COMP_CNT: 0
	.section	.text._ZN7rocprim17ROCPRIM_400000_NS6detail17trampoline_kernelINS0_14default_configENS1_33run_length_encode_config_selectorIN3c108BFloat16EjNS0_4plusIjEEEEZZNS1_33reduce_by_key_impl_wrapped_configILNS1_25lookback_scan_determinismE0ES3_S9_PKS6_NS0_17constant_iteratorIjlEEPS6_PlSH_S8_NS0_8equal_toIS6_EEEE10hipError_tPvRmT2_T3_mT4_T5_T6_T7_T8_P12ihipStream_tbENKUlT_T0_E_clISt17integral_constantIbLb1EES10_IbLb0EEEEDaSW_SX_EUlSW_E_NS1_11comp_targetILNS1_3genE10ELNS1_11target_archE1201ELNS1_3gpuE5ELNS1_3repE0EEENS1_30default_config_static_selectorELNS0_4arch9wavefront6targetE0EEEvT1_,"axG",@progbits,_ZN7rocprim17ROCPRIM_400000_NS6detail17trampoline_kernelINS0_14default_configENS1_33run_length_encode_config_selectorIN3c108BFloat16EjNS0_4plusIjEEEEZZNS1_33reduce_by_key_impl_wrapped_configILNS1_25lookback_scan_determinismE0ES3_S9_PKS6_NS0_17constant_iteratorIjlEEPS6_PlSH_S8_NS0_8equal_toIS6_EEEE10hipError_tPvRmT2_T3_mT4_T5_T6_T7_T8_P12ihipStream_tbENKUlT_T0_E_clISt17integral_constantIbLb1EES10_IbLb0EEEEDaSW_SX_EUlSW_E_NS1_11comp_targetILNS1_3genE10ELNS1_11target_archE1201ELNS1_3gpuE5ELNS1_3repE0EEENS1_30default_config_static_selectorELNS0_4arch9wavefront6targetE0EEEvT1_,comdat
	.protected	_ZN7rocprim17ROCPRIM_400000_NS6detail17trampoline_kernelINS0_14default_configENS1_33run_length_encode_config_selectorIN3c108BFloat16EjNS0_4plusIjEEEEZZNS1_33reduce_by_key_impl_wrapped_configILNS1_25lookback_scan_determinismE0ES3_S9_PKS6_NS0_17constant_iteratorIjlEEPS6_PlSH_S8_NS0_8equal_toIS6_EEEE10hipError_tPvRmT2_T3_mT4_T5_T6_T7_T8_P12ihipStream_tbENKUlT_T0_E_clISt17integral_constantIbLb1EES10_IbLb0EEEEDaSW_SX_EUlSW_E_NS1_11comp_targetILNS1_3genE10ELNS1_11target_archE1201ELNS1_3gpuE5ELNS1_3repE0EEENS1_30default_config_static_selectorELNS0_4arch9wavefront6targetE0EEEvT1_ ; -- Begin function _ZN7rocprim17ROCPRIM_400000_NS6detail17trampoline_kernelINS0_14default_configENS1_33run_length_encode_config_selectorIN3c108BFloat16EjNS0_4plusIjEEEEZZNS1_33reduce_by_key_impl_wrapped_configILNS1_25lookback_scan_determinismE0ES3_S9_PKS6_NS0_17constant_iteratorIjlEEPS6_PlSH_S8_NS0_8equal_toIS6_EEEE10hipError_tPvRmT2_T3_mT4_T5_T6_T7_T8_P12ihipStream_tbENKUlT_T0_E_clISt17integral_constantIbLb1EES10_IbLb0EEEEDaSW_SX_EUlSW_E_NS1_11comp_targetILNS1_3genE10ELNS1_11target_archE1201ELNS1_3gpuE5ELNS1_3repE0EEENS1_30default_config_static_selectorELNS0_4arch9wavefront6targetE0EEEvT1_
	.globl	_ZN7rocprim17ROCPRIM_400000_NS6detail17trampoline_kernelINS0_14default_configENS1_33run_length_encode_config_selectorIN3c108BFloat16EjNS0_4plusIjEEEEZZNS1_33reduce_by_key_impl_wrapped_configILNS1_25lookback_scan_determinismE0ES3_S9_PKS6_NS0_17constant_iteratorIjlEEPS6_PlSH_S8_NS0_8equal_toIS6_EEEE10hipError_tPvRmT2_T3_mT4_T5_T6_T7_T8_P12ihipStream_tbENKUlT_T0_E_clISt17integral_constantIbLb1EES10_IbLb0EEEEDaSW_SX_EUlSW_E_NS1_11comp_targetILNS1_3genE10ELNS1_11target_archE1201ELNS1_3gpuE5ELNS1_3repE0EEENS1_30default_config_static_selectorELNS0_4arch9wavefront6targetE0EEEvT1_
	.p2align	8
	.type	_ZN7rocprim17ROCPRIM_400000_NS6detail17trampoline_kernelINS0_14default_configENS1_33run_length_encode_config_selectorIN3c108BFloat16EjNS0_4plusIjEEEEZZNS1_33reduce_by_key_impl_wrapped_configILNS1_25lookback_scan_determinismE0ES3_S9_PKS6_NS0_17constant_iteratorIjlEEPS6_PlSH_S8_NS0_8equal_toIS6_EEEE10hipError_tPvRmT2_T3_mT4_T5_T6_T7_T8_P12ihipStream_tbENKUlT_T0_E_clISt17integral_constantIbLb1EES10_IbLb0EEEEDaSW_SX_EUlSW_E_NS1_11comp_targetILNS1_3genE10ELNS1_11target_archE1201ELNS1_3gpuE5ELNS1_3repE0EEENS1_30default_config_static_selectorELNS0_4arch9wavefront6targetE0EEEvT1_,@function
_ZN7rocprim17ROCPRIM_400000_NS6detail17trampoline_kernelINS0_14default_configENS1_33run_length_encode_config_selectorIN3c108BFloat16EjNS0_4plusIjEEEEZZNS1_33reduce_by_key_impl_wrapped_configILNS1_25lookback_scan_determinismE0ES3_S9_PKS6_NS0_17constant_iteratorIjlEEPS6_PlSH_S8_NS0_8equal_toIS6_EEEE10hipError_tPvRmT2_T3_mT4_T5_T6_T7_T8_P12ihipStream_tbENKUlT_T0_E_clISt17integral_constantIbLb1EES10_IbLb0EEEEDaSW_SX_EUlSW_E_NS1_11comp_targetILNS1_3genE10ELNS1_11target_archE1201ELNS1_3gpuE5ELNS1_3repE0EEENS1_30default_config_static_selectorELNS0_4arch9wavefront6targetE0EEEvT1_: ; @_ZN7rocprim17ROCPRIM_400000_NS6detail17trampoline_kernelINS0_14default_configENS1_33run_length_encode_config_selectorIN3c108BFloat16EjNS0_4plusIjEEEEZZNS1_33reduce_by_key_impl_wrapped_configILNS1_25lookback_scan_determinismE0ES3_S9_PKS6_NS0_17constant_iteratorIjlEEPS6_PlSH_S8_NS0_8equal_toIS6_EEEE10hipError_tPvRmT2_T3_mT4_T5_T6_T7_T8_P12ihipStream_tbENKUlT_T0_E_clISt17integral_constantIbLb1EES10_IbLb0EEEEDaSW_SX_EUlSW_E_NS1_11comp_targetILNS1_3genE10ELNS1_11target_archE1201ELNS1_3gpuE5ELNS1_3repE0EEENS1_30default_config_static_selectorELNS0_4arch9wavefront6targetE0EEEvT1_
; %bb.0:
	.section	.rodata,"a",@progbits
	.p2align	6, 0x0
	.amdhsa_kernel _ZN7rocprim17ROCPRIM_400000_NS6detail17trampoline_kernelINS0_14default_configENS1_33run_length_encode_config_selectorIN3c108BFloat16EjNS0_4plusIjEEEEZZNS1_33reduce_by_key_impl_wrapped_configILNS1_25lookback_scan_determinismE0ES3_S9_PKS6_NS0_17constant_iteratorIjlEEPS6_PlSH_S8_NS0_8equal_toIS6_EEEE10hipError_tPvRmT2_T3_mT4_T5_T6_T7_T8_P12ihipStream_tbENKUlT_T0_E_clISt17integral_constantIbLb1EES10_IbLb0EEEEDaSW_SX_EUlSW_E_NS1_11comp_targetILNS1_3genE10ELNS1_11target_archE1201ELNS1_3gpuE5ELNS1_3repE0EEENS1_30default_config_static_selectorELNS0_4arch9wavefront6targetE0EEEvT1_
		.amdhsa_group_segment_fixed_size 0
		.amdhsa_private_segment_fixed_size 0
		.amdhsa_kernarg_size 128
		.amdhsa_user_sgpr_count 2
		.amdhsa_user_sgpr_dispatch_ptr 0
		.amdhsa_user_sgpr_queue_ptr 0
		.amdhsa_user_sgpr_kernarg_segment_ptr 1
		.amdhsa_user_sgpr_dispatch_id 0
		.amdhsa_user_sgpr_kernarg_preload_length 0
		.amdhsa_user_sgpr_kernarg_preload_offset 0
		.amdhsa_user_sgpr_private_segment_size 0
		.amdhsa_wavefront_size32 1
		.amdhsa_uses_dynamic_stack 0
		.amdhsa_enable_private_segment 0
		.amdhsa_system_sgpr_workgroup_id_x 1
		.amdhsa_system_sgpr_workgroup_id_y 0
		.amdhsa_system_sgpr_workgroup_id_z 0
		.amdhsa_system_sgpr_workgroup_info 0
		.amdhsa_system_vgpr_workitem_id 0
		.amdhsa_next_free_vgpr 1
		.amdhsa_next_free_sgpr 1
		.amdhsa_named_barrier_count 0
		.amdhsa_reserve_vcc 0
		.amdhsa_float_round_mode_32 0
		.amdhsa_float_round_mode_16_64 0
		.amdhsa_float_denorm_mode_32 3
		.amdhsa_float_denorm_mode_16_64 3
		.amdhsa_fp16_overflow 0
		.amdhsa_memory_ordered 1
		.amdhsa_forward_progress 1
		.amdhsa_inst_pref_size 0
		.amdhsa_round_robin_scheduling 0
		.amdhsa_exception_fp_ieee_invalid_op 0
		.amdhsa_exception_fp_denorm_src 0
		.amdhsa_exception_fp_ieee_div_zero 0
		.amdhsa_exception_fp_ieee_overflow 0
		.amdhsa_exception_fp_ieee_underflow 0
		.amdhsa_exception_fp_ieee_inexact 0
		.amdhsa_exception_int_div_zero 0
	.end_amdhsa_kernel
	.section	.text._ZN7rocprim17ROCPRIM_400000_NS6detail17trampoline_kernelINS0_14default_configENS1_33run_length_encode_config_selectorIN3c108BFloat16EjNS0_4plusIjEEEEZZNS1_33reduce_by_key_impl_wrapped_configILNS1_25lookback_scan_determinismE0ES3_S9_PKS6_NS0_17constant_iteratorIjlEEPS6_PlSH_S8_NS0_8equal_toIS6_EEEE10hipError_tPvRmT2_T3_mT4_T5_T6_T7_T8_P12ihipStream_tbENKUlT_T0_E_clISt17integral_constantIbLb1EES10_IbLb0EEEEDaSW_SX_EUlSW_E_NS1_11comp_targetILNS1_3genE10ELNS1_11target_archE1201ELNS1_3gpuE5ELNS1_3repE0EEENS1_30default_config_static_selectorELNS0_4arch9wavefront6targetE0EEEvT1_,"axG",@progbits,_ZN7rocprim17ROCPRIM_400000_NS6detail17trampoline_kernelINS0_14default_configENS1_33run_length_encode_config_selectorIN3c108BFloat16EjNS0_4plusIjEEEEZZNS1_33reduce_by_key_impl_wrapped_configILNS1_25lookback_scan_determinismE0ES3_S9_PKS6_NS0_17constant_iteratorIjlEEPS6_PlSH_S8_NS0_8equal_toIS6_EEEE10hipError_tPvRmT2_T3_mT4_T5_T6_T7_T8_P12ihipStream_tbENKUlT_T0_E_clISt17integral_constantIbLb1EES10_IbLb0EEEEDaSW_SX_EUlSW_E_NS1_11comp_targetILNS1_3genE10ELNS1_11target_archE1201ELNS1_3gpuE5ELNS1_3repE0EEENS1_30default_config_static_selectorELNS0_4arch9wavefront6targetE0EEEvT1_,comdat
.Lfunc_end879:
	.size	_ZN7rocprim17ROCPRIM_400000_NS6detail17trampoline_kernelINS0_14default_configENS1_33run_length_encode_config_selectorIN3c108BFloat16EjNS0_4plusIjEEEEZZNS1_33reduce_by_key_impl_wrapped_configILNS1_25lookback_scan_determinismE0ES3_S9_PKS6_NS0_17constant_iteratorIjlEEPS6_PlSH_S8_NS0_8equal_toIS6_EEEE10hipError_tPvRmT2_T3_mT4_T5_T6_T7_T8_P12ihipStream_tbENKUlT_T0_E_clISt17integral_constantIbLb1EES10_IbLb0EEEEDaSW_SX_EUlSW_E_NS1_11comp_targetILNS1_3genE10ELNS1_11target_archE1201ELNS1_3gpuE5ELNS1_3repE0EEENS1_30default_config_static_selectorELNS0_4arch9wavefront6targetE0EEEvT1_, .Lfunc_end879-_ZN7rocprim17ROCPRIM_400000_NS6detail17trampoline_kernelINS0_14default_configENS1_33run_length_encode_config_selectorIN3c108BFloat16EjNS0_4plusIjEEEEZZNS1_33reduce_by_key_impl_wrapped_configILNS1_25lookback_scan_determinismE0ES3_S9_PKS6_NS0_17constant_iteratorIjlEEPS6_PlSH_S8_NS0_8equal_toIS6_EEEE10hipError_tPvRmT2_T3_mT4_T5_T6_T7_T8_P12ihipStream_tbENKUlT_T0_E_clISt17integral_constantIbLb1EES10_IbLb0EEEEDaSW_SX_EUlSW_E_NS1_11comp_targetILNS1_3genE10ELNS1_11target_archE1201ELNS1_3gpuE5ELNS1_3repE0EEENS1_30default_config_static_selectorELNS0_4arch9wavefront6targetE0EEEvT1_
                                        ; -- End function
	.set _ZN7rocprim17ROCPRIM_400000_NS6detail17trampoline_kernelINS0_14default_configENS1_33run_length_encode_config_selectorIN3c108BFloat16EjNS0_4plusIjEEEEZZNS1_33reduce_by_key_impl_wrapped_configILNS1_25lookback_scan_determinismE0ES3_S9_PKS6_NS0_17constant_iteratorIjlEEPS6_PlSH_S8_NS0_8equal_toIS6_EEEE10hipError_tPvRmT2_T3_mT4_T5_T6_T7_T8_P12ihipStream_tbENKUlT_T0_E_clISt17integral_constantIbLb1EES10_IbLb0EEEEDaSW_SX_EUlSW_E_NS1_11comp_targetILNS1_3genE10ELNS1_11target_archE1201ELNS1_3gpuE5ELNS1_3repE0EEENS1_30default_config_static_selectorELNS0_4arch9wavefront6targetE0EEEvT1_.num_vgpr, 0
	.set _ZN7rocprim17ROCPRIM_400000_NS6detail17trampoline_kernelINS0_14default_configENS1_33run_length_encode_config_selectorIN3c108BFloat16EjNS0_4plusIjEEEEZZNS1_33reduce_by_key_impl_wrapped_configILNS1_25lookback_scan_determinismE0ES3_S9_PKS6_NS0_17constant_iteratorIjlEEPS6_PlSH_S8_NS0_8equal_toIS6_EEEE10hipError_tPvRmT2_T3_mT4_T5_T6_T7_T8_P12ihipStream_tbENKUlT_T0_E_clISt17integral_constantIbLb1EES10_IbLb0EEEEDaSW_SX_EUlSW_E_NS1_11comp_targetILNS1_3genE10ELNS1_11target_archE1201ELNS1_3gpuE5ELNS1_3repE0EEENS1_30default_config_static_selectorELNS0_4arch9wavefront6targetE0EEEvT1_.num_agpr, 0
	.set _ZN7rocprim17ROCPRIM_400000_NS6detail17trampoline_kernelINS0_14default_configENS1_33run_length_encode_config_selectorIN3c108BFloat16EjNS0_4plusIjEEEEZZNS1_33reduce_by_key_impl_wrapped_configILNS1_25lookback_scan_determinismE0ES3_S9_PKS6_NS0_17constant_iteratorIjlEEPS6_PlSH_S8_NS0_8equal_toIS6_EEEE10hipError_tPvRmT2_T3_mT4_T5_T6_T7_T8_P12ihipStream_tbENKUlT_T0_E_clISt17integral_constantIbLb1EES10_IbLb0EEEEDaSW_SX_EUlSW_E_NS1_11comp_targetILNS1_3genE10ELNS1_11target_archE1201ELNS1_3gpuE5ELNS1_3repE0EEENS1_30default_config_static_selectorELNS0_4arch9wavefront6targetE0EEEvT1_.numbered_sgpr, 0
	.set _ZN7rocprim17ROCPRIM_400000_NS6detail17trampoline_kernelINS0_14default_configENS1_33run_length_encode_config_selectorIN3c108BFloat16EjNS0_4plusIjEEEEZZNS1_33reduce_by_key_impl_wrapped_configILNS1_25lookback_scan_determinismE0ES3_S9_PKS6_NS0_17constant_iteratorIjlEEPS6_PlSH_S8_NS0_8equal_toIS6_EEEE10hipError_tPvRmT2_T3_mT4_T5_T6_T7_T8_P12ihipStream_tbENKUlT_T0_E_clISt17integral_constantIbLb1EES10_IbLb0EEEEDaSW_SX_EUlSW_E_NS1_11comp_targetILNS1_3genE10ELNS1_11target_archE1201ELNS1_3gpuE5ELNS1_3repE0EEENS1_30default_config_static_selectorELNS0_4arch9wavefront6targetE0EEEvT1_.num_named_barrier, 0
	.set _ZN7rocprim17ROCPRIM_400000_NS6detail17trampoline_kernelINS0_14default_configENS1_33run_length_encode_config_selectorIN3c108BFloat16EjNS0_4plusIjEEEEZZNS1_33reduce_by_key_impl_wrapped_configILNS1_25lookback_scan_determinismE0ES3_S9_PKS6_NS0_17constant_iteratorIjlEEPS6_PlSH_S8_NS0_8equal_toIS6_EEEE10hipError_tPvRmT2_T3_mT4_T5_T6_T7_T8_P12ihipStream_tbENKUlT_T0_E_clISt17integral_constantIbLb1EES10_IbLb0EEEEDaSW_SX_EUlSW_E_NS1_11comp_targetILNS1_3genE10ELNS1_11target_archE1201ELNS1_3gpuE5ELNS1_3repE0EEENS1_30default_config_static_selectorELNS0_4arch9wavefront6targetE0EEEvT1_.private_seg_size, 0
	.set _ZN7rocprim17ROCPRIM_400000_NS6detail17trampoline_kernelINS0_14default_configENS1_33run_length_encode_config_selectorIN3c108BFloat16EjNS0_4plusIjEEEEZZNS1_33reduce_by_key_impl_wrapped_configILNS1_25lookback_scan_determinismE0ES3_S9_PKS6_NS0_17constant_iteratorIjlEEPS6_PlSH_S8_NS0_8equal_toIS6_EEEE10hipError_tPvRmT2_T3_mT4_T5_T6_T7_T8_P12ihipStream_tbENKUlT_T0_E_clISt17integral_constantIbLb1EES10_IbLb0EEEEDaSW_SX_EUlSW_E_NS1_11comp_targetILNS1_3genE10ELNS1_11target_archE1201ELNS1_3gpuE5ELNS1_3repE0EEENS1_30default_config_static_selectorELNS0_4arch9wavefront6targetE0EEEvT1_.uses_vcc, 0
	.set _ZN7rocprim17ROCPRIM_400000_NS6detail17trampoline_kernelINS0_14default_configENS1_33run_length_encode_config_selectorIN3c108BFloat16EjNS0_4plusIjEEEEZZNS1_33reduce_by_key_impl_wrapped_configILNS1_25lookback_scan_determinismE0ES3_S9_PKS6_NS0_17constant_iteratorIjlEEPS6_PlSH_S8_NS0_8equal_toIS6_EEEE10hipError_tPvRmT2_T3_mT4_T5_T6_T7_T8_P12ihipStream_tbENKUlT_T0_E_clISt17integral_constantIbLb1EES10_IbLb0EEEEDaSW_SX_EUlSW_E_NS1_11comp_targetILNS1_3genE10ELNS1_11target_archE1201ELNS1_3gpuE5ELNS1_3repE0EEENS1_30default_config_static_selectorELNS0_4arch9wavefront6targetE0EEEvT1_.uses_flat_scratch, 0
	.set _ZN7rocprim17ROCPRIM_400000_NS6detail17trampoline_kernelINS0_14default_configENS1_33run_length_encode_config_selectorIN3c108BFloat16EjNS0_4plusIjEEEEZZNS1_33reduce_by_key_impl_wrapped_configILNS1_25lookback_scan_determinismE0ES3_S9_PKS6_NS0_17constant_iteratorIjlEEPS6_PlSH_S8_NS0_8equal_toIS6_EEEE10hipError_tPvRmT2_T3_mT4_T5_T6_T7_T8_P12ihipStream_tbENKUlT_T0_E_clISt17integral_constantIbLb1EES10_IbLb0EEEEDaSW_SX_EUlSW_E_NS1_11comp_targetILNS1_3genE10ELNS1_11target_archE1201ELNS1_3gpuE5ELNS1_3repE0EEENS1_30default_config_static_selectorELNS0_4arch9wavefront6targetE0EEEvT1_.has_dyn_sized_stack, 0
	.set _ZN7rocprim17ROCPRIM_400000_NS6detail17trampoline_kernelINS0_14default_configENS1_33run_length_encode_config_selectorIN3c108BFloat16EjNS0_4plusIjEEEEZZNS1_33reduce_by_key_impl_wrapped_configILNS1_25lookback_scan_determinismE0ES3_S9_PKS6_NS0_17constant_iteratorIjlEEPS6_PlSH_S8_NS0_8equal_toIS6_EEEE10hipError_tPvRmT2_T3_mT4_T5_T6_T7_T8_P12ihipStream_tbENKUlT_T0_E_clISt17integral_constantIbLb1EES10_IbLb0EEEEDaSW_SX_EUlSW_E_NS1_11comp_targetILNS1_3genE10ELNS1_11target_archE1201ELNS1_3gpuE5ELNS1_3repE0EEENS1_30default_config_static_selectorELNS0_4arch9wavefront6targetE0EEEvT1_.has_recursion, 0
	.set _ZN7rocprim17ROCPRIM_400000_NS6detail17trampoline_kernelINS0_14default_configENS1_33run_length_encode_config_selectorIN3c108BFloat16EjNS0_4plusIjEEEEZZNS1_33reduce_by_key_impl_wrapped_configILNS1_25lookback_scan_determinismE0ES3_S9_PKS6_NS0_17constant_iteratorIjlEEPS6_PlSH_S8_NS0_8equal_toIS6_EEEE10hipError_tPvRmT2_T3_mT4_T5_T6_T7_T8_P12ihipStream_tbENKUlT_T0_E_clISt17integral_constantIbLb1EES10_IbLb0EEEEDaSW_SX_EUlSW_E_NS1_11comp_targetILNS1_3genE10ELNS1_11target_archE1201ELNS1_3gpuE5ELNS1_3repE0EEENS1_30default_config_static_selectorELNS0_4arch9wavefront6targetE0EEEvT1_.has_indirect_call, 0
	.section	.AMDGPU.csdata,"",@progbits
; Kernel info:
; codeLenInByte = 0
; TotalNumSgprs: 0
; NumVgprs: 0
; ScratchSize: 0
; MemoryBound: 0
; FloatMode: 240
; IeeeMode: 1
; LDSByteSize: 0 bytes/workgroup (compile time only)
; SGPRBlocks: 0
; VGPRBlocks: 0
; NumSGPRsForWavesPerEU: 1
; NumVGPRsForWavesPerEU: 1
; NamedBarCnt: 0
; Occupancy: 16
; WaveLimiterHint : 0
; COMPUTE_PGM_RSRC2:SCRATCH_EN: 0
; COMPUTE_PGM_RSRC2:USER_SGPR: 2
; COMPUTE_PGM_RSRC2:TRAP_HANDLER: 0
; COMPUTE_PGM_RSRC2:TGID_X_EN: 1
; COMPUTE_PGM_RSRC2:TGID_Y_EN: 0
; COMPUTE_PGM_RSRC2:TGID_Z_EN: 0
; COMPUTE_PGM_RSRC2:TIDIG_COMP_CNT: 0
	.section	.text._ZN7rocprim17ROCPRIM_400000_NS6detail17trampoline_kernelINS0_14default_configENS1_33run_length_encode_config_selectorIN3c108BFloat16EjNS0_4plusIjEEEEZZNS1_33reduce_by_key_impl_wrapped_configILNS1_25lookback_scan_determinismE0ES3_S9_PKS6_NS0_17constant_iteratorIjlEEPS6_PlSH_S8_NS0_8equal_toIS6_EEEE10hipError_tPvRmT2_T3_mT4_T5_T6_T7_T8_P12ihipStream_tbENKUlT_T0_E_clISt17integral_constantIbLb1EES10_IbLb0EEEEDaSW_SX_EUlSW_E_NS1_11comp_targetILNS1_3genE10ELNS1_11target_archE1200ELNS1_3gpuE4ELNS1_3repE0EEENS1_30default_config_static_selectorELNS0_4arch9wavefront6targetE0EEEvT1_,"axG",@progbits,_ZN7rocprim17ROCPRIM_400000_NS6detail17trampoline_kernelINS0_14default_configENS1_33run_length_encode_config_selectorIN3c108BFloat16EjNS0_4plusIjEEEEZZNS1_33reduce_by_key_impl_wrapped_configILNS1_25lookback_scan_determinismE0ES3_S9_PKS6_NS0_17constant_iteratorIjlEEPS6_PlSH_S8_NS0_8equal_toIS6_EEEE10hipError_tPvRmT2_T3_mT4_T5_T6_T7_T8_P12ihipStream_tbENKUlT_T0_E_clISt17integral_constantIbLb1EES10_IbLb0EEEEDaSW_SX_EUlSW_E_NS1_11comp_targetILNS1_3genE10ELNS1_11target_archE1200ELNS1_3gpuE4ELNS1_3repE0EEENS1_30default_config_static_selectorELNS0_4arch9wavefront6targetE0EEEvT1_,comdat
	.protected	_ZN7rocprim17ROCPRIM_400000_NS6detail17trampoline_kernelINS0_14default_configENS1_33run_length_encode_config_selectorIN3c108BFloat16EjNS0_4plusIjEEEEZZNS1_33reduce_by_key_impl_wrapped_configILNS1_25lookback_scan_determinismE0ES3_S9_PKS6_NS0_17constant_iteratorIjlEEPS6_PlSH_S8_NS0_8equal_toIS6_EEEE10hipError_tPvRmT2_T3_mT4_T5_T6_T7_T8_P12ihipStream_tbENKUlT_T0_E_clISt17integral_constantIbLb1EES10_IbLb0EEEEDaSW_SX_EUlSW_E_NS1_11comp_targetILNS1_3genE10ELNS1_11target_archE1200ELNS1_3gpuE4ELNS1_3repE0EEENS1_30default_config_static_selectorELNS0_4arch9wavefront6targetE0EEEvT1_ ; -- Begin function _ZN7rocprim17ROCPRIM_400000_NS6detail17trampoline_kernelINS0_14default_configENS1_33run_length_encode_config_selectorIN3c108BFloat16EjNS0_4plusIjEEEEZZNS1_33reduce_by_key_impl_wrapped_configILNS1_25lookback_scan_determinismE0ES3_S9_PKS6_NS0_17constant_iteratorIjlEEPS6_PlSH_S8_NS0_8equal_toIS6_EEEE10hipError_tPvRmT2_T3_mT4_T5_T6_T7_T8_P12ihipStream_tbENKUlT_T0_E_clISt17integral_constantIbLb1EES10_IbLb0EEEEDaSW_SX_EUlSW_E_NS1_11comp_targetILNS1_3genE10ELNS1_11target_archE1200ELNS1_3gpuE4ELNS1_3repE0EEENS1_30default_config_static_selectorELNS0_4arch9wavefront6targetE0EEEvT1_
	.globl	_ZN7rocprim17ROCPRIM_400000_NS6detail17trampoline_kernelINS0_14default_configENS1_33run_length_encode_config_selectorIN3c108BFloat16EjNS0_4plusIjEEEEZZNS1_33reduce_by_key_impl_wrapped_configILNS1_25lookback_scan_determinismE0ES3_S9_PKS6_NS0_17constant_iteratorIjlEEPS6_PlSH_S8_NS0_8equal_toIS6_EEEE10hipError_tPvRmT2_T3_mT4_T5_T6_T7_T8_P12ihipStream_tbENKUlT_T0_E_clISt17integral_constantIbLb1EES10_IbLb0EEEEDaSW_SX_EUlSW_E_NS1_11comp_targetILNS1_3genE10ELNS1_11target_archE1200ELNS1_3gpuE4ELNS1_3repE0EEENS1_30default_config_static_selectorELNS0_4arch9wavefront6targetE0EEEvT1_
	.p2align	8
	.type	_ZN7rocprim17ROCPRIM_400000_NS6detail17trampoline_kernelINS0_14default_configENS1_33run_length_encode_config_selectorIN3c108BFloat16EjNS0_4plusIjEEEEZZNS1_33reduce_by_key_impl_wrapped_configILNS1_25lookback_scan_determinismE0ES3_S9_PKS6_NS0_17constant_iteratorIjlEEPS6_PlSH_S8_NS0_8equal_toIS6_EEEE10hipError_tPvRmT2_T3_mT4_T5_T6_T7_T8_P12ihipStream_tbENKUlT_T0_E_clISt17integral_constantIbLb1EES10_IbLb0EEEEDaSW_SX_EUlSW_E_NS1_11comp_targetILNS1_3genE10ELNS1_11target_archE1200ELNS1_3gpuE4ELNS1_3repE0EEENS1_30default_config_static_selectorELNS0_4arch9wavefront6targetE0EEEvT1_,@function
_ZN7rocprim17ROCPRIM_400000_NS6detail17trampoline_kernelINS0_14default_configENS1_33run_length_encode_config_selectorIN3c108BFloat16EjNS0_4plusIjEEEEZZNS1_33reduce_by_key_impl_wrapped_configILNS1_25lookback_scan_determinismE0ES3_S9_PKS6_NS0_17constant_iteratorIjlEEPS6_PlSH_S8_NS0_8equal_toIS6_EEEE10hipError_tPvRmT2_T3_mT4_T5_T6_T7_T8_P12ihipStream_tbENKUlT_T0_E_clISt17integral_constantIbLb1EES10_IbLb0EEEEDaSW_SX_EUlSW_E_NS1_11comp_targetILNS1_3genE10ELNS1_11target_archE1200ELNS1_3gpuE4ELNS1_3repE0EEENS1_30default_config_static_selectorELNS0_4arch9wavefront6targetE0EEEvT1_: ; @_ZN7rocprim17ROCPRIM_400000_NS6detail17trampoline_kernelINS0_14default_configENS1_33run_length_encode_config_selectorIN3c108BFloat16EjNS0_4plusIjEEEEZZNS1_33reduce_by_key_impl_wrapped_configILNS1_25lookback_scan_determinismE0ES3_S9_PKS6_NS0_17constant_iteratorIjlEEPS6_PlSH_S8_NS0_8equal_toIS6_EEEE10hipError_tPvRmT2_T3_mT4_T5_T6_T7_T8_P12ihipStream_tbENKUlT_T0_E_clISt17integral_constantIbLb1EES10_IbLb0EEEEDaSW_SX_EUlSW_E_NS1_11comp_targetILNS1_3genE10ELNS1_11target_archE1200ELNS1_3gpuE4ELNS1_3repE0EEENS1_30default_config_static_selectorELNS0_4arch9wavefront6targetE0EEEvT1_
; %bb.0:
	.section	.rodata,"a",@progbits
	.p2align	6, 0x0
	.amdhsa_kernel _ZN7rocprim17ROCPRIM_400000_NS6detail17trampoline_kernelINS0_14default_configENS1_33run_length_encode_config_selectorIN3c108BFloat16EjNS0_4plusIjEEEEZZNS1_33reduce_by_key_impl_wrapped_configILNS1_25lookback_scan_determinismE0ES3_S9_PKS6_NS0_17constant_iteratorIjlEEPS6_PlSH_S8_NS0_8equal_toIS6_EEEE10hipError_tPvRmT2_T3_mT4_T5_T6_T7_T8_P12ihipStream_tbENKUlT_T0_E_clISt17integral_constantIbLb1EES10_IbLb0EEEEDaSW_SX_EUlSW_E_NS1_11comp_targetILNS1_3genE10ELNS1_11target_archE1200ELNS1_3gpuE4ELNS1_3repE0EEENS1_30default_config_static_selectorELNS0_4arch9wavefront6targetE0EEEvT1_
		.amdhsa_group_segment_fixed_size 0
		.amdhsa_private_segment_fixed_size 0
		.amdhsa_kernarg_size 128
		.amdhsa_user_sgpr_count 2
		.amdhsa_user_sgpr_dispatch_ptr 0
		.amdhsa_user_sgpr_queue_ptr 0
		.amdhsa_user_sgpr_kernarg_segment_ptr 1
		.amdhsa_user_sgpr_dispatch_id 0
		.amdhsa_user_sgpr_kernarg_preload_length 0
		.amdhsa_user_sgpr_kernarg_preload_offset 0
		.amdhsa_user_sgpr_private_segment_size 0
		.amdhsa_wavefront_size32 1
		.amdhsa_uses_dynamic_stack 0
		.amdhsa_enable_private_segment 0
		.amdhsa_system_sgpr_workgroup_id_x 1
		.amdhsa_system_sgpr_workgroup_id_y 0
		.amdhsa_system_sgpr_workgroup_id_z 0
		.amdhsa_system_sgpr_workgroup_info 0
		.amdhsa_system_vgpr_workitem_id 0
		.amdhsa_next_free_vgpr 1
		.amdhsa_next_free_sgpr 1
		.amdhsa_named_barrier_count 0
		.amdhsa_reserve_vcc 0
		.amdhsa_float_round_mode_32 0
		.amdhsa_float_round_mode_16_64 0
		.amdhsa_float_denorm_mode_32 3
		.amdhsa_float_denorm_mode_16_64 3
		.amdhsa_fp16_overflow 0
		.amdhsa_memory_ordered 1
		.amdhsa_forward_progress 1
		.amdhsa_inst_pref_size 0
		.amdhsa_round_robin_scheduling 0
		.amdhsa_exception_fp_ieee_invalid_op 0
		.amdhsa_exception_fp_denorm_src 0
		.amdhsa_exception_fp_ieee_div_zero 0
		.amdhsa_exception_fp_ieee_overflow 0
		.amdhsa_exception_fp_ieee_underflow 0
		.amdhsa_exception_fp_ieee_inexact 0
		.amdhsa_exception_int_div_zero 0
	.end_amdhsa_kernel
	.section	.text._ZN7rocprim17ROCPRIM_400000_NS6detail17trampoline_kernelINS0_14default_configENS1_33run_length_encode_config_selectorIN3c108BFloat16EjNS0_4plusIjEEEEZZNS1_33reduce_by_key_impl_wrapped_configILNS1_25lookback_scan_determinismE0ES3_S9_PKS6_NS0_17constant_iteratorIjlEEPS6_PlSH_S8_NS0_8equal_toIS6_EEEE10hipError_tPvRmT2_T3_mT4_T5_T6_T7_T8_P12ihipStream_tbENKUlT_T0_E_clISt17integral_constantIbLb1EES10_IbLb0EEEEDaSW_SX_EUlSW_E_NS1_11comp_targetILNS1_3genE10ELNS1_11target_archE1200ELNS1_3gpuE4ELNS1_3repE0EEENS1_30default_config_static_selectorELNS0_4arch9wavefront6targetE0EEEvT1_,"axG",@progbits,_ZN7rocprim17ROCPRIM_400000_NS6detail17trampoline_kernelINS0_14default_configENS1_33run_length_encode_config_selectorIN3c108BFloat16EjNS0_4plusIjEEEEZZNS1_33reduce_by_key_impl_wrapped_configILNS1_25lookback_scan_determinismE0ES3_S9_PKS6_NS0_17constant_iteratorIjlEEPS6_PlSH_S8_NS0_8equal_toIS6_EEEE10hipError_tPvRmT2_T3_mT4_T5_T6_T7_T8_P12ihipStream_tbENKUlT_T0_E_clISt17integral_constantIbLb1EES10_IbLb0EEEEDaSW_SX_EUlSW_E_NS1_11comp_targetILNS1_3genE10ELNS1_11target_archE1200ELNS1_3gpuE4ELNS1_3repE0EEENS1_30default_config_static_selectorELNS0_4arch9wavefront6targetE0EEEvT1_,comdat
.Lfunc_end880:
	.size	_ZN7rocprim17ROCPRIM_400000_NS6detail17trampoline_kernelINS0_14default_configENS1_33run_length_encode_config_selectorIN3c108BFloat16EjNS0_4plusIjEEEEZZNS1_33reduce_by_key_impl_wrapped_configILNS1_25lookback_scan_determinismE0ES3_S9_PKS6_NS0_17constant_iteratorIjlEEPS6_PlSH_S8_NS0_8equal_toIS6_EEEE10hipError_tPvRmT2_T3_mT4_T5_T6_T7_T8_P12ihipStream_tbENKUlT_T0_E_clISt17integral_constantIbLb1EES10_IbLb0EEEEDaSW_SX_EUlSW_E_NS1_11comp_targetILNS1_3genE10ELNS1_11target_archE1200ELNS1_3gpuE4ELNS1_3repE0EEENS1_30default_config_static_selectorELNS0_4arch9wavefront6targetE0EEEvT1_, .Lfunc_end880-_ZN7rocprim17ROCPRIM_400000_NS6detail17trampoline_kernelINS0_14default_configENS1_33run_length_encode_config_selectorIN3c108BFloat16EjNS0_4plusIjEEEEZZNS1_33reduce_by_key_impl_wrapped_configILNS1_25lookback_scan_determinismE0ES3_S9_PKS6_NS0_17constant_iteratorIjlEEPS6_PlSH_S8_NS0_8equal_toIS6_EEEE10hipError_tPvRmT2_T3_mT4_T5_T6_T7_T8_P12ihipStream_tbENKUlT_T0_E_clISt17integral_constantIbLb1EES10_IbLb0EEEEDaSW_SX_EUlSW_E_NS1_11comp_targetILNS1_3genE10ELNS1_11target_archE1200ELNS1_3gpuE4ELNS1_3repE0EEENS1_30default_config_static_selectorELNS0_4arch9wavefront6targetE0EEEvT1_
                                        ; -- End function
	.set _ZN7rocprim17ROCPRIM_400000_NS6detail17trampoline_kernelINS0_14default_configENS1_33run_length_encode_config_selectorIN3c108BFloat16EjNS0_4plusIjEEEEZZNS1_33reduce_by_key_impl_wrapped_configILNS1_25lookback_scan_determinismE0ES3_S9_PKS6_NS0_17constant_iteratorIjlEEPS6_PlSH_S8_NS0_8equal_toIS6_EEEE10hipError_tPvRmT2_T3_mT4_T5_T6_T7_T8_P12ihipStream_tbENKUlT_T0_E_clISt17integral_constantIbLb1EES10_IbLb0EEEEDaSW_SX_EUlSW_E_NS1_11comp_targetILNS1_3genE10ELNS1_11target_archE1200ELNS1_3gpuE4ELNS1_3repE0EEENS1_30default_config_static_selectorELNS0_4arch9wavefront6targetE0EEEvT1_.num_vgpr, 0
	.set _ZN7rocprim17ROCPRIM_400000_NS6detail17trampoline_kernelINS0_14default_configENS1_33run_length_encode_config_selectorIN3c108BFloat16EjNS0_4plusIjEEEEZZNS1_33reduce_by_key_impl_wrapped_configILNS1_25lookback_scan_determinismE0ES3_S9_PKS6_NS0_17constant_iteratorIjlEEPS6_PlSH_S8_NS0_8equal_toIS6_EEEE10hipError_tPvRmT2_T3_mT4_T5_T6_T7_T8_P12ihipStream_tbENKUlT_T0_E_clISt17integral_constantIbLb1EES10_IbLb0EEEEDaSW_SX_EUlSW_E_NS1_11comp_targetILNS1_3genE10ELNS1_11target_archE1200ELNS1_3gpuE4ELNS1_3repE0EEENS1_30default_config_static_selectorELNS0_4arch9wavefront6targetE0EEEvT1_.num_agpr, 0
	.set _ZN7rocprim17ROCPRIM_400000_NS6detail17trampoline_kernelINS0_14default_configENS1_33run_length_encode_config_selectorIN3c108BFloat16EjNS0_4plusIjEEEEZZNS1_33reduce_by_key_impl_wrapped_configILNS1_25lookback_scan_determinismE0ES3_S9_PKS6_NS0_17constant_iteratorIjlEEPS6_PlSH_S8_NS0_8equal_toIS6_EEEE10hipError_tPvRmT2_T3_mT4_T5_T6_T7_T8_P12ihipStream_tbENKUlT_T0_E_clISt17integral_constantIbLb1EES10_IbLb0EEEEDaSW_SX_EUlSW_E_NS1_11comp_targetILNS1_3genE10ELNS1_11target_archE1200ELNS1_3gpuE4ELNS1_3repE0EEENS1_30default_config_static_selectorELNS0_4arch9wavefront6targetE0EEEvT1_.numbered_sgpr, 0
	.set _ZN7rocprim17ROCPRIM_400000_NS6detail17trampoline_kernelINS0_14default_configENS1_33run_length_encode_config_selectorIN3c108BFloat16EjNS0_4plusIjEEEEZZNS1_33reduce_by_key_impl_wrapped_configILNS1_25lookback_scan_determinismE0ES3_S9_PKS6_NS0_17constant_iteratorIjlEEPS6_PlSH_S8_NS0_8equal_toIS6_EEEE10hipError_tPvRmT2_T3_mT4_T5_T6_T7_T8_P12ihipStream_tbENKUlT_T0_E_clISt17integral_constantIbLb1EES10_IbLb0EEEEDaSW_SX_EUlSW_E_NS1_11comp_targetILNS1_3genE10ELNS1_11target_archE1200ELNS1_3gpuE4ELNS1_3repE0EEENS1_30default_config_static_selectorELNS0_4arch9wavefront6targetE0EEEvT1_.num_named_barrier, 0
	.set _ZN7rocprim17ROCPRIM_400000_NS6detail17trampoline_kernelINS0_14default_configENS1_33run_length_encode_config_selectorIN3c108BFloat16EjNS0_4plusIjEEEEZZNS1_33reduce_by_key_impl_wrapped_configILNS1_25lookback_scan_determinismE0ES3_S9_PKS6_NS0_17constant_iteratorIjlEEPS6_PlSH_S8_NS0_8equal_toIS6_EEEE10hipError_tPvRmT2_T3_mT4_T5_T6_T7_T8_P12ihipStream_tbENKUlT_T0_E_clISt17integral_constantIbLb1EES10_IbLb0EEEEDaSW_SX_EUlSW_E_NS1_11comp_targetILNS1_3genE10ELNS1_11target_archE1200ELNS1_3gpuE4ELNS1_3repE0EEENS1_30default_config_static_selectorELNS0_4arch9wavefront6targetE0EEEvT1_.private_seg_size, 0
	.set _ZN7rocprim17ROCPRIM_400000_NS6detail17trampoline_kernelINS0_14default_configENS1_33run_length_encode_config_selectorIN3c108BFloat16EjNS0_4plusIjEEEEZZNS1_33reduce_by_key_impl_wrapped_configILNS1_25lookback_scan_determinismE0ES3_S9_PKS6_NS0_17constant_iteratorIjlEEPS6_PlSH_S8_NS0_8equal_toIS6_EEEE10hipError_tPvRmT2_T3_mT4_T5_T6_T7_T8_P12ihipStream_tbENKUlT_T0_E_clISt17integral_constantIbLb1EES10_IbLb0EEEEDaSW_SX_EUlSW_E_NS1_11comp_targetILNS1_3genE10ELNS1_11target_archE1200ELNS1_3gpuE4ELNS1_3repE0EEENS1_30default_config_static_selectorELNS0_4arch9wavefront6targetE0EEEvT1_.uses_vcc, 0
	.set _ZN7rocprim17ROCPRIM_400000_NS6detail17trampoline_kernelINS0_14default_configENS1_33run_length_encode_config_selectorIN3c108BFloat16EjNS0_4plusIjEEEEZZNS1_33reduce_by_key_impl_wrapped_configILNS1_25lookback_scan_determinismE0ES3_S9_PKS6_NS0_17constant_iteratorIjlEEPS6_PlSH_S8_NS0_8equal_toIS6_EEEE10hipError_tPvRmT2_T3_mT4_T5_T6_T7_T8_P12ihipStream_tbENKUlT_T0_E_clISt17integral_constantIbLb1EES10_IbLb0EEEEDaSW_SX_EUlSW_E_NS1_11comp_targetILNS1_3genE10ELNS1_11target_archE1200ELNS1_3gpuE4ELNS1_3repE0EEENS1_30default_config_static_selectorELNS0_4arch9wavefront6targetE0EEEvT1_.uses_flat_scratch, 0
	.set _ZN7rocprim17ROCPRIM_400000_NS6detail17trampoline_kernelINS0_14default_configENS1_33run_length_encode_config_selectorIN3c108BFloat16EjNS0_4plusIjEEEEZZNS1_33reduce_by_key_impl_wrapped_configILNS1_25lookback_scan_determinismE0ES3_S9_PKS6_NS0_17constant_iteratorIjlEEPS6_PlSH_S8_NS0_8equal_toIS6_EEEE10hipError_tPvRmT2_T3_mT4_T5_T6_T7_T8_P12ihipStream_tbENKUlT_T0_E_clISt17integral_constantIbLb1EES10_IbLb0EEEEDaSW_SX_EUlSW_E_NS1_11comp_targetILNS1_3genE10ELNS1_11target_archE1200ELNS1_3gpuE4ELNS1_3repE0EEENS1_30default_config_static_selectorELNS0_4arch9wavefront6targetE0EEEvT1_.has_dyn_sized_stack, 0
	.set _ZN7rocprim17ROCPRIM_400000_NS6detail17trampoline_kernelINS0_14default_configENS1_33run_length_encode_config_selectorIN3c108BFloat16EjNS0_4plusIjEEEEZZNS1_33reduce_by_key_impl_wrapped_configILNS1_25lookback_scan_determinismE0ES3_S9_PKS6_NS0_17constant_iteratorIjlEEPS6_PlSH_S8_NS0_8equal_toIS6_EEEE10hipError_tPvRmT2_T3_mT4_T5_T6_T7_T8_P12ihipStream_tbENKUlT_T0_E_clISt17integral_constantIbLb1EES10_IbLb0EEEEDaSW_SX_EUlSW_E_NS1_11comp_targetILNS1_3genE10ELNS1_11target_archE1200ELNS1_3gpuE4ELNS1_3repE0EEENS1_30default_config_static_selectorELNS0_4arch9wavefront6targetE0EEEvT1_.has_recursion, 0
	.set _ZN7rocprim17ROCPRIM_400000_NS6detail17trampoline_kernelINS0_14default_configENS1_33run_length_encode_config_selectorIN3c108BFloat16EjNS0_4plusIjEEEEZZNS1_33reduce_by_key_impl_wrapped_configILNS1_25lookback_scan_determinismE0ES3_S9_PKS6_NS0_17constant_iteratorIjlEEPS6_PlSH_S8_NS0_8equal_toIS6_EEEE10hipError_tPvRmT2_T3_mT4_T5_T6_T7_T8_P12ihipStream_tbENKUlT_T0_E_clISt17integral_constantIbLb1EES10_IbLb0EEEEDaSW_SX_EUlSW_E_NS1_11comp_targetILNS1_3genE10ELNS1_11target_archE1200ELNS1_3gpuE4ELNS1_3repE0EEENS1_30default_config_static_selectorELNS0_4arch9wavefront6targetE0EEEvT1_.has_indirect_call, 0
	.section	.AMDGPU.csdata,"",@progbits
; Kernel info:
; codeLenInByte = 0
; TotalNumSgprs: 0
; NumVgprs: 0
; ScratchSize: 0
; MemoryBound: 0
; FloatMode: 240
; IeeeMode: 1
; LDSByteSize: 0 bytes/workgroup (compile time only)
; SGPRBlocks: 0
; VGPRBlocks: 0
; NumSGPRsForWavesPerEU: 1
; NumVGPRsForWavesPerEU: 1
; NamedBarCnt: 0
; Occupancy: 16
; WaveLimiterHint : 0
; COMPUTE_PGM_RSRC2:SCRATCH_EN: 0
; COMPUTE_PGM_RSRC2:USER_SGPR: 2
; COMPUTE_PGM_RSRC2:TRAP_HANDLER: 0
; COMPUTE_PGM_RSRC2:TGID_X_EN: 1
; COMPUTE_PGM_RSRC2:TGID_Y_EN: 0
; COMPUTE_PGM_RSRC2:TGID_Z_EN: 0
; COMPUTE_PGM_RSRC2:TIDIG_COMP_CNT: 0
	.section	.text._ZN7rocprim17ROCPRIM_400000_NS6detail17trampoline_kernelINS0_14default_configENS1_33run_length_encode_config_selectorIN3c108BFloat16EjNS0_4plusIjEEEEZZNS1_33reduce_by_key_impl_wrapped_configILNS1_25lookback_scan_determinismE0ES3_S9_PKS6_NS0_17constant_iteratorIjlEEPS6_PlSH_S8_NS0_8equal_toIS6_EEEE10hipError_tPvRmT2_T3_mT4_T5_T6_T7_T8_P12ihipStream_tbENKUlT_T0_E_clISt17integral_constantIbLb1EES10_IbLb0EEEEDaSW_SX_EUlSW_E_NS1_11comp_targetILNS1_3genE9ELNS1_11target_archE1100ELNS1_3gpuE3ELNS1_3repE0EEENS1_30default_config_static_selectorELNS0_4arch9wavefront6targetE0EEEvT1_,"axG",@progbits,_ZN7rocprim17ROCPRIM_400000_NS6detail17trampoline_kernelINS0_14default_configENS1_33run_length_encode_config_selectorIN3c108BFloat16EjNS0_4plusIjEEEEZZNS1_33reduce_by_key_impl_wrapped_configILNS1_25lookback_scan_determinismE0ES3_S9_PKS6_NS0_17constant_iteratorIjlEEPS6_PlSH_S8_NS0_8equal_toIS6_EEEE10hipError_tPvRmT2_T3_mT4_T5_T6_T7_T8_P12ihipStream_tbENKUlT_T0_E_clISt17integral_constantIbLb1EES10_IbLb0EEEEDaSW_SX_EUlSW_E_NS1_11comp_targetILNS1_3genE9ELNS1_11target_archE1100ELNS1_3gpuE3ELNS1_3repE0EEENS1_30default_config_static_selectorELNS0_4arch9wavefront6targetE0EEEvT1_,comdat
	.protected	_ZN7rocprim17ROCPRIM_400000_NS6detail17trampoline_kernelINS0_14default_configENS1_33run_length_encode_config_selectorIN3c108BFloat16EjNS0_4plusIjEEEEZZNS1_33reduce_by_key_impl_wrapped_configILNS1_25lookback_scan_determinismE0ES3_S9_PKS6_NS0_17constant_iteratorIjlEEPS6_PlSH_S8_NS0_8equal_toIS6_EEEE10hipError_tPvRmT2_T3_mT4_T5_T6_T7_T8_P12ihipStream_tbENKUlT_T0_E_clISt17integral_constantIbLb1EES10_IbLb0EEEEDaSW_SX_EUlSW_E_NS1_11comp_targetILNS1_3genE9ELNS1_11target_archE1100ELNS1_3gpuE3ELNS1_3repE0EEENS1_30default_config_static_selectorELNS0_4arch9wavefront6targetE0EEEvT1_ ; -- Begin function _ZN7rocprim17ROCPRIM_400000_NS6detail17trampoline_kernelINS0_14default_configENS1_33run_length_encode_config_selectorIN3c108BFloat16EjNS0_4plusIjEEEEZZNS1_33reduce_by_key_impl_wrapped_configILNS1_25lookback_scan_determinismE0ES3_S9_PKS6_NS0_17constant_iteratorIjlEEPS6_PlSH_S8_NS0_8equal_toIS6_EEEE10hipError_tPvRmT2_T3_mT4_T5_T6_T7_T8_P12ihipStream_tbENKUlT_T0_E_clISt17integral_constantIbLb1EES10_IbLb0EEEEDaSW_SX_EUlSW_E_NS1_11comp_targetILNS1_3genE9ELNS1_11target_archE1100ELNS1_3gpuE3ELNS1_3repE0EEENS1_30default_config_static_selectorELNS0_4arch9wavefront6targetE0EEEvT1_
	.globl	_ZN7rocprim17ROCPRIM_400000_NS6detail17trampoline_kernelINS0_14default_configENS1_33run_length_encode_config_selectorIN3c108BFloat16EjNS0_4plusIjEEEEZZNS1_33reduce_by_key_impl_wrapped_configILNS1_25lookback_scan_determinismE0ES3_S9_PKS6_NS0_17constant_iteratorIjlEEPS6_PlSH_S8_NS0_8equal_toIS6_EEEE10hipError_tPvRmT2_T3_mT4_T5_T6_T7_T8_P12ihipStream_tbENKUlT_T0_E_clISt17integral_constantIbLb1EES10_IbLb0EEEEDaSW_SX_EUlSW_E_NS1_11comp_targetILNS1_3genE9ELNS1_11target_archE1100ELNS1_3gpuE3ELNS1_3repE0EEENS1_30default_config_static_selectorELNS0_4arch9wavefront6targetE0EEEvT1_
	.p2align	8
	.type	_ZN7rocprim17ROCPRIM_400000_NS6detail17trampoline_kernelINS0_14default_configENS1_33run_length_encode_config_selectorIN3c108BFloat16EjNS0_4plusIjEEEEZZNS1_33reduce_by_key_impl_wrapped_configILNS1_25lookback_scan_determinismE0ES3_S9_PKS6_NS0_17constant_iteratorIjlEEPS6_PlSH_S8_NS0_8equal_toIS6_EEEE10hipError_tPvRmT2_T3_mT4_T5_T6_T7_T8_P12ihipStream_tbENKUlT_T0_E_clISt17integral_constantIbLb1EES10_IbLb0EEEEDaSW_SX_EUlSW_E_NS1_11comp_targetILNS1_3genE9ELNS1_11target_archE1100ELNS1_3gpuE3ELNS1_3repE0EEENS1_30default_config_static_selectorELNS0_4arch9wavefront6targetE0EEEvT1_,@function
_ZN7rocprim17ROCPRIM_400000_NS6detail17trampoline_kernelINS0_14default_configENS1_33run_length_encode_config_selectorIN3c108BFloat16EjNS0_4plusIjEEEEZZNS1_33reduce_by_key_impl_wrapped_configILNS1_25lookback_scan_determinismE0ES3_S9_PKS6_NS0_17constant_iteratorIjlEEPS6_PlSH_S8_NS0_8equal_toIS6_EEEE10hipError_tPvRmT2_T3_mT4_T5_T6_T7_T8_P12ihipStream_tbENKUlT_T0_E_clISt17integral_constantIbLb1EES10_IbLb0EEEEDaSW_SX_EUlSW_E_NS1_11comp_targetILNS1_3genE9ELNS1_11target_archE1100ELNS1_3gpuE3ELNS1_3repE0EEENS1_30default_config_static_selectorELNS0_4arch9wavefront6targetE0EEEvT1_: ; @_ZN7rocprim17ROCPRIM_400000_NS6detail17trampoline_kernelINS0_14default_configENS1_33run_length_encode_config_selectorIN3c108BFloat16EjNS0_4plusIjEEEEZZNS1_33reduce_by_key_impl_wrapped_configILNS1_25lookback_scan_determinismE0ES3_S9_PKS6_NS0_17constant_iteratorIjlEEPS6_PlSH_S8_NS0_8equal_toIS6_EEEE10hipError_tPvRmT2_T3_mT4_T5_T6_T7_T8_P12ihipStream_tbENKUlT_T0_E_clISt17integral_constantIbLb1EES10_IbLb0EEEEDaSW_SX_EUlSW_E_NS1_11comp_targetILNS1_3genE9ELNS1_11target_archE1100ELNS1_3gpuE3ELNS1_3repE0EEENS1_30default_config_static_selectorELNS0_4arch9wavefront6targetE0EEEvT1_
; %bb.0:
	.section	.rodata,"a",@progbits
	.p2align	6, 0x0
	.amdhsa_kernel _ZN7rocprim17ROCPRIM_400000_NS6detail17trampoline_kernelINS0_14default_configENS1_33run_length_encode_config_selectorIN3c108BFloat16EjNS0_4plusIjEEEEZZNS1_33reduce_by_key_impl_wrapped_configILNS1_25lookback_scan_determinismE0ES3_S9_PKS6_NS0_17constant_iteratorIjlEEPS6_PlSH_S8_NS0_8equal_toIS6_EEEE10hipError_tPvRmT2_T3_mT4_T5_T6_T7_T8_P12ihipStream_tbENKUlT_T0_E_clISt17integral_constantIbLb1EES10_IbLb0EEEEDaSW_SX_EUlSW_E_NS1_11comp_targetILNS1_3genE9ELNS1_11target_archE1100ELNS1_3gpuE3ELNS1_3repE0EEENS1_30default_config_static_selectorELNS0_4arch9wavefront6targetE0EEEvT1_
		.amdhsa_group_segment_fixed_size 0
		.amdhsa_private_segment_fixed_size 0
		.amdhsa_kernarg_size 128
		.amdhsa_user_sgpr_count 2
		.amdhsa_user_sgpr_dispatch_ptr 0
		.amdhsa_user_sgpr_queue_ptr 0
		.amdhsa_user_sgpr_kernarg_segment_ptr 1
		.amdhsa_user_sgpr_dispatch_id 0
		.amdhsa_user_sgpr_kernarg_preload_length 0
		.amdhsa_user_sgpr_kernarg_preload_offset 0
		.amdhsa_user_sgpr_private_segment_size 0
		.amdhsa_wavefront_size32 1
		.amdhsa_uses_dynamic_stack 0
		.amdhsa_enable_private_segment 0
		.amdhsa_system_sgpr_workgroup_id_x 1
		.amdhsa_system_sgpr_workgroup_id_y 0
		.amdhsa_system_sgpr_workgroup_id_z 0
		.amdhsa_system_sgpr_workgroup_info 0
		.amdhsa_system_vgpr_workitem_id 0
		.amdhsa_next_free_vgpr 1
		.amdhsa_next_free_sgpr 1
		.amdhsa_named_barrier_count 0
		.amdhsa_reserve_vcc 0
		.amdhsa_float_round_mode_32 0
		.amdhsa_float_round_mode_16_64 0
		.amdhsa_float_denorm_mode_32 3
		.amdhsa_float_denorm_mode_16_64 3
		.amdhsa_fp16_overflow 0
		.amdhsa_memory_ordered 1
		.amdhsa_forward_progress 1
		.amdhsa_inst_pref_size 0
		.amdhsa_round_robin_scheduling 0
		.amdhsa_exception_fp_ieee_invalid_op 0
		.amdhsa_exception_fp_denorm_src 0
		.amdhsa_exception_fp_ieee_div_zero 0
		.amdhsa_exception_fp_ieee_overflow 0
		.amdhsa_exception_fp_ieee_underflow 0
		.amdhsa_exception_fp_ieee_inexact 0
		.amdhsa_exception_int_div_zero 0
	.end_amdhsa_kernel
	.section	.text._ZN7rocprim17ROCPRIM_400000_NS6detail17trampoline_kernelINS0_14default_configENS1_33run_length_encode_config_selectorIN3c108BFloat16EjNS0_4plusIjEEEEZZNS1_33reduce_by_key_impl_wrapped_configILNS1_25lookback_scan_determinismE0ES3_S9_PKS6_NS0_17constant_iteratorIjlEEPS6_PlSH_S8_NS0_8equal_toIS6_EEEE10hipError_tPvRmT2_T3_mT4_T5_T6_T7_T8_P12ihipStream_tbENKUlT_T0_E_clISt17integral_constantIbLb1EES10_IbLb0EEEEDaSW_SX_EUlSW_E_NS1_11comp_targetILNS1_3genE9ELNS1_11target_archE1100ELNS1_3gpuE3ELNS1_3repE0EEENS1_30default_config_static_selectorELNS0_4arch9wavefront6targetE0EEEvT1_,"axG",@progbits,_ZN7rocprim17ROCPRIM_400000_NS6detail17trampoline_kernelINS0_14default_configENS1_33run_length_encode_config_selectorIN3c108BFloat16EjNS0_4plusIjEEEEZZNS1_33reduce_by_key_impl_wrapped_configILNS1_25lookback_scan_determinismE0ES3_S9_PKS6_NS0_17constant_iteratorIjlEEPS6_PlSH_S8_NS0_8equal_toIS6_EEEE10hipError_tPvRmT2_T3_mT4_T5_T6_T7_T8_P12ihipStream_tbENKUlT_T0_E_clISt17integral_constantIbLb1EES10_IbLb0EEEEDaSW_SX_EUlSW_E_NS1_11comp_targetILNS1_3genE9ELNS1_11target_archE1100ELNS1_3gpuE3ELNS1_3repE0EEENS1_30default_config_static_selectorELNS0_4arch9wavefront6targetE0EEEvT1_,comdat
.Lfunc_end881:
	.size	_ZN7rocprim17ROCPRIM_400000_NS6detail17trampoline_kernelINS0_14default_configENS1_33run_length_encode_config_selectorIN3c108BFloat16EjNS0_4plusIjEEEEZZNS1_33reduce_by_key_impl_wrapped_configILNS1_25lookback_scan_determinismE0ES3_S9_PKS6_NS0_17constant_iteratorIjlEEPS6_PlSH_S8_NS0_8equal_toIS6_EEEE10hipError_tPvRmT2_T3_mT4_T5_T6_T7_T8_P12ihipStream_tbENKUlT_T0_E_clISt17integral_constantIbLb1EES10_IbLb0EEEEDaSW_SX_EUlSW_E_NS1_11comp_targetILNS1_3genE9ELNS1_11target_archE1100ELNS1_3gpuE3ELNS1_3repE0EEENS1_30default_config_static_selectorELNS0_4arch9wavefront6targetE0EEEvT1_, .Lfunc_end881-_ZN7rocprim17ROCPRIM_400000_NS6detail17trampoline_kernelINS0_14default_configENS1_33run_length_encode_config_selectorIN3c108BFloat16EjNS0_4plusIjEEEEZZNS1_33reduce_by_key_impl_wrapped_configILNS1_25lookback_scan_determinismE0ES3_S9_PKS6_NS0_17constant_iteratorIjlEEPS6_PlSH_S8_NS0_8equal_toIS6_EEEE10hipError_tPvRmT2_T3_mT4_T5_T6_T7_T8_P12ihipStream_tbENKUlT_T0_E_clISt17integral_constantIbLb1EES10_IbLb0EEEEDaSW_SX_EUlSW_E_NS1_11comp_targetILNS1_3genE9ELNS1_11target_archE1100ELNS1_3gpuE3ELNS1_3repE0EEENS1_30default_config_static_selectorELNS0_4arch9wavefront6targetE0EEEvT1_
                                        ; -- End function
	.set _ZN7rocprim17ROCPRIM_400000_NS6detail17trampoline_kernelINS0_14default_configENS1_33run_length_encode_config_selectorIN3c108BFloat16EjNS0_4plusIjEEEEZZNS1_33reduce_by_key_impl_wrapped_configILNS1_25lookback_scan_determinismE0ES3_S9_PKS6_NS0_17constant_iteratorIjlEEPS6_PlSH_S8_NS0_8equal_toIS6_EEEE10hipError_tPvRmT2_T3_mT4_T5_T6_T7_T8_P12ihipStream_tbENKUlT_T0_E_clISt17integral_constantIbLb1EES10_IbLb0EEEEDaSW_SX_EUlSW_E_NS1_11comp_targetILNS1_3genE9ELNS1_11target_archE1100ELNS1_3gpuE3ELNS1_3repE0EEENS1_30default_config_static_selectorELNS0_4arch9wavefront6targetE0EEEvT1_.num_vgpr, 0
	.set _ZN7rocprim17ROCPRIM_400000_NS6detail17trampoline_kernelINS0_14default_configENS1_33run_length_encode_config_selectorIN3c108BFloat16EjNS0_4plusIjEEEEZZNS1_33reduce_by_key_impl_wrapped_configILNS1_25lookback_scan_determinismE0ES3_S9_PKS6_NS0_17constant_iteratorIjlEEPS6_PlSH_S8_NS0_8equal_toIS6_EEEE10hipError_tPvRmT2_T3_mT4_T5_T6_T7_T8_P12ihipStream_tbENKUlT_T0_E_clISt17integral_constantIbLb1EES10_IbLb0EEEEDaSW_SX_EUlSW_E_NS1_11comp_targetILNS1_3genE9ELNS1_11target_archE1100ELNS1_3gpuE3ELNS1_3repE0EEENS1_30default_config_static_selectorELNS0_4arch9wavefront6targetE0EEEvT1_.num_agpr, 0
	.set _ZN7rocprim17ROCPRIM_400000_NS6detail17trampoline_kernelINS0_14default_configENS1_33run_length_encode_config_selectorIN3c108BFloat16EjNS0_4plusIjEEEEZZNS1_33reduce_by_key_impl_wrapped_configILNS1_25lookback_scan_determinismE0ES3_S9_PKS6_NS0_17constant_iteratorIjlEEPS6_PlSH_S8_NS0_8equal_toIS6_EEEE10hipError_tPvRmT2_T3_mT4_T5_T6_T7_T8_P12ihipStream_tbENKUlT_T0_E_clISt17integral_constantIbLb1EES10_IbLb0EEEEDaSW_SX_EUlSW_E_NS1_11comp_targetILNS1_3genE9ELNS1_11target_archE1100ELNS1_3gpuE3ELNS1_3repE0EEENS1_30default_config_static_selectorELNS0_4arch9wavefront6targetE0EEEvT1_.numbered_sgpr, 0
	.set _ZN7rocprim17ROCPRIM_400000_NS6detail17trampoline_kernelINS0_14default_configENS1_33run_length_encode_config_selectorIN3c108BFloat16EjNS0_4plusIjEEEEZZNS1_33reduce_by_key_impl_wrapped_configILNS1_25lookback_scan_determinismE0ES3_S9_PKS6_NS0_17constant_iteratorIjlEEPS6_PlSH_S8_NS0_8equal_toIS6_EEEE10hipError_tPvRmT2_T3_mT4_T5_T6_T7_T8_P12ihipStream_tbENKUlT_T0_E_clISt17integral_constantIbLb1EES10_IbLb0EEEEDaSW_SX_EUlSW_E_NS1_11comp_targetILNS1_3genE9ELNS1_11target_archE1100ELNS1_3gpuE3ELNS1_3repE0EEENS1_30default_config_static_selectorELNS0_4arch9wavefront6targetE0EEEvT1_.num_named_barrier, 0
	.set _ZN7rocprim17ROCPRIM_400000_NS6detail17trampoline_kernelINS0_14default_configENS1_33run_length_encode_config_selectorIN3c108BFloat16EjNS0_4plusIjEEEEZZNS1_33reduce_by_key_impl_wrapped_configILNS1_25lookback_scan_determinismE0ES3_S9_PKS6_NS0_17constant_iteratorIjlEEPS6_PlSH_S8_NS0_8equal_toIS6_EEEE10hipError_tPvRmT2_T3_mT4_T5_T6_T7_T8_P12ihipStream_tbENKUlT_T0_E_clISt17integral_constantIbLb1EES10_IbLb0EEEEDaSW_SX_EUlSW_E_NS1_11comp_targetILNS1_3genE9ELNS1_11target_archE1100ELNS1_3gpuE3ELNS1_3repE0EEENS1_30default_config_static_selectorELNS0_4arch9wavefront6targetE0EEEvT1_.private_seg_size, 0
	.set _ZN7rocprim17ROCPRIM_400000_NS6detail17trampoline_kernelINS0_14default_configENS1_33run_length_encode_config_selectorIN3c108BFloat16EjNS0_4plusIjEEEEZZNS1_33reduce_by_key_impl_wrapped_configILNS1_25lookback_scan_determinismE0ES3_S9_PKS6_NS0_17constant_iteratorIjlEEPS6_PlSH_S8_NS0_8equal_toIS6_EEEE10hipError_tPvRmT2_T3_mT4_T5_T6_T7_T8_P12ihipStream_tbENKUlT_T0_E_clISt17integral_constantIbLb1EES10_IbLb0EEEEDaSW_SX_EUlSW_E_NS1_11comp_targetILNS1_3genE9ELNS1_11target_archE1100ELNS1_3gpuE3ELNS1_3repE0EEENS1_30default_config_static_selectorELNS0_4arch9wavefront6targetE0EEEvT1_.uses_vcc, 0
	.set _ZN7rocprim17ROCPRIM_400000_NS6detail17trampoline_kernelINS0_14default_configENS1_33run_length_encode_config_selectorIN3c108BFloat16EjNS0_4plusIjEEEEZZNS1_33reduce_by_key_impl_wrapped_configILNS1_25lookback_scan_determinismE0ES3_S9_PKS6_NS0_17constant_iteratorIjlEEPS6_PlSH_S8_NS0_8equal_toIS6_EEEE10hipError_tPvRmT2_T3_mT4_T5_T6_T7_T8_P12ihipStream_tbENKUlT_T0_E_clISt17integral_constantIbLb1EES10_IbLb0EEEEDaSW_SX_EUlSW_E_NS1_11comp_targetILNS1_3genE9ELNS1_11target_archE1100ELNS1_3gpuE3ELNS1_3repE0EEENS1_30default_config_static_selectorELNS0_4arch9wavefront6targetE0EEEvT1_.uses_flat_scratch, 0
	.set _ZN7rocprim17ROCPRIM_400000_NS6detail17trampoline_kernelINS0_14default_configENS1_33run_length_encode_config_selectorIN3c108BFloat16EjNS0_4plusIjEEEEZZNS1_33reduce_by_key_impl_wrapped_configILNS1_25lookback_scan_determinismE0ES3_S9_PKS6_NS0_17constant_iteratorIjlEEPS6_PlSH_S8_NS0_8equal_toIS6_EEEE10hipError_tPvRmT2_T3_mT4_T5_T6_T7_T8_P12ihipStream_tbENKUlT_T0_E_clISt17integral_constantIbLb1EES10_IbLb0EEEEDaSW_SX_EUlSW_E_NS1_11comp_targetILNS1_3genE9ELNS1_11target_archE1100ELNS1_3gpuE3ELNS1_3repE0EEENS1_30default_config_static_selectorELNS0_4arch9wavefront6targetE0EEEvT1_.has_dyn_sized_stack, 0
	.set _ZN7rocprim17ROCPRIM_400000_NS6detail17trampoline_kernelINS0_14default_configENS1_33run_length_encode_config_selectorIN3c108BFloat16EjNS0_4plusIjEEEEZZNS1_33reduce_by_key_impl_wrapped_configILNS1_25lookback_scan_determinismE0ES3_S9_PKS6_NS0_17constant_iteratorIjlEEPS6_PlSH_S8_NS0_8equal_toIS6_EEEE10hipError_tPvRmT2_T3_mT4_T5_T6_T7_T8_P12ihipStream_tbENKUlT_T0_E_clISt17integral_constantIbLb1EES10_IbLb0EEEEDaSW_SX_EUlSW_E_NS1_11comp_targetILNS1_3genE9ELNS1_11target_archE1100ELNS1_3gpuE3ELNS1_3repE0EEENS1_30default_config_static_selectorELNS0_4arch9wavefront6targetE0EEEvT1_.has_recursion, 0
	.set _ZN7rocprim17ROCPRIM_400000_NS6detail17trampoline_kernelINS0_14default_configENS1_33run_length_encode_config_selectorIN3c108BFloat16EjNS0_4plusIjEEEEZZNS1_33reduce_by_key_impl_wrapped_configILNS1_25lookback_scan_determinismE0ES3_S9_PKS6_NS0_17constant_iteratorIjlEEPS6_PlSH_S8_NS0_8equal_toIS6_EEEE10hipError_tPvRmT2_T3_mT4_T5_T6_T7_T8_P12ihipStream_tbENKUlT_T0_E_clISt17integral_constantIbLb1EES10_IbLb0EEEEDaSW_SX_EUlSW_E_NS1_11comp_targetILNS1_3genE9ELNS1_11target_archE1100ELNS1_3gpuE3ELNS1_3repE0EEENS1_30default_config_static_selectorELNS0_4arch9wavefront6targetE0EEEvT1_.has_indirect_call, 0
	.section	.AMDGPU.csdata,"",@progbits
; Kernel info:
; codeLenInByte = 0
; TotalNumSgprs: 0
; NumVgprs: 0
; ScratchSize: 0
; MemoryBound: 0
; FloatMode: 240
; IeeeMode: 1
; LDSByteSize: 0 bytes/workgroup (compile time only)
; SGPRBlocks: 0
; VGPRBlocks: 0
; NumSGPRsForWavesPerEU: 1
; NumVGPRsForWavesPerEU: 1
; NamedBarCnt: 0
; Occupancy: 16
; WaveLimiterHint : 0
; COMPUTE_PGM_RSRC2:SCRATCH_EN: 0
; COMPUTE_PGM_RSRC2:USER_SGPR: 2
; COMPUTE_PGM_RSRC2:TRAP_HANDLER: 0
; COMPUTE_PGM_RSRC2:TGID_X_EN: 1
; COMPUTE_PGM_RSRC2:TGID_Y_EN: 0
; COMPUTE_PGM_RSRC2:TGID_Z_EN: 0
; COMPUTE_PGM_RSRC2:TIDIG_COMP_CNT: 0
	.section	.text._ZN7rocprim17ROCPRIM_400000_NS6detail17trampoline_kernelINS0_14default_configENS1_33run_length_encode_config_selectorIN3c108BFloat16EjNS0_4plusIjEEEEZZNS1_33reduce_by_key_impl_wrapped_configILNS1_25lookback_scan_determinismE0ES3_S9_PKS6_NS0_17constant_iteratorIjlEEPS6_PlSH_S8_NS0_8equal_toIS6_EEEE10hipError_tPvRmT2_T3_mT4_T5_T6_T7_T8_P12ihipStream_tbENKUlT_T0_E_clISt17integral_constantIbLb1EES10_IbLb0EEEEDaSW_SX_EUlSW_E_NS1_11comp_targetILNS1_3genE8ELNS1_11target_archE1030ELNS1_3gpuE2ELNS1_3repE0EEENS1_30default_config_static_selectorELNS0_4arch9wavefront6targetE0EEEvT1_,"axG",@progbits,_ZN7rocprim17ROCPRIM_400000_NS6detail17trampoline_kernelINS0_14default_configENS1_33run_length_encode_config_selectorIN3c108BFloat16EjNS0_4plusIjEEEEZZNS1_33reduce_by_key_impl_wrapped_configILNS1_25lookback_scan_determinismE0ES3_S9_PKS6_NS0_17constant_iteratorIjlEEPS6_PlSH_S8_NS0_8equal_toIS6_EEEE10hipError_tPvRmT2_T3_mT4_T5_T6_T7_T8_P12ihipStream_tbENKUlT_T0_E_clISt17integral_constantIbLb1EES10_IbLb0EEEEDaSW_SX_EUlSW_E_NS1_11comp_targetILNS1_3genE8ELNS1_11target_archE1030ELNS1_3gpuE2ELNS1_3repE0EEENS1_30default_config_static_selectorELNS0_4arch9wavefront6targetE0EEEvT1_,comdat
	.protected	_ZN7rocprim17ROCPRIM_400000_NS6detail17trampoline_kernelINS0_14default_configENS1_33run_length_encode_config_selectorIN3c108BFloat16EjNS0_4plusIjEEEEZZNS1_33reduce_by_key_impl_wrapped_configILNS1_25lookback_scan_determinismE0ES3_S9_PKS6_NS0_17constant_iteratorIjlEEPS6_PlSH_S8_NS0_8equal_toIS6_EEEE10hipError_tPvRmT2_T3_mT4_T5_T6_T7_T8_P12ihipStream_tbENKUlT_T0_E_clISt17integral_constantIbLb1EES10_IbLb0EEEEDaSW_SX_EUlSW_E_NS1_11comp_targetILNS1_3genE8ELNS1_11target_archE1030ELNS1_3gpuE2ELNS1_3repE0EEENS1_30default_config_static_selectorELNS0_4arch9wavefront6targetE0EEEvT1_ ; -- Begin function _ZN7rocprim17ROCPRIM_400000_NS6detail17trampoline_kernelINS0_14default_configENS1_33run_length_encode_config_selectorIN3c108BFloat16EjNS0_4plusIjEEEEZZNS1_33reduce_by_key_impl_wrapped_configILNS1_25lookback_scan_determinismE0ES3_S9_PKS6_NS0_17constant_iteratorIjlEEPS6_PlSH_S8_NS0_8equal_toIS6_EEEE10hipError_tPvRmT2_T3_mT4_T5_T6_T7_T8_P12ihipStream_tbENKUlT_T0_E_clISt17integral_constantIbLb1EES10_IbLb0EEEEDaSW_SX_EUlSW_E_NS1_11comp_targetILNS1_3genE8ELNS1_11target_archE1030ELNS1_3gpuE2ELNS1_3repE0EEENS1_30default_config_static_selectorELNS0_4arch9wavefront6targetE0EEEvT1_
	.globl	_ZN7rocprim17ROCPRIM_400000_NS6detail17trampoline_kernelINS0_14default_configENS1_33run_length_encode_config_selectorIN3c108BFloat16EjNS0_4plusIjEEEEZZNS1_33reduce_by_key_impl_wrapped_configILNS1_25lookback_scan_determinismE0ES3_S9_PKS6_NS0_17constant_iteratorIjlEEPS6_PlSH_S8_NS0_8equal_toIS6_EEEE10hipError_tPvRmT2_T3_mT4_T5_T6_T7_T8_P12ihipStream_tbENKUlT_T0_E_clISt17integral_constantIbLb1EES10_IbLb0EEEEDaSW_SX_EUlSW_E_NS1_11comp_targetILNS1_3genE8ELNS1_11target_archE1030ELNS1_3gpuE2ELNS1_3repE0EEENS1_30default_config_static_selectorELNS0_4arch9wavefront6targetE0EEEvT1_
	.p2align	8
	.type	_ZN7rocprim17ROCPRIM_400000_NS6detail17trampoline_kernelINS0_14default_configENS1_33run_length_encode_config_selectorIN3c108BFloat16EjNS0_4plusIjEEEEZZNS1_33reduce_by_key_impl_wrapped_configILNS1_25lookback_scan_determinismE0ES3_S9_PKS6_NS0_17constant_iteratorIjlEEPS6_PlSH_S8_NS0_8equal_toIS6_EEEE10hipError_tPvRmT2_T3_mT4_T5_T6_T7_T8_P12ihipStream_tbENKUlT_T0_E_clISt17integral_constantIbLb1EES10_IbLb0EEEEDaSW_SX_EUlSW_E_NS1_11comp_targetILNS1_3genE8ELNS1_11target_archE1030ELNS1_3gpuE2ELNS1_3repE0EEENS1_30default_config_static_selectorELNS0_4arch9wavefront6targetE0EEEvT1_,@function
_ZN7rocprim17ROCPRIM_400000_NS6detail17trampoline_kernelINS0_14default_configENS1_33run_length_encode_config_selectorIN3c108BFloat16EjNS0_4plusIjEEEEZZNS1_33reduce_by_key_impl_wrapped_configILNS1_25lookback_scan_determinismE0ES3_S9_PKS6_NS0_17constant_iteratorIjlEEPS6_PlSH_S8_NS0_8equal_toIS6_EEEE10hipError_tPvRmT2_T3_mT4_T5_T6_T7_T8_P12ihipStream_tbENKUlT_T0_E_clISt17integral_constantIbLb1EES10_IbLb0EEEEDaSW_SX_EUlSW_E_NS1_11comp_targetILNS1_3genE8ELNS1_11target_archE1030ELNS1_3gpuE2ELNS1_3repE0EEENS1_30default_config_static_selectorELNS0_4arch9wavefront6targetE0EEEvT1_: ; @_ZN7rocprim17ROCPRIM_400000_NS6detail17trampoline_kernelINS0_14default_configENS1_33run_length_encode_config_selectorIN3c108BFloat16EjNS0_4plusIjEEEEZZNS1_33reduce_by_key_impl_wrapped_configILNS1_25lookback_scan_determinismE0ES3_S9_PKS6_NS0_17constant_iteratorIjlEEPS6_PlSH_S8_NS0_8equal_toIS6_EEEE10hipError_tPvRmT2_T3_mT4_T5_T6_T7_T8_P12ihipStream_tbENKUlT_T0_E_clISt17integral_constantIbLb1EES10_IbLb0EEEEDaSW_SX_EUlSW_E_NS1_11comp_targetILNS1_3genE8ELNS1_11target_archE1030ELNS1_3gpuE2ELNS1_3repE0EEENS1_30default_config_static_selectorELNS0_4arch9wavefront6targetE0EEEvT1_
; %bb.0:
	.section	.rodata,"a",@progbits
	.p2align	6, 0x0
	.amdhsa_kernel _ZN7rocprim17ROCPRIM_400000_NS6detail17trampoline_kernelINS0_14default_configENS1_33run_length_encode_config_selectorIN3c108BFloat16EjNS0_4plusIjEEEEZZNS1_33reduce_by_key_impl_wrapped_configILNS1_25lookback_scan_determinismE0ES3_S9_PKS6_NS0_17constant_iteratorIjlEEPS6_PlSH_S8_NS0_8equal_toIS6_EEEE10hipError_tPvRmT2_T3_mT4_T5_T6_T7_T8_P12ihipStream_tbENKUlT_T0_E_clISt17integral_constantIbLb1EES10_IbLb0EEEEDaSW_SX_EUlSW_E_NS1_11comp_targetILNS1_3genE8ELNS1_11target_archE1030ELNS1_3gpuE2ELNS1_3repE0EEENS1_30default_config_static_selectorELNS0_4arch9wavefront6targetE0EEEvT1_
		.amdhsa_group_segment_fixed_size 0
		.amdhsa_private_segment_fixed_size 0
		.amdhsa_kernarg_size 128
		.amdhsa_user_sgpr_count 2
		.amdhsa_user_sgpr_dispatch_ptr 0
		.amdhsa_user_sgpr_queue_ptr 0
		.amdhsa_user_sgpr_kernarg_segment_ptr 1
		.amdhsa_user_sgpr_dispatch_id 0
		.amdhsa_user_sgpr_kernarg_preload_length 0
		.amdhsa_user_sgpr_kernarg_preload_offset 0
		.amdhsa_user_sgpr_private_segment_size 0
		.amdhsa_wavefront_size32 1
		.amdhsa_uses_dynamic_stack 0
		.amdhsa_enable_private_segment 0
		.amdhsa_system_sgpr_workgroup_id_x 1
		.amdhsa_system_sgpr_workgroup_id_y 0
		.amdhsa_system_sgpr_workgroup_id_z 0
		.amdhsa_system_sgpr_workgroup_info 0
		.amdhsa_system_vgpr_workitem_id 0
		.amdhsa_next_free_vgpr 1
		.amdhsa_next_free_sgpr 1
		.amdhsa_named_barrier_count 0
		.amdhsa_reserve_vcc 0
		.amdhsa_float_round_mode_32 0
		.amdhsa_float_round_mode_16_64 0
		.amdhsa_float_denorm_mode_32 3
		.amdhsa_float_denorm_mode_16_64 3
		.amdhsa_fp16_overflow 0
		.amdhsa_memory_ordered 1
		.amdhsa_forward_progress 1
		.amdhsa_inst_pref_size 0
		.amdhsa_round_robin_scheduling 0
		.amdhsa_exception_fp_ieee_invalid_op 0
		.amdhsa_exception_fp_denorm_src 0
		.amdhsa_exception_fp_ieee_div_zero 0
		.amdhsa_exception_fp_ieee_overflow 0
		.amdhsa_exception_fp_ieee_underflow 0
		.amdhsa_exception_fp_ieee_inexact 0
		.amdhsa_exception_int_div_zero 0
	.end_amdhsa_kernel
	.section	.text._ZN7rocprim17ROCPRIM_400000_NS6detail17trampoline_kernelINS0_14default_configENS1_33run_length_encode_config_selectorIN3c108BFloat16EjNS0_4plusIjEEEEZZNS1_33reduce_by_key_impl_wrapped_configILNS1_25lookback_scan_determinismE0ES3_S9_PKS6_NS0_17constant_iteratorIjlEEPS6_PlSH_S8_NS0_8equal_toIS6_EEEE10hipError_tPvRmT2_T3_mT4_T5_T6_T7_T8_P12ihipStream_tbENKUlT_T0_E_clISt17integral_constantIbLb1EES10_IbLb0EEEEDaSW_SX_EUlSW_E_NS1_11comp_targetILNS1_3genE8ELNS1_11target_archE1030ELNS1_3gpuE2ELNS1_3repE0EEENS1_30default_config_static_selectorELNS0_4arch9wavefront6targetE0EEEvT1_,"axG",@progbits,_ZN7rocprim17ROCPRIM_400000_NS6detail17trampoline_kernelINS0_14default_configENS1_33run_length_encode_config_selectorIN3c108BFloat16EjNS0_4plusIjEEEEZZNS1_33reduce_by_key_impl_wrapped_configILNS1_25lookback_scan_determinismE0ES3_S9_PKS6_NS0_17constant_iteratorIjlEEPS6_PlSH_S8_NS0_8equal_toIS6_EEEE10hipError_tPvRmT2_T3_mT4_T5_T6_T7_T8_P12ihipStream_tbENKUlT_T0_E_clISt17integral_constantIbLb1EES10_IbLb0EEEEDaSW_SX_EUlSW_E_NS1_11comp_targetILNS1_3genE8ELNS1_11target_archE1030ELNS1_3gpuE2ELNS1_3repE0EEENS1_30default_config_static_selectorELNS0_4arch9wavefront6targetE0EEEvT1_,comdat
.Lfunc_end882:
	.size	_ZN7rocprim17ROCPRIM_400000_NS6detail17trampoline_kernelINS0_14default_configENS1_33run_length_encode_config_selectorIN3c108BFloat16EjNS0_4plusIjEEEEZZNS1_33reduce_by_key_impl_wrapped_configILNS1_25lookback_scan_determinismE0ES3_S9_PKS6_NS0_17constant_iteratorIjlEEPS6_PlSH_S8_NS0_8equal_toIS6_EEEE10hipError_tPvRmT2_T3_mT4_T5_T6_T7_T8_P12ihipStream_tbENKUlT_T0_E_clISt17integral_constantIbLb1EES10_IbLb0EEEEDaSW_SX_EUlSW_E_NS1_11comp_targetILNS1_3genE8ELNS1_11target_archE1030ELNS1_3gpuE2ELNS1_3repE0EEENS1_30default_config_static_selectorELNS0_4arch9wavefront6targetE0EEEvT1_, .Lfunc_end882-_ZN7rocprim17ROCPRIM_400000_NS6detail17trampoline_kernelINS0_14default_configENS1_33run_length_encode_config_selectorIN3c108BFloat16EjNS0_4plusIjEEEEZZNS1_33reduce_by_key_impl_wrapped_configILNS1_25lookback_scan_determinismE0ES3_S9_PKS6_NS0_17constant_iteratorIjlEEPS6_PlSH_S8_NS0_8equal_toIS6_EEEE10hipError_tPvRmT2_T3_mT4_T5_T6_T7_T8_P12ihipStream_tbENKUlT_T0_E_clISt17integral_constantIbLb1EES10_IbLb0EEEEDaSW_SX_EUlSW_E_NS1_11comp_targetILNS1_3genE8ELNS1_11target_archE1030ELNS1_3gpuE2ELNS1_3repE0EEENS1_30default_config_static_selectorELNS0_4arch9wavefront6targetE0EEEvT1_
                                        ; -- End function
	.set _ZN7rocprim17ROCPRIM_400000_NS6detail17trampoline_kernelINS0_14default_configENS1_33run_length_encode_config_selectorIN3c108BFloat16EjNS0_4plusIjEEEEZZNS1_33reduce_by_key_impl_wrapped_configILNS1_25lookback_scan_determinismE0ES3_S9_PKS6_NS0_17constant_iteratorIjlEEPS6_PlSH_S8_NS0_8equal_toIS6_EEEE10hipError_tPvRmT2_T3_mT4_T5_T6_T7_T8_P12ihipStream_tbENKUlT_T0_E_clISt17integral_constantIbLb1EES10_IbLb0EEEEDaSW_SX_EUlSW_E_NS1_11comp_targetILNS1_3genE8ELNS1_11target_archE1030ELNS1_3gpuE2ELNS1_3repE0EEENS1_30default_config_static_selectorELNS0_4arch9wavefront6targetE0EEEvT1_.num_vgpr, 0
	.set _ZN7rocprim17ROCPRIM_400000_NS6detail17trampoline_kernelINS0_14default_configENS1_33run_length_encode_config_selectorIN3c108BFloat16EjNS0_4plusIjEEEEZZNS1_33reduce_by_key_impl_wrapped_configILNS1_25lookback_scan_determinismE0ES3_S9_PKS6_NS0_17constant_iteratorIjlEEPS6_PlSH_S8_NS0_8equal_toIS6_EEEE10hipError_tPvRmT2_T3_mT4_T5_T6_T7_T8_P12ihipStream_tbENKUlT_T0_E_clISt17integral_constantIbLb1EES10_IbLb0EEEEDaSW_SX_EUlSW_E_NS1_11comp_targetILNS1_3genE8ELNS1_11target_archE1030ELNS1_3gpuE2ELNS1_3repE0EEENS1_30default_config_static_selectorELNS0_4arch9wavefront6targetE0EEEvT1_.num_agpr, 0
	.set _ZN7rocprim17ROCPRIM_400000_NS6detail17trampoline_kernelINS0_14default_configENS1_33run_length_encode_config_selectorIN3c108BFloat16EjNS0_4plusIjEEEEZZNS1_33reduce_by_key_impl_wrapped_configILNS1_25lookback_scan_determinismE0ES3_S9_PKS6_NS0_17constant_iteratorIjlEEPS6_PlSH_S8_NS0_8equal_toIS6_EEEE10hipError_tPvRmT2_T3_mT4_T5_T6_T7_T8_P12ihipStream_tbENKUlT_T0_E_clISt17integral_constantIbLb1EES10_IbLb0EEEEDaSW_SX_EUlSW_E_NS1_11comp_targetILNS1_3genE8ELNS1_11target_archE1030ELNS1_3gpuE2ELNS1_3repE0EEENS1_30default_config_static_selectorELNS0_4arch9wavefront6targetE0EEEvT1_.numbered_sgpr, 0
	.set _ZN7rocprim17ROCPRIM_400000_NS6detail17trampoline_kernelINS0_14default_configENS1_33run_length_encode_config_selectorIN3c108BFloat16EjNS0_4plusIjEEEEZZNS1_33reduce_by_key_impl_wrapped_configILNS1_25lookback_scan_determinismE0ES3_S9_PKS6_NS0_17constant_iteratorIjlEEPS6_PlSH_S8_NS0_8equal_toIS6_EEEE10hipError_tPvRmT2_T3_mT4_T5_T6_T7_T8_P12ihipStream_tbENKUlT_T0_E_clISt17integral_constantIbLb1EES10_IbLb0EEEEDaSW_SX_EUlSW_E_NS1_11comp_targetILNS1_3genE8ELNS1_11target_archE1030ELNS1_3gpuE2ELNS1_3repE0EEENS1_30default_config_static_selectorELNS0_4arch9wavefront6targetE0EEEvT1_.num_named_barrier, 0
	.set _ZN7rocprim17ROCPRIM_400000_NS6detail17trampoline_kernelINS0_14default_configENS1_33run_length_encode_config_selectorIN3c108BFloat16EjNS0_4plusIjEEEEZZNS1_33reduce_by_key_impl_wrapped_configILNS1_25lookback_scan_determinismE0ES3_S9_PKS6_NS0_17constant_iteratorIjlEEPS6_PlSH_S8_NS0_8equal_toIS6_EEEE10hipError_tPvRmT2_T3_mT4_T5_T6_T7_T8_P12ihipStream_tbENKUlT_T0_E_clISt17integral_constantIbLb1EES10_IbLb0EEEEDaSW_SX_EUlSW_E_NS1_11comp_targetILNS1_3genE8ELNS1_11target_archE1030ELNS1_3gpuE2ELNS1_3repE0EEENS1_30default_config_static_selectorELNS0_4arch9wavefront6targetE0EEEvT1_.private_seg_size, 0
	.set _ZN7rocprim17ROCPRIM_400000_NS6detail17trampoline_kernelINS0_14default_configENS1_33run_length_encode_config_selectorIN3c108BFloat16EjNS0_4plusIjEEEEZZNS1_33reduce_by_key_impl_wrapped_configILNS1_25lookback_scan_determinismE0ES3_S9_PKS6_NS0_17constant_iteratorIjlEEPS6_PlSH_S8_NS0_8equal_toIS6_EEEE10hipError_tPvRmT2_T3_mT4_T5_T6_T7_T8_P12ihipStream_tbENKUlT_T0_E_clISt17integral_constantIbLb1EES10_IbLb0EEEEDaSW_SX_EUlSW_E_NS1_11comp_targetILNS1_3genE8ELNS1_11target_archE1030ELNS1_3gpuE2ELNS1_3repE0EEENS1_30default_config_static_selectorELNS0_4arch9wavefront6targetE0EEEvT1_.uses_vcc, 0
	.set _ZN7rocprim17ROCPRIM_400000_NS6detail17trampoline_kernelINS0_14default_configENS1_33run_length_encode_config_selectorIN3c108BFloat16EjNS0_4plusIjEEEEZZNS1_33reduce_by_key_impl_wrapped_configILNS1_25lookback_scan_determinismE0ES3_S9_PKS6_NS0_17constant_iteratorIjlEEPS6_PlSH_S8_NS0_8equal_toIS6_EEEE10hipError_tPvRmT2_T3_mT4_T5_T6_T7_T8_P12ihipStream_tbENKUlT_T0_E_clISt17integral_constantIbLb1EES10_IbLb0EEEEDaSW_SX_EUlSW_E_NS1_11comp_targetILNS1_3genE8ELNS1_11target_archE1030ELNS1_3gpuE2ELNS1_3repE0EEENS1_30default_config_static_selectorELNS0_4arch9wavefront6targetE0EEEvT1_.uses_flat_scratch, 0
	.set _ZN7rocprim17ROCPRIM_400000_NS6detail17trampoline_kernelINS0_14default_configENS1_33run_length_encode_config_selectorIN3c108BFloat16EjNS0_4plusIjEEEEZZNS1_33reduce_by_key_impl_wrapped_configILNS1_25lookback_scan_determinismE0ES3_S9_PKS6_NS0_17constant_iteratorIjlEEPS6_PlSH_S8_NS0_8equal_toIS6_EEEE10hipError_tPvRmT2_T3_mT4_T5_T6_T7_T8_P12ihipStream_tbENKUlT_T0_E_clISt17integral_constantIbLb1EES10_IbLb0EEEEDaSW_SX_EUlSW_E_NS1_11comp_targetILNS1_3genE8ELNS1_11target_archE1030ELNS1_3gpuE2ELNS1_3repE0EEENS1_30default_config_static_selectorELNS0_4arch9wavefront6targetE0EEEvT1_.has_dyn_sized_stack, 0
	.set _ZN7rocprim17ROCPRIM_400000_NS6detail17trampoline_kernelINS0_14default_configENS1_33run_length_encode_config_selectorIN3c108BFloat16EjNS0_4plusIjEEEEZZNS1_33reduce_by_key_impl_wrapped_configILNS1_25lookback_scan_determinismE0ES3_S9_PKS6_NS0_17constant_iteratorIjlEEPS6_PlSH_S8_NS0_8equal_toIS6_EEEE10hipError_tPvRmT2_T3_mT4_T5_T6_T7_T8_P12ihipStream_tbENKUlT_T0_E_clISt17integral_constantIbLb1EES10_IbLb0EEEEDaSW_SX_EUlSW_E_NS1_11comp_targetILNS1_3genE8ELNS1_11target_archE1030ELNS1_3gpuE2ELNS1_3repE0EEENS1_30default_config_static_selectorELNS0_4arch9wavefront6targetE0EEEvT1_.has_recursion, 0
	.set _ZN7rocprim17ROCPRIM_400000_NS6detail17trampoline_kernelINS0_14default_configENS1_33run_length_encode_config_selectorIN3c108BFloat16EjNS0_4plusIjEEEEZZNS1_33reduce_by_key_impl_wrapped_configILNS1_25lookback_scan_determinismE0ES3_S9_PKS6_NS0_17constant_iteratorIjlEEPS6_PlSH_S8_NS0_8equal_toIS6_EEEE10hipError_tPvRmT2_T3_mT4_T5_T6_T7_T8_P12ihipStream_tbENKUlT_T0_E_clISt17integral_constantIbLb1EES10_IbLb0EEEEDaSW_SX_EUlSW_E_NS1_11comp_targetILNS1_3genE8ELNS1_11target_archE1030ELNS1_3gpuE2ELNS1_3repE0EEENS1_30default_config_static_selectorELNS0_4arch9wavefront6targetE0EEEvT1_.has_indirect_call, 0
	.section	.AMDGPU.csdata,"",@progbits
; Kernel info:
; codeLenInByte = 0
; TotalNumSgprs: 0
; NumVgprs: 0
; ScratchSize: 0
; MemoryBound: 0
; FloatMode: 240
; IeeeMode: 1
; LDSByteSize: 0 bytes/workgroup (compile time only)
; SGPRBlocks: 0
; VGPRBlocks: 0
; NumSGPRsForWavesPerEU: 1
; NumVGPRsForWavesPerEU: 1
; NamedBarCnt: 0
; Occupancy: 16
; WaveLimiterHint : 0
; COMPUTE_PGM_RSRC2:SCRATCH_EN: 0
; COMPUTE_PGM_RSRC2:USER_SGPR: 2
; COMPUTE_PGM_RSRC2:TRAP_HANDLER: 0
; COMPUTE_PGM_RSRC2:TGID_X_EN: 1
; COMPUTE_PGM_RSRC2:TGID_Y_EN: 0
; COMPUTE_PGM_RSRC2:TGID_Z_EN: 0
; COMPUTE_PGM_RSRC2:TIDIG_COMP_CNT: 0
	.section	.text._ZN7rocprim17ROCPRIM_400000_NS6detail17trampoline_kernelINS0_14default_configENS1_33run_length_encode_config_selectorIN3c108BFloat16EjNS0_4plusIjEEEEZZNS1_33reduce_by_key_impl_wrapped_configILNS1_25lookback_scan_determinismE0ES3_S9_PKS6_NS0_17constant_iteratorIjlEEPS6_PlSH_S8_NS0_8equal_toIS6_EEEE10hipError_tPvRmT2_T3_mT4_T5_T6_T7_T8_P12ihipStream_tbENKUlT_T0_E_clISt17integral_constantIbLb0EES10_IbLb1EEEEDaSW_SX_EUlSW_E_NS1_11comp_targetILNS1_3genE0ELNS1_11target_archE4294967295ELNS1_3gpuE0ELNS1_3repE0EEENS1_30default_config_static_selectorELNS0_4arch9wavefront6targetE0EEEvT1_,"axG",@progbits,_ZN7rocprim17ROCPRIM_400000_NS6detail17trampoline_kernelINS0_14default_configENS1_33run_length_encode_config_selectorIN3c108BFloat16EjNS0_4plusIjEEEEZZNS1_33reduce_by_key_impl_wrapped_configILNS1_25lookback_scan_determinismE0ES3_S9_PKS6_NS0_17constant_iteratorIjlEEPS6_PlSH_S8_NS0_8equal_toIS6_EEEE10hipError_tPvRmT2_T3_mT4_T5_T6_T7_T8_P12ihipStream_tbENKUlT_T0_E_clISt17integral_constantIbLb0EES10_IbLb1EEEEDaSW_SX_EUlSW_E_NS1_11comp_targetILNS1_3genE0ELNS1_11target_archE4294967295ELNS1_3gpuE0ELNS1_3repE0EEENS1_30default_config_static_selectorELNS0_4arch9wavefront6targetE0EEEvT1_,comdat
	.protected	_ZN7rocprim17ROCPRIM_400000_NS6detail17trampoline_kernelINS0_14default_configENS1_33run_length_encode_config_selectorIN3c108BFloat16EjNS0_4plusIjEEEEZZNS1_33reduce_by_key_impl_wrapped_configILNS1_25lookback_scan_determinismE0ES3_S9_PKS6_NS0_17constant_iteratorIjlEEPS6_PlSH_S8_NS0_8equal_toIS6_EEEE10hipError_tPvRmT2_T3_mT4_T5_T6_T7_T8_P12ihipStream_tbENKUlT_T0_E_clISt17integral_constantIbLb0EES10_IbLb1EEEEDaSW_SX_EUlSW_E_NS1_11comp_targetILNS1_3genE0ELNS1_11target_archE4294967295ELNS1_3gpuE0ELNS1_3repE0EEENS1_30default_config_static_selectorELNS0_4arch9wavefront6targetE0EEEvT1_ ; -- Begin function _ZN7rocprim17ROCPRIM_400000_NS6detail17trampoline_kernelINS0_14default_configENS1_33run_length_encode_config_selectorIN3c108BFloat16EjNS0_4plusIjEEEEZZNS1_33reduce_by_key_impl_wrapped_configILNS1_25lookback_scan_determinismE0ES3_S9_PKS6_NS0_17constant_iteratorIjlEEPS6_PlSH_S8_NS0_8equal_toIS6_EEEE10hipError_tPvRmT2_T3_mT4_T5_T6_T7_T8_P12ihipStream_tbENKUlT_T0_E_clISt17integral_constantIbLb0EES10_IbLb1EEEEDaSW_SX_EUlSW_E_NS1_11comp_targetILNS1_3genE0ELNS1_11target_archE4294967295ELNS1_3gpuE0ELNS1_3repE0EEENS1_30default_config_static_selectorELNS0_4arch9wavefront6targetE0EEEvT1_
	.globl	_ZN7rocprim17ROCPRIM_400000_NS6detail17trampoline_kernelINS0_14default_configENS1_33run_length_encode_config_selectorIN3c108BFloat16EjNS0_4plusIjEEEEZZNS1_33reduce_by_key_impl_wrapped_configILNS1_25lookback_scan_determinismE0ES3_S9_PKS6_NS0_17constant_iteratorIjlEEPS6_PlSH_S8_NS0_8equal_toIS6_EEEE10hipError_tPvRmT2_T3_mT4_T5_T6_T7_T8_P12ihipStream_tbENKUlT_T0_E_clISt17integral_constantIbLb0EES10_IbLb1EEEEDaSW_SX_EUlSW_E_NS1_11comp_targetILNS1_3genE0ELNS1_11target_archE4294967295ELNS1_3gpuE0ELNS1_3repE0EEENS1_30default_config_static_selectorELNS0_4arch9wavefront6targetE0EEEvT1_
	.p2align	8
	.type	_ZN7rocprim17ROCPRIM_400000_NS6detail17trampoline_kernelINS0_14default_configENS1_33run_length_encode_config_selectorIN3c108BFloat16EjNS0_4plusIjEEEEZZNS1_33reduce_by_key_impl_wrapped_configILNS1_25lookback_scan_determinismE0ES3_S9_PKS6_NS0_17constant_iteratorIjlEEPS6_PlSH_S8_NS0_8equal_toIS6_EEEE10hipError_tPvRmT2_T3_mT4_T5_T6_T7_T8_P12ihipStream_tbENKUlT_T0_E_clISt17integral_constantIbLb0EES10_IbLb1EEEEDaSW_SX_EUlSW_E_NS1_11comp_targetILNS1_3genE0ELNS1_11target_archE4294967295ELNS1_3gpuE0ELNS1_3repE0EEENS1_30default_config_static_selectorELNS0_4arch9wavefront6targetE0EEEvT1_,@function
_ZN7rocprim17ROCPRIM_400000_NS6detail17trampoline_kernelINS0_14default_configENS1_33run_length_encode_config_selectorIN3c108BFloat16EjNS0_4plusIjEEEEZZNS1_33reduce_by_key_impl_wrapped_configILNS1_25lookback_scan_determinismE0ES3_S9_PKS6_NS0_17constant_iteratorIjlEEPS6_PlSH_S8_NS0_8equal_toIS6_EEEE10hipError_tPvRmT2_T3_mT4_T5_T6_T7_T8_P12ihipStream_tbENKUlT_T0_E_clISt17integral_constantIbLb0EES10_IbLb1EEEEDaSW_SX_EUlSW_E_NS1_11comp_targetILNS1_3genE0ELNS1_11target_archE4294967295ELNS1_3gpuE0ELNS1_3repE0EEENS1_30default_config_static_selectorELNS0_4arch9wavefront6targetE0EEEvT1_: ; @_ZN7rocprim17ROCPRIM_400000_NS6detail17trampoline_kernelINS0_14default_configENS1_33run_length_encode_config_selectorIN3c108BFloat16EjNS0_4plusIjEEEEZZNS1_33reduce_by_key_impl_wrapped_configILNS1_25lookback_scan_determinismE0ES3_S9_PKS6_NS0_17constant_iteratorIjlEEPS6_PlSH_S8_NS0_8equal_toIS6_EEEE10hipError_tPvRmT2_T3_mT4_T5_T6_T7_T8_P12ihipStream_tbENKUlT_T0_E_clISt17integral_constantIbLb0EES10_IbLb1EEEEDaSW_SX_EUlSW_E_NS1_11comp_targetILNS1_3genE0ELNS1_11target_archE4294967295ELNS1_3gpuE0ELNS1_3repE0EEENS1_30default_config_static_selectorELNS0_4arch9wavefront6targetE0EEEvT1_
; %bb.0:
	s_clause 0x5
	s_load_b32 s18, s[0:1], 0x10
	s_load_b128 s[28:31], s[0:1], 0x20
	s_load_b64 s[34:35], s[0:1], 0x30
	s_load_b64 s[48:49], s[0:1], 0x70
	s_load_b128 s[44:47], s[0:1], 0x60
	s_load_b256 s[36:43], s[0:1], 0x40
	v_cmp_ne_u32_e64 s3, 0, v0
	v_cmp_eq_u32_e64 s2, 0, v0
	s_and_saveexec_b32 s4, s2
	s_cbranch_execz .LBB883_4
; %bb.1:
	s_mov_b32 s6, exec_lo
	s_mov_b32 s5, exec_lo
	v_mbcnt_lo_u32_b32 v1, s6, 0
                                        ; implicit-def: $vgpr2
	s_delay_alu instid0(VALU_DEP_1)
	v_cmpx_eq_u32_e32 0, v1
	s_cbranch_execz .LBB883_3
; %bb.2:
	s_load_b64 s[8:9], s[0:1], 0x78
	s_bcnt1_i32_b32 s6, s6
	s_delay_alu instid0(SALU_CYCLE_1)
	v_dual_mov_b32 v2, 0 :: v_dual_mov_b32 v3, s6
	s_wait_xcnt 0x0
	s_wait_kmcnt 0x0
	global_atomic_add_u32 v2, v2, v3, s[8:9] th:TH_ATOMIC_RETURN scope:SCOPE_DEV
.LBB883_3:
	s_wait_xcnt 0x0
	s_or_b32 exec_lo, exec_lo, s5
	s_wait_loadcnt 0x0
	v_readfirstlane_b32 s5, v2
	s_delay_alu instid0(VALU_DEP_1)
	v_dual_mov_b32 v2, 0 :: v_dual_add_nc_u32 v1, s5, v1
	ds_store_b32 v2, v1
.LBB883_4:
	s_or_b32 exec_lo, exec_lo, s4
	v_mov_b32_e32 v3, 0
	s_wait_dscnt 0x0
	s_barrier_signal -1
	s_barrier_wait -1
	ds_load_b32 v1, v3
	s_load_b128 s[4:7], s[0:1], 0x0
	s_wait_kmcnt 0x0
	s_mul_u64 s[0:1], s[40:41], s[38:39]
	s_mov_b32 s41, 0
	s_wait_dscnt 0x0
	s_barrier_signal -1
	s_barrier_wait -1
	v_mul_lo_u32 v2, 0xf00, v1
	v_readfirstlane_b32 s40, v1
	s_lshl_b64 s[6:7], s[6:7], 1
	s_delay_alu instid0(SALU_CYCLE_1) | instskip(SKIP_2) | instid1(SALU_CYCLE_1)
	s_add_nc_u64 s[4:5], s[4:5], s[6:7]
	s_add_nc_u64 s[16:17], s[0:1], s[40:41]
	s_add_nc_u64 s[0:1], s[42:43], -1
	s_cmp_eq_u64 s[16:17], s[0:1]
	s_mul_i32 s33, s0, 0xfffff100
	v_lshlrev_b64_e32 v[2:3], 1, v[2:3]
	s_cselect_b32 s27, -1, 0
	s_cmp_lg_u64 s[16:17], s[0:1]
	s_cselect_b32 s19, -1, 0
	s_and_b32 vcc_lo, exec_lo, s27
	s_delay_alu instid0(VALU_DEP_1)
	v_add_nc_u64_e32 v[6:7], s[4:5], v[2:3]
	s_cbranch_vccnz .LBB883_6
; %bb.5:
	s_delay_alu instid0(VALU_DEP_1) | instskip(NEXT) | instid1(VALU_DEP_2)
	v_readfirstlane_b32 s0, v6
	v_readfirstlane_b32 s1, v7
	v_lshlrev_b32_e32 v18, 1, v0
	s_clause 0xe
	global_load_u16 v1, v0, s[0:1] scale_offset
	global_load_u16 v2, v0, s[0:1] offset:512 scale_offset
	global_load_u16 v3, v0, s[0:1] offset:1024 scale_offset
	;; [unrolled: 1-line block ×14, first 2 shown]
	s_wait_loadcnt 0xe
	ds_store_b16 v18, v1
	s_wait_loadcnt 0xd
	ds_store_b16 v18, v2 offset:512
	s_wait_loadcnt 0xc
	ds_store_b16 v18, v3 offset:1024
	;; [unrolled: 2-line block ×14, first 2 shown]
	v_mov_b32_e32 v10, s18
	v_mad_u32_u24 v19, v0, 28, v18
	s_wait_dscnt 0x0
	s_barrier_signal -1
	s_barrier_wait -1
	ds_load_b128 v[2:5], v19
	ds_load_b96 v[14:16], v19 offset:16
	ds_load_u16 v1, v19 offset:28
	v_mul_u32_u24_e32 v8, 15, v0
	v_mad_i32_i24 v9, 0xffffffe6, v0, v19
	s_wait_dscnt 0x0
	s_barrier_signal -1
	s_barrier_wait -1
	ds_store_2addr_stride64_b32 v9, v10, v10 offset1:4
	ds_store_2addr_stride64_b32 v9, v10, v10 offset0:8 offset1:12
	ds_store_2addr_stride64_b32 v9, v10, v10 offset0:16 offset1:20
	;; [unrolled: 1-line block ×6, first 2 shown]
	ds_store_b32 v9, v10 offset:14336
	s_wait_dscnt 0x0
	s_barrier_signal -1
	s_barrier_wait -1
	s_and_not1_b32 vcc_lo, exec_lo, s41
	s_add_co_i32 s33, s33, s44
	s_cbranch_vccz .LBB883_7
	s_branch .LBB883_38
.LBB883_6:
                                        ; implicit-def: $vgpr16
                                        ; implicit-def: $vgpr5
                                        ; implicit-def: $vgpr1
                                        ; implicit-def: $vgpr8
	s_add_co_i32 s33, s33, s44
.LBB883_7:
	s_delay_alu instid0(SALU_CYCLE_1)
	v_cmp_gt_u32_e32 vcc_lo, s33, v0
                                        ; implicit-def: $vgpr1
	s_and_saveexec_b32 s0, vcc_lo
	s_cbranch_execz .LBB883_9
; %bb.8:
	s_delay_alu instid0(VALU_DEP_2)
	v_readfirstlane_b32 s4, v6
	v_readfirstlane_b32 s5, v7
	global_load_u16 v1, v0, s[4:5] scale_offset
.LBB883_9:
	s_wait_xcnt 0x0
	s_or_b32 exec_lo, exec_lo, s0
	v_or_b32_e32 v2, 0x100, v0
	s_delay_alu instid0(VALU_DEP_1)
	v_cmp_gt_u32_e64 s0, s33, v2
                                        ; implicit-def: $vgpr2
	s_and_saveexec_b32 s1, s0
	s_cbranch_execz .LBB883_11
; %bb.10:
	v_readfirstlane_b32 s4, v6
	v_readfirstlane_b32 s5, v7
	global_load_u16 v2, v0, s[4:5] offset:512 scale_offset
.LBB883_11:
	s_wait_xcnt 0x0
	s_or_b32 exec_lo, exec_lo, s1
	v_or_b32_e32 v3, 0x200, v0
	s_delay_alu instid0(VALU_DEP_1)
	v_cmp_gt_u32_e64 s1, s33, v3
                                        ; implicit-def: $vgpr3
	s_and_saveexec_b32 s4, s1
	s_cbranch_execz .LBB883_13
; %bb.12:
	v_readfirstlane_b32 s6, v6
	v_readfirstlane_b32 s7, v7
	global_load_u16 v3, v0, s[6:7] offset:1024 scale_offset
.LBB883_13:
	s_wait_xcnt 0x0
	s_or_b32 exec_lo, exec_lo, s4
	v_or_b32_e32 v4, 0x300, v0
	s_delay_alu instid0(VALU_DEP_1)
	v_cmp_gt_u32_e64 s4, s33, v4
                                        ; implicit-def: $vgpr4
	s_and_saveexec_b32 s5, s4
	s_cbranch_execz .LBB883_15
; %bb.14:
	v_readfirstlane_b32 s6, v6
	v_readfirstlane_b32 s7, v7
	global_load_u16 v4, v0, s[6:7] offset:1536 scale_offset
.LBB883_15:
	s_wait_xcnt 0x0
	s_or_b32 exec_lo, exec_lo, s5
	v_or_b32_e32 v5, 0x400, v0
	s_delay_alu instid0(VALU_DEP_1)
	v_cmp_gt_u32_e64 s5, s33, v5
                                        ; implicit-def: $vgpr5
	s_and_saveexec_b32 s6, s5
	s_cbranch_execz .LBB883_17
; %bb.16:
	v_readfirstlane_b32 s8, v6
	v_readfirstlane_b32 s9, v7
	global_load_u16 v5, v0, s[8:9] offset:2048 scale_offset
.LBB883_17:
	s_wait_xcnt 0x0
	s_or_b32 exec_lo, exec_lo, s6
	v_or_b32_e32 v8, 0x500, v0
	s_delay_alu instid0(VALU_DEP_1)
	v_cmp_gt_u32_e64 s6, s33, v8
                                        ; implicit-def: $vgpr8
	s_and_saveexec_b32 s7, s6
	s_cbranch_execz .LBB883_19
; %bb.18:
	v_readfirstlane_b32 s8, v6
	v_readfirstlane_b32 s9, v7
	global_load_u16 v8, v0, s[8:9] offset:2560 scale_offset
.LBB883_19:
	s_wait_xcnt 0x0
	s_or_b32 exec_lo, exec_lo, s7
	v_or_b32_e32 v9, 0x600, v0
	s_delay_alu instid0(VALU_DEP_1)
	v_cmp_gt_u32_e64 s7, s33, v9
                                        ; implicit-def: $vgpr9
	s_and_saveexec_b32 s8, s7
	s_cbranch_execz .LBB883_21
; %bb.20:
	v_readfirstlane_b32 s10, v6
	v_readfirstlane_b32 s11, v7
	global_load_u16 v9, v0, s[10:11] offset:3072 scale_offset
.LBB883_21:
	s_wait_xcnt 0x0
	s_or_b32 exec_lo, exec_lo, s8
	v_or_b32_e32 v10, 0x700, v0
	s_delay_alu instid0(VALU_DEP_1)
	v_cmp_gt_u32_e64 s8, s33, v10
                                        ; implicit-def: $vgpr10
	s_and_saveexec_b32 s9, s8
	s_cbranch_execz .LBB883_23
; %bb.22:
	v_readfirstlane_b32 s10, v6
	v_readfirstlane_b32 s11, v7
	global_load_u16 v10, v0, s[10:11] offset:3584 scale_offset
.LBB883_23:
	s_wait_xcnt 0x0
	s_or_b32 exec_lo, exec_lo, s9
	v_or_b32_e32 v11, 0x800, v0
	s_delay_alu instid0(VALU_DEP_1)
	v_cmp_gt_u32_e64 s9, s33, v11
                                        ; implicit-def: $vgpr11
	s_and_saveexec_b32 s10, s9
	s_cbranch_execz .LBB883_25
; %bb.24:
	v_readfirstlane_b32 s12, v6
	v_readfirstlane_b32 s13, v7
	global_load_u16 v11, v0, s[12:13] offset:4096 scale_offset
.LBB883_25:
	s_wait_xcnt 0x0
	s_or_b32 exec_lo, exec_lo, s10
	v_or_b32_e32 v12, 0x900, v0
	s_delay_alu instid0(VALU_DEP_1)
	v_cmp_gt_u32_e64 s10, s33, v12
                                        ; implicit-def: $vgpr12
	s_and_saveexec_b32 s11, s10
	s_cbranch_execz .LBB883_27
; %bb.26:
	v_readfirstlane_b32 s12, v6
	v_readfirstlane_b32 s13, v7
	global_load_u16 v12, v0, s[12:13] offset:4608 scale_offset
.LBB883_27:
	s_wait_xcnt 0x0
	s_or_b32 exec_lo, exec_lo, s11
	v_or_b32_e32 v13, 0xa00, v0
	s_delay_alu instid0(VALU_DEP_1)
	v_cmp_gt_u32_e64 s11, s33, v13
                                        ; implicit-def: $vgpr13
	s_and_saveexec_b32 s12, s11
	s_cbranch_execz .LBB883_29
; %bb.28:
	v_readfirstlane_b32 s14, v6
	v_readfirstlane_b32 s15, v7
	global_load_u16 v13, v0, s[14:15] offset:5120 scale_offset
.LBB883_29:
	s_wait_xcnt 0x0
	s_or_b32 exec_lo, exec_lo, s12
	v_or_b32_e32 v14, 0xb00, v0
	s_delay_alu instid0(VALU_DEP_1)
	v_cmp_gt_u32_e64 s12, s33, v14
                                        ; implicit-def: $vgpr14
	s_and_saveexec_b32 s13, s12
	s_cbranch_execz .LBB883_31
; %bb.30:
	v_readfirstlane_b32 s14, v6
	v_readfirstlane_b32 s15, v7
	global_load_u16 v14, v0, s[14:15] offset:5632 scale_offset
.LBB883_31:
	s_wait_xcnt 0x0
	s_or_b32 exec_lo, exec_lo, s13
	v_or_b32_e32 v15, 0xc00, v0
	s_delay_alu instid0(VALU_DEP_1)
	v_cmp_gt_u32_e64 s13, s33, v15
                                        ; implicit-def: $vgpr15
	s_and_saveexec_b32 s14, s13
	s_cbranch_execz .LBB883_33
; %bb.32:
	v_readfirstlane_b32 s20, v6
	v_readfirstlane_b32 s21, v7
	global_load_u16 v15, v0, s[20:21] offset:6144 scale_offset
.LBB883_33:
	s_wait_xcnt 0x0
	s_or_b32 exec_lo, exec_lo, s14
	v_or_b32_e32 v16, 0xd00, v0
	s_delay_alu instid0(VALU_DEP_1)
	v_cmp_gt_u32_e64 s14, s33, v16
                                        ; implicit-def: $vgpr16
	s_and_saveexec_b32 s15, s14
	s_cbranch_execz .LBB883_35
; %bb.34:
	v_readfirstlane_b32 s20, v6
	v_readfirstlane_b32 s21, v7
	global_load_u16 v16, v0, s[20:21] offset:6656 scale_offset
.LBB883_35:
	s_wait_xcnt 0x0
	s_or_b32 exec_lo, exec_lo, s15
	v_or_b32_e32 v17, 0xe00, v0
	s_delay_alu instid0(VALU_DEP_1)
	v_cmp_gt_u32_e64 s15, s33, v17
                                        ; implicit-def: $vgpr17
	s_and_saveexec_b32 s20, s15
	s_cbranch_execz .LBB883_37
; %bb.36:
	v_readfirstlane_b32 s22, v6
	v_readfirstlane_b32 s23, v7
	global_load_u16 v17, v0, s[22:23] offset:7168 scale_offset
.LBB883_37:
	s_wait_xcnt 0x0
	s_or_b32 exec_lo, exec_lo, s20
	v_lshlrev_b32_e32 v18, 1, v0
	v_cndmask_b32_e64 v19, 0, s18, s7
	v_cndmask_b32_e64 v20, 0, s18, s8
	;; [unrolled: 1-line block ×4, first 2 shown]
	s_wait_loadcnt 0x0
	ds_store_b16 v18, v1
	ds_store_b16 v18, v2 offset:512
	ds_store_b16 v18, v3 offset:1024
	ds_store_b16 v18, v4 offset:1536
	ds_store_b16 v18, v5 offset:2048
	ds_store_b16 v18, v8 offset:2560
	ds_store_b16 v18, v9 offset:3072
	ds_store_b16 v18, v10 offset:3584
	ds_store_b16 v18, v11 offset:4096
	ds_store_b16 v18, v12 offset:4608
	ds_store_b16 v18, v13 offset:5120
	ds_store_b16 v18, v14 offset:5632
	ds_store_b16 v18, v15 offset:6144
	ds_store_b16 v18, v16 offset:6656
	ds_store_b16 v18, v17 offset:7168
	v_mad_u32_u24 v9, v0, 28, v18
	s_wait_dscnt 0x0
	s_barrier_signal -1
	s_barrier_wait -1
	ds_load_b128 v[2:5], v9
	ds_load_b96 v[14:16], v9 offset:16
	ds_load_u16 v1, v9 offset:28
	v_mul_u32_u24_e32 v8, 15, v0
	v_cndmask_b32_e64 v10, 0, s18, vcc_lo
	v_cndmask_b32_e64 v11, 0, s18, s0
	v_mad_i32_i24 v9, 0xffffffe6, v0, v9
	v_cndmask_b32_e64 v12, 0, s18, s1
	v_cndmask_b32_e64 v13, 0, s18, s4
	;; [unrolled: 1-line block ×4, first 2 shown]
	s_wait_dscnt 0x0
	s_barrier_signal -1
	s_barrier_wait -1
	v_cndmask_b32_e64 v23, 0, s18, s11
	v_cndmask_b32_e64 v24, 0, s18, s12
	;; [unrolled: 1-line block ×5, first 2 shown]
	ds_store_2addr_stride64_b32 v9, v10, v11 offset1:4
	ds_store_2addr_stride64_b32 v9, v12, v13 offset0:8 offset1:12
	ds_store_2addr_stride64_b32 v9, v17, v18 offset0:16 offset1:20
	;; [unrolled: 1-line block ×6, first 2 shown]
	ds_store_b32 v9, v27 offset:14336
	s_wait_dscnt 0x0
	s_barrier_signal -1
	s_barrier_wait -1
.LBB883_38:
	v_lshlrev_b32_e32 v8, 2, v8
	s_cmp_eq_u64 s[16:17], 0
	ds_load_2addr_b32 v[30:31], v8 offset1:1
	ds_load_2addr_b32 v[28:29], v8 offset0:2 offset1:3
	ds_load_2addr_b32 v[26:27], v8 offset0:4 offset1:5
	;; [unrolled: 1-line block ×6, first 2 shown]
	ds_load_b32 v78, v8 offset:56
	s_cselect_b32 s41, -1, 0
	s_cmp_lg_u64 s[16:17], 0
	s_wait_dscnt 0x0
	s_cselect_b32 s18, -1, 0
	s_and_b32 vcc_lo, exec_lo, s19
	s_barrier_signal -1
	s_barrier_wait -1
	s_cbranch_vccz .LBB883_43
; %bb.39:
	s_and_b32 vcc_lo, exec_lo, s18
	s_cbranch_vccz .LBB883_44
; %bb.40:
	global_load_u16 v8, v[6:7], off offset:-2
	v_lshlrev_b32_e32 v9, 1, v0
	ds_store_b16 v9, v1
	s_wait_loadcnt_dscnt 0x0
	s_barrier_signal -1
	s_barrier_wait -1
	s_and_saveexec_b32 s0, s3
; %bb.41:
	v_add_nc_u32_e32 v8, -2, v9
	ds_load_u16 v8, v8
; %bb.42:
	s_or_b32 exec_lo, exec_lo, s0
	v_and_b32_e32 v35, 0xffff0000, v2
	v_dual_lshlrev_b32 v36, 16, v2 :: v_dual_lshlrev_b32 v37, 16, v4
	v_dual_lshlrev_b32 v38, 16, v3 :: v_dual_lshlrev_b32 v39, 16, v5
	v_and_b32_e32 v40, 0xffff0000, v3
	s_delay_alu instid0(VALU_DEP_3)
	v_cmp_neq_f32_e32 vcc_lo, v35, v36
	v_and_b32_e32 v34, 0xffff0000, v4
	v_and_b32_e32 v33, 0xffff0000, v5
	v_dual_lshlrev_b32 v17, 16, v14 :: v_dual_lshlrev_b32 v32, 16, v15
	v_cndmask_b32_e64 v73, 0, 1, vcc_lo
	v_cmp_neq_f32_e32 vcc_lo, v35, v38
	v_and_b32_e32 v13, 0xffff0000, v14
	v_and_b32_e32 v12, 0xffff0000, v15
	v_dual_lshlrev_b32 v10, 16, v16 :: v_dual_lshlrev_b32 v11, 16, v1
	v_cndmask_b32_e64 v72, 0, 1, vcc_lo
	v_cmp_neq_f32_e32 vcc_lo, v40, v38
	v_and_b32_e32 v9, 0xffff0000, v16
	s_wait_dscnt 0x0
	v_lshlrev_b32_e32 v8, 16, v8
	s_mov_b32 s50, -1
	v_cndmask_b32_e64 v71, 0, 1, vcc_lo
	v_cmp_neq_f32_e32 vcc_lo, v40, v37
	s_delay_alu instid0(VALU_DEP_3)
	v_cmp_neq_f32_e64 s15, v36, v8
	v_cndmask_b32_e64 v70, 0, 1, vcc_lo
	v_cmp_neq_f32_e32 vcc_lo, v34, v37
	v_cndmask_b32_e64 v66, 0, 1, vcc_lo
	v_cmp_neq_f32_e32 vcc_lo, v34, v39
	;; [unrolled: 2-line block ×10, first 2 shown]
	v_cndmask_b32_e64 v76, 0, 1, vcc_lo
	s_branch .LBB883_48
.LBB883_43:
	s_mov_b32 s50, 0
                                        ; implicit-def: $sgpr15
                                        ; implicit-def: $vgpr76
                                        ; implicit-def: $vgpr75
                                        ; implicit-def: $vgpr65
                                        ; implicit-def: $vgpr69
                                        ; implicit-def: $vgpr67
                                        ; implicit-def: $vgpr17
                                        ; implicit-def: $vgpr64
                                        ; implicit-def: $vgpr68
                                        ; implicit-def: $vgpr74
                                        ; implicit-def: $vgpr66
                                        ; implicit-def: $vgpr70
                                        ; implicit-def: $vgpr71
                                        ; implicit-def: $vgpr72
                                        ; implicit-def: $vgpr73
	s_cbranch_execnz .LBB883_49
	s_branch .LBB883_57
.LBB883_44:
	s_mov_b32 s50, 0
                                        ; implicit-def: $sgpr15
                                        ; implicit-def: $vgpr76
                                        ; implicit-def: $vgpr75
                                        ; implicit-def: $vgpr65
                                        ; implicit-def: $vgpr69
                                        ; implicit-def: $vgpr67
                                        ; implicit-def: $vgpr17
                                        ; implicit-def: $vgpr64
                                        ; implicit-def: $vgpr68
                                        ; implicit-def: $vgpr74
                                        ; implicit-def: $vgpr66
                                        ; implicit-def: $vgpr70
                                        ; implicit-def: $vgpr71
                                        ; implicit-def: $vgpr72
                                        ; implicit-def: $vgpr73
	s_cbranch_execz .LBB883_48
; %bb.45:
	v_dual_lshlrev_b32 v8, 1, v0 :: v_dual_lshlrev_b32 v10, 16, v1
	v_and_b32_e32 v9, 0xffff0000, v16
	v_dual_lshlrev_b32 v11, 16, v16 :: v_dual_lshlrev_b32 v12, 16, v15
	v_and_b32_e32 v13, 0xffff0000, v14
	v_and_b32_e32 v17, 0xffff0000, v2
	s_delay_alu instid0(VALU_DEP_4)
	v_cmp_neq_f32_e32 vcc_lo, v9, v10
	v_and_b32_e32 v10, 0xffff0000, v15
	v_cmp_neq_f32_e64 s0, v9, v11
	v_lshlrev_b32_e32 v9, 16, v14
	v_cmp_neq_f32_e64 s5, v13, v12
	ds_store_b16 v8, v1
	v_cmp_neq_f32_e64 s1, v10, v11
	v_cmp_neq_f32_e64 s4, v10, v12
	v_and_b32_e32 v10, 0xffff0000, v5
	v_lshlrev_b32_e32 v11, 16, v5
	v_and_b32_e32 v12, 0xffff0000, v4
	v_cmp_neq_f32_e64 s6, v13, v9
	v_lshlrev_b32_e32 v13, 16, v4
	v_cmp_neq_f32_e64 s7, v10, v9
	v_cmp_neq_f32_e64 s8, v10, v11
	;; [unrolled: 1-line block ×3, first 2 shown]
	v_and_b32_e32 v10, 0xffff0000, v3
	v_dual_lshlrev_b32 v11, 16, v3 :: v_dual_lshlrev_b32 v9, 16, v2
	v_cmp_neq_f32_e64 s10, v12, v13
	s_wait_dscnt 0x0
	s_delay_alu instid0(VALU_DEP_3) | instskip(NEXT) | instid1(VALU_DEP_3)
	v_cmp_neq_f32_e64 s11, v10, v13
	v_cmp_neq_f32_e64 s12, v10, v11
	;; [unrolled: 1-line block ×4, first 2 shown]
	s_barrier_signal -1
	s_barrier_wait -1
                                        ; implicit-def: $sgpr15
	s_and_saveexec_b32 s19, s3
	s_delay_alu instid0(SALU_CYCLE_1)
	s_xor_b32 s19, exec_lo, s19
	s_cbranch_execz .LBB883_47
; %bb.46:
	v_add_nc_u32_e32 v8, -2, v8
	s_or_b32 s50, s50, exec_lo
	ds_load_u16 v8, v8
	s_wait_dscnt 0x0
	v_lshlrev_b32_e32 v8, 16, v8
	s_delay_alu instid0(VALU_DEP_1)
	v_cmp_neq_f32_e64 s15, v9, v8
.LBB883_47:
	s_or_b32 exec_lo, exec_lo, s19
	v_cndmask_b32_e64 v73, 0, 1, s14
	v_cndmask_b32_e64 v72, 0, 1, s13
	;; [unrolled: 1-line block ×13, first 2 shown]
	v_cndmask_b32_e64 v76, 0, 1, vcc_lo
.LBB883_48:
	s_branch .LBB883_57
.LBB883_49:
	s_mov_b64 s[0:1], 0xfffffffffffff100
	s_and_b32 vcc_lo, exec_lo, s18
	s_mul_u64 s[0:1], s[16:17], s[0:1]
	s_delay_alu instid0(SALU_CYCLE_1)
	s_add_nc_u64 s[42:43], s[0:1], s[44:45]
	s_cbranch_vccz .LBB883_53
; %bb.50:
	global_load_u16 v8, v[6:7], off offset:-2
	s_wait_xcnt 0x0
	v_lshlrev_b32_e32 v7, 1, v0
	v_mul_u32_u24_e32 v6, 15, v0
	ds_store_b16 v7, v1
	s_wait_loadcnt_dscnt 0x0
	s_barrier_signal -1
	s_barrier_wait -1
	s_and_saveexec_b32 s0, s3
; %bb.51:
	v_add_nc_u32_e32 v7, -2, v7
	ds_load_u16 v8, v7
; %bb.52:
	s_or_b32 exec_lo, exec_lo, s0
	v_pk_add_u16 v7, 0xe000d, v6 op_sel_hi:[1,0]
	v_dual_mov_b32 v11, 0 :: v_dual_lshlrev_b32 v17, 16, v1
	v_and_b32_e32 v9, 0xffff0000, v16
	v_lshlrev_b32_e32 v32, 16, v16
	s_delay_alu instid0(VALU_DEP_4)
	v_and_b32_e32 v10, 0xffff, v7
	v_alignbit_b32 v12, 0, v7, 16
	v_pk_add_u16 v7, 0xb000a, v6 op_sel_hi:[1,0]
	v_and_b32_e32 v33, 0xffff0000, v15
	v_mov_b32_e32 v13, v11
	v_cmp_gt_u64_e32 vcc_lo, s[42:43], v[10:11]
	v_add_nc_u32_e32 v10, 12, v6
	v_cmp_neq_f32_e64 s0, v9, v32
	v_cmp_neq_f32_e64 s1, v9, v17
	v_lshlrev_b32_e32 v9, 16, v15
	v_cmp_neq_f32_e64 s6, v33, v32
	v_cmp_gt_u64_e64 s5, s[42:43], v[10:11]
	v_and_b32_e32 v10, 0xffff, v7
	v_cmp_gt_u64_e64 s4, s[42:43], v[12:13]
	v_and_b32_e32 v17, 0xffff0000, v14
	v_alignbit_b32 v12, 0, v7, 16
	v_lshlrev_b32_e32 v7, 16, v14
	v_cmp_gt_u64_e64 s7, s[42:43], v[10:11]
	v_add_nc_u32_e32 v10, 9, v6
	s_and_b32 s5, s5, s6
	v_cmp_neq_f32_e64 s10, v9, v33
	v_cndmask_b32_e64 v65, 0, 1, s5
	v_lshlrev_b32_e32 v33, 16, v5
	v_cmp_gt_u64_e64 s5, s[42:43], v[10:11]
	v_cmp_neq_f32_e64 s8, v17, v7
	v_cmp_neq_f32_e64 s9, v9, v17
	v_add_nc_u32_e32 v10, 8, v6
	v_pk_add_u16 v9, 0x70006, v6 op_sel_hi:[1,0]
	v_and_b32_e32 v32, 0xffff0000, v5
	v_and_b32_e32 v34, 0xffff0000, v4
	s_and_b32 s5, s5, s8
	v_cmp_gt_u64_e64 s6, s[42:43], v[12:13]
	v_cndmask_b32_e64 v17, 0, 1, s5
	v_cmp_neq_f32_e64 s8, v32, v7
	v_lshlrev_b32_e32 v7, 16, v4
	v_cmp_gt_u64_e64 s5, s[42:43], v[10:11]
	v_and_b32_e32 v10, 0xffff, v9
	v_alignbit_b32 v12, 0, v9, 16
	v_pk_add_u16 v9, 0x30002, v6 op_sel_hi:[1,0]
	v_cmp_neq_f32_e64 s12, v34, v7
	v_cmp_neq_f32_e64 s13, v33, v34
	v_cmp_gt_u64_e64 s11, s[42:43], v[10:11]
	v_add_nc_u32_e32 v10, 5, v6
	s_and_b32 s5, s5, s8
	v_cmp_neq_f32_e64 s14, v33, v32
	v_and_b32_e32 v33, 0xffff0000, v3
	v_cndmask_b32_e64 v64, 0, 1, s5
	v_cmp_gt_u64_e64 s8, s[42:43], v[10:11]
	s_wait_dscnt 0x0
	v_dual_add_nc_u32 v10, 4, v6 :: v_dual_lshlrev_b32 v8, 16, v8
	v_cmp_gt_u64_e64 s5, s[42:43], v[12:13]
	v_and_b32_e32 v32, 0xffff0000, v2
	v_alignbit_b32 v12, 0, v9, 16
	s_delay_alu instid0(VALU_DEP_4)
	v_cmp_gt_u64_e64 s15, s[42:43], v[10:11]
	v_and_b32_e32 v10, 0xffff, v9
	s_and_b32 s8, s8, s12
	v_lshlrev_b32_e32 v34, 16, v3
	v_cmp_neq_f32_e64 s12, v33, v7
	v_cndmask_b32_e64 v66, 0, 1, s8
	v_cmp_gt_u64_e64 s8, s[42:43], v[10:11]
	v_add_nc_u32_e32 v10, 1, v6
	s_and_b32 s5, s5, s14
	v_dual_lshlrev_b32 v9, 16, v2 :: v_dual_mov_b32 v7, v11
	v_cmp_gt_u64_e64 s17, s[42:43], v[12:13]
	v_cmp_neq_f32_e64 s19, v34, v32
	s_and_b32 s12, s15, s12
	v_cndmask_b32_e64 v68, 0, 1, s5
	s_and_b32 s5, s7, s9
	v_cmp_gt_u64_e64 s16, s[42:43], v[10:11]
	v_cndmask_b32_e64 v70, 0, 1, s12
	v_cmp_neq_f32_e64 s12, v34, v33
	v_cndmask_b32_e64 v67, 0, 1, s5
	s_and_b32 s5, s6, s10
	v_cmp_neq_f32_e64 s18, v32, v9
	v_cndmask_b32_e64 v69, 0, 1, s5
	v_cmp_gt_u64_e64 s5, s[42:43], v[6:7]
	s_and_b32 s8, s8, s19
	v_cmp_neq_f32_e64 s6, v8, v9
	v_cndmask_b32_e64 v72, 0, 1, s8
	s_and_b32 s8, s17, s12
	s_and_b32 s0, vcc_lo, s0
	s_and_b32 s15, s16, s18
	v_cndmask_b32_e64 v71, 0, 1, s8
	s_and_b32 s8, s11, s13
	v_cndmask_b32_e64 v75, 0, 1, s0
	s_and_b32 s0, s4, s1
	v_cndmask_b32_e64 v73, 0, 1, s15
	v_cndmask_b32_e64 v74, 0, 1, s8
	v_cndmask_b32_e64 v76, 0, 1, s0
	s_and_b32 s15, s5, s6
	s_mov_b32 s50, -1
	s_branch .LBB883_57
.LBB883_53:
                                        ; implicit-def: $sgpr15
                                        ; implicit-def: $vgpr76
                                        ; implicit-def: $vgpr75
                                        ; implicit-def: $vgpr65
                                        ; implicit-def: $vgpr69
                                        ; implicit-def: $vgpr67
                                        ; implicit-def: $vgpr17
                                        ; implicit-def: $vgpr64
                                        ; implicit-def: $vgpr68
                                        ; implicit-def: $vgpr74
                                        ; implicit-def: $vgpr66
                                        ; implicit-def: $vgpr70
                                        ; implicit-def: $vgpr71
                                        ; implicit-def: $vgpr72
                                        ; implicit-def: $vgpr73
	s_cbranch_execz .LBB883_57
; %bb.54:
	v_mad_u32_u24 v6, v0, 15, 14
	v_dual_mov_b32 v7, 0 :: v_dual_lshlrev_b32 v8, 1, v0
	v_dual_lshlrev_b32 v10, 16, v1 :: v_dual_lshlrev_b32 v12, 16, v16
	v_and_b32_e32 v11, 0xffff0000, v16
	s_delay_alu instid0(VALU_DEP_3) | instskip(SKIP_4) | instid1(VALU_DEP_4)
	v_cmp_gt_u64_e32 vcc_lo, s[42:43], v[6:7]
	v_mad_u32_u24 v6, v0, 15, 13
	v_and_b32_e32 v13, 0xffff0000, v15
	v_dual_lshlrev_b32 v17, 16, v15 :: v_dual_lshlrev_b32 v33, 16, v14
	v_cmp_neq_f32_e64 s9, v11, v10
	v_cmp_gt_u64_e64 s0, s[42:43], v[6:7]
	v_mad_u32_u24 v6, v0, 15, 12
	v_cmp_neq_f32_e64 s10, v12, v11
	v_and_b32_e32 v32, 0xffff0000, v14
	s_and_b32 s9, vcc_lo, s9
	v_and_b32_e32 v34, 0xffff0000, v5
	v_cmp_gt_u64_e64 s1, s[42:43], v[6:7]
	v_mad_u32_u24 v6, v0, 15, 11
	v_dual_lshlrev_b32 v35, 16, v5 :: v_dual_lshlrev_b32 v37, 16, v4
	v_and_b32_e32 v36, 0xffff0000, v4
	v_and_b32_e32 v38, 0xffff0000, v3
	s_delay_alu instid0(VALU_DEP_4) | instskip(SKIP_4) | instid1(VALU_DEP_3)
	v_cmp_gt_u64_e64 s4, s[42:43], v[6:7]
	v_mad_u32_u24 v6, v0, 15, 10
	v_dual_lshlrev_b32 v39, 16, v3 :: v_dual_lshlrev_b32 v9, 16, v2
	v_and_b32_e32 v40, 0xffff0000, v2
	s_and_b32 s10, s0, s10
	v_cmp_gt_u64_e64 s5, s[42:43], v[6:7]
	v_mad_u32_u24 v6, v0, 15, 9
	v_cmp_neq_f32_e64 s11, v13, v12
	v_cmp_neq_f32_e64 s13, v17, v13
	v_cmp_neq_f32_e64 s14, v32, v17
	v_cmp_neq_f32_e64 s15, v33, v32
	v_cmp_gt_u64_e64 s6, s[42:43], v[6:7]
	v_mad_u32_u24 v6, v0, 15, 8
	v_cmp_neq_f32_e64 s16, v34, v33
	v_cmp_neq_f32_e64 s18, v35, v34
	v_cmp_neq_f32_e64 s19, v36, v35
	v_cmp_neq_f32_e64 s20, v37, v36
	;; [unrolled: 6-line block ×3, first 2 shown]
	v_cmp_gt_u64_e64 s8, s[42:43], v[6:7]
	v_mad_u32_u24 v6, v0, 15, 6
	s_and_b32 s1, s1, s11
	s_and_b32 s4, s4, s13
	;; [unrolled: 1-line block ×4, first 2 shown]
	v_cmp_gt_u64_e64 s12, s[42:43], v[6:7]
	v_mad_u32_u24 v6, v0, 15, 5
	s_and_b32 s7, s7, s16
	s_and_b32 s8, s8, s18
	ds_store_b16 v8, v1
	s_wait_dscnt 0x0
	v_cmp_gt_u64_e64 s17, s[42:43], v[6:7]
	v_mad_u32_u24 v6, v0, 15, 4
	s_and_b32 s11, s12, s19
	s_barrier_signal -1
	s_barrier_wait -1
	s_delay_alu instid0(VALU_DEP_1) | instskip(SKIP_2) | instid1(VALU_DEP_1)
	v_cmp_gt_u64_e64 s22, s[42:43], v[6:7]
	v_mad_u32_u24 v6, v0, 15, 3
	s_and_b32 s12, s17, s20
                                        ; implicit-def: $sgpr15
	v_cmp_gt_u64_e64 s26, s[42:43], v[6:7]
	v_mad_u32_u24 v6, v0, 15, 2
	s_and_b32 s13, s22, s21
	s_delay_alu instid0(VALU_DEP_1) | instskip(SKIP_2) | instid1(VALU_DEP_1)
	v_cmp_gt_u64_e32 vcc_lo, s[42:43], v[6:7]
	v_mad_u32_u24 v6, v0, 15, 1
	s_and_b32 s14, s26, s23
	v_cmp_gt_u64_e64 s0, s[42:43], v[6:7]
	s_and_b32 s16, vcc_lo, s24
	s_and_b32 s17, s0, s25
	s_and_saveexec_b32 s18, s3
	s_cbranch_execz .LBB883_56
; %bb.55:
	v_add_nc_u32_e32 v6, -2, v8
	s_or_b32 s50, s50, exec_lo
	ds_load_u16 v8, v6
	v_mul_u32_u24_e32 v6, 15, v0
	s_delay_alu instid0(VALU_DEP_1) | instskip(SKIP_2) | instid1(VALU_DEP_1)
	v_cmp_gt_u64_e32 vcc_lo, s[42:43], v[6:7]
	s_wait_dscnt 0x0
	v_lshlrev_b32_e32 v8, 16, v8
	v_cmp_neq_f32_e64 s0, v9, v8
	s_and_b32 s15, vcc_lo, s0
.LBB883_56:
	s_or_b32 exec_lo, exec_lo, s18
	v_cndmask_b32_e64 v76, 0, 1, s9
	v_cndmask_b32_e64 v75, 0, 1, s10
	;; [unrolled: 1-line block ×14, first 2 shown]
.LBB883_57:
	v_mov_b32_e32 v77, 1
	s_and_saveexec_b32 s0, s50
; %bb.58:
	v_cndmask_b32_e64 v77, 0, 1, s15
; %bb.59:
	s_or_b32 exec_lo, exec_lo, s0
	s_delay_alu instid0(VALU_DEP_1)
	v_add3_u32 v6, v73, v77, v72
	v_cmp_eq_u32_e64 s13, 0, v73
	v_cmp_eq_u32_e64 s12, 0, v72
	;; [unrolled: 1-line block ×4, first 2 shown]
	v_add3_u32 v82, v6, v71, v70
	v_cmp_eq_u32_e64 s9, 0, v66
	v_cmp_eq_u32_e64 s8, 0, v74
	;; [unrolled: 1-line block ×9, first 2 shown]
	v_mbcnt_lo_u32_b32 v79, -1, 0
	v_dual_lshrrev_b32 v80, 5, v0 :: v_dual_bitop2_b32 v81, 31, v0 bitop3:0x54
	s_cmp_eq_u64 s[38:39], 0
	v_cmp_eq_u32_e32 vcc_lo, 0, v76
	s_cselect_b32 s17, -1, 0
	s_cmp_lg_u32 s40, 0
	s_cbranch_scc0 .LBB883_80
; %bb.60:
	v_add3_u32 v7, v82, v66, v74
	v_dual_cndmask_b32 v6, 0, v30, s13 :: v_dual_bitop2_b32 v9, 15, v79 bitop3:0x40
	s_delay_alu instid0(VALU_DEP_2) | instskip(NEXT) | instid1(VALU_DEP_2)
	v_add3_u32 v7, v7, v68, v64
	v_add_nc_u32_e32 v6, v6, v31
	s_delay_alu instid0(VALU_DEP_2) | instskip(NEXT) | instid1(VALU_DEP_1)
	v_add3_u32 v7, v7, v17, v67
	v_add3_u32 v7, v7, v69, v65
	s_delay_alu instid0(VALU_DEP_1) | instskip(NEXT) | instid1(VALU_DEP_4)
	v_add3_u32 v7, v7, v75, v76
	v_cndmask_b32_e64 v6, 0, v6, s12
	s_delay_alu instid0(VALU_DEP_2) | instskip(NEXT) | instid1(VALU_DEP_2)
	v_mov_b32_dpp v10, v7 row_shr:1 row_mask:0xf bank_mask:0xf
	v_add_nc_u32_e32 v6, v6, v28
	s_delay_alu instid0(VALU_DEP_1) | instskip(NEXT) | instid1(VALU_DEP_1)
	v_cndmask_b32_e64 v6, 0, v6, s11
	v_add_nc_u32_e32 v6, v6, v29
	s_delay_alu instid0(VALU_DEP_1) | instskip(NEXT) | instid1(VALU_DEP_1)
	v_cndmask_b32_e64 v6, 0, v6, s10
	;; [unrolled: 3-line block ×11, first 2 shown]
	v_add_nc_u32_e32 v6, v6, v19
	s_delay_alu instid0(VALU_DEP_1) | instskip(SKIP_1) | instid1(VALU_DEP_2)
	v_cndmask_b32_e32 v6, 0, v6, vcc_lo
	v_cmp_eq_u32_e32 vcc_lo, 0, v7
	v_add_nc_u32_e32 v6, v6, v78
	s_delay_alu instid0(VALU_DEP_1) | instskip(NEXT) | instid1(VALU_DEP_1)
	v_mov_b32_dpp v8, v6 row_shr:1 row_mask:0xf bank_mask:0xf
	v_cndmask_b32_e32 v8, 0, v8, vcc_lo
	v_cmp_eq_u32_e32 vcc_lo, 0, v9
	v_cndmask_b32_e64 v10, v10, 0, vcc_lo
	s_delay_alu instid0(VALU_DEP_3) | instskip(SKIP_1) | instid1(VALU_DEP_2)
	v_cndmask_b32_e64 v8, v8, 0, vcc_lo
	v_cmp_lt_u32_e32 vcc_lo, 1, v9
	v_dual_add_nc_u32 v7, v10, v7 :: v_dual_add_nc_u32 v6, v8, v6
	s_delay_alu instid0(VALU_DEP_1) | instskip(SKIP_1) | instid1(VALU_DEP_3)
	v_mov_b32_dpp v8, v7 row_shr:2 row_mask:0xf bank_mask:0xf
	v_cmp_eq_u32_e64 s14, 0, v7
	v_mov_b32_dpp v10, v6 row_shr:2 row_mask:0xf bank_mask:0xf
	s_delay_alu instid0(VALU_DEP_3) | instskip(SKIP_1) | instid1(VALU_DEP_2)
	v_cndmask_b32_e32 v8, 0, v8, vcc_lo
	s_and_b32 vcc_lo, vcc_lo, s14
	v_cndmask_b32_e32 v10, 0, v10, vcc_lo
	v_cmp_lt_u32_e32 vcc_lo, 3, v9
	s_delay_alu instid0(VALU_DEP_2) | instskip(NEXT) | instid1(VALU_DEP_1)
	v_dual_add_nc_u32 v7, v7, v8 :: v_dual_add_nc_u32 v6, v10, v6
	v_mov_b32_dpp v8, v7 row_shr:4 row_mask:0xf bank_mask:0xf
	v_cmp_eq_u32_e64 s14, 0, v7
	s_delay_alu instid0(VALU_DEP_3) | instskip(NEXT) | instid1(VALU_DEP_3)
	v_mov_b32_dpp v10, v6 row_shr:4 row_mask:0xf bank_mask:0xf
	v_cndmask_b32_e32 v8, 0, v8, vcc_lo
	s_and_b32 vcc_lo, vcc_lo, s14
	s_delay_alu instid0(VALU_DEP_2) | instskip(SKIP_1) | instid1(VALU_DEP_2)
	v_cndmask_b32_e32 v10, 0, v10, vcc_lo
	v_cmp_lt_u32_e32 vcc_lo, 7, v9
	v_dual_add_nc_u32 v7, v8, v7 :: v_dual_add_nc_u32 v6, v6, v10
	v_bfe_i32 v10, v79, 4, 1
	s_delay_alu instid0(VALU_DEP_2) | instskip(SKIP_1) | instid1(VALU_DEP_4)
	v_mov_b32_dpp v8, v7 row_shr:8 row_mask:0xf bank_mask:0xf
	v_cmp_eq_u32_e64 s14, 0, v7
	v_mov_b32_dpp v9, v6 row_shr:8 row_mask:0xf bank_mask:0xf
	s_delay_alu instid0(VALU_DEP_3) | instskip(SKIP_2) | instid1(VALU_DEP_2)
	v_cndmask_b32_e32 v8, 0, v8, vcc_lo
	s_and_b32 vcc_lo, vcc_lo, s14
	s_mov_b32 s14, exec_lo
	v_cndmask_b32_e32 v9, 0, v9, vcc_lo
	s_delay_alu instid0(VALU_DEP_1)
	v_dual_add_nc_u32 v9, v9, v6 :: v_dual_add_nc_u32 v6, v8, v7
	ds_swizzle_b32 v7, v9 offset:swizzle(BROADCAST,32,15)
	ds_swizzle_b32 v8, v6 offset:swizzle(BROADCAST,32,15)
	v_cmp_eq_u32_e32 vcc_lo, 0, v6
	s_wait_dscnt 0x0
	v_dual_cndmask_b32 v7, 0, v7, vcc_lo :: v_dual_bitop2_b32 v8, v10, v8 bitop3:0x40
	s_delay_alu instid0(VALU_DEP_1) | instskip(NEXT) | instid1(VALU_DEP_1)
	v_dual_add_nc_u32 v6, v8, v6 :: v_dual_bitop2_b32 v7, v10, v7 bitop3:0x40
	v_dual_lshlrev_b32 v8, 3, v80 :: v_dual_add_nc_u32 v7, v7, v9
	v_cmpx_eq_u32_e64 v0, v81
; %bb.61:
	ds_store_b64 v8, v[6:7] offset:1040
; %bb.62:
	s_or_b32 exec_lo, exec_lo, s14
	s_delay_alu instid0(SALU_CYCLE_1)
	s_mov_b32 s15, exec_lo
	s_wait_dscnt 0x0
	s_barrier_signal -1
	s_barrier_wait -1
	v_cmpx_gt_u32_e32 8, v0
	s_cbranch_execz .LBB883_64
; %bb.63:
	v_dual_lshlrev_b32 v9, 3, v0 :: v_dual_bitop2_b32 v13, 7, v79 bitop3:0x40
	ds_load_b64 v[10:11], v9 offset:1040
	s_wait_dscnt 0x0
	v_mov_b32_dpp v12, v11 row_shr:1 row_mask:0xf bank_mask:0xf
	v_cmp_eq_u32_e32 vcc_lo, 0, v10
	v_mov_b32_dpp v32, v10 row_shr:1 row_mask:0xf bank_mask:0xf
	s_delay_alu instid0(VALU_DEP_3) | instskip(SKIP_1) | instid1(VALU_DEP_3)
	v_cndmask_b32_e32 v12, 0, v12, vcc_lo
	v_cmp_eq_u32_e32 vcc_lo, 0, v13
	v_cndmask_b32_e64 v32, v32, 0, vcc_lo
	s_delay_alu instid0(VALU_DEP_1) | instskip(NEXT) | instid1(VALU_DEP_4)
	v_add_nc_u32_e32 v10, v32, v10
	v_cndmask_b32_e64 v12, v12, 0, vcc_lo
	v_cmp_lt_u32_e32 vcc_lo, 1, v13
	s_delay_alu instid0(VALU_DEP_3) | instskip(NEXT) | instid1(VALU_DEP_3)
	v_cmp_eq_u32_e64 s14, 0, v10
	v_add_nc_u32_e32 v11, v12, v11
	v_mov_b32_dpp v12, v10 row_shr:2 row_mask:0xf bank_mask:0xf
	s_delay_alu instid0(VALU_DEP_1) | instskip(NEXT) | instid1(VALU_DEP_3)
	v_cndmask_b32_e32 v12, 0, v12, vcc_lo
	v_mov_b32_dpp v32, v11 row_shr:2 row_mask:0xf bank_mask:0xf
	s_and_b32 vcc_lo, vcc_lo, s14
	s_delay_alu instid0(VALU_DEP_1) | instid1(SALU_CYCLE_1)
	v_dual_add_nc_u32 v10, v12, v10 :: v_dual_cndmask_b32 v32, 0, v32, vcc_lo
	v_cmp_lt_u32_e32 vcc_lo, 3, v13
	s_delay_alu instid0(VALU_DEP_2) | instskip(NEXT) | instid1(VALU_DEP_3)
	v_mov_b32_dpp v12, v10 row_shr:4 row_mask:0xf bank_mask:0xf
	v_add_nc_u32_e32 v11, v32, v11
	v_cmp_eq_u32_e64 s14, 0, v10
	s_delay_alu instid0(VALU_DEP_3) | instskip(NEXT) | instid1(VALU_DEP_3)
	v_cndmask_b32_e32 v12, 0, v12, vcc_lo
	v_mov_b32_dpp v13, v11 row_shr:4 row_mask:0xf bank_mask:0xf
	s_and_b32 vcc_lo, vcc_lo, s14
	s_delay_alu instid0(VALU_DEP_1) | instskip(NEXT) | instid1(VALU_DEP_1)
	v_dual_cndmask_b32 v13, 0, v13 :: v_dual_add_nc_u32 v10, v12, v10
	v_add_nc_u32_e32 v11, v13, v11
	ds_store_b64 v9, v[10:11] offset:1040
.LBB883_64:
	s_or_b32 exec_lo, exec_lo, s15
	v_dual_mov_b32 v32, 0 :: v_dual_mov_b32 v33, 0
	s_mov_b32 s15, exec_lo
	v_cmp_gt_u32_e32 vcc_lo, 32, v0
	s_wait_dscnt 0x0
	s_barrier_signal -1
	s_barrier_wait -1
	v_cmpx_lt_u32_e32 31, v0
	s_cbranch_execz .LBB883_66
; %bb.65:
	ds_load_b64 v[32:33], v8 offset:1032
	v_cmp_eq_u32_e64 s14, 0, v6
	s_wait_dscnt 0x0
	s_delay_alu instid0(VALU_DEP_1) | instskip(NEXT) | instid1(VALU_DEP_1)
	v_dual_cndmask_b32 v8, 0, v33, s14 :: v_dual_add_nc_u32 v6, v32, v6
	v_add_nc_u32_e32 v7, v8, v7
.LBB883_66:
	s_or_b32 exec_lo, exec_lo, s15
	v_sub_co_u32 v8, s14, v79, 1
	s_delay_alu instid0(VALU_DEP_1) | instskip(NEXT) | instid1(VALU_DEP_1)
	v_cmp_gt_i32_e64 s15, 0, v8
	v_cndmask_b32_e64 v8, v8, v79, s15
	s_delay_alu instid0(VALU_DEP_1)
	v_lshlrev_b32_e32 v8, 2, v8
	ds_bpermute_b32 v38, v8, v6
	ds_bpermute_b32 v39, v8, v7
	s_and_saveexec_b32 s18, vcc_lo
	s_cbranch_execz .LBB883_85
; %bb.67:
	v_mov_b32_e32 v9, 0
	ds_load_b64 v[6:7], v9 offset:1096
	s_and_saveexec_b32 s15, s14
	s_cbranch_execz .LBB883_69
; %bb.68:
	s_add_co_i32 s20, s40, 32
	s_mov_b32 s21, 0
	v_mov_b32_e32 v8, 1
	s_lshl_b64 s[20:21], s[20:21], 4
	s_delay_alu instid0(SALU_CYCLE_1) | instskip(NEXT) | instid1(SALU_CYCLE_1)
	s_add_nc_u64 s[20:21], s[36:37], s[20:21]
	v_mov_b64_e32 v[10:11], s[20:21]
	s_wait_dscnt 0x0
	;;#ASMSTART
	global_store_b128 v[10:11], v[6:9] off scope:SCOPE_DEV	
s_wait_storecnt 0x0
	;;#ASMEND
.LBB883_69:
	s_or_b32 exec_lo, exec_lo, s15
	v_xad_u32 v34, v79, -1, s40
	s_mov_b32 s16, 0
	s_mov_b32 s15, exec_lo
	s_delay_alu instid0(VALU_DEP_1) | instskip(NEXT) | instid1(VALU_DEP_1)
	v_add_nc_u32_e32 v8, 32, v34
	v_lshl_add_u64 v[8:9], v[8:9], 4, s[36:37]
	;;#ASMSTART
	global_load_b128 v[10:13], v[8:9] off scope:SCOPE_DEV	
s_wait_loadcnt 0x0
	;;#ASMEND
	v_and_b32_e32 v13, 0xff, v12
	s_delay_alu instid0(VALU_DEP_1)
	v_cmpx_eq_u16_e32 0, v13
	s_cbranch_execz .LBB883_72
.LBB883_70:                             ; =>This Inner Loop Header: Depth=1
	;;#ASMSTART
	global_load_b128 v[10:13], v[8:9] off scope:SCOPE_DEV	
s_wait_loadcnt 0x0
	;;#ASMEND
	v_and_b32_e32 v13, 0xff, v12
	s_delay_alu instid0(VALU_DEP_1) | instskip(SKIP_1) | instid1(SALU_CYCLE_1)
	v_cmp_ne_u16_e32 vcc_lo, 0, v13
	s_or_b32 s16, vcc_lo, s16
	s_and_not1_b32 exec_lo, exec_lo, s16
	s_cbranch_execnz .LBB883_70
; %bb.71:
	s_or_b32 exec_lo, exec_lo, s16
.LBB883_72:
	s_delay_alu instid0(SALU_CYCLE_1)
	s_or_b32 exec_lo, exec_lo, s15
	v_cmp_ne_u32_e32 vcc_lo, 31, v79
	v_lshlrev_b32_e64 v41, v79, -1
	v_cmp_gt_u32_e64 s16, 30, v79
	v_lshl_or_b32 v48, v79, 2, 64
	v_add_nc_u32_e32 v49, 16, v79
	v_add_co_ci_u32_e64 v8, null, 0, v79, vcc_lo
	s_delay_alu instid0(VALU_DEP_4) | instskip(NEXT) | instid1(VALU_DEP_2)
	v_cndmask_b32_e64 v35, 0, 2, s16
	v_lshlrev_b32_e32 v40, 2, v8
	v_and_b32_e32 v8, 0xff, v12
	s_delay_alu instid0(VALU_DEP_3) | instskip(SKIP_4) | instid1(VALU_DEP_2)
	v_add_lshl_u32 v42, v35, v79, 2
	ds_bpermute_b32 v9, v40, v10
	v_cmp_eq_u16_e32 vcc_lo, 2, v8
	v_and_or_b32 v13, vcc_lo, v41, 0x80000000
	v_cmp_eq_u32_e32 vcc_lo, 0, v10
	v_ctz_i32_b32_e32 v13, v13
	s_delay_alu instid0(VALU_DEP_1) | instskip(SKIP_1) | instid1(VALU_DEP_1)
	v_cmp_lt_u32_e64 s15, v79, v13
	s_wait_dscnt 0x0
	v_cndmask_b32_e64 v9, 0, v9, s15
	ds_bpermute_b32 v8, v40, v11
	s_and_b32 vcc_lo, s15, vcc_lo
	s_wait_dscnt 0x0
	v_dual_cndmask_b32 v8, 0, v8 :: v_dual_add_nc_u32 v9, v9, v10
	s_delay_alu instid0(VALU_DEP_1) | instskip(NEXT) | instid1(VALU_DEP_2)
	v_cmp_eq_u32_e32 vcc_lo, 0, v9
	v_add_nc_u32_e32 v8, v8, v11
	ds_bpermute_b32 v11, v42, v8
	s_wait_dscnt 0x0
	v_cndmask_b32_e32 v10, 0, v11, vcc_lo
	v_add_nc_u32_e32 v43, 2, v79
	v_cmp_gt_u32_e32 vcc_lo, 28, v79
	ds_bpermute_b32 v11, v42, v9
	v_cndmask_b32_e64 v35, 0, 4, vcc_lo
	v_cmp_gt_u32_e32 vcc_lo, v43, v13
	s_delay_alu instid0(VALU_DEP_2) | instskip(SKIP_1) | instid1(VALU_DEP_1)
	v_add_lshl_u32 v44, v35, v79, 2
	v_cndmask_b32_e64 v10, v10, 0, vcc_lo
	v_dual_add_nc_u32 v8, v10, v8 :: v_dual_add_nc_u32 v45, 4, v79
	ds_bpermute_b32 v10, v44, v8
	s_wait_dscnt 0x1
	v_cndmask_b32_e64 v11, v11, 0, vcc_lo
	s_delay_alu instid0(VALU_DEP_1) | instskip(NEXT) | instid1(VALU_DEP_1)
	v_add_nc_u32_e32 v9, v9, v11
	v_cmp_eq_u32_e32 vcc_lo, 0, v9
	s_wait_dscnt 0x0
	v_cndmask_b32_e32 v10, 0, v10, vcc_lo
	v_cmp_gt_u32_e32 vcc_lo, 24, v79
	ds_bpermute_b32 v11, v44, v9
	v_cndmask_b32_e64 v35, 0, 8, vcc_lo
	v_cmp_gt_u32_e32 vcc_lo, v45, v13
	s_delay_alu instid0(VALU_DEP_2) | instskip(SKIP_1) | instid1(VALU_DEP_1)
	v_add_lshl_u32 v46, v35, v79, 2
	v_cndmask_b32_e64 v10, v10, 0, vcc_lo
	v_dual_mov_b32 v35, 0 :: v_dual_add_nc_u32 v8, v8, v10
	v_add_nc_u32_e32 v47, 8, v79
	ds_bpermute_b32 v10, v46, v8
	s_wait_dscnt 0x1
	v_cndmask_b32_e64 v11, v11, 0, vcc_lo
	s_delay_alu instid0(VALU_DEP_1) | instskip(NEXT) | instid1(VALU_DEP_1)
	v_add_nc_u32_e32 v9, v9, v11
	v_cmp_eq_u32_e32 vcc_lo, 0, v9
	s_wait_dscnt 0x0
	v_cndmask_b32_e32 v10, 0, v10, vcc_lo
	ds_bpermute_b32 v11, v46, v9
	v_cmp_gt_u32_e32 vcc_lo, v47, v13
	v_cndmask_b32_e64 v10, v10, 0, vcc_lo
	s_delay_alu instid0(VALU_DEP_1)
	v_add_nc_u32_e32 v8, v8, v10
	s_wait_dscnt 0x0
	v_cndmask_b32_e64 v10, v11, 0, vcc_lo
	ds_bpermute_b32 v11, v48, v8
	v_add_nc_u32_e32 v9, v9, v10
	ds_bpermute_b32 v10, v48, v9
	v_cmp_eq_u32_e32 vcc_lo, 0, v9
	s_wait_dscnt 0x1
	v_cndmask_b32_e32 v11, 0, v11, vcc_lo
	v_cmp_gt_u32_e32 vcc_lo, v49, v13
	s_wait_dscnt 0x0
	v_cndmask_b32_e64 v10, v10, 0, vcc_lo
	s_delay_alu instid0(VALU_DEP_1) | instskip(SKIP_1) | instid1(VALU_DEP_1)
	v_add_nc_u32_e32 v10, v10, v9
	v_cndmask_b32_e64 v11, v11, 0, vcc_lo
	v_add_nc_u32_e32 v11, v11, v8
	s_branch .LBB883_76
.LBB883_73:                             ;   in Loop: Header=BB883_76 Depth=1
	s_or_b32 exec_lo, exec_lo, s16
.LBB883_74:                             ;   in Loop: Header=BB883_76 Depth=1
	s_delay_alu instid0(SALU_CYCLE_1)
	s_or_b32 exec_lo, exec_lo, s15
	v_and_b32_e32 v13, 0xff, v12
	ds_bpermute_b32 v36, v40, v10
	v_subrev_nc_u32_e32 v34, 32, v34
	v_cmp_eq_u16_e32 vcc_lo, 2, v13
	ds_bpermute_b32 v13, v40, v11
	v_and_or_b32 v37, vcc_lo, v41, 0x80000000
	v_cmp_eq_u32_e32 vcc_lo, 0, v10
	s_delay_alu instid0(VALU_DEP_2) | instskip(NEXT) | instid1(VALU_DEP_1)
	v_ctz_i32_b32_e32 v37, v37
	v_cmp_lt_u32_e64 s15, v79, v37
	s_and_b32 vcc_lo, s15, vcc_lo
	s_wait_dscnt 0x0
	v_dual_cndmask_b32 v36, 0, v36, s15 :: v_dual_cndmask_b32 v13, 0, v13, vcc_lo
	s_mov_b32 s15, 0
	s_delay_alu instid0(VALU_DEP_1)
	v_dual_add_nc_u32 v10, v36, v10 :: v_dual_add_nc_u32 v11, v13, v11
	ds_bpermute_b32 v36, v42, v10
	ds_bpermute_b32 v13, v42, v11
	v_cmp_eq_u32_e32 vcc_lo, 0, v10
	s_wait_dscnt 0x0
	v_cndmask_b32_e32 v13, 0, v13, vcc_lo
	v_cmp_gt_u32_e32 vcc_lo, v43, v37
	v_cndmask_b32_e64 v36, v36, 0, vcc_lo
	s_delay_alu instid0(VALU_DEP_1) | instskip(NEXT) | instid1(VALU_DEP_4)
	v_add_nc_u32_e32 v10, v10, v36
	v_cndmask_b32_e64 v13, v13, 0, vcc_lo
	s_delay_alu instid0(VALU_DEP_2) | instskip(NEXT) | instid1(VALU_DEP_2)
	v_cmp_eq_u32_e32 vcc_lo, 0, v10
	v_add_nc_u32_e32 v11, v13, v11
	ds_bpermute_b32 v36, v44, v10
	ds_bpermute_b32 v13, v44, v11
	s_wait_dscnt 0x0
	v_cndmask_b32_e32 v13, 0, v13, vcc_lo
	v_cmp_gt_u32_e32 vcc_lo, v45, v37
	s_delay_alu instid0(VALU_DEP_2) | instskip(SKIP_1) | instid1(VALU_DEP_1)
	v_cndmask_b32_e64 v13, v13, 0, vcc_lo
	v_cndmask_b32_e64 v36, v36, 0, vcc_lo
	v_dual_add_nc_u32 v11, v11, v13 :: v_dual_add_nc_u32 v10, v10, v36
	ds_bpermute_b32 v13, v46, v11
	ds_bpermute_b32 v36, v46, v10
	v_cmp_eq_u32_e32 vcc_lo, 0, v10
	s_wait_dscnt 0x1
	v_cndmask_b32_e32 v13, 0, v13, vcc_lo
	v_cmp_gt_u32_e32 vcc_lo, v47, v37
	s_wait_dscnt 0x0
	v_cndmask_b32_e64 v36, v36, 0, vcc_lo
	s_delay_alu instid0(VALU_DEP_1) | instskip(SKIP_1) | instid1(VALU_DEP_2)
	v_add_nc_u32_e32 v10, v10, v36
	v_cndmask_b32_e64 v13, v13, 0, vcc_lo
	v_cmp_eq_u32_e32 vcc_lo, 0, v10
	s_delay_alu instid0(VALU_DEP_2)
	v_add_nc_u32_e32 v11, v11, v13
	ds_bpermute_b32 v36, v48, v10
	ds_bpermute_b32 v13, v48, v11
	s_wait_dscnt 0x0
	v_cndmask_b32_e32 v13, 0, v13, vcc_lo
	v_cmp_gt_u32_e32 vcc_lo, v49, v37
	s_delay_alu instid0(VALU_DEP_2) | instskip(NEXT) | instid1(VALU_DEP_1)
	v_cndmask_b32_e64 v13, v13, 0, vcc_lo
	v_add_nc_u32_e32 v11, v13, v11
	v_cndmask_b32_e64 v13, v36, 0, vcc_lo
	v_cmp_eq_u32_e32 vcc_lo, 0, v8
	s_delay_alu instid0(VALU_DEP_2) | instskip(NEXT) | instid1(VALU_DEP_4)
	v_add3_u32 v10, v10, v8, v13
	v_cndmask_b32_e32 v11, 0, v11, vcc_lo
	s_delay_alu instid0(VALU_DEP_1)
	v_add_nc_u32_e32 v11, v11, v9
.LBB883_75:                             ;   in Loop: Header=BB883_76 Depth=1
	s_and_b32 vcc_lo, exec_lo, s15
	s_cbranch_vccnz .LBB883_81
.LBB883_76:                             ; =>This Loop Header: Depth=1
                                        ;     Child Loop BB883_79 Depth 2
	v_and_b32_e32 v8, 0xff, v12
	s_delay_alu instid0(VALU_DEP_2) | instskip(SKIP_1) | instid1(VALU_DEP_2)
	v_mov_b32_e32 v9, v11
	s_mov_b32 s15, -1
                                        ; implicit-def: $vgpr11
                                        ; implicit-def: $vgpr12
	v_cmp_ne_u16_e32 vcc_lo, 2, v8
	v_mov_b32_e32 v8, v10
                                        ; implicit-def: $vgpr10
	s_cmp_lg_u32 vcc_lo, exec_lo
	s_cbranch_scc1 .LBB883_75
; %bb.77:                               ;   in Loop: Header=BB883_76 Depth=1
	v_lshl_add_u64 v[36:37], v[34:35], 4, s[36:37]
	;;#ASMSTART
	global_load_b128 v[10:13], v[36:37] off scope:SCOPE_DEV	
s_wait_loadcnt 0x0
	;;#ASMEND
	v_and_b32_e32 v13, 0xff, v12
	s_mov_b32 s15, exec_lo
	s_delay_alu instid0(VALU_DEP_1)
	v_cmpx_eq_u16_e32 0, v13
	s_cbranch_execz .LBB883_74
; %bb.78:                               ;   in Loop: Header=BB883_76 Depth=1
	s_mov_b32 s16, 0
.LBB883_79:                             ;   Parent Loop BB883_76 Depth=1
                                        ; =>  This Inner Loop Header: Depth=2
	;;#ASMSTART
	global_load_b128 v[10:13], v[36:37] off scope:SCOPE_DEV	
s_wait_loadcnt 0x0
	;;#ASMEND
	v_and_b32_e32 v13, 0xff, v12
	s_delay_alu instid0(VALU_DEP_1) | instskip(SKIP_1) | instid1(SALU_CYCLE_1)
	v_cmp_ne_u16_e32 vcc_lo, 0, v13
	s_or_b32 s16, vcc_lo, s16
	s_and_not1_b32 exec_lo, exec_lo, s16
	s_cbranch_execnz .LBB883_79
	s_branch .LBB883_73
.LBB883_80:
                                        ; implicit-def: $vgpr6
                                        ; implicit-def: $vgpr32
                                        ; implicit-def: $vgpr34_vgpr35
                                        ; implicit-def: $vgpr40_vgpr41
                                        ; implicit-def: $vgpr46_vgpr47
                                        ; implicit-def: $vgpr42_vgpr43
                                        ; implicit-def: $vgpr58_vgpr59
                                        ; implicit-def: $vgpr62_vgpr63
                                        ; implicit-def: $vgpr60_vgpr61
                                        ; implicit-def: $vgpr56_vgpr57
                                        ; implicit-def: $vgpr52_vgpr53
                                        ; implicit-def: $vgpr48_vgpr49
                                        ; implicit-def: $vgpr44_vgpr45
                                        ; implicit-def: $vgpr50_vgpr51
                                        ; implicit-def: $vgpr54_vgpr55
                                        ; implicit-def: $vgpr36_vgpr37
                                        ; implicit-def: $vgpr38_vgpr39
	s_cbranch_execnz .LBB883_86
	s_branch .LBB883_97
.LBB883_81:
	s_and_saveexec_b32 s15, s14
	s_cbranch_execz .LBB883_83
; %bb.82:
	v_cmp_eq_u32_e32 vcc_lo, 0, v6
	s_mov_b32 s21, 0
	s_add_co_i32 s20, s40, 32
	v_mov_b32_e32 v13, 0
	s_lshl_b64 s[20:21], s[20:21], 4
	v_dual_cndmask_b32 v11, 0, v9 :: v_dual_add_nc_u32 v10, v8, v6
	s_add_nc_u64 s[20:21], s[36:37], s[20:21]
	v_mov_b32_e32 v12, 2
	v_mov_b64_e32 v[34:35], s[20:21]
	s_delay_alu instid0(VALU_DEP_3)
	v_add_nc_u32_e32 v11, v11, v7
	;;#ASMSTART
	global_store_b128 v[34:35], v[10:13] off scope:SCOPE_DEV	
s_wait_storecnt 0x0
	;;#ASMEND
	ds_store_b128 v13, v[6:9] offset:1024
.LBB883_83:
	s_or_b32 exec_lo, exec_lo, s15
	s_delay_alu instid0(SALU_CYCLE_1)
	s_and_b32 exec_lo, exec_lo, s2
; %bb.84:
	v_mov_b32_e32 v6, 0
	ds_store_b64 v6, v[8:9] offset:1096
.LBB883_85:
	s_or_b32 exec_lo, exec_lo, s18
	s_wait_dscnt 0x1
	v_dual_mov_b32 v8, 0 :: v_dual_cndmask_b32 v9, v38, v32, s14
	s_wait_dscnt 0x0
	s_barrier_signal -1
	s_barrier_wait -1
	ds_load_b64 v[6:7], v8 offset:1096
	v_cmp_eq_u32_e32 vcc_lo, 0, v9
	v_cndmask_b32_e64 v10, v39, v33, s14
	s_wait_dscnt 0x0
	s_barrier_signal -1
	s_barrier_wait -1
	v_cndmask_b32_e32 v11, 0, v7, vcc_lo
	v_cmp_eq_u32_e32 vcc_lo, 0, v77
	s_delay_alu instid0(VALU_DEP_2) | instskip(NEXT) | instid1(VALU_DEP_1)
	v_add_nc_u32_e32 v10, v11, v10
	v_cndmask_b32_e64 v59, v10, v7, s2
	s_delay_alu instid0(VALU_DEP_1) | instskip(NEXT) | instid1(VALU_DEP_1)
	v_cndmask_b32_e32 v7, 0, v59, vcc_lo
	v_add_nc_u32_e32 v63, v7, v30
	s_delay_alu instid0(VALU_DEP_1) | instskip(NEXT) | instid1(VALU_DEP_1)
	v_cndmask_b32_e64 v7, 0, v63, s13
	v_add_nc_u32_e32 v61, v7, v31
	s_delay_alu instid0(VALU_DEP_1) | instskip(NEXT) | instid1(VALU_DEP_1)
	v_cndmask_b32_e64 v7, 0, v61, s12
	v_add_nc_u32_e32 v57, v7, v28
	s_delay_alu instid0(VALU_DEP_1) | instskip(NEXT) | instid1(VALU_DEP_1)
	v_cndmask_b32_e64 v7, 0, v57, s11
	v_add_nc_u32_e32 v53, v7, v29
	s_delay_alu instid0(VALU_DEP_1) | instskip(NEXT) | instid1(VALU_DEP_1)
	v_cndmask_b32_e64 v7, 0, v53, s10
	v_add_nc_u32_e32 v49, v7, v26
	s_delay_alu instid0(VALU_DEP_1) | instskip(NEXT) | instid1(VALU_DEP_1)
	v_cndmask_b32_e64 v7, 0, v49, s9
	v_add_nc_u32_e32 v45, v7, v27
	v_cndmask_b32_e64 v7, v9, 0, s2
	s_delay_alu instid0(VALU_DEP_1) | instskip(NEXT) | instid1(VALU_DEP_1)
	v_add_nc_u32_e32 v58, v6, v7
	v_add_nc_u32_e32 v62, v58, v77
	s_delay_alu instid0(VALU_DEP_4) | instskip(NEXT) | instid1(VALU_DEP_1)
	v_cndmask_b32_e64 v9, 0, v45, s8
	v_dual_add_nc_u32 v60, v62, v73 :: v_dual_add_nc_u32 v51, v9, v24
	s_delay_alu instid0(VALU_DEP_1) | instskip(NEXT) | instid1(VALU_DEP_1)
	v_dual_add_nc_u32 v56, v60, v72 :: v_dual_cndmask_b32 v6, 0, v51, s7
	v_dual_add_nc_u32 v52, v56, v71 :: v_dual_add_nc_u32 v55, v6, v25
	s_delay_alu instid0(VALU_DEP_1) | instskip(NEXT) | instid1(VALU_DEP_1)
	v_cndmask_b32_e64 v6, 0, v55, s6
	v_add_nc_u32_e32 v37, v6, v22
	s_delay_alu instid0(VALU_DEP_1) | instskip(NEXT) | instid1(VALU_DEP_1)
	v_dual_add_nc_u32 v48, v52, v70 :: v_dual_cndmask_b32 v6, 0, v37, s5
	v_dual_add_nc_u32 v39, v6, v23 :: v_dual_add_nc_u32 v44, v48, v66
	s_delay_alu instid0(VALU_DEP_1) | instskip(NEXT) | instid1(VALU_DEP_1)
	v_dual_cndmask_b32 v6, 0, v39, s4 :: v_dual_add_nc_u32 v50, v44, v74
	v_add_nc_u32_e32 v43, v6, v20
	s_delay_alu instid0(VALU_DEP_2) | instskip(SKIP_2) | instid1(VALU_DEP_1)
	v_add_nc_u32_e32 v54, v50, v68
	ds_load_b128 v[6:9], v8 offset:1024
	v_cndmask_b32_e64 v10, 0, v43, s3
	v_add_nc_u32_e32 v47, v10, v21
	s_delay_alu instid0(VALU_DEP_1) | instskip(NEXT) | instid1(VALU_DEP_1)
	v_dual_add_nc_u32 v36, v54, v64 :: v_dual_cndmask_b32 v10, 0, v47, s1
	v_dual_add_nc_u32 v38, v36, v17 :: v_dual_add_nc_u32 v41, v10, v18
	s_delay_alu instid0(VALU_DEP_1) | instskip(SKIP_2) | instid1(VALU_DEP_3)
	v_add_nc_u32_e32 v42, v38, v67
	s_wait_dscnt 0x0
	v_cmp_eq_u32_e32 vcc_lo, 0, v6
	v_cndmask_b32_e64 v10, 0, v41, s0
	s_delay_alu instid0(VALU_DEP_1) | instskip(NEXT) | instid1(VALU_DEP_1)
	v_dual_cndmask_b32 v9, 0, v9, vcc_lo :: v_dual_add_nc_u32 v35, v10, v19
	v_dual_add_nc_u32 v46, v42, v69 :: v_dual_add_nc_u32 v32, v9, v7
	s_delay_alu instid0(VALU_DEP_1) | instskip(NEXT) | instid1(VALU_DEP_1)
	v_add_nc_u32_e32 v40, v46, v65
	v_add_nc_u32_e32 v34, v40, v75
	s_branch .LBB883_97
.LBB883_86:
	s_cmp_eq_u64 s[48:49], 0
	v_mov_b32_e32 v10, v30
	s_cselect_b32 s0, -1, 0
	s_delay_alu instid0(SALU_CYCLE_1) | instskip(NEXT) | instid1(SALU_CYCLE_1)
	s_or_b32 s0, s17, s0
	s_and_b32 vcc_lo, exec_lo, s0
	s_cbranch_vccnz .LBB883_88
; %bb.87:
	v_mov_b32_e32 v6, 0
	global_load_b32 v10, v6, s[48:49]
.LBB883_88:
	v_add3_u32 v7, v82, v66, v74
	v_cmp_eq_u32_e64 s7, 0, v73
	v_cmp_eq_u32_e64 s8, 0, v72
	;; [unrolled: 1-line block ×4, first 2 shown]
	v_add3_u32 v7, v7, v68, v64
	s_wait_xcnt 0x0
	v_dual_cndmask_b32 v6, 0, v30, s7 :: v_dual_bitop2_b32 v9, 15, v79 bitop3:0x40
	v_cmp_eq_u32_e64 s11, 0, v66
	v_cmp_eq_u32_e64 s12, 0, v74
	v_add3_u32 v7, v7, v17, v67
	s_delay_alu instid0(VALU_DEP_4)
	v_add_nc_u32_e32 v6, v6, v31
	v_cmp_eq_u32_e64 s6, 0, v68
	v_cmp_eq_u32_e64 s5, 0, v64
	;; [unrolled: 1-line block ×3, first 2 shown]
	v_add3_u32 v7, v7, v69, v65
	v_cmp_eq_u32_e64 s3, 0, v67
	v_cmp_eq_u32_e64 s1, 0, v69
	v_cmp_eq_u32_e32 vcc_lo, 0, v65
	v_cmp_eq_u32_e64 s0, 0, v75
	v_add3_u32 v7, v7, v75, v76
	v_cndmask_b32_e64 v6, 0, v6, s8
	v_cmp_eq_u32_e64 s13, 0, v76
	s_delay_alu instid0(VALU_DEP_3) | instskip(NEXT) | instid1(VALU_DEP_3)
	v_mov_b32_dpp v11, v7 row_shr:1 row_mask:0xf bank_mask:0xf
	v_add_nc_u32_e32 v6, v6, v28
	s_delay_alu instid0(VALU_DEP_1) | instskip(NEXT) | instid1(VALU_DEP_1)
	v_cndmask_b32_e64 v6, 0, v6, s9
	v_add_nc_u32_e32 v6, v6, v29
	s_delay_alu instid0(VALU_DEP_1) | instskip(NEXT) | instid1(VALU_DEP_1)
	v_cndmask_b32_e64 v6, 0, v6, s10
	;; [unrolled: 3-line block ×9, first 2 shown]
	v_add_nc_u32_e32 v6, v6, v21
	s_delay_alu instid0(VALU_DEP_1) | instskip(NEXT) | instid1(VALU_DEP_1)
	v_cndmask_b32_e32 v6, 0, v6, vcc_lo
	v_add_nc_u32_e32 v6, v6, v18
	s_delay_alu instid0(VALU_DEP_1) | instskip(NEXT) | instid1(VALU_DEP_1)
	v_cndmask_b32_e64 v6, 0, v6, s0
	v_add_nc_u32_e32 v6, v6, v19
	s_delay_alu instid0(VALU_DEP_1) | instskip(SKIP_1) | instid1(VALU_DEP_2)
	v_cndmask_b32_e64 v6, 0, v6, s13
	v_cmp_eq_u32_e64 s13, 0, v7
	v_add_nc_u32_e32 v6, v6, v78
	s_delay_alu instid0(VALU_DEP_1) | instskip(NEXT) | instid1(VALU_DEP_1)
	v_mov_b32_dpp v8, v6 row_shr:1 row_mask:0xf bank_mask:0xf
	v_cndmask_b32_e64 v8, 0, v8, s13
	v_cmp_eq_u32_e64 s13, 0, v9
	s_delay_alu instid0(VALU_DEP_1) | instskip(NEXT) | instid1(VALU_DEP_3)
	v_cndmask_b32_e64 v11, v11, 0, s13
	v_cndmask_b32_e64 v8, v8, 0, s13
	v_cmp_lt_u32_e64 s13, 1, v9
	s_delay_alu instid0(VALU_DEP_2) | instskip(NEXT) | instid1(VALU_DEP_1)
	v_dual_add_nc_u32 v7, v11, v7 :: v_dual_add_nc_u32 v6, v8, v6
	v_mov_b32_dpp v8, v7 row_shr:2 row_mask:0xf bank_mask:0xf
	v_cmp_eq_u32_e64 s14, 0, v7
	s_delay_alu instid0(VALU_DEP_3) | instskip(NEXT) | instid1(VALU_DEP_3)
	v_mov_b32_dpp v11, v6 row_shr:2 row_mask:0xf bank_mask:0xf
	v_cndmask_b32_e64 v8, 0, v8, s13
	s_and_b32 s13, s13, s14
	s_delay_alu instid0(VALU_DEP_2) | instid1(SALU_CYCLE_1)
	v_cndmask_b32_e64 v11, 0, v11, s13
	v_cmp_lt_u32_e64 s13, 3, v9
	s_delay_alu instid0(VALU_DEP_3) | instskip(NEXT) | instid1(VALU_DEP_3)
	v_add_nc_u32_e32 v7, v7, v8
	v_add_nc_u32_e32 v6, v11, v6
	s_delay_alu instid0(VALU_DEP_2) | instskip(SKIP_1) | instid1(VALU_DEP_3)
	v_mov_b32_dpp v8, v7 row_shr:4 row_mask:0xf bank_mask:0xf
	v_cmp_eq_u32_e64 s14, 0, v7
	v_mov_b32_dpp v11, v6 row_shr:4 row_mask:0xf bank_mask:0xf
	s_delay_alu instid0(VALU_DEP_3)
	v_cndmask_b32_e64 v8, 0, v8, s13
	s_and_b32 s13, s13, s14
	s_delay_alu instid0(VALU_DEP_2) | instid1(SALU_CYCLE_1)
	v_cndmask_b32_e64 v11, 0, v11, s13
	v_cmp_lt_u32_e64 s13, 7, v9
	s_delay_alu instid0(VALU_DEP_3) | instskip(NEXT) | instid1(VALU_DEP_3)
	v_add_nc_u32_e32 v7, v8, v7
	v_add_nc_u32_e32 v6, v6, v11
	v_bfe_i32 v11, v79, 4, 1
	s_delay_alu instid0(VALU_DEP_3) | instskip(SKIP_1) | instid1(VALU_DEP_4)
	v_mov_b32_dpp v8, v7 row_shr:8 row_mask:0xf bank_mask:0xf
	v_cmp_eq_u32_e64 s14, 0, v7
	v_mov_b32_dpp v9, v6 row_shr:8 row_mask:0xf bank_mask:0xf
	s_delay_alu instid0(VALU_DEP_3) | instskip(SKIP_2) | instid1(VALU_DEP_2)
	v_cndmask_b32_e64 v8, 0, v8, s13
	s_and_b32 s13, s13, s14
	s_mov_b32 s14, exec_lo
	v_cndmask_b32_e64 v9, 0, v9, s13
	s_delay_alu instid0(VALU_DEP_1) | instskip(SKIP_4) | instid1(VALU_DEP_1)
	v_dual_add_nc_u32 v9, v9, v6 :: v_dual_add_nc_u32 v6, v8, v7
	ds_swizzle_b32 v7, v9 offset:swizzle(BROADCAST,32,15)
	ds_swizzle_b32 v8, v6 offset:swizzle(BROADCAST,32,15)
	v_cmp_eq_u32_e64 s13, 0, v6
	s_wait_dscnt 0x0
	v_dual_cndmask_b32 v7, 0, v7, s13 :: v_dual_bitop2_b32 v8, v11, v8 bitop3:0x40
	s_delay_alu instid0(VALU_DEP_1) | instskip(NEXT) | instid1(VALU_DEP_1)
	v_dual_add_nc_u32 v6, v8, v6 :: v_dual_bitop2_b32 v7, v11, v7 bitop3:0x40
	v_dual_add_nc_u32 v7, v7, v9 :: v_dual_lshlrev_b32 v9, 3, v80
	v_cmpx_eq_u32_e64 v0, v81
; %bb.89:
	ds_store_b64 v9, v[6:7] offset:1040
; %bb.90:
	s_or_b32 exec_lo, exec_lo, s14
	s_delay_alu instid0(SALU_CYCLE_1)
	s_mov_b32 s15, exec_lo
	s_wait_loadcnt_dscnt 0x0
	s_barrier_signal -1
	s_barrier_wait -1
	v_cmpx_gt_u32_e32 8, v0
	s_cbranch_execz .LBB883_92
; %bb.91:
	v_dual_lshlrev_b32 v8, 3, v0 :: v_dual_bitop2_b32 v32, 7, v79 bitop3:0x40
	ds_load_b64 v[12:13], v8 offset:1040
	s_wait_dscnt 0x0
	v_mov_b32_dpp v11, v13 row_shr:1 row_mask:0xf bank_mask:0xf
	v_cmp_eq_u32_e64 s13, 0, v12
	v_mov_b32_dpp v33, v12 row_shr:1 row_mask:0xf bank_mask:0xf
	s_delay_alu instid0(VALU_DEP_2) | instskip(SKIP_1) | instid1(VALU_DEP_1)
	v_cndmask_b32_e64 v11, 0, v11, s13
	v_cmp_eq_u32_e64 s13, 0, v32
	v_cndmask_b32_e64 v33, v33, 0, s13
	s_delay_alu instid0(VALU_DEP_1) | instskip(NEXT) | instid1(VALU_DEP_4)
	v_add_nc_u32_e32 v12, v33, v12
	v_cndmask_b32_e64 v11, v11, 0, s13
	v_cmp_lt_u32_e64 s13, 1, v32
	s_delay_alu instid0(VALU_DEP_3) | instskip(NEXT) | instid1(VALU_DEP_3)
	v_cmp_eq_u32_e64 s14, 0, v12
	v_add_nc_u32_e32 v11, v11, v13
	v_mov_b32_dpp v13, v12 row_shr:2 row_mask:0xf bank_mask:0xf
	s_delay_alu instid0(VALU_DEP_1) | instskip(NEXT) | instid1(VALU_DEP_3)
	v_cndmask_b32_e64 v13, 0, v13, s13
	v_mov_b32_dpp v33, v11 row_shr:2 row_mask:0xf bank_mask:0xf
	s_and_b32 s13, s13, s14
	s_delay_alu instid0(VALU_DEP_1) | instid1(SALU_CYCLE_1)
	v_dual_add_nc_u32 v12, v13, v12 :: v_dual_cndmask_b32 v33, 0, v33, s13
	v_cmp_lt_u32_e64 s13, 3, v32
	s_delay_alu instid0(VALU_DEP_2) | instskip(NEXT) | instid1(VALU_DEP_3)
	v_mov_b32_dpp v13, v12 row_shr:4 row_mask:0xf bank_mask:0xf
	v_add_nc_u32_e32 v11, v33, v11
	v_cmp_eq_u32_e64 s14, 0, v12
	s_delay_alu instid0(VALU_DEP_3) | instskip(NEXT) | instid1(VALU_DEP_3)
	v_cndmask_b32_e64 v13, 0, v13, s13
	v_mov_b32_dpp v32, v11 row_shr:4 row_mask:0xf bank_mask:0xf
	s_and_b32 s13, s13, s14
	s_delay_alu instid0(VALU_DEP_1) | instid1(SALU_CYCLE_1)
	v_cndmask_b32_e64 v32, 0, v32, s13
	s_delay_alu instid0(VALU_DEP_1)
	v_dual_add_nc_u32 v12, v13, v12 :: v_dual_add_nc_u32 v13, v32, v11
	ds_store_b64 v8, v[12:13] offset:1040
.LBB883_92:
	s_or_b32 exec_lo, exec_lo, s15
	v_dual_mov_b32 v11, 0 :: v_dual_mov_b32 v8, 0
	v_mov_b32_e32 v12, v10
	s_mov_b32 s14, exec_lo
	s_wait_dscnt 0x0
	s_barrier_signal -1
	s_barrier_wait -1
	v_cmpx_lt_u32_e32 31, v0
	s_cbranch_execz .LBB883_94
; %bb.93:
	ds_load_b64 v[8:9], v9 offset:1032
	s_wait_dscnt 0x0
	v_cmp_eq_u32_e64 s13, 0, v8
	s_delay_alu instid0(VALU_DEP_1) | instskip(NEXT) | instid1(VALU_DEP_1)
	v_cndmask_b32_e64 v12, 0, v10, s13
	v_add_nc_u32_e32 v12, v12, v9
.LBB883_94:
	s_or_b32 exec_lo, exec_lo, s14
	v_sub_co_u32 v9, s13, v79, 1
	s_delay_alu instid0(VALU_DEP_1) | instskip(NEXT) | instid1(VALU_DEP_1)
	v_cmp_gt_i32_e64 s14, 0, v9
	v_cndmask_b32_e64 v9, v9, v79, s14
	v_cmp_eq_u32_e64 s14, 0, v6
	s_delay_alu instid0(VALU_DEP_1) | instskip(NEXT) | instid1(VALU_DEP_3)
	v_dual_cndmask_b32 v13, 0, v12, s14 :: v_dual_add_nc_u32 v6, v8, v6
	v_lshlrev_b32_e32 v9, 2, v9
	ds_bpermute_b32 v6, v9, v6
	s_wait_dscnt 0x0
	v_dual_add_nc_u32 v7, v13, v7 :: v_dual_cndmask_b32 v6, v6, v8, s13
	ds_bpermute_b32 v7, v9, v7
	v_cndmask_b32_e64 v58, v6, 0, s2
	s_delay_alu instid0(VALU_DEP_1) | instskip(NEXT) | instid1(VALU_DEP_1)
	v_add_nc_u32_e32 v62, v58, v77
	v_add_nc_u32_e32 v60, v62, v73
	s_delay_alu instid0(VALU_DEP_1) | instskip(SKIP_3) | instid1(VALU_DEP_2)
	v_add_nc_u32_e32 v56, v60, v72
	s_wait_dscnt 0x0
	v_cndmask_b32_e64 v7, v7, v12, s13
	v_cmp_eq_u32_e64 s13, 0, v77
	v_dual_add_nc_u32 v52, v56, v71 :: v_dual_cndmask_b32 v59, v7, v10, s2
	s_delay_alu instid0(VALU_DEP_1) | instskip(NEXT) | instid1(VALU_DEP_1)
	v_cndmask_b32_e64 v7, 0, v59, s13
	v_add_nc_u32_e32 v63, v7, v30
	s_delay_alu instid0(VALU_DEP_1) | instskip(NEXT) | instid1(VALU_DEP_1)
	v_cndmask_b32_e64 v7, 0, v63, s7
	v_add_nc_u32_e32 v61, v7, v31
	s_delay_alu instid0(VALU_DEP_1) | instskip(NEXT) | instid1(VALU_DEP_1)
	v_cndmask_b32_e64 v7, 0, v61, s8
	v_add_nc_u32_e32 v57, v7, v28
	s_delay_alu instid0(VALU_DEP_1) | instskip(NEXT) | instid1(VALU_DEP_1)
	v_cndmask_b32_e64 v7, 0, v57, s9
	v_add_nc_u32_e32 v53, v7, v29
	s_delay_alu instid0(VALU_DEP_1) | instskip(NEXT) | instid1(VALU_DEP_1)
	v_cndmask_b32_e64 v7, 0, v53, s10
	v_add_nc_u32_e32 v49, v7, v26
	s_delay_alu instid0(VALU_DEP_1) | instskip(NEXT) | instid1(VALU_DEP_1)
	v_cndmask_b32_e64 v7, 0, v49, s11
	v_add_nc_u32_e32 v45, v7, v27
	s_delay_alu instid0(VALU_DEP_1) | instskip(NEXT) | instid1(VALU_DEP_1)
	v_cndmask_b32_e64 v7, 0, v45, s12
	v_add_nc_u32_e32 v51, v7, v24
	s_delay_alu instid0(VALU_DEP_1) | instskip(NEXT) | instid1(VALU_DEP_1)
	v_cndmask_b32_e64 v6, 0, v51, s6
	v_add_nc_u32_e32 v55, v6, v25
	s_delay_alu instid0(VALU_DEP_1) | instskip(NEXT) | instid1(VALU_DEP_1)
	v_cndmask_b32_e64 v6, 0, v55, s5
	v_add_nc_u32_e32 v37, v6, v22
	s_delay_alu instid0(VALU_DEP_1) | instskip(NEXT) | instid1(VALU_DEP_1)
	v_dual_add_nc_u32 v48, v52, v70 :: v_dual_cndmask_b32 v6, 0, v37, s4
	v_dual_add_nc_u32 v44, v48, v66 :: v_dual_add_nc_u32 v39, v6, v23
	s_delay_alu instid0(VALU_DEP_1) | instskip(NEXT) | instid1(VALU_DEP_1)
	v_dual_add_nc_u32 v50, v44, v74 :: v_dual_cndmask_b32 v6, 0, v39, s3
	v_add_nc_u32_e32 v43, v6, v20
	s_delay_alu instid0(VALU_DEP_2) | instskip(SKIP_2) | instid1(VALU_DEP_1)
	v_add_nc_u32_e32 v54, v50, v68
	ds_load_b64 v[6:7], v11 offset:1096
	v_dual_cndmask_b32 v8, 0, v43, s1 :: v_dual_add_nc_u32 v36, v54, v64
	v_add_nc_u32_e32 v47, v8, v21
	s_delay_alu instid0(VALU_DEP_1) | instskip(NEXT) | instid1(VALU_DEP_1)
	v_dual_add_nc_u32 v38, v36, v17 :: v_dual_cndmask_b32 v8, 0, v47, vcc_lo
	v_dual_add_nc_u32 v42, v38, v67 :: v_dual_add_nc_u32 v41, v8, v18
	s_delay_alu instid0(VALU_DEP_1) | instskip(SKIP_2) | instid1(VALU_DEP_2)
	v_add_nc_u32_e32 v46, v42, v69
	s_wait_dscnt 0x0
	v_cmp_eq_u32_e32 vcc_lo, 0, v6
	v_dual_cndmask_b32 v9, 0, v10 :: v_dual_add_nc_u32 v40, v46, v65
	s_delay_alu instid0(VALU_DEP_1) | instskip(NEXT) | instid1(VALU_DEP_2)
	v_dual_cndmask_b32 v8, 0, v41, s0 :: v_dual_add_nc_u32 v34, v40, v75
	v_add_nc_u32_e32 v32, v9, v7
	s_delay_alu instid0(VALU_DEP_2)
	v_add_nc_u32_e32 v35, v8, v19
	s_and_saveexec_b32 s0, s2
	s_cbranch_execz .LBB883_96
; %bb.95:
	s_add_nc_u64 s[4:5], s[36:37], 0x200
	v_dual_mov_b32 v8, 2 :: v_dual_mov_b32 v9, 0
	v_mov_b32_e32 v7, v32
	v_mov_b64_e32 v[10:11], s[4:5]
	;;#ASMSTART
	global_store_b128 v[10:11], v[6:9] off scope:SCOPE_DEV	
s_wait_storecnt 0x0
	;;#ASMEND
.LBB883_96:
	s_or_b32 exec_lo, exec_lo, s0
	v_mov_b32_e32 v8, 0
.LBB883_97:
	s_cmp_eq_u64 s[46:47], 0
	v_mov_b64_e32 v[18:19], 0
	s_cselect_b32 s0, -1, 0
	s_delay_alu instid0(SALU_CYCLE_1)
	s_or_b32 s0, s17, s0
	s_barrier_signal -1
	s_and_b32 vcc_lo, exec_lo, s0
	s_barrier_wait -1
	s_cbranch_vccnz .LBB883_99
; %bb.98:
	v_mov_b32_e32 v7, 0
	global_load_b64 v[18:19], v7, s[46:47]
.LBB883_99:
	v_cmp_eq_u32_e32 vcc_lo, 0, v77
	v_cmp_ne_u32_e64 s15, 0, v77
	v_cmp_ne_u32_e64 s14, 0, v73
	;; [unrolled: 1-line block ×4, first 2 shown]
	s_wait_xcnt 0x0
	v_cndmask_b32_e64 v7, 1, 2, vcc_lo
	v_cmp_eq_u32_e32 vcc_lo, 0, v73
	v_cmp_ne_u32_e64 s11, 0, v70
	v_cmp_ne_u32_e64 s10, 0, v66
	;; [unrolled: 1-line block ×4, first 2 shown]
	v_cndmask_b32_e64 v9, 1, 2, vcc_lo
	v_cmp_eq_u32_e32 vcc_lo, 0, v72
	v_cmp_ne_u32_e64 s7, 0, v64
	v_cmp_ne_u32_e64 s6, 0, v17
	;; [unrolled: 1-line block ×4, first 2 shown]
	v_cndmask_b32_e64 v10, 1, 2, vcc_lo
	v_cmp_eq_u32_e32 vcc_lo, 0, v71
	v_cmp_ne_u32_e64 s3, 0, v65
	v_cmp_ne_u32_e64 s1, 0, v75
	;; [unrolled: 1-line block ×3, first 2 shown]
	v_bitop3_b16 v7, v9, v10, v7 bitop3:0x80
	v_cndmask_b32_e64 v12, 1, 2, vcc_lo
	v_cmp_eq_u32_e32 vcc_lo, 0, v70
	s_wait_loadcnt 0x0
	v_lshlrev_b64_e32 v[10:11], 1, v[18:19]
	v_mov_b32_e32 v9, 0
	s_mov_b32 s17, -1
	v_cndmask_b32_e64 v13, 1, 2, vcc_lo
	v_cmp_eq_u32_e32 vcc_lo, 0, v66
	s_delay_alu instid0(VALU_DEP_4) | instskip(NEXT) | instid1(VALU_DEP_3)
	v_add_nc_u64_e32 v[10:11], s[28:29], v[10:11]
	v_bitop3_b16 v7, v7, v13, v12 bitop3:0x80
	v_cndmask_b32_e64 v20, 1, 2, vcc_lo
	v_cmp_eq_u32_e32 vcc_lo, 0, v74
	v_lshlrev_b64_e32 v[12:13], 1, v[8:9]
	v_cndmask_b32_e64 v21, 1, 2, vcc_lo
	v_cmp_eq_u32_e32 vcc_lo, 0, v68
	s_delay_alu instid0(VALU_DEP_2)
	v_bitop3_b16 v7, v7, v21, v20 bitop3:0x80
	v_cndmask_b32_e64 v22, 1, 2, vcc_lo
	v_cmp_eq_u32_e32 vcc_lo, 0, v64
	v_add_nc_u64_e32 v[20:21], v[10:11], v[12:13]
	v_cndmask_b32_e64 v23, 1, 2, vcc_lo
	v_cmp_eq_u32_e32 vcc_lo, 0, v17
	s_delay_alu instid0(VALU_DEP_2) | instskip(SKIP_4) | instid1(VALU_DEP_2)
	v_bitop3_b16 v7, v7, v23, v22 bitop3:0x80
	v_cndmask_b32_e64 v10, 1, 2, vcc_lo
	v_cmp_eq_u32_e32 vcc_lo, 0, v67
	v_cndmask_b32_e64 v11, 1, 2, vcc_lo
	v_cmp_eq_u32_e32 vcc_lo, 0, v69
	v_bitop3_b16 v7, v7, v11, v10 bitop3:0x80
	v_cndmask_b32_e64 v10, 1, 2, vcc_lo
	v_cmp_eq_u32_e32 vcc_lo, 0, v65
	v_cndmask_b32_e64 v11, 1, 2, vcc_lo
	v_cmp_eq_u32_e32 vcc_lo, 0, v75
	s_delay_alu instid0(VALU_DEP_2) | instskip(SKIP_4) | instid1(VALU_DEP_2)
	v_bitop3_b16 v7, v7, v11, v10 bitop3:0x80
	v_cndmask_b32_e64 v10, 1, 2, vcc_lo
	v_cmp_eq_u32_e32 vcc_lo, 0, v76
	v_cndmask_b32_e64 v11, 1, 2, vcc_lo
	v_cmp_gt_u32_e32 vcc_lo, 0x100, v6
	v_bitop3_b16 v7, v7, v11, v10 bitop3:0x80
	s_delay_alu instid0(VALU_DEP_1)
	v_cmp_gt_i16_e64 s16, 2, v7
	s_cbranch_vccz .LBB883_106
; %bb.100:
	s_and_saveexec_b32 s17, s16
	s_cbranch_execz .LBB883_105
; %bb.101:
	s_mov_b32 s18, 0
	s_mov_b32 s16, exec_lo
	v_cmpx_ne_u16_e32 1, v7
	s_xor_b32 s16, exec_lo, s16
	s_cbranch_execnz .LBB883_149
; %bb.102:
	s_and_not1_saveexec_b32 s16, s16
	s_cbranch_execnz .LBB883_165
.LBB883_103:
	s_or_b32 exec_lo, exec_lo, s16
	s_delay_alu instid0(SALU_CYCLE_1)
	s_and_b32 exec_lo, exec_lo, s18
	s_cbranch_execz .LBB883_105
.LBB883_104:
	v_sub_nc_u32_e32 v10, v34, v8
	v_readfirstlane_b32 s18, v20
	v_readfirstlane_b32 s19, v21
	global_store_b16 v10, v1, s[18:19] scale_offset
.LBB883_105:
	s_wait_xcnt 0x0
	s_or_b32 exec_lo, exec_lo, s17
	s_mov_b32 s17, 0
.LBB883_106:
	s_delay_alu instid0(SALU_CYCLE_1)
	s_and_b32 vcc_lo, exec_lo, s17
	s_cbranch_vccz .LBB883_128
; %bb.107:
	s_mov_b32 s16, exec_lo
	v_cmpx_gt_i16_e32 2, v7
	s_cbranch_execz .LBB883_112
; %bb.108:
	s_mov_b32 s18, 0
	s_mov_b32 s17, exec_lo
	v_cmpx_ne_u16_e32 1, v7
	s_xor_b32 s17, exec_lo, s17
	s_cbranch_execnz .LBB883_166
; %bb.109:
	s_and_not1_saveexec_b32 s0, s17
	s_cbranch_execnz .LBB883_182
.LBB883_110:
	s_or_b32 exec_lo, exec_lo, s0
	s_delay_alu instid0(SALU_CYCLE_1)
	s_and_b32 exec_lo, exec_lo, s18
.LBB883_111:
	v_sub_nc_u32_e32 v2, v34, v8
	s_delay_alu instid0(VALU_DEP_1)
	v_lshlrev_b32_e32 v2, 1, v2
	ds_store_b16 v2, v1
.LBB883_112:
	s_or_b32 exec_lo, exec_lo, s16
	s_delay_alu instid0(SALU_CYCLE_1)
	s_mov_b32 s0, exec_lo
	s_wait_storecnt_dscnt 0x0
	s_barrier_signal -1
	s_barrier_wait -1
	v_cmpx_lt_u32_e64 v0, v6
	s_cbranch_execz .LBB883_127
; %bb.113:
	v_xad_u32 v2, v0, -1, v6
	v_mov_b32_e32 v1, v0
	s_mov_b32 s5, -1
	s_mov_b32 s3, exec_lo
	s_delay_alu instid0(VALU_DEP_2)
	v_cmp_gt_u32_e64 s1, 0x1b00, v2
	v_cmpx_lt_u32_e32 0x1aff, v2
	s_cbranch_execz .LBB883_124
; %bb.114:
	v_sub_nc_u32_e32 v1, v0, v6
	s_delay_alu instid0(VALU_DEP_1) | instskip(NEXT) | instid1(VALU_DEP_1)
	v_or_b32_e32 v1, 0xff, v1
	v_cmp_ge_u32_e32 vcc_lo, v1, v0
	v_mov_b32_e32 v1, v0
	s_and_saveexec_b32 s4, vcc_lo
	s_cbranch_execz .LBB883_123
; %bb.115:
	v_lshrrev_b32_e32 v7, 8, v2
	v_or_b32_e32 v3, 0x300, v0
	v_or_b32_e32 v2, 0x200, v0
	;; [unrolled: 1-line block ×3, first 2 shown]
	s_mov_b32 s5, exec_lo
	v_dual_mov_b32 v23, 0 :: v_dual_add_nc_u32 v4, -3, v7
	s_delay_alu instid0(VALU_DEP_3) | instskip(NEXT) | instid1(VALU_DEP_3)
	v_mov_b64_e32 v[12:13], v[2:3]
	v_mov_b64_e32 v[10:11], v[0:1]
	s_delay_alu instid0(VALU_DEP_3) | instskip(NEXT) | instid1(VALU_DEP_1)
	v_lshrrev_b32_e32 v5, 2, v4
	v_dual_lshlrev_b32 v14, 1, v0 :: v_dual_add_nc_u32 v15, 1, v5
	v_cmpx_lt_u32_e32 11, v4
	s_cbranch_execz .LBB883_119
; %bb.116:
	v_mov_b64_e32 v[12:13], v[2:3]
	v_mov_b64_e32 v[10:11], v[0:1]
	v_and_b32_e32 v16, 0x7ffffffc, v15
	v_dual_mov_b32 v5, 0 :: v_dual_mov_b32 v22, v14
	s_mov_b32 s6, 0
	s_mov_b32 s7, 0
.LBB883_117:                            ; =>This Inner Loop Header: Depth=1
	s_delay_alu instid0(VALU_DEP_1) | instskip(SKIP_2) | instid1(VALU_DEP_3)
	v_dual_mov_b32 v4, v10 :: v_dual_mov_b32 v27, v5
	v_add_nc_u32_e32 v16, -4, v16
	v_dual_mov_b32 v79, v5 :: v_dual_add_nc_u32 v26, 0x400, v11
	v_lshl_add_u64 v[86:87], v[4:5], 1, v[20:21]
	v_mov_b32_e32 v4, v11
	ds_load_u16 v1, v22
	ds_load_u16 v33, v22 offset:512
	ds_load_u16 v94, v22 offset:1024
	;; [unrolled: 1-line block ×7, first 2 shown]
	v_dual_mov_b32 v85, v5 :: v_dual_add_nc_u32 v78, 0x800, v11
	s_add_co_i32 s7, s7, 16
	s_delay_alu instid0(SALU_CYCLE_1)
	v_dual_mov_b32 v23, s7 :: v_dual_add_nc_u32 v84, 0xc00, v11
	v_add_nc_u32_e32 v11, 0x1000, v11
	v_lshl_add_u64 v[88:89], v[4:5], 1, v[20:21]
	v_mov_b32_e32 v4, v12
	ds_load_u16 v100, v22 offset:4096
	ds_load_u16 v101, v22 offset:4608
	;; [unrolled: 1-line block ×8, first 2 shown]
	v_dual_mov_b32 v25, v5 :: v_dual_add_nc_u32 v2, 0x400, v13
	v_dual_mov_b32 v31, v5 :: v_dual_add_nc_u32 v28, 0x800, v13
	v_lshl_add_u64 v[90:91], v[4:5], 1, v[20:21]
	v_mov_b32_e32 v4, v13
	v_dual_mov_b32 v83, v5 :: v_dual_add_nc_u32 v80, 0xc00, v13
	v_add_nc_u32_e32 v13, 0x1000, v13
	s_wait_dscnt 0xf
	global_store_b16 v[86:87], v1, off
	s_wait_dscnt 0xe
	global_store_b16 v[88:89], v33, off
	s_wait_dscnt 0xd
	global_store_b16 v[90:91], v94, off
	v_lshl_add_u64 v[92:93], v[4:5], 1, v[20:21]
	v_add_nc_u32_e32 v4, 0x400, v10
	v_dual_mov_b32 v3, v5 :: v_dual_add_nc_u32 v24, 0x400, v12
	v_dual_mov_b32 v29, v5 :: v_dual_add_nc_u32 v30, 0x800, v12
	s_wait_xcnt 0x2
	s_delay_alu instid0(VALU_DEP_3)
	v_lshl_add_u64 v[86:87], v[4:5], 1, v[20:21]
	v_add_nc_u32_e32 v4, 0x800, v10
	v_cmp_eq_u32_e32 vcc_lo, 0, v16
	v_lshl_add_u64 v[26:27], v[26:27], 1, v[20:21]
	s_wait_dscnt 0xc
	global_store_b16 v[92:93], v95, off
	s_wait_dscnt 0xb
	global_store_b16 v[86:87], v96, off
	v_dual_mov_b32 v81, v5 :: v_dual_add_nc_u32 v82, 0xc00, v12
	s_wait_xcnt 0x0
	v_lshl_add_u64 v[86:87], v[4:5], 1, v[20:21]
	v_add_nc_u32_e32 v4, 0xc00, v10
	v_add_nc_u32_e32 v22, 0x2000, v22
	v_lshl_add_u64 v[24:25], v[24:25], 1, v[20:21]
	v_add_nc_u32_e32 v12, 0x1000, v12
	v_add_nc_u32_e32 v10, 0x1000, v10
	v_lshl_add_u64 v[2:3], v[2:3], 1, v[20:21]
	v_lshl_add_u64 v[78:79], v[78:79], 1, v[20:21]
	;; [unrolled: 1-line block ×4, first 2 shown]
	s_or_b32 s6, vcc_lo, s6
	s_wait_dscnt 0xa
	global_store_b16 v[26:27], v97, off
	s_wait_dscnt 0x9
	global_store_b16 v[24:25], v98, off
	;; [unrolled: 2-line block ×3, first 2 shown]
	s_wait_xcnt 0x0
	v_lshl_add_u64 v[2:3], v[4:5], 1, v[20:21]
	v_lshl_add_u64 v[84:85], v[84:85], 1, v[20:21]
	;; [unrolled: 1-line block ×4, first 2 shown]
	s_wait_dscnt 0x7
	global_store_b16 v[86:87], v100, off
	s_wait_dscnt 0x6
	global_store_b16 v[78:79], v101, off
	;; [unrolled: 2-line block ×8, first 2 shown]
	s_wait_xcnt 0x0
	s_and_not1_b32 exec_lo, exec_lo, s6
	s_cbranch_execnz .LBB883_117
; %bb.118:
	s_or_b32 exec_lo, exec_lo, s6
.LBB883_119:
	s_delay_alu instid0(SALU_CYCLE_1) | instskip(NEXT) | instid1(VALU_DEP_2)
	s_or_b32 exec_lo, exec_lo, s5
	v_and_b32_e32 v1, 3, v15
	s_mov_b32 s6, 0
	s_mov_b32 s5, exec_lo
	s_delay_alu instid0(VALU_DEP_1)
	v_cmpx_ne_u32_e32 0, v1
	s_cbranch_execz .LBB883_122
; %bb.120:
	v_lshl_or_b32 v4, v23, 9, v14
	v_mov_b32_e32 v3, 0
.LBB883_121:                            ; =>This Inner Loop Header: Depth=1
	v_dual_mov_b32 v2, v10 :: v_dual_add_nc_u32 v1, -1, v1
	ds_load_u16 v5, v4
	ds_load_u16 v16, v4 offset:512
	ds_load_u16 v28, v4 offset:1024
	;; [unrolled: 1-line block ×3, first 2 shown]
	v_add_nc_u32_e32 v10, 0x400, v10
	v_add_nc_u32_e32 v4, 0x800, v4
	v_lshl_add_u64 v[14:15], v[2:3], 1, v[20:21]
	v_dual_mov_b32 v2, v11 :: v_dual_add_nc_u32 v11, 0x400, v11
	v_cmp_eq_u32_e32 vcc_lo, 0, v1
	s_delay_alu instid0(VALU_DEP_2) | instskip(SKIP_3) | instid1(VALU_DEP_2)
	v_lshl_add_u64 v[22:23], v[2:3], 1, v[20:21]
	v_mov_b32_e32 v2, v12
	v_add_nc_u32_e32 v12, 0x400, v12
	s_or_b32 s6, vcc_lo, s6
	v_lshl_add_u64 v[24:25], v[2:3], 1, v[20:21]
	v_dual_mov_b32 v2, v13 :: v_dual_add_nc_u32 v13, 0x400, v13
	s_delay_alu instid0(VALU_DEP_1)
	v_lshl_add_u64 v[26:27], v[2:3], 1, v[20:21]
	s_wait_dscnt 0x3
	global_store_b16 v[14:15], v5, off
	s_wait_dscnt 0x2
	global_store_b16 v[22:23], v16, off
	;; [unrolled: 2-line block ×4, first 2 shown]
	s_wait_xcnt 0x0
	s_and_not1_b32 exec_lo, exec_lo, s6
	s_cbranch_execnz .LBB883_121
.LBB883_122:
	s_or_b32 exec_lo, exec_lo, s5
	v_add_nc_u32_e32 v1, 1, v7
	s_delay_alu instid0(VALU_DEP_1) | instskip(NEXT) | instid1(VALU_DEP_1)
	v_and_b32_e32 v2, 0x1fffffc, v1
	v_cmp_ne_u32_e32 vcc_lo, v1, v2
	v_lshl_or_b32 v1, v2, 8, v0
	s_or_not1_b32 s5, vcc_lo, exec_lo
.LBB883_123:
	s_or_b32 exec_lo, exec_lo, s4
	s_delay_alu instid0(SALU_CYCLE_1) | instskip(SKIP_1) | instid1(SALU_CYCLE_1)
	s_and_not1_b32 s1, s1, exec_lo
	s_and_b32 s4, s5, exec_lo
	s_or_b32 s1, s1, s4
.LBB883_124:
	s_or_b32 exec_lo, exec_lo, s3
	s_delay_alu instid0(SALU_CYCLE_1)
	s_and_b32 exec_lo, exec_lo, s1
	s_cbranch_execz .LBB883_127
; %bb.125:
	v_lshlrev_b32_e32 v2, 1, v1
	s_mov_b32 s1, 0
.LBB883_126:                            ; =>This Inner Loop Header: Depth=1
	ds_load_u16 v3, v2
	v_readfirstlane_b32 s4, v20
	v_readfirstlane_b32 s5, v21
	v_add_nc_u32_e32 v2, 0x200, v2
	s_wait_dscnt 0x0
	global_store_b16 v1, v3, s[4:5] scale_offset
	s_wait_xcnt 0x0
	v_add_nc_u32_e32 v1, 0x100, v1
	s_delay_alu instid0(VALU_DEP_1) | instskip(SKIP_1) | instid1(SALU_CYCLE_1)
	v_cmp_ge_u32_e32 vcc_lo, v1, v6
	s_or_b32 s1, vcc_lo, s1
	s_and_not1_b32 exec_lo, exec_lo, s1
	s_cbranch_execnz .LBB883_126
.LBB883_127:
	s_or_b32 exec_lo, exec_lo, s0
.LBB883_128:
	s_cmp_lg_u32 s33, 0xf00
	v_cndmask_b32_e64 v7, 0, 1, s41
	s_cselect_b32 s0, -1, 0
	v_mad_i32_i24 v3, v0, -15, s33
	s_and_b32 s0, s0, s27
	s_and_b32 s1, s2, s41
	v_cndmask_b32_e64 v2, 0, 1, s0
	s_mul_hi_u32 s0, s33, 0x88888889
	v_cndmask_b32_e64 v4, v77, 0, s1
	s_lshr_b32 s0, s0, 3
	s_mov_b32 s16, -1
	v_cmp_eq_u32_e32 vcc_lo, s0, v0
	v_cmp_ne_u32_e64 s0, 0, v3
	v_sub_nc_u32_e32 v1, v6, v7
	s_wait_storecnt 0x0
	s_barrier_signal -1
	s_and_b32 vcc_lo, vcc_lo, s27
	s_barrier_wait -1
	v_dual_add_nc_u32 v1, v1, v2 :: v_dual_cndmask_b32 v2, 1, v4, s0
	v_cmp_ne_u32_e64 s0, 1, v3
	s_delay_alu instid0(VALU_DEP_1) | instskip(SKIP_1) | instid1(VALU_DEP_2)
	v_cndmask_b32_e64 v5, 1, v73, s0
	v_cmp_ne_u32_e64 s0, 2, v3
	v_dual_cndmask_b32 v26, v4, v2 :: v_dual_cndmask_b32 v27, v73, v5
	s_delay_alu instid0(VALU_DEP_2) | instskip(SKIP_2) | instid1(VALU_DEP_4)
	v_cndmask_b32_e64 v10, 1, v72, s0
	v_cmp_ne_u32_e64 s0, 3, v3
	v_lshlrev_b64_e32 v[4:5], 3, v[8:9]
	v_cmp_ne_u32_e64 s14, 0, v26
	v_cmp_ne_u32_e64 s13, 0, v27
	s_delay_alu instid0(VALU_DEP_4) | instskip(SKIP_1) | instid1(VALU_DEP_1)
	v_cndmask_b32_e64 v11, 1, v71, s0
	v_cmp_ne_u32_e64 s0, 4, v3
	v_dual_cndmask_b32 v11, v71, v11, vcc_lo :: v_dual_cndmask_b32 v12, 1, v70, s0
	v_cmp_ne_u32_e64 s0, 5, v3
	s_delay_alu instid0(VALU_DEP_2) | instskip(NEXT) | instid1(VALU_DEP_2)
	v_cmp_ne_u32_e64 s11, 0, v11
	v_cndmask_b32_e64 v13, 1, v66, s0
	v_cmp_ne_u32_e64 s0, 6, v3
	s_delay_alu instid0(VALU_DEP_1) | instskip(SKIP_1) | instid1(VALU_DEP_1)
	v_cndmask_b32_e64 v14, 1, v74, s0
	v_cmp_ne_u32_e64 s0, 7, v3
	v_cndmask_b32_e64 v15, 1, v68, s0
	v_cmp_ne_u32_e64 s0, 8, v3
	v_dual_cndmask_b32 v10, v72, v10, vcc_lo :: v_dual_cndmask_b32 v12, v70, v12, vcc_lo
	s_delay_alu instid0(VALU_DEP_2) | instskip(SKIP_2) | instid1(VALU_DEP_4)
	v_dual_cndmask_b32 v15, v68, v15, vcc_lo :: v_dual_cndmask_b32 v16, 1, v64, s0
	v_cmp_ne_u32_e64 s0, 9, v3
	v_cndmask_b32_e32 v13, v66, v13, vcc_lo
	v_cmp_ne_u32_e64 s12, 0, v10
	v_cmp_ne_u32_e64 s10, 0, v12
	s_delay_alu instid0(VALU_DEP_4) | instskip(SKIP_3) | instid1(VALU_DEP_4)
	v_dual_cndmask_b32 v16, v64, v16, vcc_lo :: v_dual_cndmask_b32 v20, 1, v17, s0
	v_cmp_ne_u32_e64 s0, 10, v3
	v_cndmask_b32_e32 v14, v74, v14, vcc_lo
	v_cmp_ne_u32_e64 s7, 0, v15
	v_cmp_ne_u32_e64 s6, 0, v16
	s_delay_alu instid0(VALU_DEP_4) | instskip(SKIP_2) | instid1(VALU_DEP_2)
	v_cndmask_b32_e64 v21, 1, v67, s0
	v_cmp_ne_u32_e64 s0, 12, v3
	v_cmp_ne_u32_e64 s8, 0, v14
	v_cndmask_b32_e64 v22, 1, v65, s0
	v_cmp_ne_u32_e64 s0, 14, v3
	v_dual_cndmask_b32 v17, v17, v20 :: v_dual_cndmask_b32 v20, v67, v21
	s_delay_alu instid0(VALU_DEP_2) | instskip(SKIP_1) | instid1(VALU_DEP_3)
	v_dual_cndmask_b32 v22, v65, v22, vcc_lo :: v_dual_cndmask_b32 v23, 1, v76, s0
	v_cmp_ne_u32_e64 s0, 13, v3
	v_cmp_ne_u32_e64 s5, 0, v17
	s_delay_alu instid0(VALU_DEP_4) | instskip(NEXT) | instid1(VALU_DEP_4)
	v_cmp_ne_u32_e64 s4, 0, v20
	v_cmp_ne_u32_e64 s2, 0, v22
	s_delay_alu instid0(VALU_DEP_4) | instskip(SKIP_2) | instid1(VALU_DEP_3)
	v_cndmask_b32_e64 v24, 1, v75, s0
	v_cmp_ne_u32_e64 s0, 11, v3
	v_lshlrev_b64_e32 v[2:3], 3, v[18:19]
	v_dual_cndmask_b32 v23, v76, v23 :: v_dual_cndmask_b32 v24, v75, v24
	s_delay_alu instid0(VALU_DEP_3) | instskip(SKIP_1) | instid1(VALU_DEP_4)
	v_cndmask_b32_e64 v25, 1, v69, s0
	v_cmp_eq_u32_e64 s0, 0, v26
	v_add_nc_u64_e32 v[2:3], s[30:31], v[2:3]
	s_delay_alu instid0(VALU_DEP_4) | instskip(NEXT) | instid1(VALU_DEP_4)
	v_cmp_ne_u32_e64 s1, 0, v24
	v_cndmask_b32_e32 v25, v69, v25, vcc_lo
	s_delay_alu instid0(VALU_DEP_4) | instskip(SKIP_4) | instid1(VALU_DEP_4)
	v_cndmask_b32_e64 v28, 1, 2, s0
	v_cmp_eq_u32_e64 s0, 0, v27
	v_cmp_eq_u32_e32 vcc_lo, 0, v17
	v_add_nc_u64_e32 v[2:3], v[2:3], v[4:5]
	v_lshlrev_b32_e32 v4, 3, v7
	v_cndmask_b32_e64 v29, 1, 2, s0
	v_cmp_eq_u32_e64 s0, 0, v10
	v_dual_mov_b32 v5, 0 :: v_dual_add_nc_u32 v7, v8, v7
	v_cmp_ne_u32_e64 s9, 0, v13
	v_cmp_ne_u32_e64 s3, 0, v25
	s_delay_alu instid0(VALU_DEP_4) | instskip(SKIP_2) | instid1(VALU_DEP_3)
	v_cndmask_b32_e64 v30, 1, 2, s0
	v_cmp_eq_u32_e64 s0, 0, v11
	v_add_nc_u64_e32 v[4:5], v[2:3], v[4:5]
	v_bitop3_b16 v28, v29, v30, v28 bitop3:0x80
	s_delay_alu instid0(VALU_DEP_3) | instskip(SKIP_1) | instid1(VALU_DEP_4)
	v_cndmask_b32_e64 v29, 1, 2, s0
	v_cmp_eq_u32_e64 s0, 0, v12
	v_add_nc_u64_e32 v[4:5], -8, v[4:5]
	s_delay_alu instid0(VALU_DEP_2) | instskip(SKIP_1) | instid1(VALU_DEP_2)
	v_cndmask_b32_e64 v30, 1, 2, s0
	v_cmp_eq_u32_e64 s0, 0, v13
	v_bitop3_b16 v28, v28, v30, v29 bitop3:0x80
	s_delay_alu instid0(VALU_DEP_2) | instskip(SKIP_1) | instid1(VALU_DEP_1)
	v_cndmask_b32_e64 v29, 1, 2, s0
	v_cmp_eq_u32_e64 s0, 0, v14
	v_cndmask_b32_e64 v30, 1, 2, s0
	v_cmp_eq_u32_e64 s0, 0, v15
	s_delay_alu instid0(VALU_DEP_2) | instskip(NEXT) | instid1(VALU_DEP_2)
	v_bitop3_b16 v28, v28, v30, v29 bitop3:0x80
	v_cndmask_b32_e64 v29, 1, 2, s0
	v_cmp_eq_u32_e64 s0, 0, v16
	s_delay_alu instid0(VALU_DEP_1) | instskip(SKIP_1) | instid1(VALU_DEP_2)
	v_cndmask_b32_e64 v30, 1, 2, s0
	v_cmp_ne_u32_e64 s0, 0, v23
	v_bitop3_b16 v21, v28, v30, v29 bitop3:0x80
	v_cndmask_b32_e64 v28, 1, 2, vcc_lo
	v_cmp_eq_u32_e32 vcc_lo, 0, v20
	v_cndmask_b32_e64 v29, 1, 2, vcc_lo
	v_cmp_eq_u32_e32 vcc_lo, 0, v25
	s_delay_alu instid0(VALU_DEP_2) | instskip(SKIP_4) | instid1(VALU_DEP_2)
	v_bitop3_b16 v10, v21, v29, v28 bitop3:0x80
	v_cndmask_b32_e64 v11, 1, 2, vcc_lo
	v_cmp_eq_u32_e32 vcc_lo, 0, v22
	v_cndmask_b32_e64 v21, 1, 2, vcc_lo
	v_cmp_eq_u32_e32 vcc_lo, 0, v24
	v_bitop3_b16 v10, v10, v21, v11 bitop3:0x80
	v_cndmask_b32_e64 v11, 1, 2, vcc_lo
	v_cmp_eq_u32_e32 vcc_lo, 0, v23
	v_cndmask_b32_e64 v12, 1, 2, vcc_lo
	v_cmp_gt_u32_e32 vcc_lo, 0x100, v1
	s_delay_alu instid0(VALU_DEP_2) | instskip(NEXT) | instid1(VALU_DEP_1)
	v_bitop3_b16 v10, v10, v12, v11 bitop3:0x80
	v_cmp_gt_i16_e64 s15, 2, v10
	s_cbranch_vccnz .LBB883_132
; %bb.129:
	s_and_b32 vcc_lo, exec_lo, s16
	s_cbranch_vccnz .LBB883_138
.LBB883_130:
	v_cmp_eq_u32_e32 vcc_lo, 0xff, v0
	s_and_b32 s0, vcc_lo, s27
	s_delay_alu instid0(SALU_CYCLE_1)
	s_and_saveexec_b32 s1, s0
	s_cbranch_execnz .LBB883_147
.LBB883_131:
	s_sendmsg sendmsg(MSG_DEALLOC_VGPRS)
	s_endpgm
.LBB883_132:
	s_and_saveexec_b32 s16, s15
	s_cbranch_execz .LBB883_137
; %bb.133:
	s_mov_b32 s17, 0
	s_mov_b32 s15, exec_lo
	v_cmpx_ne_u16_e32 1, v10
	s_xor_b32 s15, exec_lo, s15
	s_cbranch_execnz .LBB883_183
; %bb.134:
	s_and_not1_saveexec_b32 s15, s15
	s_cbranch_execnz .LBB883_199
.LBB883_135:
	s_or_b32 exec_lo, exec_lo, s15
	s_delay_alu instid0(SALU_CYCLE_1)
	s_and_b32 exec_lo, exec_lo, s17
	s_cbranch_execz .LBB883_137
.LBB883_136:
	v_dual_mov_b32 v13, 0 :: v_dual_mov_b32 v12, v35
	v_sub_nc_u32_e32 v11, v34, v7
	v_readfirstlane_b32 s18, v4
	v_readfirstlane_b32 s19, v5
	global_store_b64 v11, v[12:13], s[18:19] scale_offset
.LBB883_137:
	s_wait_xcnt 0x0
	s_or_b32 exec_lo, exec_lo, s16
	s_branch .LBB883_130
.LBB883_138:
	s_mov_b32 s15, exec_lo
	v_cmpx_gt_i16_e32 2, v10
	s_cbranch_execz .LBB883_143
; %bb.139:
	s_mov_b32 s17, 0
	s_mov_b32 s16, exec_lo
	v_cmpx_ne_u16_e32 1, v10
	s_xor_b32 s16, exec_lo, s16
	s_cbranch_execnz .LBB883_200
; %bb.140:
	s_and_not1_saveexec_b32 s0, s16
	s_cbranch_execnz .LBB883_216
.LBB883_141:
	s_or_b32 exec_lo, exec_lo, s0
	s_delay_alu instid0(SALU_CYCLE_1)
	s_and_b32 exec_lo, exec_lo, s17
.LBB883_142:
	v_sub_nc_u32_e32 v7, v34, v7
	s_delay_alu instid0(VALU_DEP_1)
	v_lshlrev_b32_e32 v7, 2, v7
	ds_store_b32 v7, v35
.LBB883_143:
	s_or_b32 exec_lo, exec_lo, s15
	s_delay_alu instid0(SALU_CYCLE_1)
	s_mov_b32 s0, exec_lo
	s_wait_storecnt_dscnt 0x0
	s_barrier_signal -1
	s_barrier_wait -1
	v_cmpx_lt_u32_e64 v0, v1
	s_cbranch_execz .LBB883_146
; %bb.144:
	v_dual_lshlrev_b32 v7, 2, v0 :: v_dual_mov_b32 v11, 0
	v_mov_b32_e32 v12, v0
	s_mov_b32 s1, 0
.LBB883_145:                            ; =>This Inner Loop Header: Depth=1
	ds_load_b32 v10, v7
	v_readfirstlane_b32 s2, v4
	v_readfirstlane_b32 s3, v5
	v_add_nc_u32_e32 v7, 0x400, v7
	s_wait_dscnt 0x0
	global_store_b64 v12, v[10:11], s[2:3] scale_offset
	s_wait_xcnt 0x0
	v_add_nc_u32_e32 v12, 0x100, v12
	s_delay_alu instid0(VALU_DEP_1) | instskip(SKIP_1) | instid1(SALU_CYCLE_1)
	v_cmp_ge_u32_e32 vcc_lo, v12, v1
	s_or_b32 s1, vcc_lo, s1
	s_and_not1_b32 exec_lo, exec_lo, s1
	s_cbranch_execnz .LBB883_145
.LBB883_146:
	s_or_b32 exec_lo, exec_lo, s0
	v_cmp_eq_u32_e32 vcc_lo, 0xff, v0
	s_and_b32 s0, vcc_lo, s27
	s_delay_alu instid0(SALU_CYCLE_1)
	s_and_saveexec_b32 s1, s0
	s_cbranch_execz .LBB883_131
.LBB883_147:
	v_mov_b32_e32 v7, 0
	s_cmp_lg_u32 s33, 0xf00
	s_delay_alu instid0(VALU_DEP_1) | instskip(NEXT) | instid1(VALU_DEP_1)
	v_add_nc_u64_e32 v[0:1], v[6:7], v[8:9]
	v_add_nc_u64_e32 v[0:1], v[0:1], v[18:19]
	global_store_b64 v7, v[0:1], s[34:35]
	s_cbranch_scc1 .LBB883_131
; %bb.148:
	s_wait_xcnt 0x0
	v_lshlrev_b64_e32 v[0:1], 3, v[6:7]
	v_mov_b32_e32 v33, v7
	s_delay_alu instid0(VALU_DEP_2)
	v_add_nc_u64_e32 v[0:1], v[2:3], v[0:1]
	global_store_b64 v[0:1], v[32:33], off offset:-8
	s_sendmsg sendmsg(MSG_DEALLOC_VGPRS)
	s_endpgm
.LBB883_149:
	s_and_saveexec_b32 s18, s15
	s_cbranch_execnz .LBB883_217
; %bb.150:
	s_or_b32 exec_lo, exec_lo, s18
	s_and_saveexec_b32 s18, s14
	s_cbranch_execnz .LBB883_218
.LBB883_151:
	s_or_b32 exec_lo, exec_lo, s18
	s_and_saveexec_b32 s18, s13
	s_cbranch_execnz .LBB883_219
.LBB883_152:
	s_or_b32 exec_lo, exec_lo, s18
	s_and_saveexec_b32 s18, s12
	s_cbranch_execnz .LBB883_220
.LBB883_153:
	s_or_b32 exec_lo, exec_lo, s18
	s_and_saveexec_b32 s18, s11
	s_cbranch_execnz .LBB883_221
.LBB883_154:
	s_or_b32 exec_lo, exec_lo, s18
	s_and_saveexec_b32 s18, s10
	s_cbranch_execnz .LBB883_222
.LBB883_155:
	s_or_b32 exec_lo, exec_lo, s18
	s_and_saveexec_b32 s18, s9
	s_cbranch_execnz .LBB883_223
.LBB883_156:
	s_or_b32 exec_lo, exec_lo, s18
	s_and_saveexec_b32 s18, s8
	s_cbranch_execnz .LBB883_224
.LBB883_157:
	s_or_b32 exec_lo, exec_lo, s18
	s_and_saveexec_b32 s18, s7
	s_cbranch_execnz .LBB883_225
.LBB883_158:
	s_or_b32 exec_lo, exec_lo, s18
	s_and_saveexec_b32 s18, s6
	s_cbranch_execnz .LBB883_226
.LBB883_159:
	s_or_b32 exec_lo, exec_lo, s18
	s_and_saveexec_b32 s18, s5
	s_cbranch_execnz .LBB883_227
.LBB883_160:
	s_or_b32 exec_lo, exec_lo, s18
	s_and_saveexec_b32 s18, s4
	s_cbranch_execnz .LBB883_228
.LBB883_161:
	s_or_b32 exec_lo, exec_lo, s18
	s_and_saveexec_b32 s18, s3
	s_cbranch_execnz .LBB883_229
.LBB883_162:
	s_or_b32 exec_lo, exec_lo, s18
	s_and_saveexec_b32 s18, s1
	s_cbranch_execz .LBB883_164
.LBB883_163:
	v_sub_nc_u32_e32 v10, v40, v8
	v_readfirstlane_b32 s20, v20
	v_readfirstlane_b32 s21, v21
	global_store_d16_hi_b16 v10, v16, s[20:21] scale_offset
.LBB883_164:
	s_wait_xcnt 0x0
	s_or_b32 exec_lo, exec_lo, s18
	s_delay_alu instid0(SALU_CYCLE_1)
	s_and_b32 s18, s0, exec_lo
	s_and_not1_saveexec_b32 s16, s16
	s_cbranch_execz .LBB883_103
.LBB883_165:
	v_dual_sub_nc_u32 v10, v58, v8 :: v_dual_sub_nc_u32 v12, v60, v8
	v_readfirstlane_b32 s20, v20
	v_readfirstlane_b32 s21, v21
	v_dual_sub_nc_u32 v11, v62, v8 :: v_dual_sub_nc_u32 v13, v56, v8
	s_clause 0x2
	global_store_b16 v10, v2, s[20:21] scale_offset
	global_store_d16_hi_b16 v11, v2, s[20:21] scale_offset
	global_store_b16 v12, v3, s[20:21] scale_offset
	s_wait_xcnt 0x2
	v_sub_nc_u32_e32 v10, v52, v8
	s_wait_xcnt 0x1
	v_sub_nc_u32_e32 v11, v48, v8
	;; [unrolled: 2-line block ×3, first 2 shown]
	global_store_d16_hi_b16 v13, v3, s[20:21] scale_offset
	s_wait_xcnt 0x0
	v_sub_nc_u32_e32 v13, v50, v8
	global_store_b16 v10, v4, s[20:21] scale_offset
	s_wait_xcnt 0x0
	v_sub_nc_u32_e32 v10, v54, v8
	s_clause 0x2
	global_store_d16_hi_b16 v11, v4, s[20:21] scale_offset
	global_store_b16 v12, v5, s[20:21] scale_offset
	global_store_d16_hi_b16 v13, v5, s[20:21] scale_offset
	s_wait_xcnt 0x1
	v_dual_sub_nc_u32 v11, v36, v8 :: v_dual_sub_nc_u32 v12, v42, v8
	s_wait_xcnt 0x0
	v_sub_nc_u32_e32 v13, v46, v8
	global_store_b16 v10, v14, s[20:21] scale_offset
	s_wait_xcnt 0x0
	v_sub_nc_u32_e32 v10, v38, v8
	global_store_d16_hi_b16 v11, v14, s[20:21] scale_offset
	s_wait_xcnt 0x0
	v_sub_nc_u32_e32 v11, v40, v8
	s_or_b32 s18, s18, exec_lo
	s_clause 0x3
	global_store_b16 v10, v15, s[20:21] scale_offset
	global_store_d16_hi_b16 v12, v15, s[20:21] scale_offset
	global_store_b16 v13, v16, s[20:21] scale_offset
	global_store_d16_hi_b16 v11, v16, s[20:21] scale_offset
	s_wait_xcnt 0x0
	s_or_b32 exec_lo, exec_lo, s16
	s_delay_alu instid0(SALU_CYCLE_1)
	s_and_b32 exec_lo, exec_lo, s18
	s_cbranch_execnz .LBB883_104
	s_branch .LBB883_105
.LBB883_166:
	s_and_saveexec_b32 s18, s15
	s_cbranch_execnz .LBB883_230
; %bb.167:
	s_or_b32 exec_lo, exec_lo, s18
	s_and_saveexec_b32 s15, s14
	s_cbranch_execnz .LBB883_231
.LBB883_168:
	s_or_b32 exec_lo, exec_lo, s15
	s_and_saveexec_b32 s14, s13
	s_cbranch_execnz .LBB883_232
.LBB883_169:
	s_or_b32 exec_lo, exec_lo, s14
	s_and_saveexec_b32 s13, s12
	s_cbranch_execnz .LBB883_233
.LBB883_170:
	s_or_b32 exec_lo, exec_lo, s13
	s_and_saveexec_b32 s12, s11
	s_cbranch_execnz .LBB883_234
.LBB883_171:
	s_or_b32 exec_lo, exec_lo, s12
	s_and_saveexec_b32 s11, s10
	s_cbranch_execnz .LBB883_235
.LBB883_172:
	s_or_b32 exec_lo, exec_lo, s11
	s_and_saveexec_b32 s10, s9
	s_cbranch_execnz .LBB883_236
.LBB883_173:
	s_or_b32 exec_lo, exec_lo, s10
	s_and_saveexec_b32 s9, s8
	s_cbranch_execnz .LBB883_237
.LBB883_174:
	s_or_b32 exec_lo, exec_lo, s9
	s_and_saveexec_b32 s8, s7
	s_cbranch_execnz .LBB883_238
.LBB883_175:
	s_or_b32 exec_lo, exec_lo, s8
	s_and_saveexec_b32 s7, s6
	s_cbranch_execnz .LBB883_239
.LBB883_176:
	s_or_b32 exec_lo, exec_lo, s7
	s_and_saveexec_b32 s6, s5
	s_cbranch_execnz .LBB883_240
.LBB883_177:
	s_or_b32 exec_lo, exec_lo, s6
	s_and_saveexec_b32 s5, s4
	s_cbranch_execnz .LBB883_241
.LBB883_178:
	s_or_b32 exec_lo, exec_lo, s5
	s_and_saveexec_b32 s4, s3
	s_cbranch_execnz .LBB883_242
.LBB883_179:
	s_or_b32 exec_lo, exec_lo, s4
	s_and_saveexec_b32 s3, s1
.LBB883_180:
	v_sub_nc_u32_e32 v2, v40, v8
	s_delay_alu instid0(VALU_DEP_1)
	v_lshlrev_b32_e32 v2, 1, v2
	ds_store_b16_d16_hi v2, v16
.LBB883_181:
	s_or_b32 exec_lo, exec_lo, s3
	s_delay_alu instid0(SALU_CYCLE_1)
	s_and_b32 s18, s0, exec_lo
                                        ; implicit-def: $vgpr2
                                        ; implicit-def: $vgpr14
	s_and_not1_saveexec_b32 s0, s17
	s_cbranch_execz .LBB883_110
.LBB883_182:
	v_dual_sub_nc_u32 v7, v58, v8 :: v_dual_sub_nc_u32 v11, v60, v8
	v_dual_sub_nc_u32 v10, v62, v8 :: v_dual_sub_nc_u32 v12, v56, v8
	s_or_b32 s18, s18, exec_lo
	s_delay_alu instid0(VALU_DEP_2) | instskip(NEXT) | instid1(VALU_DEP_2)
	v_lshlrev_b32_e32 v7, 1, v7
	v_dual_lshlrev_b32 v11, 1, v11 :: v_dual_lshlrev_b32 v10, 1, v10
	s_delay_alu instid0(VALU_DEP_3)
	v_lshlrev_b32_e32 v12, 1, v12
	ds_store_b16 v7, v2
	ds_store_b16_d16_hi v10, v2
	ds_store_b16 v11, v3
	v_dual_sub_nc_u32 v2, v52, v8 :: v_dual_sub_nc_u32 v10, v50, v8
	ds_store_b16_d16_hi v12, v3
	v_sub_nc_u32_e32 v3, v48, v8
	v_dual_sub_nc_u32 v7, v44, v8 :: v_dual_sub_nc_u32 v11, v54, v8
	v_lshlrev_b32_e32 v2, 1, v2
	s_delay_alu instid0(VALU_DEP_3) | instskip(NEXT) | instid1(VALU_DEP_3)
	v_dual_lshlrev_b32 v10, 1, v10 :: v_dual_lshlrev_b32 v3, 1, v3
	v_lshlrev_b32_e32 v7, 1, v7
	ds_store_b16 v2, v4
	v_lshlrev_b32_e32 v2, 1, v11
	ds_store_b16_d16_hi v3, v4
	ds_store_b16 v7, v5
	ds_store_b16_d16_hi v10, v5
	v_dual_sub_nc_u32 v3, v36, v8 :: v_dual_sub_nc_u32 v4, v42, v8
	v_dual_sub_nc_u32 v5, v46, v8 :: v_dual_sub_nc_u32 v7, v40, v8
	ds_store_b16 v2, v14
	v_dual_sub_nc_u32 v2, v38, v8 :: v_dual_lshlrev_b32 v3, 1, v3
	v_dual_lshlrev_b32 v5, 1, v5 :: v_dual_lshlrev_b32 v4, 1, v4
	s_delay_alu instid0(VALU_DEP_2)
	v_lshlrev_b32_e32 v2, 1, v2
	ds_store_b16_d16_hi v3, v14
	v_lshlrev_b32_e32 v3, 1, v7
	ds_store_b16 v2, v15
	ds_store_b16_d16_hi v4, v15
	ds_store_b16 v5, v16
	ds_store_b16_d16_hi v3, v16
	s_or_b32 exec_lo, exec_lo, s0
	s_delay_alu instid0(SALU_CYCLE_1)
	s_and_b32 exec_lo, exec_lo, s18
	s_cbranch_execnz .LBB883_111
	s_branch .LBB883_112
.LBB883_183:
	s_and_saveexec_b32 s17, s14
	s_cbranch_execnz .LBB883_243
; %bb.184:
	s_or_b32 exec_lo, exec_lo, s17
	s_and_saveexec_b32 s17, s13
	s_cbranch_execnz .LBB883_244
.LBB883_185:
	s_or_b32 exec_lo, exec_lo, s17
	s_and_saveexec_b32 s17, s12
	s_cbranch_execnz .LBB883_245
.LBB883_186:
	s_or_b32 exec_lo, exec_lo, s17
	s_and_saveexec_b32 s17, s11
	s_cbranch_execnz .LBB883_246
.LBB883_187:
	s_or_b32 exec_lo, exec_lo, s17
	s_and_saveexec_b32 s17, s10
	s_cbranch_execnz .LBB883_247
.LBB883_188:
	s_or_b32 exec_lo, exec_lo, s17
	s_and_saveexec_b32 s17, s9
	s_cbranch_execnz .LBB883_248
.LBB883_189:
	s_or_b32 exec_lo, exec_lo, s17
	s_and_saveexec_b32 s17, s8
	s_cbranch_execnz .LBB883_249
.LBB883_190:
	s_or_b32 exec_lo, exec_lo, s17
	s_and_saveexec_b32 s17, s7
	s_cbranch_execnz .LBB883_250
.LBB883_191:
	s_or_b32 exec_lo, exec_lo, s17
	s_and_saveexec_b32 s17, s6
	s_cbranch_execnz .LBB883_251
.LBB883_192:
	s_or_b32 exec_lo, exec_lo, s17
	s_and_saveexec_b32 s17, s5
	s_cbranch_execnz .LBB883_252
.LBB883_193:
	s_or_b32 exec_lo, exec_lo, s17
	s_and_saveexec_b32 s17, s4
	s_cbranch_execnz .LBB883_253
.LBB883_194:
	s_or_b32 exec_lo, exec_lo, s17
	s_and_saveexec_b32 s17, s3
	s_cbranch_execnz .LBB883_254
.LBB883_195:
	s_or_b32 exec_lo, exec_lo, s17
	s_and_saveexec_b32 s17, s2
	s_cbranch_execnz .LBB883_255
.LBB883_196:
	s_or_b32 exec_lo, exec_lo, s17
	s_and_saveexec_b32 s17, s1
	s_cbranch_execz .LBB883_198
.LBB883_197:
	v_dual_sub_nc_u32 v11, v40, v7 :: v_dual_mov_b32 v13, 0
	v_mov_b32_e32 v12, v41
	v_readfirstlane_b32 s18, v4
	v_readfirstlane_b32 s19, v5
	global_store_b64 v11, v[12:13], s[18:19] scale_offset
.LBB883_198:
	s_wait_xcnt 0x0
	s_or_b32 exec_lo, exec_lo, s17
	s_delay_alu instid0(SALU_CYCLE_1)
	s_and_b32 s17, s0, exec_lo
	s_and_not1_saveexec_b32 s15, s15
	s_cbranch_execz .LBB883_135
.LBB883_199:
	v_dual_mov_b32 v13, 0 :: v_dual_mov_b32 v12, v59
	v_sub_nc_u32_e32 v11, v58, v7
	v_readfirstlane_b32 s18, v4
	v_readfirstlane_b32 s19, v5
	v_sub_nc_u32_e32 v14, v60, v7
	s_or_b32 s17, s17, exec_lo
	global_store_b64 v11, v[12:13], s[18:19] scale_offset
	s_wait_xcnt 0x0
	v_dual_mov_b32 v12, v63 :: v_dual_sub_nc_u32 v11, v62, v7
	global_store_b64 v11, v[12:13], s[18:19] scale_offset
	s_wait_xcnt 0x0
	v_dual_mov_b32 v12, v61 :: v_dual_sub_nc_u32 v11, v56, v7
	;; [unrolled: 3-line block ×12, first 2 shown]
	global_store_b64 v14, v[12:13], s[18:19] scale_offset
	s_wait_xcnt 0x0
	v_mov_b32_e32 v12, v41
	global_store_b64 v11, v[12:13], s[18:19] scale_offset
	s_wait_xcnt 0x0
	s_or_b32 exec_lo, exec_lo, s15
	s_delay_alu instid0(SALU_CYCLE_1)
	s_and_b32 exec_lo, exec_lo, s17
	s_cbranch_execnz .LBB883_136
	s_branch .LBB883_137
.LBB883_200:
	s_and_saveexec_b32 s17, s14
	s_cbranch_execnz .LBB883_256
; %bb.201:
	s_or_b32 exec_lo, exec_lo, s17
	s_and_saveexec_b32 s14, s13
	s_cbranch_execnz .LBB883_257
.LBB883_202:
	s_or_b32 exec_lo, exec_lo, s14
	s_and_saveexec_b32 s13, s12
	s_cbranch_execnz .LBB883_258
.LBB883_203:
	s_or_b32 exec_lo, exec_lo, s13
	s_and_saveexec_b32 s12, s11
	s_cbranch_execnz .LBB883_259
.LBB883_204:
	s_or_b32 exec_lo, exec_lo, s12
	s_and_saveexec_b32 s11, s10
	s_cbranch_execnz .LBB883_260
.LBB883_205:
	s_or_b32 exec_lo, exec_lo, s11
	s_and_saveexec_b32 s10, s9
	s_cbranch_execnz .LBB883_261
.LBB883_206:
	s_or_b32 exec_lo, exec_lo, s10
	s_and_saveexec_b32 s9, s8
	s_cbranch_execnz .LBB883_262
.LBB883_207:
	s_or_b32 exec_lo, exec_lo, s9
	s_and_saveexec_b32 s8, s7
	s_cbranch_execnz .LBB883_263
.LBB883_208:
	s_or_b32 exec_lo, exec_lo, s8
	s_and_saveexec_b32 s7, s6
	s_cbranch_execnz .LBB883_264
.LBB883_209:
	s_or_b32 exec_lo, exec_lo, s7
	s_and_saveexec_b32 s6, s5
	s_cbranch_execnz .LBB883_265
.LBB883_210:
	s_or_b32 exec_lo, exec_lo, s6
	s_and_saveexec_b32 s5, s4
	s_cbranch_execnz .LBB883_266
.LBB883_211:
	s_or_b32 exec_lo, exec_lo, s5
	s_and_saveexec_b32 s4, s3
	s_cbranch_execnz .LBB883_267
.LBB883_212:
	s_or_b32 exec_lo, exec_lo, s4
	s_and_saveexec_b32 s3, s2
	s_cbranch_execnz .LBB883_268
.LBB883_213:
	s_or_b32 exec_lo, exec_lo, s3
	s_and_saveexec_b32 s2, s1
.LBB883_214:
	v_sub_nc_u32_e32 v10, v40, v7
	s_delay_alu instid0(VALU_DEP_1)
	v_lshlrev_b32_e32 v10, 2, v10
	ds_store_b32 v10, v41
.LBB883_215:
	s_or_b32 exec_lo, exec_lo, s2
	s_delay_alu instid0(SALU_CYCLE_1)
	s_and_b32 s17, s0, exec_lo
                                        ; implicit-def: $vgpr40_vgpr41
                                        ; implicit-def: $vgpr46_vgpr47
                                        ; implicit-def: $vgpr42_vgpr43
                                        ; implicit-def: $vgpr58_vgpr59
                                        ; implicit-def: $vgpr62_vgpr63
                                        ; implicit-def: $vgpr60_vgpr61
                                        ; implicit-def: $vgpr56_vgpr57
                                        ; implicit-def: $vgpr52_vgpr53
                                        ; implicit-def: $vgpr48_vgpr49
                                        ; implicit-def: $vgpr44_vgpr45
                                        ; implicit-def: $vgpr50_vgpr51
                                        ; implicit-def: $vgpr54_vgpr55
                                        ; implicit-def: $vgpr36_vgpr37
                                        ; implicit-def: $vgpr38_vgpr39
	s_and_not1_saveexec_b32 s0, s16
	s_cbranch_execz .LBB883_141
.LBB883_216:
	v_dual_sub_nc_u32 v10, v58, v7 :: v_dual_sub_nc_u32 v12, v60, v7
	v_dual_sub_nc_u32 v11, v62, v7 :: v_dual_sub_nc_u32 v13, v56, v7
	s_or_b32 s17, s17, exec_lo
	s_delay_alu instid0(VALU_DEP_2) | instskip(NEXT) | instid1(VALU_DEP_2)
	v_dual_lshlrev_b32 v10, 2, v10 :: v_dual_lshlrev_b32 v12, 2, v12
	v_dual_lshlrev_b32 v11, 2, v11 :: v_dual_lshlrev_b32 v13, 2, v13
	ds_store_b32 v10, v59
	ds_store_b32 v11, v63
	;; [unrolled: 1-line block ×3, first 2 shown]
	v_sub_nc_u32_e32 v10, v52, v7
	ds_store_b32 v13, v57
	v_dual_sub_nc_u32 v13, v50, v7 :: v_dual_sub_nc_u32 v11, v48, v7
	v_dual_sub_nc_u32 v12, v44, v7 :: v_dual_sub_nc_u32 v14, v54, v7
	s_delay_alu instid0(VALU_DEP_2) | instskip(NEXT) | instid1(VALU_DEP_2)
	v_dual_lshlrev_b32 v10, 2, v10 :: v_dual_lshlrev_b32 v13, 2, v13
	v_dual_lshlrev_b32 v11, 2, v11 :: v_dual_lshlrev_b32 v12, 2, v12
	ds_store_b32 v10, v53
	v_lshlrev_b32_e32 v10, 2, v14
	ds_store_b32 v11, v49
	ds_store_b32 v12, v45
	ds_store_b32 v13, v51
	v_dual_sub_nc_u32 v11, v36, v7 :: v_dual_sub_nc_u32 v12, v42, v7
	v_sub_nc_u32_e32 v14, v40, v7
	ds_store_b32 v10, v55
	v_sub_nc_u32_e32 v10, v38, v7
	v_sub_nc_u32_e32 v13, v46, v7
	v_dual_lshlrev_b32 v11, 2, v11 :: v_dual_lshlrev_b32 v12, 2, v12
	s_delay_alu instid0(VALU_DEP_2)
	v_dual_lshlrev_b32 v10, 2, v10 :: v_dual_lshlrev_b32 v13, 2, v13
	ds_store_b32 v11, v37
	v_lshlrev_b32_e32 v11, 2, v14
	ds_store_b32 v10, v39
	ds_store_b32 v12, v43
	;; [unrolled: 1-line block ×4, first 2 shown]
	s_or_b32 exec_lo, exec_lo, s0
	s_delay_alu instid0(SALU_CYCLE_1)
	s_and_b32 exec_lo, exec_lo, s17
	s_cbranch_execnz .LBB883_142
	s_branch .LBB883_143
.LBB883_217:
	v_sub_nc_u32_e32 v10, v58, v8
	v_readfirstlane_b32 s20, v20
	v_readfirstlane_b32 s21, v21
	global_store_b16 v10, v2, s[20:21] scale_offset
	s_wait_xcnt 0x0
	s_or_b32 exec_lo, exec_lo, s18
	s_and_saveexec_b32 s18, s14
	s_cbranch_execz .LBB883_151
.LBB883_218:
	v_sub_nc_u32_e32 v10, v62, v8
	v_readfirstlane_b32 s20, v20
	v_readfirstlane_b32 s21, v21
	global_store_d16_hi_b16 v10, v2, s[20:21] scale_offset
	s_wait_xcnt 0x0
	s_or_b32 exec_lo, exec_lo, s18
	s_and_saveexec_b32 s18, s13
	s_cbranch_execz .LBB883_152
.LBB883_219:
	v_sub_nc_u32_e32 v10, v60, v8
	v_readfirstlane_b32 s20, v20
	v_readfirstlane_b32 s21, v21
	global_store_b16 v10, v3, s[20:21] scale_offset
	s_wait_xcnt 0x0
	s_or_b32 exec_lo, exec_lo, s18
	s_and_saveexec_b32 s18, s12
	s_cbranch_execz .LBB883_153
.LBB883_220:
	v_sub_nc_u32_e32 v10, v56, v8
	v_readfirstlane_b32 s20, v20
	v_readfirstlane_b32 s21, v21
	global_store_d16_hi_b16 v10, v3, s[20:21] scale_offset
	s_wait_xcnt 0x0
	s_or_b32 exec_lo, exec_lo, s18
	s_and_saveexec_b32 s18, s11
	s_cbranch_execz .LBB883_154
.LBB883_221:
	v_sub_nc_u32_e32 v10, v52, v8
	v_readfirstlane_b32 s20, v20
	v_readfirstlane_b32 s21, v21
	global_store_b16 v10, v4, s[20:21] scale_offset
	s_wait_xcnt 0x0
	s_or_b32 exec_lo, exec_lo, s18
	s_and_saveexec_b32 s18, s10
	s_cbranch_execz .LBB883_155
.LBB883_222:
	v_sub_nc_u32_e32 v10, v48, v8
	v_readfirstlane_b32 s20, v20
	v_readfirstlane_b32 s21, v21
	global_store_d16_hi_b16 v10, v4, s[20:21] scale_offset
	s_wait_xcnt 0x0
	s_or_b32 exec_lo, exec_lo, s18
	s_and_saveexec_b32 s18, s9
	s_cbranch_execz .LBB883_156
.LBB883_223:
	v_sub_nc_u32_e32 v10, v44, v8
	v_readfirstlane_b32 s20, v20
	v_readfirstlane_b32 s21, v21
	global_store_b16 v10, v5, s[20:21] scale_offset
	s_wait_xcnt 0x0
	s_or_b32 exec_lo, exec_lo, s18
	s_and_saveexec_b32 s18, s8
	s_cbranch_execz .LBB883_157
.LBB883_224:
	v_sub_nc_u32_e32 v10, v50, v8
	v_readfirstlane_b32 s20, v20
	v_readfirstlane_b32 s21, v21
	global_store_d16_hi_b16 v10, v5, s[20:21] scale_offset
	s_wait_xcnt 0x0
	s_or_b32 exec_lo, exec_lo, s18
	s_and_saveexec_b32 s18, s7
	s_cbranch_execz .LBB883_158
.LBB883_225:
	v_sub_nc_u32_e32 v10, v54, v8
	v_readfirstlane_b32 s20, v20
	v_readfirstlane_b32 s21, v21
	global_store_b16 v10, v14, s[20:21] scale_offset
	s_wait_xcnt 0x0
	s_or_b32 exec_lo, exec_lo, s18
	s_and_saveexec_b32 s18, s6
	s_cbranch_execz .LBB883_159
.LBB883_226:
	v_sub_nc_u32_e32 v10, v36, v8
	v_readfirstlane_b32 s20, v20
	v_readfirstlane_b32 s21, v21
	global_store_d16_hi_b16 v10, v14, s[20:21] scale_offset
	s_wait_xcnt 0x0
	s_or_b32 exec_lo, exec_lo, s18
	s_and_saveexec_b32 s18, s5
	s_cbranch_execz .LBB883_160
.LBB883_227:
	v_sub_nc_u32_e32 v10, v38, v8
	v_readfirstlane_b32 s20, v20
	v_readfirstlane_b32 s21, v21
	global_store_b16 v10, v15, s[20:21] scale_offset
	s_wait_xcnt 0x0
	s_or_b32 exec_lo, exec_lo, s18
	s_and_saveexec_b32 s18, s4
	s_cbranch_execz .LBB883_161
.LBB883_228:
	v_sub_nc_u32_e32 v10, v42, v8
	v_readfirstlane_b32 s20, v20
	v_readfirstlane_b32 s21, v21
	global_store_d16_hi_b16 v10, v15, s[20:21] scale_offset
	s_wait_xcnt 0x0
	s_or_b32 exec_lo, exec_lo, s18
	s_and_saveexec_b32 s18, s3
	s_cbranch_execz .LBB883_162
.LBB883_229:
	v_sub_nc_u32_e32 v10, v46, v8
	v_readfirstlane_b32 s20, v20
	v_readfirstlane_b32 s21, v21
	global_store_b16 v10, v16, s[20:21] scale_offset
	s_wait_xcnt 0x0
	s_or_b32 exec_lo, exec_lo, s18
	s_and_saveexec_b32 s18, s1
	s_cbranch_execnz .LBB883_163
	s_branch .LBB883_164
.LBB883_230:
	v_sub_nc_u32_e32 v7, v58, v8
	s_delay_alu instid0(VALU_DEP_1)
	v_lshlrev_b32_e32 v7, 1, v7
	ds_store_b16 v7, v2
	s_or_b32 exec_lo, exec_lo, s18
	s_and_saveexec_b32 s15, s14
	s_cbranch_execz .LBB883_168
.LBB883_231:
	v_sub_nc_u32_e32 v7, v62, v8
	s_delay_alu instid0(VALU_DEP_1)
	v_lshlrev_b32_e32 v7, 1, v7
	ds_store_b16_d16_hi v7, v2
	s_or_b32 exec_lo, exec_lo, s15
	s_and_saveexec_b32 s14, s13
	s_cbranch_execz .LBB883_169
.LBB883_232:
	v_sub_nc_u32_e32 v2, v60, v8
	s_delay_alu instid0(VALU_DEP_1)
	v_lshlrev_b32_e32 v2, 1, v2
	ds_store_b16 v2, v3
	s_or_b32 exec_lo, exec_lo, s14
	s_and_saveexec_b32 s13, s12
	s_cbranch_execz .LBB883_170
.LBB883_233:
	v_sub_nc_u32_e32 v2, v56, v8
	s_delay_alu instid0(VALU_DEP_1)
	v_lshlrev_b32_e32 v2, 1, v2
	ds_store_b16_d16_hi v2, v3
	s_or_b32 exec_lo, exec_lo, s13
	s_and_saveexec_b32 s12, s11
	s_cbranch_execz .LBB883_171
.LBB883_234:
	v_sub_nc_u32_e32 v2, v52, v8
	s_delay_alu instid0(VALU_DEP_1)
	v_lshlrev_b32_e32 v2, 1, v2
	ds_store_b16 v2, v4
	s_or_b32 exec_lo, exec_lo, s12
	s_and_saveexec_b32 s11, s10
	s_cbranch_execz .LBB883_172
.LBB883_235:
	v_sub_nc_u32_e32 v2, v48, v8
	s_delay_alu instid0(VALU_DEP_1)
	v_lshlrev_b32_e32 v2, 1, v2
	ds_store_b16_d16_hi v2, v4
	s_or_b32 exec_lo, exec_lo, s11
	s_and_saveexec_b32 s10, s9
	s_cbranch_execz .LBB883_173
.LBB883_236:
	v_sub_nc_u32_e32 v2, v44, v8
	s_delay_alu instid0(VALU_DEP_1)
	v_lshlrev_b32_e32 v2, 1, v2
	ds_store_b16 v2, v5
	s_or_b32 exec_lo, exec_lo, s10
	s_and_saveexec_b32 s9, s8
	s_cbranch_execz .LBB883_174
.LBB883_237:
	v_sub_nc_u32_e32 v2, v50, v8
	s_delay_alu instid0(VALU_DEP_1)
	v_lshlrev_b32_e32 v2, 1, v2
	ds_store_b16_d16_hi v2, v5
	s_or_b32 exec_lo, exec_lo, s9
	s_and_saveexec_b32 s8, s7
	s_cbranch_execz .LBB883_175
.LBB883_238:
	v_sub_nc_u32_e32 v2, v54, v8
	s_delay_alu instid0(VALU_DEP_1)
	v_lshlrev_b32_e32 v2, 1, v2
	ds_store_b16 v2, v14
	s_or_b32 exec_lo, exec_lo, s8
	s_and_saveexec_b32 s7, s6
	s_cbranch_execz .LBB883_176
.LBB883_239:
	v_sub_nc_u32_e32 v2, v36, v8
	s_delay_alu instid0(VALU_DEP_1)
	v_lshlrev_b32_e32 v2, 1, v2
	ds_store_b16_d16_hi v2, v14
	s_or_b32 exec_lo, exec_lo, s7
	s_and_saveexec_b32 s6, s5
	s_cbranch_execz .LBB883_177
.LBB883_240:
	v_sub_nc_u32_e32 v2, v38, v8
	s_delay_alu instid0(VALU_DEP_1)
	v_lshlrev_b32_e32 v2, 1, v2
	ds_store_b16 v2, v15
	s_or_b32 exec_lo, exec_lo, s6
	s_and_saveexec_b32 s5, s4
	s_cbranch_execz .LBB883_178
.LBB883_241:
	v_sub_nc_u32_e32 v2, v42, v8
	s_delay_alu instid0(VALU_DEP_1)
	v_lshlrev_b32_e32 v2, 1, v2
	ds_store_b16_d16_hi v2, v15
	s_or_b32 exec_lo, exec_lo, s5
	s_and_saveexec_b32 s4, s3
	s_cbranch_execz .LBB883_179
.LBB883_242:
	v_sub_nc_u32_e32 v2, v46, v8
	s_delay_alu instid0(VALU_DEP_1)
	v_lshlrev_b32_e32 v2, 1, v2
	ds_store_b16 v2, v16
	s_or_b32 exec_lo, exec_lo, s4
	s_and_saveexec_b32 s3, s1
	s_cbranch_execnz .LBB883_180
	s_branch .LBB883_181
.LBB883_243:
	v_dual_sub_nc_u32 v11, v58, v7 :: v_dual_mov_b32 v13, 0
	v_mov_b32_e32 v12, v59
	v_readfirstlane_b32 s18, v4
	v_readfirstlane_b32 s19, v5
	global_store_b64 v11, v[12:13], s[18:19] scale_offset
	s_wait_xcnt 0x0
	s_or_b32 exec_lo, exec_lo, s17
	s_and_saveexec_b32 s17, s13
	s_cbranch_execz .LBB883_185
.LBB883_244:
	v_dual_sub_nc_u32 v11, v62, v7 :: v_dual_mov_b32 v13, 0
	v_mov_b32_e32 v12, v63
	v_readfirstlane_b32 s18, v4
	v_readfirstlane_b32 s19, v5
	global_store_b64 v11, v[12:13], s[18:19] scale_offset
	s_wait_xcnt 0x0
	s_or_b32 exec_lo, exec_lo, s17
	s_and_saveexec_b32 s17, s12
	s_cbranch_execz .LBB883_186
.LBB883_245:
	v_dual_sub_nc_u32 v11, v60, v7 :: v_dual_mov_b32 v13, 0
	v_mov_b32_e32 v12, v61
	v_readfirstlane_b32 s18, v4
	v_readfirstlane_b32 s19, v5
	global_store_b64 v11, v[12:13], s[18:19] scale_offset
	s_wait_xcnt 0x0
	s_or_b32 exec_lo, exec_lo, s17
	s_and_saveexec_b32 s17, s11
	s_cbranch_execz .LBB883_187
.LBB883_246:
	v_dual_sub_nc_u32 v11, v56, v7 :: v_dual_mov_b32 v13, 0
	v_mov_b32_e32 v12, v57
	v_readfirstlane_b32 s18, v4
	v_readfirstlane_b32 s19, v5
	global_store_b64 v11, v[12:13], s[18:19] scale_offset
	s_wait_xcnt 0x0
	s_or_b32 exec_lo, exec_lo, s17
	s_and_saveexec_b32 s17, s10
	s_cbranch_execz .LBB883_188
.LBB883_247:
	v_dual_sub_nc_u32 v11, v52, v7 :: v_dual_mov_b32 v13, 0
	v_mov_b32_e32 v12, v53
	v_readfirstlane_b32 s18, v4
	v_readfirstlane_b32 s19, v5
	global_store_b64 v11, v[12:13], s[18:19] scale_offset
	s_wait_xcnt 0x0
	s_or_b32 exec_lo, exec_lo, s17
	s_and_saveexec_b32 s17, s9
	s_cbranch_execz .LBB883_189
.LBB883_248:
	v_dual_sub_nc_u32 v11, v48, v7 :: v_dual_mov_b32 v13, 0
	v_mov_b32_e32 v12, v49
	v_readfirstlane_b32 s18, v4
	v_readfirstlane_b32 s19, v5
	global_store_b64 v11, v[12:13], s[18:19] scale_offset
	s_wait_xcnt 0x0
	s_or_b32 exec_lo, exec_lo, s17
	s_and_saveexec_b32 s17, s8
	s_cbranch_execz .LBB883_190
.LBB883_249:
	v_dual_sub_nc_u32 v11, v44, v7 :: v_dual_mov_b32 v13, 0
	v_mov_b32_e32 v12, v45
	v_readfirstlane_b32 s18, v4
	v_readfirstlane_b32 s19, v5
	global_store_b64 v11, v[12:13], s[18:19] scale_offset
	s_wait_xcnt 0x0
	s_or_b32 exec_lo, exec_lo, s17
	s_and_saveexec_b32 s17, s7
	s_cbranch_execz .LBB883_191
.LBB883_250:
	v_dual_sub_nc_u32 v11, v50, v7 :: v_dual_mov_b32 v13, 0
	v_mov_b32_e32 v12, v51
	v_readfirstlane_b32 s18, v4
	v_readfirstlane_b32 s19, v5
	global_store_b64 v11, v[12:13], s[18:19] scale_offset
	s_wait_xcnt 0x0
	s_or_b32 exec_lo, exec_lo, s17
	s_and_saveexec_b32 s17, s6
	s_cbranch_execz .LBB883_192
.LBB883_251:
	v_dual_sub_nc_u32 v11, v54, v7 :: v_dual_mov_b32 v13, 0
	v_mov_b32_e32 v12, v55
	v_readfirstlane_b32 s18, v4
	v_readfirstlane_b32 s19, v5
	global_store_b64 v11, v[12:13], s[18:19] scale_offset
	s_wait_xcnt 0x0
	s_or_b32 exec_lo, exec_lo, s17
	s_and_saveexec_b32 s17, s5
	s_cbranch_execz .LBB883_193
.LBB883_252:
	v_dual_sub_nc_u32 v11, v36, v7 :: v_dual_mov_b32 v13, 0
	v_mov_b32_e32 v12, v37
	v_readfirstlane_b32 s18, v4
	v_readfirstlane_b32 s19, v5
	global_store_b64 v11, v[12:13], s[18:19] scale_offset
	s_wait_xcnt 0x0
	s_or_b32 exec_lo, exec_lo, s17
	s_and_saveexec_b32 s17, s4
	s_cbranch_execz .LBB883_194
.LBB883_253:
	v_dual_sub_nc_u32 v11, v38, v7 :: v_dual_mov_b32 v13, 0
	v_mov_b32_e32 v12, v39
	v_readfirstlane_b32 s18, v4
	v_readfirstlane_b32 s19, v5
	global_store_b64 v11, v[12:13], s[18:19] scale_offset
	s_wait_xcnt 0x0
	s_or_b32 exec_lo, exec_lo, s17
	s_and_saveexec_b32 s17, s3
	s_cbranch_execz .LBB883_195
.LBB883_254:
	v_dual_sub_nc_u32 v11, v42, v7 :: v_dual_mov_b32 v13, 0
	v_mov_b32_e32 v12, v43
	v_readfirstlane_b32 s18, v4
	v_readfirstlane_b32 s19, v5
	global_store_b64 v11, v[12:13], s[18:19] scale_offset
	s_wait_xcnt 0x0
	s_or_b32 exec_lo, exec_lo, s17
	s_and_saveexec_b32 s17, s2
	s_cbranch_execz .LBB883_196
.LBB883_255:
	v_dual_sub_nc_u32 v11, v46, v7 :: v_dual_mov_b32 v13, 0
	v_mov_b32_e32 v12, v47
	v_readfirstlane_b32 s18, v4
	v_readfirstlane_b32 s19, v5
	global_store_b64 v11, v[12:13], s[18:19] scale_offset
	s_wait_xcnt 0x0
	s_or_b32 exec_lo, exec_lo, s17
	s_and_saveexec_b32 s17, s1
	s_cbranch_execnz .LBB883_197
	s_branch .LBB883_198
.LBB883_256:
	v_sub_nc_u32_e32 v10, v58, v7
	s_delay_alu instid0(VALU_DEP_1)
	v_lshlrev_b32_e32 v10, 2, v10
	ds_store_b32 v10, v59
	s_or_b32 exec_lo, exec_lo, s17
	s_and_saveexec_b32 s14, s13
	s_cbranch_execz .LBB883_202
.LBB883_257:
	v_sub_nc_u32_e32 v10, v62, v7
	s_delay_alu instid0(VALU_DEP_1)
	v_lshlrev_b32_e32 v10, 2, v10
	ds_store_b32 v10, v63
	s_or_b32 exec_lo, exec_lo, s14
	s_and_saveexec_b32 s13, s12
	s_cbranch_execz .LBB883_203
.LBB883_258:
	v_sub_nc_u32_e32 v10, v60, v7
	s_delay_alu instid0(VALU_DEP_1)
	v_lshlrev_b32_e32 v10, 2, v10
	ds_store_b32 v10, v61
	s_or_b32 exec_lo, exec_lo, s13
	s_and_saveexec_b32 s12, s11
	s_cbranch_execz .LBB883_204
.LBB883_259:
	v_sub_nc_u32_e32 v10, v56, v7
	s_delay_alu instid0(VALU_DEP_1)
	v_lshlrev_b32_e32 v10, 2, v10
	ds_store_b32 v10, v57
	s_or_b32 exec_lo, exec_lo, s12
	s_and_saveexec_b32 s11, s10
	s_cbranch_execz .LBB883_205
.LBB883_260:
	v_sub_nc_u32_e32 v10, v52, v7
	s_delay_alu instid0(VALU_DEP_1)
	v_lshlrev_b32_e32 v10, 2, v10
	ds_store_b32 v10, v53
	s_or_b32 exec_lo, exec_lo, s11
	s_and_saveexec_b32 s10, s9
	s_cbranch_execz .LBB883_206
.LBB883_261:
	v_sub_nc_u32_e32 v10, v48, v7
	s_delay_alu instid0(VALU_DEP_1)
	v_lshlrev_b32_e32 v10, 2, v10
	ds_store_b32 v10, v49
	s_or_b32 exec_lo, exec_lo, s10
	s_and_saveexec_b32 s9, s8
	s_cbranch_execz .LBB883_207
.LBB883_262:
	v_sub_nc_u32_e32 v10, v44, v7
	s_delay_alu instid0(VALU_DEP_1)
	v_lshlrev_b32_e32 v10, 2, v10
	ds_store_b32 v10, v45
	s_or_b32 exec_lo, exec_lo, s9
	s_and_saveexec_b32 s8, s7
	s_cbranch_execz .LBB883_208
.LBB883_263:
	v_sub_nc_u32_e32 v10, v50, v7
	s_delay_alu instid0(VALU_DEP_1)
	v_lshlrev_b32_e32 v10, 2, v10
	ds_store_b32 v10, v51
	s_or_b32 exec_lo, exec_lo, s8
	s_and_saveexec_b32 s7, s6
	s_cbranch_execz .LBB883_209
.LBB883_264:
	v_sub_nc_u32_e32 v10, v54, v7
	s_delay_alu instid0(VALU_DEP_1)
	v_lshlrev_b32_e32 v10, 2, v10
	ds_store_b32 v10, v55
	s_or_b32 exec_lo, exec_lo, s7
	s_and_saveexec_b32 s6, s5
	s_cbranch_execz .LBB883_210
.LBB883_265:
	v_sub_nc_u32_e32 v10, v36, v7
	s_delay_alu instid0(VALU_DEP_1)
	v_lshlrev_b32_e32 v10, 2, v10
	ds_store_b32 v10, v37
	s_or_b32 exec_lo, exec_lo, s6
	s_and_saveexec_b32 s5, s4
	s_cbranch_execz .LBB883_211
.LBB883_266:
	v_sub_nc_u32_e32 v10, v38, v7
	s_delay_alu instid0(VALU_DEP_1)
	v_lshlrev_b32_e32 v10, 2, v10
	ds_store_b32 v10, v39
	s_or_b32 exec_lo, exec_lo, s5
	s_and_saveexec_b32 s4, s3
	s_cbranch_execz .LBB883_212
.LBB883_267:
	v_sub_nc_u32_e32 v10, v42, v7
	s_delay_alu instid0(VALU_DEP_1)
	v_lshlrev_b32_e32 v10, 2, v10
	ds_store_b32 v10, v43
	s_or_b32 exec_lo, exec_lo, s4
	s_and_saveexec_b32 s3, s2
	s_cbranch_execz .LBB883_213
.LBB883_268:
	v_sub_nc_u32_e32 v10, v46, v7
	s_delay_alu instid0(VALU_DEP_1)
	v_lshlrev_b32_e32 v10, 2, v10
	ds_store_b32 v10, v47
	s_or_b32 exec_lo, exec_lo, s3
	s_and_saveexec_b32 s2, s1
	s_cbranch_execnz .LBB883_214
	s_branch .LBB883_215
	.section	.rodata,"a",@progbits
	.p2align	6, 0x0
	.amdhsa_kernel _ZN7rocprim17ROCPRIM_400000_NS6detail17trampoline_kernelINS0_14default_configENS1_33run_length_encode_config_selectorIN3c108BFloat16EjNS0_4plusIjEEEEZZNS1_33reduce_by_key_impl_wrapped_configILNS1_25lookback_scan_determinismE0ES3_S9_PKS6_NS0_17constant_iteratorIjlEEPS6_PlSH_S8_NS0_8equal_toIS6_EEEE10hipError_tPvRmT2_T3_mT4_T5_T6_T7_T8_P12ihipStream_tbENKUlT_T0_E_clISt17integral_constantIbLb0EES10_IbLb1EEEEDaSW_SX_EUlSW_E_NS1_11comp_targetILNS1_3genE0ELNS1_11target_archE4294967295ELNS1_3gpuE0ELNS1_3repE0EEENS1_30default_config_static_selectorELNS0_4arch9wavefront6targetE0EEEvT1_
		.amdhsa_group_segment_fixed_size 15360
		.amdhsa_private_segment_fixed_size 0
		.amdhsa_kernarg_size 128
		.amdhsa_user_sgpr_count 2
		.amdhsa_user_sgpr_dispatch_ptr 0
		.amdhsa_user_sgpr_queue_ptr 0
		.amdhsa_user_sgpr_kernarg_segment_ptr 1
		.amdhsa_user_sgpr_dispatch_id 0
		.amdhsa_user_sgpr_kernarg_preload_length 0
		.amdhsa_user_sgpr_kernarg_preload_offset 0
		.amdhsa_user_sgpr_private_segment_size 0
		.amdhsa_wavefront_size32 1
		.amdhsa_uses_dynamic_stack 0
		.amdhsa_enable_private_segment 0
		.amdhsa_system_sgpr_workgroup_id_x 1
		.amdhsa_system_sgpr_workgroup_id_y 0
		.amdhsa_system_sgpr_workgroup_id_z 0
		.amdhsa_system_sgpr_workgroup_info 0
		.amdhsa_system_vgpr_workitem_id 0
		.amdhsa_next_free_vgpr 108
		.amdhsa_next_free_sgpr 51
		.amdhsa_named_barrier_count 0
		.amdhsa_reserve_vcc 1
		.amdhsa_float_round_mode_32 0
		.amdhsa_float_round_mode_16_64 0
		.amdhsa_float_denorm_mode_32 3
		.amdhsa_float_denorm_mode_16_64 3
		.amdhsa_fp16_overflow 0
		.amdhsa_memory_ordered 1
		.amdhsa_forward_progress 1
		.amdhsa_inst_pref_size 131
		.amdhsa_round_robin_scheduling 0
		.amdhsa_exception_fp_ieee_invalid_op 0
		.amdhsa_exception_fp_denorm_src 0
		.amdhsa_exception_fp_ieee_div_zero 0
		.amdhsa_exception_fp_ieee_overflow 0
		.amdhsa_exception_fp_ieee_underflow 0
		.amdhsa_exception_fp_ieee_inexact 0
		.amdhsa_exception_int_div_zero 0
	.end_amdhsa_kernel
	.section	.text._ZN7rocprim17ROCPRIM_400000_NS6detail17trampoline_kernelINS0_14default_configENS1_33run_length_encode_config_selectorIN3c108BFloat16EjNS0_4plusIjEEEEZZNS1_33reduce_by_key_impl_wrapped_configILNS1_25lookback_scan_determinismE0ES3_S9_PKS6_NS0_17constant_iteratorIjlEEPS6_PlSH_S8_NS0_8equal_toIS6_EEEE10hipError_tPvRmT2_T3_mT4_T5_T6_T7_T8_P12ihipStream_tbENKUlT_T0_E_clISt17integral_constantIbLb0EES10_IbLb1EEEEDaSW_SX_EUlSW_E_NS1_11comp_targetILNS1_3genE0ELNS1_11target_archE4294967295ELNS1_3gpuE0ELNS1_3repE0EEENS1_30default_config_static_selectorELNS0_4arch9wavefront6targetE0EEEvT1_,"axG",@progbits,_ZN7rocprim17ROCPRIM_400000_NS6detail17trampoline_kernelINS0_14default_configENS1_33run_length_encode_config_selectorIN3c108BFloat16EjNS0_4plusIjEEEEZZNS1_33reduce_by_key_impl_wrapped_configILNS1_25lookback_scan_determinismE0ES3_S9_PKS6_NS0_17constant_iteratorIjlEEPS6_PlSH_S8_NS0_8equal_toIS6_EEEE10hipError_tPvRmT2_T3_mT4_T5_T6_T7_T8_P12ihipStream_tbENKUlT_T0_E_clISt17integral_constantIbLb0EES10_IbLb1EEEEDaSW_SX_EUlSW_E_NS1_11comp_targetILNS1_3genE0ELNS1_11target_archE4294967295ELNS1_3gpuE0ELNS1_3repE0EEENS1_30default_config_static_selectorELNS0_4arch9wavefront6targetE0EEEvT1_,comdat
.Lfunc_end883:
	.size	_ZN7rocprim17ROCPRIM_400000_NS6detail17trampoline_kernelINS0_14default_configENS1_33run_length_encode_config_selectorIN3c108BFloat16EjNS0_4plusIjEEEEZZNS1_33reduce_by_key_impl_wrapped_configILNS1_25lookback_scan_determinismE0ES3_S9_PKS6_NS0_17constant_iteratorIjlEEPS6_PlSH_S8_NS0_8equal_toIS6_EEEE10hipError_tPvRmT2_T3_mT4_T5_T6_T7_T8_P12ihipStream_tbENKUlT_T0_E_clISt17integral_constantIbLb0EES10_IbLb1EEEEDaSW_SX_EUlSW_E_NS1_11comp_targetILNS1_3genE0ELNS1_11target_archE4294967295ELNS1_3gpuE0ELNS1_3repE0EEENS1_30default_config_static_selectorELNS0_4arch9wavefront6targetE0EEEvT1_, .Lfunc_end883-_ZN7rocprim17ROCPRIM_400000_NS6detail17trampoline_kernelINS0_14default_configENS1_33run_length_encode_config_selectorIN3c108BFloat16EjNS0_4plusIjEEEEZZNS1_33reduce_by_key_impl_wrapped_configILNS1_25lookback_scan_determinismE0ES3_S9_PKS6_NS0_17constant_iteratorIjlEEPS6_PlSH_S8_NS0_8equal_toIS6_EEEE10hipError_tPvRmT2_T3_mT4_T5_T6_T7_T8_P12ihipStream_tbENKUlT_T0_E_clISt17integral_constantIbLb0EES10_IbLb1EEEEDaSW_SX_EUlSW_E_NS1_11comp_targetILNS1_3genE0ELNS1_11target_archE4294967295ELNS1_3gpuE0ELNS1_3repE0EEENS1_30default_config_static_selectorELNS0_4arch9wavefront6targetE0EEEvT1_
                                        ; -- End function
	.set _ZN7rocprim17ROCPRIM_400000_NS6detail17trampoline_kernelINS0_14default_configENS1_33run_length_encode_config_selectorIN3c108BFloat16EjNS0_4plusIjEEEEZZNS1_33reduce_by_key_impl_wrapped_configILNS1_25lookback_scan_determinismE0ES3_S9_PKS6_NS0_17constant_iteratorIjlEEPS6_PlSH_S8_NS0_8equal_toIS6_EEEE10hipError_tPvRmT2_T3_mT4_T5_T6_T7_T8_P12ihipStream_tbENKUlT_T0_E_clISt17integral_constantIbLb0EES10_IbLb1EEEEDaSW_SX_EUlSW_E_NS1_11comp_targetILNS1_3genE0ELNS1_11target_archE4294967295ELNS1_3gpuE0ELNS1_3repE0EEENS1_30default_config_static_selectorELNS0_4arch9wavefront6targetE0EEEvT1_.num_vgpr, 108
	.set _ZN7rocprim17ROCPRIM_400000_NS6detail17trampoline_kernelINS0_14default_configENS1_33run_length_encode_config_selectorIN3c108BFloat16EjNS0_4plusIjEEEEZZNS1_33reduce_by_key_impl_wrapped_configILNS1_25lookback_scan_determinismE0ES3_S9_PKS6_NS0_17constant_iteratorIjlEEPS6_PlSH_S8_NS0_8equal_toIS6_EEEE10hipError_tPvRmT2_T3_mT4_T5_T6_T7_T8_P12ihipStream_tbENKUlT_T0_E_clISt17integral_constantIbLb0EES10_IbLb1EEEEDaSW_SX_EUlSW_E_NS1_11comp_targetILNS1_3genE0ELNS1_11target_archE4294967295ELNS1_3gpuE0ELNS1_3repE0EEENS1_30default_config_static_selectorELNS0_4arch9wavefront6targetE0EEEvT1_.num_agpr, 0
	.set _ZN7rocprim17ROCPRIM_400000_NS6detail17trampoline_kernelINS0_14default_configENS1_33run_length_encode_config_selectorIN3c108BFloat16EjNS0_4plusIjEEEEZZNS1_33reduce_by_key_impl_wrapped_configILNS1_25lookback_scan_determinismE0ES3_S9_PKS6_NS0_17constant_iteratorIjlEEPS6_PlSH_S8_NS0_8equal_toIS6_EEEE10hipError_tPvRmT2_T3_mT4_T5_T6_T7_T8_P12ihipStream_tbENKUlT_T0_E_clISt17integral_constantIbLb0EES10_IbLb1EEEEDaSW_SX_EUlSW_E_NS1_11comp_targetILNS1_3genE0ELNS1_11target_archE4294967295ELNS1_3gpuE0ELNS1_3repE0EEENS1_30default_config_static_selectorELNS0_4arch9wavefront6targetE0EEEvT1_.numbered_sgpr, 51
	.set _ZN7rocprim17ROCPRIM_400000_NS6detail17trampoline_kernelINS0_14default_configENS1_33run_length_encode_config_selectorIN3c108BFloat16EjNS0_4plusIjEEEEZZNS1_33reduce_by_key_impl_wrapped_configILNS1_25lookback_scan_determinismE0ES3_S9_PKS6_NS0_17constant_iteratorIjlEEPS6_PlSH_S8_NS0_8equal_toIS6_EEEE10hipError_tPvRmT2_T3_mT4_T5_T6_T7_T8_P12ihipStream_tbENKUlT_T0_E_clISt17integral_constantIbLb0EES10_IbLb1EEEEDaSW_SX_EUlSW_E_NS1_11comp_targetILNS1_3genE0ELNS1_11target_archE4294967295ELNS1_3gpuE0ELNS1_3repE0EEENS1_30default_config_static_selectorELNS0_4arch9wavefront6targetE0EEEvT1_.num_named_barrier, 0
	.set _ZN7rocprim17ROCPRIM_400000_NS6detail17trampoline_kernelINS0_14default_configENS1_33run_length_encode_config_selectorIN3c108BFloat16EjNS0_4plusIjEEEEZZNS1_33reduce_by_key_impl_wrapped_configILNS1_25lookback_scan_determinismE0ES3_S9_PKS6_NS0_17constant_iteratorIjlEEPS6_PlSH_S8_NS0_8equal_toIS6_EEEE10hipError_tPvRmT2_T3_mT4_T5_T6_T7_T8_P12ihipStream_tbENKUlT_T0_E_clISt17integral_constantIbLb0EES10_IbLb1EEEEDaSW_SX_EUlSW_E_NS1_11comp_targetILNS1_3genE0ELNS1_11target_archE4294967295ELNS1_3gpuE0ELNS1_3repE0EEENS1_30default_config_static_selectorELNS0_4arch9wavefront6targetE0EEEvT1_.private_seg_size, 0
	.set _ZN7rocprim17ROCPRIM_400000_NS6detail17trampoline_kernelINS0_14default_configENS1_33run_length_encode_config_selectorIN3c108BFloat16EjNS0_4plusIjEEEEZZNS1_33reduce_by_key_impl_wrapped_configILNS1_25lookback_scan_determinismE0ES3_S9_PKS6_NS0_17constant_iteratorIjlEEPS6_PlSH_S8_NS0_8equal_toIS6_EEEE10hipError_tPvRmT2_T3_mT4_T5_T6_T7_T8_P12ihipStream_tbENKUlT_T0_E_clISt17integral_constantIbLb0EES10_IbLb1EEEEDaSW_SX_EUlSW_E_NS1_11comp_targetILNS1_3genE0ELNS1_11target_archE4294967295ELNS1_3gpuE0ELNS1_3repE0EEENS1_30default_config_static_selectorELNS0_4arch9wavefront6targetE0EEEvT1_.uses_vcc, 1
	.set _ZN7rocprim17ROCPRIM_400000_NS6detail17trampoline_kernelINS0_14default_configENS1_33run_length_encode_config_selectorIN3c108BFloat16EjNS0_4plusIjEEEEZZNS1_33reduce_by_key_impl_wrapped_configILNS1_25lookback_scan_determinismE0ES3_S9_PKS6_NS0_17constant_iteratorIjlEEPS6_PlSH_S8_NS0_8equal_toIS6_EEEE10hipError_tPvRmT2_T3_mT4_T5_T6_T7_T8_P12ihipStream_tbENKUlT_T0_E_clISt17integral_constantIbLb0EES10_IbLb1EEEEDaSW_SX_EUlSW_E_NS1_11comp_targetILNS1_3genE0ELNS1_11target_archE4294967295ELNS1_3gpuE0ELNS1_3repE0EEENS1_30default_config_static_selectorELNS0_4arch9wavefront6targetE0EEEvT1_.uses_flat_scratch, 0
	.set _ZN7rocprim17ROCPRIM_400000_NS6detail17trampoline_kernelINS0_14default_configENS1_33run_length_encode_config_selectorIN3c108BFloat16EjNS0_4plusIjEEEEZZNS1_33reduce_by_key_impl_wrapped_configILNS1_25lookback_scan_determinismE0ES3_S9_PKS6_NS0_17constant_iteratorIjlEEPS6_PlSH_S8_NS0_8equal_toIS6_EEEE10hipError_tPvRmT2_T3_mT4_T5_T6_T7_T8_P12ihipStream_tbENKUlT_T0_E_clISt17integral_constantIbLb0EES10_IbLb1EEEEDaSW_SX_EUlSW_E_NS1_11comp_targetILNS1_3genE0ELNS1_11target_archE4294967295ELNS1_3gpuE0ELNS1_3repE0EEENS1_30default_config_static_selectorELNS0_4arch9wavefront6targetE0EEEvT1_.has_dyn_sized_stack, 0
	.set _ZN7rocprim17ROCPRIM_400000_NS6detail17trampoline_kernelINS0_14default_configENS1_33run_length_encode_config_selectorIN3c108BFloat16EjNS0_4plusIjEEEEZZNS1_33reduce_by_key_impl_wrapped_configILNS1_25lookback_scan_determinismE0ES3_S9_PKS6_NS0_17constant_iteratorIjlEEPS6_PlSH_S8_NS0_8equal_toIS6_EEEE10hipError_tPvRmT2_T3_mT4_T5_T6_T7_T8_P12ihipStream_tbENKUlT_T0_E_clISt17integral_constantIbLb0EES10_IbLb1EEEEDaSW_SX_EUlSW_E_NS1_11comp_targetILNS1_3genE0ELNS1_11target_archE4294967295ELNS1_3gpuE0ELNS1_3repE0EEENS1_30default_config_static_selectorELNS0_4arch9wavefront6targetE0EEEvT1_.has_recursion, 0
	.set _ZN7rocprim17ROCPRIM_400000_NS6detail17trampoline_kernelINS0_14default_configENS1_33run_length_encode_config_selectorIN3c108BFloat16EjNS0_4plusIjEEEEZZNS1_33reduce_by_key_impl_wrapped_configILNS1_25lookback_scan_determinismE0ES3_S9_PKS6_NS0_17constant_iteratorIjlEEPS6_PlSH_S8_NS0_8equal_toIS6_EEEE10hipError_tPvRmT2_T3_mT4_T5_T6_T7_T8_P12ihipStream_tbENKUlT_T0_E_clISt17integral_constantIbLb0EES10_IbLb1EEEEDaSW_SX_EUlSW_E_NS1_11comp_targetILNS1_3genE0ELNS1_11target_archE4294967295ELNS1_3gpuE0ELNS1_3repE0EEENS1_30default_config_static_selectorELNS0_4arch9wavefront6targetE0EEEvT1_.has_indirect_call, 0
	.section	.AMDGPU.csdata,"",@progbits
; Kernel info:
; codeLenInByte = 16684
; TotalNumSgprs: 53
; NumVgprs: 108
; ScratchSize: 0
; MemoryBound: 0
; FloatMode: 240
; IeeeMode: 1
; LDSByteSize: 15360 bytes/workgroup (compile time only)
; SGPRBlocks: 0
; VGPRBlocks: 6
; NumSGPRsForWavesPerEU: 53
; NumVGPRsForWavesPerEU: 108
; NamedBarCnt: 0
; Occupancy: 9
; WaveLimiterHint : 1
; COMPUTE_PGM_RSRC2:SCRATCH_EN: 0
; COMPUTE_PGM_RSRC2:USER_SGPR: 2
; COMPUTE_PGM_RSRC2:TRAP_HANDLER: 0
; COMPUTE_PGM_RSRC2:TGID_X_EN: 1
; COMPUTE_PGM_RSRC2:TGID_Y_EN: 0
; COMPUTE_PGM_RSRC2:TGID_Z_EN: 0
; COMPUTE_PGM_RSRC2:TIDIG_COMP_CNT: 0
	.section	.text._ZN7rocprim17ROCPRIM_400000_NS6detail17trampoline_kernelINS0_14default_configENS1_33run_length_encode_config_selectorIN3c108BFloat16EjNS0_4plusIjEEEEZZNS1_33reduce_by_key_impl_wrapped_configILNS1_25lookback_scan_determinismE0ES3_S9_PKS6_NS0_17constant_iteratorIjlEEPS6_PlSH_S8_NS0_8equal_toIS6_EEEE10hipError_tPvRmT2_T3_mT4_T5_T6_T7_T8_P12ihipStream_tbENKUlT_T0_E_clISt17integral_constantIbLb0EES10_IbLb1EEEEDaSW_SX_EUlSW_E_NS1_11comp_targetILNS1_3genE5ELNS1_11target_archE942ELNS1_3gpuE9ELNS1_3repE0EEENS1_30default_config_static_selectorELNS0_4arch9wavefront6targetE0EEEvT1_,"axG",@progbits,_ZN7rocprim17ROCPRIM_400000_NS6detail17trampoline_kernelINS0_14default_configENS1_33run_length_encode_config_selectorIN3c108BFloat16EjNS0_4plusIjEEEEZZNS1_33reduce_by_key_impl_wrapped_configILNS1_25lookback_scan_determinismE0ES3_S9_PKS6_NS0_17constant_iteratorIjlEEPS6_PlSH_S8_NS0_8equal_toIS6_EEEE10hipError_tPvRmT2_T3_mT4_T5_T6_T7_T8_P12ihipStream_tbENKUlT_T0_E_clISt17integral_constantIbLb0EES10_IbLb1EEEEDaSW_SX_EUlSW_E_NS1_11comp_targetILNS1_3genE5ELNS1_11target_archE942ELNS1_3gpuE9ELNS1_3repE0EEENS1_30default_config_static_selectorELNS0_4arch9wavefront6targetE0EEEvT1_,comdat
	.protected	_ZN7rocprim17ROCPRIM_400000_NS6detail17trampoline_kernelINS0_14default_configENS1_33run_length_encode_config_selectorIN3c108BFloat16EjNS0_4plusIjEEEEZZNS1_33reduce_by_key_impl_wrapped_configILNS1_25lookback_scan_determinismE0ES3_S9_PKS6_NS0_17constant_iteratorIjlEEPS6_PlSH_S8_NS0_8equal_toIS6_EEEE10hipError_tPvRmT2_T3_mT4_T5_T6_T7_T8_P12ihipStream_tbENKUlT_T0_E_clISt17integral_constantIbLb0EES10_IbLb1EEEEDaSW_SX_EUlSW_E_NS1_11comp_targetILNS1_3genE5ELNS1_11target_archE942ELNS1_3gpuE9ELNS1_3repE0EEENS1_30default_config_static_selectorELNS0_4arch9wavefront6targetE0EEEvT1_ ; -- Begin function _ZN7rocprim17ROCPRIM_400000_NS6detail17trampoline_kernelINS0_14default_configENS1_33run_length_encode_config_selectorIN3c108BFloat16EjNS0_4plusIjEEEEZZNS1_33reduce_by_key_impl_wrapped_configILNS1_25lookback_scan_determinismE0ES3_S9_PKS6_NS0_17constant_iteratorIjlEEPS6_PlSH_S8_NS0_8equal_toIS6_EEEE10hipError_tPvRmT2_T3_mT4_T5_T6_T7_T8_P12ihipStream_tbENKUlT_T0_E_clISt17integral_constantIbLb0EES10_IbLb1EEEEDaSW_SX_EUlSW_E_NS1_11comp_targetILNS1_3genE5ELNS1_11target_archE942ELNS1_3gpuE9ELNS1_3repE0EEENS1_30default_config_static_selectorELNS0_4arch9wavefront6targetE0EEEvT1_
	.globl	_ZN7rocprim17ROCPRIM_400000_NS6detail17trampoline_kernelINS0_14default_configENS1_33run_length_encode_config_selectorIN3c108BFloat16EjNS0_4plusIjEEEEZZNS1_33reduce_by_key_impl_wrapped_configILNS1_25lookback_scan_determinismE0ES3_S9_PKS6_NS0_17constant_iteratorIjlEEPS6_PlSH_S8_NS0_8equal_toIS6_EEEE10hipError_tPvRmT2_T3_mT4_T5_T6_T7_T8_P12ihipStream_tbENKUlT_T0_E_clISt17integral_constantIbLb0EES10_IbLb1EEEEDaSW_SX_EUlSW_E_NS1_11comp_targetILNS1_3genE5ELNS1_11target_archE942ELNS1_3gpuE9ELNS1_3repE0EEENS1_30default_config_static_selectorELNS0_4arch9wavefront6targetE0EEEvT1_
	.p2align	8
	.type	_ZN7rocprim17ROCPRIM_400000_NS6detail17trampoline_kernelINS0_14default_configENS1_33run_length_encode_config_selectorIN3c108BFloat16EjNS0_4plusIjEEEEZZNS1_33reduce_by_key_impl_wrapped_configILNS1_25lookback_scan_determinismE0ES3_S9_PKS6_NS0_17constant_iteratorIjlEEPS6_PlSH_S8_NS0_8equal_toIS6_EEEE10hipError_tPvRmT2_T3_mT4_T5_T6_T7_T8_P12ihipStream_tbENKUlT_T0_E_clISt17integral_constantIbLb0EES10_IbLb1EEEEDaSW_SX_EUlSW_E_NS1_11comp_targetILNS1_3genE5ELNS1_11target_archE942ELNS1_3gpuE9ELNS1_3repE0EEENS1_30default_config_static_selectorELNS0_4arch9wavefront6targetE0EEEvT1_,@function
_ZN7rocprim17ROCPRIM_400000_NS6detail17trampoline_kernelINS0_14default_configENS1_33run_length_encode_config_selectorIN3c108BFloat16EjNS0_4plusIjEEEEZZNS1_33reduce_by_key_impl_wrapped_configILNS1_25lookback_scan_determinismE0ES3_S9_PKS6_NS0_17constant_iteratorIjlEEPS6_PlSH_S8_NS0_8equal_toIS6_EEEE10hipError_tPvRmT2_T3_mT4_T5_T6_T7_T8_P12ihipStream_tbENKUlT_T0_E_clISt17integral_constantIbLb0EES10_IbLb1EEEEDaSW_SX_EUlSW_E_NS1_11comp_targetILNS1_3genE5ELNS1_11target_archE942ELNS1_3gpuE9ELNS1_3repE0EEENS1_30default_config_static_selectorELNS0_4arch9wavefront6targetE0EEEvT1_: ; @_ZN7rocprim17ROCPRIM_400000_NS6detail17trampoline_kernelINS0_14default_configENS1_33run_length_encode_config_selectorIN3c108BFloat16EjNS0_4plusIjEEEEZZNS1_33reduce_by_key_impl_wrapped_configILNS1_25lookback_scan_determinismE0ES3_S9_PKS6_NS0_17constant_iteratorIjlEEPS6_PlSH_S8_NS0_8equal_toIS6_EEEE10hipError_tPvRmT2_T3_mT4_T5_T6_T7_T8_P12ihipStream_tbENKUlT_T0_E_clISt17integral_constantIbLb0EES10_IbLb1EEEEDaSW_SX_EUlSW_E_NS1_11comp_targetILNS1_3genE5ELNS1_11target_archE942ELNS1_3gpuE9ELNS1_3repE0EEENS1_30default_config_static_selectorELNS0_4arch9wavefront6targetE0EEEvT1_
; %bb.0:
	.section	.rodata,"a",@progbits
	.p2align	6, 0x0
	.amdhsa_kernel _ZN7rocprim17ROCPRIM_400000_NS6detail17trampoline_kernelINS0_14default_configENS1_33run_length_encode_config_selectorIN3c108BFloat16EjNS0_4plusIjEEEEZZNS1_33reduce_by_key_impl_wrapped_configILNS1_25lookback_scan_determinismE0ES3_S9_PKS6_NS0_17constant_iteratorIjlEEPS6_PlSH_S8_NS0_8equal_toIS6_EEEE10hipError_tPvRmT2_T3_mT4_T5_T6_T7_T8_P12ihipStream_tbENKUlT_T0_E_clISt17integral_constantIbLb0EES10_IbLb1EEEEDaSW_SX_EUlSW_E_NS1_11comp_targetILNS1_3genE5ELNS1_11target_archE942ELNS1_3gpuE9ELNS1_3repE0EEENS1_30default_config_static_selectorELNS0_4arch9wavefront6targetE0EEEvT1_
		.amdhsa_group_segment_fixed_size 0
		.amdhsa_private_segment_fixed_size 0
		.amdhsa_kernarg_size 128
		.amdhsa_user_sgpr_count 2
		.amdhsa_user_sgpr_dispatch_ptr 0
		.amdhsa_user_sgpr_queue_ptr 0
		.amdhsa_user_sgpr_kernarg_segment_ptr 1
		.amdhsa_user_sgpr_dispatch_id 0
		.amdhsa_user_sgpr_kernarg_preload_length 0
		.amdhsa_user_sgpr_kernarg_preload_offset 0
		.amdhsa_user_sgpr_private_segment_size 0
		.amdhsa_wavefront_size32 1
		.amdhsa_uses_dynamic_stack 0
		.amdhsa_enable_private_segment 0
		.amdhsa_system_sgpr_workgroup_id_x 1
		.amdhsa_system_sgpr_workgroup_id_y 0
		.amdhsa_system_sgpr_workgroup_id_z 0
		.amdhsa_system_sgpr_workgroup_info 0
		.amdhsa_system_vgpr_workitem_id 0
		.amdhsa_next_free_vgpr 1
		.amdhsa_next_free_sgpr 1
		.amdhsa_named_barrier_count 0
		.amdhsa_reserve_vcc 0
		.amdhsa_float_round_mode_32 0
		.amdhsa_float_round_mode_16_64 0
		.amdhsa_float_denorm_mode_32 3
		.amdhsa_float_denorm_mode_16_64 3
		.amdhsa_fp16_overflow 0
		.amdhsa_memory_ordered 1
		.amdhsa_forward_progress 1
		.amdhsa_inst_pref_size 0
		.amdhsa_round_robin_scheduling 0
		.amdhsa_exception_fp_ieee_invalid_op 0
		.amdhsa_exception_fp_denorm_src 0
		.amdhsa_exception_fp_ieee_div_zero 0
		.amdhsa_exception_fp_ieee_overflow 0
		.amdhsa_exception_fp_ieee_underflow 0
		.amdhsa_exception_fp_ieee_inexact 0
		.amdhsa_exception_int_div_zero 0
	.end_amdhsa_kernel
	.section	.text._ZN7rocprim17ROCPRIM_400000_NS6detail17trampoline_kernelINS0_14default_configENS1_33run_length_encode_config_selectorIN3c108BFloat16EjNS0_4plusIjEEEEZZNS1_33reduce_by_key_impl_wrapped_configILNS1_25lookback_scan_determinismE0ES3_S9_PKS6_NS0_17constant_iteratorIjlEEPS6_PlSH_S8_NS0_8equal_toIS6_EEEE10hipError_tPvRmT2_T3_mT4_T5_T6_T7_T8_P12ihipStream_tbENKUlT_T0_E_clISt17integral_constantIbLb0EES10_IbLb1EEEEDaSW_SX_EUlSW_E_NS1_11comp_targetILNS1_3genE5ELNS1_11target_archE942ELNS1_3gpuE9ELNS1_3repE0EEENS1_30default_config_static_selectorELNS0_4arch9wavefront6targetE0EEEvT1_,"axG",@progbits,_ZN7rocprim17ROCPRIM_400000_NS6detail17trampoline_kernelINS0_14default_configENS1_33run_length_encode_config_selectorIN3c108BFloat16EjNS0_4plusIjEEEEZZNS1_33reduce_by_key_impl_wrapped_configILNS1_25lookback_scan_determinismE0ES3_S9_PKS6_NS0_17constant_iteratorIjlEEPS6_PlSH_S8_NS0_8equal_toIS6_EEEE10hipError_tPvRmT2_T3_mT4_T5_T6_T7_T8_P12ihipStream_tbENKUlT_T0_E_clISt17integral_constantIbLb0EES10_IbLb1EEEEDaSW_SX_EUlSW_E_NS1_11comp_targetILNS1_3genE5ELNS1_11target_archE942ELNS1_3gpuE9ELNS1_3repE0EEENS1_30default_config_static_selectorELNS0_4arch9wavefront6targetE0EEEvT1_,comdat
.Lfunc_end884:
	.size	_ZN7rocprim17ROCPRIM_400000_NS6detail17trampoline_kernelINS0_14default_configENS1_33run_length_encode_config_selectorIN3c108BFloat16EjNS0_4plusIjEEEEZZNS1_33reduce_by_key_impl_wrapped_configILNS1_25lookback_scan_determinismE0ES3_S9_PKS6_NS0_17constant_iteratorIjlEEPS6_PlSH_S8_NS0_8equal_toIS6_EEEE10hipError_tPvRmT2_T3_mT4_T5_T6_T7_T8_P12ihipStream_tbENKUlT_T0_E_clISt17integral_constantIbLb0EES10_IbLb1EEEEDaSW_SX_EUlSW_E_NS1_11comp_targetILNS1_3genE5ELNS1_11target_archE942ELNS1_3gpuE9ELNS1_3repE0EEENS1_30default_config_static_selectorELNS0_4arch9wavefront6targetE0EEEvT1_, .Lfunc_end884-_ZN7rocprim17ROCPRIM_400000_NS6detail17trampoline_kernelINS0_14default_configENS1_33run_length_encode_config_selectorIN3c108BFloat16EjNS0_4plusIjEEEEZZNS1_33reduce_by_key_impl_wrapped_configILNS1_25lookback_scan_determinismE0ES3_S9_PKS6_NS0_17constant_iteratorIjlEEPS6_PlSH_S8_NS0_8equal_toIS6_EEEE10hipError_tPvRmT2_T3_mT4_T5_T6_T7_T8_P12ihipStream_tbENKUlT_T0_E_clISt17integral_constantIbLb0EES10_IbLb1EEEEDaSW_SX_EUlSW_E_NS1_11comp_targetILNS1_3genE5ELNS1_11target_archE942ELNS1_3gpuE9ELNS1_3repE0EEENS1_30default_config_static_selectorELNS0_4arch9wavefront6targetE0EEEvT1_
                                        ; -- End function
	.set _ZN7rocprim17ROCPRIM_400000_NS6detail17trampoline_kernelINS0_14default_configENS1_33run_length_encode_config_selectorIN3c108BFloat16EjNS0_4plusIjEEEEZZNS1_33reduce_by_key_impl_wrapped_configILNS1_25lookback_scan_determinismE0ES3_S9_PKS6_NS0_17constant_iteratorIjlEEPS6_PlSH_S8_NS0_8equal_toIS6_EEEE10hipError_tPvRmT2_T3_mT4_T5_T6_T7_T8_P12ihipStream_tbENKUlT_T0_E_clISt17integral_constantIbLb0EES10_IbLb1EEEEDaSW_SX_EUlSW_E_NS1_11comp_targetILNS1_3genE5ELNS1_11target_archE942ELNS1_3gpuE9ELNS1_3repE0EEENS1_30default_config_static_selectorELNS0_4arch9wavefront6targetE0EEEvT1_.num_vgpr, 0
	.set _ZN7rocprim17ROCPRIM_400000_NS6detail17trampoline_kernelINS0_14default_configENS1_33run_length_encode_config_selectorIN3c108BFloat16EjNS0_4plusIjEEEEZZNS1_33reduce_by_key_impl_wrapped_configILNS1_25lookback_scan_determinismE0ES3_S9_PKS6_NS0_17constant_iteratorIjlEEPS6_PlSH_S8_NS0_8equal_toIS6_EEEE10hipError_tPvRmT2_T3_mT4_T5_T6_T7_T8_P12ihipStream_tbENKUlT_T0_E_clISt17integral_constantIbLb0EES10_IbLb1EEEEDaSW_SX_EUlSW_E_NS1_11comp_targetILNS1_3genE5ELNS1_11target_archE942ELNS1_3gpuE9ELNS1_3repE0EEENS1_30default_config_static_selectorELNS0_4arch9wavefront6targetE0EEEvT1_.num_agpr, 0
	.set _ZN7rocprim17ROCPRIM_400000_NS6detail17trampoline_kernelINS0_14default_configENS1_33run_length_encode_config_selectorIN3c108BFloat16EjNS0_4plusIjEEEEZZNS1_33reduce_by_key_impl_wrapped_configILNS1_25lookback_scan_determinismE0ES3_S9_PKS6_NS0_17constant_iteratorIjlEEPS6_PlSH_S8_NS0_8equal_toIS6_EEEE10hipError_tPvRmT2_T3_mT4_T5_T6_T7_T8_P12ihipStream_tbENKUlT_T0_E_clISt17integral_constantIbLb0EES10_IbLb1EEEEDaSW_SX_EUlSW_E_NS1_11comp_targetILNS1_3genE5ELNS1_11target_archE942ELNS1_3gpuE9ELNS1_3repE0EEENS1_30default_config_static_selectorELNS0_4arch9wavefront6targetE0EEEvT1_.numbered_sgpr, 0
	.set _ZN7rocprim17ROCPRIM_400000_NS6detail17trampoline_kernelINS0_14default_configENS1_33run_length_encode_config_selectorIN3c108BFloat16EjNS0_4plusIjEEEEZZNS1_33reduce_by_key_impl_wrapped_configILNS1_25lookback_scan_determinismE0ES3_S9_PKS6_NS0_17constant_iteratorIjlEEPS6_PlSH_S8_NS0_8equal_toIS6_EEEE10hipError_tPvRmT2_T3_mT4_T5_T6_T7_T8_P12ihipStream_tbENKUlT_T0_E_clISt17integral_constantIbLb0EES10_IbLb1EEEEDaSW_SX_EUlSW_E_NS1_11comp_targetILNS1_3genE5ELNS1_11target_archE942ELNS1_3gpuE9ELNS1_3repE0EEENS1_30default_config_static_selectorELNS0_4arch9wavefront6targetE0EEEvT1_.num_named_barrier, 0
	.set _ZN7rocprim17ROCPRIM_400000_NS6detail17trampoline_kernelINS0_14default_configENS1_33run_length_encode_config_selectorIN3c108BFloat16EjNS0_4plusIjEEEEZZNS1_33reduce_by_key_impl_wrapped_configILNS1_25lookback_scan_determinismE0ES3_S9_PKS6_NS0_17constant_iteratorIjlEEPS6_PlSH_S8_NS0_8equal_toIS6_EEEE10hipError_tPvRmT2_T3_mT4_T5_T6_T7_T8_P12ihipStream_tbENKUlT_T0_E_clISt17integral_constantIbLb0EES10_IbLb1EEEEDaSW_SX_EUlSW_E_NS1_11comp_targetILNS1_3genE5ELNS1_11target_archE942ELNS1_3gpuE9ELNS1_3repE0EEENS1_30default_config_static_selectorELNS0_4arch9wavefront6targetE0EEEvT1_.private_seg_size, 0
	.set _ZN7rocprim17ROCPRIM_400000_NS6detail17trampoline_kernelINS0_14default_configENS1_33run_length_encode_config_selectorIN3c108BFloat16EjNS0_4plusIjEEEEZZNS1_33reduce_by_key_impl_wrapped_configILNS1_25lookback_scan_determinismE0ES3_S9_PKS6_NS0_17constant_iteratorIjlEEPS6_PlSH_S8_NS0_8equal_toIS6_EEEE10hipError_tPvRmT2_T3_mT4_T5_T6_T7_T8_P12ihipStream_tbENKUlT_T0_E_clISt17integral_constantIbLb0EES10_IbLb1EEEEDaSW_SX_EUlSW_E_NS1_11comp_targetILNS1_3genE5ELNS1_11target_archE942ELNS1_3gpuE9ELNS1_3repE0EEENS1_30default_config_static_selectorELNS0_4arch9wavefront6targetE0EEEvT1_.uses_vcc, 0
	.set _ZN7rocprim17ROCPRIM_400000_NS6detail17trampoline_kernelINS0_14default_configENS1_33run_length_encode_config_selectorIN3c108BFloat16EjNS0_4plusIjEEEEZZNS1_33reduce_by_key_impl_wrapped_configILNS1_25lookback_scan_determinismE0ES3_S9_PKS6_NS0_17constant_iteratorIjlEEPS6_PlSH_S8_NS0_8equal_toIS6_EEEE10hipError_tPvRmT2_T3_mT4_T5_T6_T7_T8_P12ihipStream_tbENKUlT_T0_E_clISt17integral_constantIbLb0EES10_IbLb1EEEEDaSW_SX_EUlSW_E_NS1_11comp_targetILNS1_3genE5ELNS1_11target_archE942ELNS1_3gpuE9ELNS1_3repE0EEENS1_30default_config_static_selectorELNS0_4arch9wavefront6targetE0EEEvT1_.uses_flat_scratch, 0
	.set _ZN7rocprim17ROCPRIM_400000_NS6detail17trampoline_kernelINS0_14default_configENS1_33run_length_encode_config_selectorIN3c108BFloat16EjNS0_4plusIjEEEEZZNS1_33reduce_by_key_impl_wrapped_configILNS1_25lookback_scan_determinismE0ES3_S9_PKS6_NS0_17constant_iteratorIjlEEPS6_PlSH_S8_NS0_8equal_toIS6_EEEE10hipError_tPvRmT2_T3_mT4_T5_T6_T7_T8_P12ihipStream_tbENKUlT_T0_E_clISt17integral_constantIbLb0EES10_IbLb1EEEEDaSW_SX_EUlSW_E_NS1_11comp_targetILNS1_3genE5ELNS1_11target_archE942ELNS1_3gpuE9ELNS1_3repE0EEENS1_30default_config_static_selectorELNS0_4arch9wavefront6targetE0EEEvT1_.has_dyn_sized_stack, 0
	.set _ZN7rocprim17ROCPRIM_400000_NS6detail17trampoline_kernelINS0_14default_configENS1_33run_length_encode_config_selectorIN3c108BFloat16EjNS0_4plusIjEEEEZZNS1_33reduce_by_key_impl_wrapped_configILNS1_25lookback_scan_determinismE0ES3_S9_PKS6_NS0_17constant_iteratorIjlEEPS6_PlSH_S8_NS0_8equal_toIS6_EEEE10hipError_tPvRmT2_T3_mT4_T5_T6_T7_T8_P12ihipStream_tbENKUlT_T0_E_clISt17integral_constantIbLb0EES10_IbLb1EEEEDaSW_SX_EUlSW_E_NS1_11comp_targetILNS1_3genE5ELNS1_11target_archE942ELNS1_3gpuE9ELNS1_3repE0EEENS1_30default_config_static_selectorELNS0_4arch9wavefront6targetE0EEEvT1_.has_recursion, 0
	.set _ZN7rocprim17ROCPRIM_400000_NS6detail17trampoline_kernelINS0_14default_configENS1_33run_length_encode_config_selectorIN3c108BFloat16EjNS0_4plusIjEEEEZZNS1_33reduce_by_key_impl_wrapped_configILNS1_25lookback_scan_determinismE0ES3_S9_PKS6_NS0_17constant_iteratorIjlEEPS6_PlSH_S8_NS0_8equal_toIS6_EEEE10hipError_tPvRmT2_T3_mT4_T5_T6_T7_T8_P12ihipStream_tbENKUlT_T0_E_clISt17integral_constantIbLb0EES10_IbLb1EEEEDaSW_SX_EUlSW_E_NS1_11comp_targetILNS1_3genE5ELNS1_11target_archE942ELNS1_3gpuE9ELNS1_3repE0EEENS1_30default_config_static_selectorELNS0_4arch9wavefront6targetE0EEEvT1_.has_indirect_call, 0
	.section	.AMDGPU.csdata,"",@progbits
; Kernel info:
; codeLenInByte = 0
; TotalNumSgprs: 0
; NumVgprs: 0
; ScratchSize: 0
; MemoryBound: 0
; FloatMode: 240
; IeeeMode: 1
; LDSByteSize: 0 bytes/workgroup (compile time only)
; SGPRBlocks: 0
; VGPRBlocks: 0
; NumSGPRsForWavesPerEU: 1
; NumVGPRsForWavesPerEU: 1
; NamedBarCnt: 0
; Occupancy: 16
; WaveLimiterHint : 0
; COMPUTE_PGM_RSRC2:SCRATCH_EN: 0
; COMPUTE_PGM_RSRC2:USER_SGPR: 2
; COMPUTE_PGM_RSRC2:TRAP_HANDLER: 0
; COMPUTE_PGM_RSRC2:TGID_X_EN: 1
; COMPUTE_PGM_RSRC2:TGID_Y_EN: 0
; COMPUTE_PGM_RSRC2:TGID_Z_EN: 0
; COMPUTE_PGM_RSRC2:TIDIG_COMP_CNT: 0
	.section	.text._ZN7rocprim17ROCPRIM_400000_NS6detail17trampoline_kernelINS0_14default_configENS1_33run_length_encode_config_selectorIN3c108BFloat16EjNS0_4plusIjEEEEZZNS1_33reduce_by_key_impl_wrapped_configILNS1_25lookback_scan_determinismE0ES3_S9_PKS6_NS0_17constant_iteratorIjlEEPS6_PlSH_S8_NS0_8equal_toIS6_EEEE10hipError_tPvRmT2_T3_mT4_T5_T6_T7_T8_P12ihipStream_tbENKUlT_T0_E_clISt17integral_constantIbLb0EES10_IbLb1EEEEDaSW_SX_EUlSW_E_NS1_11comp_targetILNS1_3genE4ELNS1_11target_archE910ELNS1_3gpuE8ELNS1_3repE0EEENS1_30default_config_static_selectorELNS0_4arch9wavefront6targetE0EEEvT1_,"axG",@progbits,_ZN7rocprim17ROCPRIM_400000_NS6detail17trampoline_kernelINS0_14default_configENS1_33run_length_encode_config_selectorIN3c108BFloat16EjNS0_4plusIjEEEEZZNS1_33reduce_by_key_impl_wrapped_configILNS1_25lookback_scan_determinismE0ES3_S9_PKS6_NS0_17constant_iteratorIjlEEPS6_PlSH_S8_NS0_8equal_toIS6_EEEE10hipError_tPvRmT2_T3_mT4_T5_T6_T7_T8_P12ihipStream_tbENKUlT_T0_E_clISt17integral_constantIbLb0EES10_IbLb1EEEEDaSW_SX_EUlSW_E_NS1_11comp_targetILNS1_3genE4ELNS1_11target_archE910ELNS1_3gpuE8ELNS1_3repE0EEENS1_30default_config_static_selectorELNS0_4arch9wavefront6targetE0EEEvT1_,comdat
	.protected	_ZN7rocprim17ROCPRIM_400000_NS6detail17trampoline_kernelINS0_14default_configENS1_33run_length_encode_config_selectorIN3c108BFloat16EjNS0_4plusIjEEEEZZNS1_33reduce_by_key_impl_wrapped_configILNS1_25lookback_scan_determinismE0ES3_S9_PKS6_NS0_17constant_iteratorIjlEEPS6_PlSH_S8_NS0_8equal_toIS6_EEEE10hipError_tPvRmT2_T3_mT4_T5_T6_T7_T8_P12ihipStream_tbENKUlT_T0_E_clISt17integral_constantIbLb0EES10_IbLb1EEEEDaSW_SX_EUlSW_E_NS1_11comp_targetILNS1_3genE4ELNS1_11target_archE910ELNS1_3gpuE8ELNS1_3repE0EEENS1_30default_config_static_selectorELNS0_4arch9wavefront6targetE0EEEvT1_ ; -- Begin function _ZN7rocprim17ROCPRIM_400000_NS6detail17trampoline_kernelINS0_14default_configENS1_33run_length_encode_config_selectorIN3c108BFloat16EjNS0_4plusIjEEEEZZNS1_33reduce_by_key_impl_wrapped_configILNS1_25lookback_scan_determinismE0ES3_S9_PKS6_NS0_17constant_iteratorIjlEEPS6_PlSH_S8_NS0_8equal_toIS6_EEEE10hipError_tPvRmT2_T3_mT4_T5_T6_T7_T8_P12ihipStream_tbENKUlT_T0_E_clISt17integral_constantIbLb0EES10_IbLb1EEEEDaSW_SX_EUlSW_E_NS1_11comp_targetILNS1_3genE4ELNS1_11target_archE910ELNS1_3gpuE8ELNS1_3repE0EEENS1_30default_config_static_selectorELNS0_4arch9wavefront6targetE0EEEvT1_
	.globl	_ZN7rocprim17ROCPRIM_400000_NS6detail17trampoline_kernelINS0_14default_configENS1_33run_length_encode_config_selectorIN3c108BFloat16EjNS0_4plusIjEEEEZZNS1_33reduce_by_key_impl_wrapped_configILNS1_25lookback_scan_determinismE0ES3_S9_PKS6_NS0_17constant_iteratorIjlEEPS6_PlSH_S8_NS0_8equal_toIS6_EEEE10hipError_tPvRmT2_T3_mT4_T5_T6_T7_T8_P12ihipStream_tbENKUlT_T0_E_clISt17integral_constantIbLb0EES10_IbLb1EEEEDaSW_SX_EUlSW_E_NS1_11comp_targetILNS1_3genE4ELNS1_11target_archE910ELNS1_3gpuE8ELNS1_3repE0EEENS1_30default_config_static_selectorELNS0_4arch9wavefront6targetE0EEEvT1_
	.p2align	8
	.type	_ZN7rocprim17ROCPRIM_400000_NS6detail17trampoline_kernelINS0_14default_configENS1_33run_length_encode_config_selectorIN3c108BFloat16EjNS0_4plusIjEEEEZZNS1_33reduce_by_key_impl_wrapped_configILNS1_25lookback_scan_determinismE0ES3_S9_PKS6_NS0_17constant_iteratorIjlEEPS6_PlSH_S8_NS0_8equal_toIS6_EEEE10hipError_tPvRmT2_T3_mT4_T5_T6_T7_T8_P12ihipStream_tbENKUlT_T0_E_clISt17integral_constantIbLb0EES10_IbLb1EEEEDaSW_SX_EUlSW_E_NS1_11comp_targetILNS1_3genE4ELNS1_11target_archE910ELNS1_3gpuE8ELNS1_3repE0EEENS1_30default_config_static_selectorELNS0_4arch9wavefront6targetE0EEEvT1_,@function
_ZN7rocprim17ROCPRIM_400000_NS6detail17trampoline_kernelINS0_14default_configENS1_33run_length_encode_config_selectorIN3c108BFloat16EjNS0_4plusIjEEEEZZNS1_33reduce_by_key_impl_wrapped_configILNS1_25lookback_scan_determinismE0ES3_S9_PKS6_NS0_17constant_iteratorIjlEEPS6_PlSH_S8_NS0_8equal_toIS6_EEEE10hipError_tPvRmT2_T3_mT4_T5_T6_T7_T8_P12ihipStream_tbENKUlT_T0_E_clISt17integral_constantIbLb0EES10_IbLb1EEEEDaSW_SX_EUlSW_E_NS1_11comp_targetILNS1_3genE4ELNS1_11target_archE910ELNS1_3gpuE8ELNS1_3repE0EEENS1_30default_config_static_selectorELNS0_4arch9wavefront6targetE0EEEvT1_: ; @_ZN7rocprim17ROCPRIM_400000_NS6detail17trampoline_kernelINS0_14default_configENS1_33run_length_encode_config_selectorIN3c108BFloat16EjNS0_4plusIjEEEEZZNS1_33reduce_by_key_impl_wrapped_configILNS1_25lookback_scan_determinismE0ES3_S9_PKS6_NS0_17constant_iteratorIjlEEPS6_PlSH_S8_NS0_8equal_toIS6_EEEE10hipError_tPvRmT2_T3_mT4_T5_T6_T7_T8_P12ihipStream_tbENKUlT_T0_E_clISt17integral_constantIbLb0EES10_IbLb1EEEEDaSW_SX_EUlSW_E_NS1_11comp_targetILNS1_3genE4ELNS1_11target_archE910ELNS1_3gpuE8ELNS1_3repE0EEENS1_30default_config_static_selectorELNS0_4arch9wavefront6targetE0EEEvT1_
; %bb.0:
	.section	.rodata,"a",@progbits
	.p2align	6, 0x0
	.amdhsa_kernel _ZN7rocprim17ROCPRIM_400000_NS6detail17trampoline_kernelINS0_14default_configENS1_33run_length_encode_config_selectorIN3c108BFloat16EjNS0_4plusIjEEEEZZNS1_33reduce_by_key_impl_wrapped_configILNS1_25lookback_scan_determinismE0ES3_S9_PKS6_NS0_17constant_iteratorIjlEEPS6_PlSH_S8_NS0_8equal_toIS6_EEEE10hipError_tPvRmT2_T3_mT4_T5_T6_T7_T8_P12ihipStream_tbENKUlT_T0_E_clISt17integral_constantIbLb0EES10_IbLb1EEEEDaSW_SX_EUlSW_E_NS1_11comp_targetILNS1_3genE4ELNS1_11target_archE910ELNS1_3gpuE8ELNS1_3repE0EEENS1_30default_config_static_selectorELNS0_4arch9wavefront6targetE0EEEvT1_
		.amdhsa_group_segment_fixed_size 0
		.amdhsa_private_segment_fixed_size 0
		.amdhsa_kernarg_size 128
		.amdhsa_user_sgpr_count 2
		.amdhsa_user_sgpr_dispatch_ptr 0
		.amdhsa_user_sgpr_queue_ptr 0
		.amdhsa_user_sgpr_kernarg_segment_ptr 1
		.amdhsa_user_sgpr_dispatch_id 0
		.amdhsa_user_sgpr_kernarg_preload_length 0
		.amdhsa_user_sgpr_kernarg_preload_offset 0
		.amdhsa_user_sgpr_private_segment_size 0
		.amdhsa_wavefront_size32 1
		.amdhsa_uses_dynamic_stack 0
		.amdhsa_enable_private_segment 0
		.amdhsa_system_sgpr_workgroup_id_x 1
		.amdhsa_system_sgpr_workgroup_id_y 0
		.amdhsa_system_sgpr_workgroup_id_z 0
		.amdhsa_system_sgpr_workgroup_info 0
		.amdhsa_system_vgpr_workitem_id 0
		.amdhsa_next_free_vgpr 1
		.amdhsa_next_free_sgpr 1
		.amdhsa_named_barrier_count 0
		.amdhsa_reserve_vcc 0
		.amdhsa_float_round_mode_32 0
		.amdhsa_float_round_mode_16_64 0
		.amdhsa_float_denorm_mode_32 3
		.amdhsa_float_denorm_mode_16_64 3
		.amdhsa_fp16_overflow 0
		.amdhsa_memory_ordered 1
		.amdhsa_forward_progress 1
		.amdhsa_inst_pref_size 0
		.amdhsa_round_robin_scheduling 0
		.amdhsa_exception_fp_ieee_invalid_op 0
		.amdhsa_exception_fp_denorm_src 0
		.amdhsa_exception_fp_ieee_div_zero 0
		.amdhsa_exception_fp_ieee_overflow 0
		.amdhsa_exception_fp_ieee_underflow 0
		.amdhsa_exception_fp_ieee_inexact 0
		.amdhsa_exception_int_div_zero 0
	.end_amdhsa_kernel
	.section	.text._ZN7rocprim17ROCPRIM_400000_NS6detail17trampoline_kernelINS0_14default_configENS1_33run_length_encode_config_selectorIN3c108BFloat16EjNS0_4plusIjEEEEZZNS1_33reduce_by_key_impl_wrapped_configILNS1_25lookback_scan_determinismE0ES3_S9_PKS6_NS0_17constant_iteratorIjlEEPS6_PlSH_S8_NS0_8equal_toIS6_EEEE10hipError_tPvRmT2_T3_mT4_T5_T6_T7_T8_P12ihipStream_tbENKUlT_T0_E_clISt17integral_constantIbLb0EES10_IbLb1EEEEDaSW_SX_EUlSW_E_NS1_11comp_targetILNS1_3genE4ELNS1_11target_archE910ELNS1_3gpuE8ELNS1_3repE0EEENS1_30default_config_static_selectorELNS0_4arch9wavefront6targetE0EEEvT1_,"axG",@progbits,_ZN7rocprim17ROCPRIM_400000_NS6detail17trampoline_kernelINS0_14default_configENS1_33run_length_encode_config_selectorIN3c108BFloat16EjNS0_4plusIjEEEEZZNS1_33reduce_by_key_impl_wrapped_configILNS1_25lookback_scan_determinismE0ES3_S9_PKS6_NS0_17constant_iteratorIjlEEPS6_PlSH_S8_NS0_8equal_toIS6_EEEE10hipError_tPvRmT2_T3_mT4_T5_T6_T7_T8_P12ihipStream_tbENKUlT_T0_E_clISt17integral_constantIbLb0EES10_IbLb1EEEEDaSW_SX_EUlSW_E_NS1_11comp_targetILNS1_3genE4ELNS1_11target_archE910ELNS1_3gpuE8ELNS1_3repE0EEENS1_30default_config_static_selectorELNS0_4arch9wavefront6targetE0EEEvT1_,comdat
.Lfunc_end885:
	.size	_ZN7rocprim17ROCPRIM_400000_NS6detail17trampoline_kernelINS0_14default_configENS1_33run_length_encode_config_selectorIN3c108BFloat16EjNS0_4plusIjEEEEZZNS1_33reduce_by_key_impl_wrapped_configILNS1_25lookback_scan_determinismE0ES3_S9_PKS6_NS0_17constant_iteratorIjlEEPS6_PlSH_S8_NS0_8equal_toIS6_EEEE10hipError_tPvRmT2_T3_mT4_T5_T6_T7_T8_P12ihipStream_tbENKUlT_T0_E_clISt17integral_constantIbLb0EES10_IbLb1EEEEDaSW_SX_EUlSW_E_NS1_11comp_targetILNS1_3genE4ELNS1_11target_archE910ELNS1_3gpuE8ELNS1_3repE0EEENS1_30default_config_static_selectorELNS0_4arch9wavefront6targetE0EEEvT1_, .Lfunc_end885-_ZN7rocprim17ROCPRIM_400000_NS6detail17trampoline_kernelINS0_14default_configENS1_33run_length_encode_config_selectorIN3c108BFloat16EjNS0_4plusIjEEEEZZNS1_33reduce_by_key_impl_wrapped_configILNS1_25lookback_scan_determinismE0ES3_S9_PKS6_NS0_17constant_iteratorIjlEEPS6_PlSH_S8_NS0_8equal_toIS6_EEEE10hipError_tPvRmT2_T3_mT4_T5_T6_T7_T8_P12ihipStream_tbENKUlT_T0_E_clISt17integral_constantIbLb0EES10_IbLb1EEEEDaSW_SX_EUlSW_E_NS1_11comp_targetILNS1_3genE4ELNS1_11target_archE910ELNS1_3gpuE8ELNS1_3repE0EEENS1_30default_config_static_selectorELNS0_4arch9wavefront6targetE0EEEvT1_
                                        ; -- End function
	.set _ZN7rocprim17ROCPRIM_400000_NS6detail17trampoline_kernelINS0_14default_configENS1_33run_length_encode_config_selectorIN3c108BFloat16EjNS0_4plusIjEEEEZZNS1_33reduce_by_key_impl_wrapped_configILNS1_25lookback_scan_determinismE0ES3_S9_PKS6_NS0_17constant_iteratorIjlEEPS6_PlSH_S8_NS0_8equal_toIS6_EEEE10hipError_tPvRmT2_T3_mT4_T5_T6_T7_T8_P12ihipStream_tbENKUlT_T0_E_clISt17integral_constantIbLb0EES10_IbLb1EEEEDaSW_SX_EUlSW_E_NS1_11comp_targetILNS1_3genE4ELNS1_11target_archE910ELNS1_3gpuE8ELNS1_3repE0EEENS1_30default_config_static_selectorELNS0_4arch9wavefront6targetE0EEEvT1_.num_vgpr, 0
	.set _ZN7rocprim17ROCPRIM_400000_NS6detail17trampoline_kernelINS0_14default_configENS1_33run_length_encode_config_selectorIN3c108BFloat16EjNS0_4plusIjEEEEZZNS1_33reduce_by_key_impl_wrapped_configILNS1_25lookback_scan_determinismE0ES3_S9_PKS6_NS0_17constant_iteratorIjlEEPS6_PlSH_S8_NS0_8equal_toIS6_EEEE10hipError_tPvRmT2_T3_mT4_T5_T6_T7_T8_P12ihipStream_tbENKUlT_T0_E_clISt17integral_constantIbLb0EES10_IbLb1EEEEDaSW_SX_EUlSW_E_NS1_11comp_targetILNS1_3genE4ELNS1_11target_archE910ELNS1_3gpuE8ELNS1_3repE0EEENS1_30default_config_static_selectorELNS0_4arch9wavefront6targetE0EEEvT1_.num_agpr, 0
	.set _ZN7rocprim17ROCPRIM_400000_NS6detail17trampoline_kernelINS0_14default_configENS1_33run_length_encode_config_selectorIN3c108BFloat16EjNS0_4plusIjEEEEZZNS1_33reduce_by_key_impl_wrapped_configILNS1_25lookback_scan_determinismE0ES3_S9_PKS6_NS0_17constant_iteratorIjlEEPS6_PlSH_S8_NS0_8equal_toIS6_EEEE10hipError_tPvRmT2_T3_mT4_T5_T6_T7_T8_P12ihipStream_tbENKUlT_T0_E_clISt17integral_constantIbLb0EES10_IbLb1EEEEDaSW_SX_EUlSW_E_NS1_11comp_targetILNS1_3genE4ELNS1_11target_archE910ELNS1_3gpuE8ELNS1_3repE0EEENS1_30default_config_static_selectorELNS0_4arch9wavefront6targetE0EEEvT1_.numbered_sgpr, 0
	.set _ZN7rocprim17ROCPRIM_400000_NS6detail17trampoline_kernelINS0_14default_configENS1_33run_length_encode_config_selectorIN3c108BFloat16EjNS0_4plusIjEEEEZZNS1_33reduce_by_key_impl_wrapped_configILNS1_25lookback_scan_determinismE0ES3_S9_PKS6_NS0_17constant_iteratorIjlEEPS6_PlSH_S8_NS0_8equal_toIS6_EEEE10hipError_tPvRmT2_T3_mT4_T5_T6_T7_T8_P12ihipStream_tbENKUlT_T0_E_clISt17integral_constantIbLb0EES10_IbLb1EEEEDaSW_SX_EUlSW_E_NS1_11comp_targetILNS1_3genE4ELNS1_11target_archE910ELNS1_3gpuE8ELNS1_3repE0EEENS1_30default_config_static_selectorELNS0_4arch9wavefront6targetE0EEEvT1_.num_named_barrier, 0
	.set _ZN7rocprim17ROCPRIM_400000_NS6detail17trampoline_kernelINS0_14default_configENS1_33run_length_encode_config_selectorIN3c108BFloat16EjNS0_4plusIjEEEEZZNS1_33reduce_by_key_impl_wrapped_configILNS1_25lookback_scan_determinismE0ES3_S9_PKS6_NS0_17constant_iteratorIjlEEPS6_PlSH_S8_NS0_8equal_toIS6_EEEE10hipError_tPvRmT2_T3_mT4_T5_T6_T7_T8_P12ihipStream_tbENKUlT_T0_E_clISt17integral_constantIbLb0EES10_IbLb1EEEEDaSW_SX_EUlSW_E_NS1_11comp_targetILNS1_3genE4ELNS1_11target_archE910ELNS1_3gpuE8ELNS1_3repE0EEENS1_30default_config_static_selectorELNS0_4arch9wavefront6targetE0EEEvT1_.private_seg_size, 0
	.set _ZN7rocprim17ROCPRIM_400000_NS6detail17trampoline_kernelINS0_14default_configENS1_33run_length_encode_config_selectorIN3c108BFloat16EjNS0_4plusIjEEEEZZNS1_33reduce_by_key_impl_wrapped_configILNS1_25lookback_scan_determinismE0ES3_S9_PKS6_NS0_17constant_iteratorIjlEEPS6_PlSH_S8_NS0_8equal_toIS6_EEEE10hipError_tPvRmT2_T3_mT4_T5_T6_T7_T8_P12ihipStream_tbENKUlT_T0_E_clISt17integral_constantIbLb0EES10_IbLb1EEEEDaSW_SX_EUlSW_E_NS1_11comp_targetILNS1_3genE4ELNS1_11target_archE910ELNS1_3gpuE8ELNS1_3repE0EEENS1_30default_config_static_selectorELNS0_4arch9wavefront6targetE0EEEvT1_.uses_vcc, 0
	.set _ZN7rocprim17ROCPRIM_400000_NS6detail17trampoline_kernelINS0_14default_configENS1_33run_length_encode_config_selectorIN3c108BFloat16EjNS0_4plusIjEEEEZZNS1_33reduce_by_key_impl_wrapped_configILNS1_25lookback_scan_determinismE0ES3_S9_PKS6_NS0_17constant_iteratorIjlEEPS6_PlSH_S8_NS0_8equal_toIS6_EEEE10hipError_tPvRmT2_T3_mT4_T5_T6_T7_T8_P12ihipStream_tbENKUlT_T0_E_clISt17integral_constantIbLb0EES10_IbLb1EEEEDaSW_SX_EUlSW_E_NS1_11comp_targetILNS1_3genE4ELNS1_11target_archE910ELNS1_3gpuE8ELNS1_3repE0EEENS1_30default_config_static_selectorELNS0_4arch9wavefront6targetE0EEEvT1_.uses_flat_scratch, 0
	.set _ZN7rocprim17ROCPRIM_400000_NS6detail17trampoline_kernelINS0_14default_configENS1_33run_length_encode_config_selectorIN3c108BFloat16EjNS0_4plusIjEEEEZZNS1_33reduce_by_key_impl_wrapped_configILNS1_25lookback_scan_determinismE0ES3_S9_PKS6_NS0_17constant_iteratorIjlEEPS6_PlSH_S8_NS0_8equal_toIS6_EEEE10hipError_tPvRmT2_T3_mT4_T5_T6_T7_T8_P12ihipStream_tbENKUlT_T0_E_clISt17integral_constantIbLb0EES10_IbLb1EEEEDaSW_SX_EUlSW_E_NS1_11comp_targetILNS1_3genE4ELNS1_11target_archE910ELNS1_3gpuE8ELNS1_3repE0EEENS1_30default_config_static_selectorELNS0_4arch9wavefront6targetE0EEEvT1_.has_dyn_sized_stack, 0
	.set _ZN7rocprim17ROCPRIM_400000_NS6detail17trampoline_kernelINS0_14default_configENS1_33run_length_encode_config_selectorIN3c108BFloat16EjNS0_4plusIjEEEEZZNS1_33reduce_by_key_impl_wrapped_configILNS1_25lookback_scan_determinismE0ES3_S9_PKS6_NS0_17constant_iteratorIjlEEPS6_PlSH_S8_NS0_8equal_toIS6_EEEE10hipError_tPvRmT2_T3_mT4_T5_T6_T7_T8_P12ihipStream_tbENKUlT_T0_E_clISt17integral_constantIbLb0EES10_IbLb1EEEEDaSW_SX_EUlSW_E_NS1_11comp_targetILNS1_3genE4ELNS1_11target_archE910ELNS1_3gpuE8ELNS1_3repE0EEENS1_30default_config_static_selectorELNS0_4arch9wavefront6targetE0EEEvT1_.has_recursion, 0
	.set _ZN7rocprim17ROCPRIM_400000_NS6detail17trampoline_kernelINS0_14default_configENS1_33run_length_encode_config_selectorIN3c108BFloat16EjNS0_4plusIjEEEEZZNS1_33reduce_by_key_impl_wrapped_configILNS1_25lookback_scan_determinismE0ES3_S9_PKS6_NS0_17constant_iteratorIjlEEPS6_PlSH_S8_NS0_8equal_toIS6_EEEE10hipError_tPvRmT2_T3_mT4_T5_T6_T7_T8_P12ihipStream_tbENKUlT_T0_E_clISt17integral_constantIbLb0EES10_IbLb1EEEEDaSW_SX_EUlSW_E_NS1_11comp_targetILNS1_3genE4ELNS1_11target_archE910ELNS1_3gpuE8ELNS1_3repE0EEENS1_30default_config_static_selectorELNS0_4arch9wavefront6targetE0EEEvT1_.has_indirect_call, 0
	.section	.AMDGPU.csdata,"",@progbits
; Kernel info:
; codeLenInByte = 0
; TotalNumSgprs: 0
; NumVgprs: 0
; ScratchSize: 0
; MemoryBound: 0
; FloatMode: 240
; IeeeMode: 1
; LDSByteSize: 0 bytes/workgroup (compile time only)
; SGPRBlocks: 0
; VGPRBlocks: 0
; NumSGPRsForWavesPerEU: 1
; NumVGPRsForWavesPerEU: 1
; NamedBarCnt: 0
; Occupancy: 16
; WaveLimiterHint : 0
; COMPUTE_PGM_RSRC2:SCRATCH_EN: 0
; COMPUTE_PGM_RSRC2:USER_SGPR: 2
; COMPUTE_PGM_RSRC2:TRAP_HANDLER: 0
; COMPUTE_PGM_RSRC2:TGID_X_EN: 1
; COMPUTE_PGM_RSRC2:TGID_Y_EN: 0
; COMPUTE_PGM_RSRC2:TGID_Z_EN: 0
; COMPUTE_PGM_RSRC2:TIDIG_COMP_CNT: 0
	.section	.text._ZN7rocprim17ROCPRIM_400000_NS6detail17trampoline_kernelINS0_14default_configENS1_33run_length_encode_config_selectorIN3c108BFloat16EjNS0_4plusIjEEEEZZNS1_33reduce_by_key_impl_wrapped_configILNS1_25lookback_scan_determinismE0ES3_S9_PKS6_NS0_17constant_iteratorIjlEEPS6_PlSH_S8_NS0_8equal_toIS6_EEEE10hipError_tPvRmT2_T3_mT4_T5_T6_T7_T8_P12ihipStream_tbENKUlT_T0_E_clISt17integral_constantIbLb0EES10_IbLb1EEEEDaSW_SX_EUlSW_E_NS1_11comp_targetILNS1_3genE3ELNS1_11target_archE908ELNS1_3gpuE7ELNS1_3repE0EEENS1_30default_config_static_selectorELNS0_4arch9wavefront6targetE0EEEvT1_,"axG",@progbits,_ZN7rocprim17ROCPRIM_400000_NS6detail17trampoline_kernelINS0_14default_configENS1_33run_length_encode_config_selectorIN3c108BFloat16EjNS0_4plusIjEEEEZZNS1_33reduce_by_key_impl_wrapped_configILNS1_25lookback_scan_determinismE0ES3_S9_PKS6_NS0_17constant_iteratorIjlEEPS6_PlSH_S8_NS0_8equal_toIS6_EEEE10hipError_tPvRmT2_T3_mT4_T5_T6_T7_T8_P12ihipStream_tbENKUlT_T0_E_clISt17integral_constantIbLb0EES10_IbLb1EEEEDaSW_SX_EUlSW_E_NS1_11comp_targetILNS1_3genE3ELNS1_11target_archE908ELNS1_3gpuE7ELNS1_3repE0EEENS1_30default_config_static_selectorELNS0_4arch9wavefront6targetE0EEEvT1_,comdat
	.protected	_ZN7rocprim17ROCPRIM_400000_NS6detail17trampoline_kernelINS0_14default_configENS1_33run_length_encode_config_selectorIN3c108BFloat16EjNS0_4plusIjEEEEZZNS1_33reduce_by_key_impl_wrapped_configILNS1_25lookback_scan_determinismE0ES3_S9_PKS6_NS0_17constant_iteratorIjlEEPS6_PlSH_S8_NS0_8equal_toIS6_EEEE10hipError_tPvRmT2_T3_mT4_T5_T6_T7_T8_P12ihipStream_tbENKUlT_T0_E_clISt17integral_constantIbLb0EES10_IbLb1EEEEDaSW_SX_EUlSW_E_NS1_11comp_targetILNS1_3genE3ELNS1_11target_archE908ELNS1_3gpuE7ELNS1_3repE0EEENS1_30default_config_static_selectorELNS0_4arch9wavefront6targetE0EEEvT1_ ; -- Begin function _ZN7rocprim17ROCPRIM_400000_NS6detail17trampoline_kernelINS0_14default_configENS1_33run_length_encode_config_selectorIN3c108BFloat16EjNS0_4plusIjEEEEZZNS1_33reduce_by_key_impl_wrapped_configILNS1_25lookback_scan_determinismE0ES3_S9_PKS6_NS0_17constant_iteratorIjlEEPS6_PlSH_S8_NS0_8equal_toIS6_EEEE10hipError_tPvRmT2_T3_mT4_T5_T6_T7_T8_P12ihipStream_tbENKUlT_T0_E_clISt17integral_constantIbLb0EES10_IbLb1EEEEDaSW_SX_EUlSW_E_NS1_11comp_targetILNS1_3genE3ELNS1_11target_archE908ELNS1_3gpuE7ELNS1_3repE0EEENS1_30default_config_static_selectorELNS0_4arch9wavefront6targetE0EEEvT1_
	.globl	_ZN7rocprim17ROCPRIM_400000_NS6detail17trampoline_kernelINS0_14default_configENS1_33run_length_encode_config_selectorIN3c108BFloat16EjNS0_4plusIjEEEEZZNS1_33reduce_by_key_impl_wrapped_configILNS1_25lookback_scan_determinismE0ES3_S9_PKS6_NS0_17constant_iteratorIjlEEPS6_PlSH_S8_NS0_8equal_toIS6_EEEE10hipError_tPvRmT2_T3_mT4_T5_T6_T7_T8_P12ihipStream_tbENKUlT_T0_E_clISt17integral_constantIbLb0EES10_IbLb1EEEEDaSW_SX_EUlSW_E_NS1_11comp_targetILNS1_3genE3ELNS1_11target_archE908ELNS1_3gpuE7ELNS1_3repE0EEENS1_30default_config_static_selectorELNS0_4arch9wavefront6targetE0EEEvT1_
	.p2align	8
	.type	_ZN7rocprim17ROCPRIM_400000_NS6detail17trampoline_kernelINS0_14default_configENS1_33run_length_encode_config_selectorIN3c108BFloat16EjNS0_4plusIjEEEEZZNS1_33reduce_by_key_impl_wrapped_configILNS1_25lookback_scan_determinismE0ES3_S9_PKS6_NS0_17constant_iteratorIjlEEPS6_PlSH_S8_NS0_8equal_toIS6_EEEE10hipError_tPvRmT2_T3_mT4_T5_T6_T7_T8_P12ihipStream_tbENKUlT_T0_E_clISt17integral_constantIbLb0EES10_IbLb1EEEEDaSW_SX_EUlSW_E_NS1_11comp_targetILNS1_3genE3ELNS1_11target_archE908ELNS1_3gpuE7ELNS1_3repE0EEENS1_30default_config_static_selectorELNS0_4arch9wavefront6targetE0EEEvT1_,@function
_ZN7rocprim17ROCPRIM_400000_NS6detail17trampoline_kernelINS0_14default_configENS1_33run_length_encode_config_selectorIN3c108BFloat16EjNS0_4plusIjEEEEZZNS1_33reduce_by_key_impl_wrapped_configILNS1_25lookback_scan_determinismE0ES3_S9_PKS6_NS0_17constant_iteratorIjlEEPS6_PlSH_S8_NS0_8equal_toIS6_EEEE10hipError_tPvRmT2_T3_mT4_T5_T6_T7_T8_P12ihipStream_tbENKUlT_T0_E_clISt17integral_constantIbLb0EES10_IbLb1EEEEDaSW_SX_EUlSW_E_NS1_11comp_targetILNS1_3genE3ELNS1_11target_archE908ELNS1_3gpuE7ELNS1_3repE0EEENS1_30default_config_static_selectorELNS0_4arch9wavefront6targetE0EEEvT1_: ; @_ZN7rocprim17ROCPRIM_400000_NS6detail17trampoline_kernelINS0_14default_configENS1_33run_length_encode_config_selectorIN3c108BFloat16EjNS0_4plusIjEEEEZZNS1_33reduce_by_key_impl_wrapped_configILNS1_25lookback_scan_determinismE0ES3_S9_PKS6_NS0_17constant_iteratorIjlEEPS6_PlSH_S8_NS0_8equal_toIS6_EEEE10hipError_tPvRmT2_T3_mT4_T5_T6_T7_T8_P12ihipStream_tbENKUlT_T0_E_clISt17integral_constantIbLb0EES10_IbLb1EEEEDaSW_SX_EUlSW_E_NS1_11comp_targetILNS1_3genE3ELNS1_11target_archE908ELNS1_3gpuE7ELNS1_3repE0EEENS1_30default_config_static_selectorELNS0_4arch9wavefront6targetE0EEEvT1_
; %bb.0:
	.section	.rodata,"a",@progbits
	.p2align	6, 0x0
	.amdhsa_kernel _ZN7rocprim17ROCPRIM_400000_NS6detail17trampoline_kernelINS0_14default_configENS1_33run_length_encode_config_selectorIN3c108BFloat16EjNS0_4plusIjEEEEZZNS1_33reduce_by_key_impl_wrapped_configILNS1_25lookback_scan_determinismE0ES3_S9_PKS6_NS0_17constant_iteratorIjlEEPS6_PlSH_S8_NS0_8equal_toIS6_EEEE10hipError_tPvRmT2_T3_mT4_T5_T6_T7_T8_P12ihipStream_tbENKUlT_T0_E_clISt17integral_constantIbLb0EES10_IbLb1EEEEDaSW_SX_EUlSW_E_NS1_11comp_targetILNS1_3genE3ELNS1_11target_archE908ELNS1_3gpuE7ELNS1_3repE0EEENS1_30default_config_static_selectorELNS0_4arch9wavefront6targetE0EEEvT1_
		.amdhsa_group_segment_fixed_size 0
		.amdhsa_private_segment_fixed_size 0
		.amdhsa_kernarg_size 128
		.amdhsa_user_sgpr_count 2
		.amdhsa_user_sgpr_dispatch_ptr 0
		.amdhsa_user_sgpr_queue_ptr 0
		.amdhsa_user_sgpr_kernarg_segment_ptr 1
		.amdhsa_user_sgpr_dispatch_id 0
		.amdhsa_user_sgpr_kernarg_preload_length 0
		.amdhsa_user_sgpr_kernarg_preload_offset 0
		.amdhsa_user_sgpr_private_segment_size 0
		.amdhsa_wavefront_size32 1
		.amdhsa_uses_dynamic_stack 0
		.amdhsa_enable_private_segment 0
		.amdhsa_system_sgpr_workgroup_id_x 1
		.amdhsa_system_sgpr_workgroup_id_y 0
		.amdhsa_system_sgpr_workgroup_id_z 0
		.amdhsa_system_sgpr_workgroup_info 0
		.amdhsa_system_vgpr_workitem_id 0
		.amdhsa_next_free_vgpr 1
		.amdhsa_next_free_sgpr 1
		.amdhsa_named_barrier_count 0
		.amdhsa_reserve_vcc 0
		.amdhsa_float_round_mode_32 0
		.amdhsa_float_round_mode_16_64 0
		.amdhsa_float_denorm_mode_32 3
		.amdhsa_float_denorm_mode_16_64 3
		.amdhsa_fp16_overflow 0
		.amdhsa_memory_ordered 1
		.amdhsa_forward_progress 1
		.amdhsa_inst_pref_size 0
		.amdhsa_round_robin_scheduling 0
		.amdhsa_exception_fp_ieee_invalid_op 0
		.amdhsa_exception_fp_denorm_src 0
		.amdhsa_exception_fp_ieee_div_zero 0
		.amdhsa_exception_fp_ieee_overflow 0
		.amdhsa_exception_fp_ieee_underflow 0
		.amdhsa_exception_fp_ieee_inexact 0
		.amdhsa_exception_int_div_zero 0
	.end_amdhsa_kernel
	.section	.text._ZN7rocprim17ROCPRIM_400000_NS6detail17trampoline_kernelINS0_14default_configENS1_33run_length_encode_config_selectorIN3c108BFloat16EjNS0_4plusIjEEEEZZNS1_33reduce_by_key_impl_wrapped_configILNS1_25lookback_scan_determinismE0ES3_S9_PKS6_NS0_17constant_iteratorIjlEEPS6_PlSH_S8_NS0_8equal_toIS6_EEEE10hipError_tPvRmT2_T3_mT4_T5_T6_T7_T8_P12ihipStream_tbENKUlT_T0_E_clISt17integral_constantIbLb0EES10_IbLb1EEEEDaSW_SX_EUlSW_E_NS1_11comp_targetILNS1_3genE3ELNS1_11target_archE908ELNS1_3gpuE7ELNS1_3repE0EEENS1_30default_config_static_selectorELNS0_4arch9wavefront6targetE0EEEvT1_,"axG",@progbits,_ZN7rocprim17ROCPRIM_400000_NS6detail17trampoline_kernelINS0_14default_configENS1_33run_length_encode_config_selectorIN3c108BFloat16EjNS0_4plusIjEEEEZZNS1_33reduce_by_key_impl_wrapped_configILNS1_25lookback_scan_determinismE0ES3_S9_PKS6_NS0_17constant_iteratorIjlEEPS6_PlSH_S8_NS0_8equal_toIS6_EEEE10hipError_tPvRmT2_T3_mT4_T5_T6_T7_T8_P12ihipStream_tbENKUlT_T0_E_clISt17integral_constantIbLb0EES10_IbLb1EEEEDaSW_SX_EUlSW_E_NS1_11comp_targetILNS1_3genE3ELNS1_11target_archE908ELNS1_3gpuE7ELNS1_3repE0EEENS1_30default_config_static_selectorELNS0_4arch9wavefront6targetE0EEEvT1_,comdat
.Lfunc_end886:
	.size	_ZN7rocprim17ROCPRIM_400000_NS6detail17trampoline_kernelINS0_14default_configENS1_33run_length_encode_config_selectorIN3c108BFloat16EjNS0_4plusIjEEEEZZNS1_33reduce_by_key_impl_wrapped_configILNS1_25lookback_scan_determinismE0ES3_S9_PKS6_NS0_17constant_iteratorIjlEEPS6_PlSH_S8_NS0_8equal_toIS6_EEEE10hipError_tPvRmT2_T3_mT4_T5_T6_T7_T8_P12ihipStream_tbENKUlT_T0_E_clISt17integral_constantIbLb0EES10_IbLb1EEEEDaSW_SX_EUlSW_E_NS1_11comp_targetILNS1_3genE3ELNS1_11target_archE908ELNS1_3gpuE7ELNS1_3repE0EEENS1_30default_config_static_selectorELNS0_4arch9wavefront6targetE0EEEvT1_, .Lfunc_end886-_ZN7rocprim17ROCPRIM_400000_NS6detail17trampoline_kernelINS0_14default_configENS1_33run_length_encode_config_selectorIN3c108BFloat16EjNS0_4plusIjEEEEZZNS1_33reduce_by_key_impl_wrapped_configILNS1_25lookback_scan_determinismE0ES3_S9_PKS6_NS0_17constant_iteratorIjlEEPS6_PlSH_S8_NS0_8equal_toIS6_EEEE10hipError_tPvRmT2_T3_mT4_T5_T6_T7_T8_P12ihipStream_tbENKUlT_T0_E_clISt17integral_constantIbLb0EES10_IbLb1EEEEDaSW_SX_EUlSW_E_NS1_11comp_targetILNS1_3genE3ELNS1_11target_archE908ELNS1_3gpuE7ELNS1_3repE0EEENS1_30default_config_static_selectorELNS0_4arch9wavefront6targetE0EEEvT1_
                                        ; -- End function
	.set _ZN7rocprim17ROCPRIM_400000_NS6detail17trampoline_kernelINS0_14default_configENS1_33run_length_encode_config_selectorIN3c108BFloat16EjNS0_4plusIjEEEEZZNS1_33reduce_by_key_impl_wrapped_configILNS1_25lookback_scan_determinismE0ES3_S9_PKS6_NS0_17constant_iteratorIjlEEPS6_PlSH_S8_NS0_8equal_toIS6_EEEE10hipError_tPvRmT2_T3_mT4_T5_T6_T7_T8_P12ihipStream_tbENKUlT_T0_E_clISt17integral_constantIbLb0EES10_IbLb1EEEEDaSW_SX_EUlSW_E_NS1_11comp_targetILNS1_3genE3ELNS1_11target_archE908ELNS1_3gpuE7ELNS1_3repE0EEENS1_30default_config_static_selectorELNS0_4arch9wavefront6targetE0EEEvT1_.num_vgpr, 0
	.set _ZN7rocprim17ROCPRIM_400000_NS6detail17trampoline_kernelINS0_14default_configENS1_33run_length_encode_config_selectorIN3c108BFloat16EjNS0_4plusIjEEEEZZNS1_33reduce_by_key_impl_wrapped_configILNS1_25lookback_scan_determinismE0ES3_S9_PKS6_NS0_17constant_iteratorIjlEEPS6_PlSH_S8_NS0_8equal_toIS6_EEEE10hipError_tPvRmT2_T3_mT4_T5_T6_T7_T8_P12ihipStream_tbENKUlT_T0_E_clISt17integral_constantIbLb0EES10_IbLb1EEEEDaSW_SX_EUlSW_E_NS1_11comp_targetILNS1_3genE3ELNS1_11target_archE908ELNS1_3gpuE7ELNS1_3repE0EEENS1_30default_config_static_selectorELNS0_4arch9wavefront6targetE0EEEvT1_.num_agpr, 0
	.set _ZN7rocprim17ROCPRIM_400000_NS6detail17trampoline_kernelINS0_14default_configENS1_33run_length_encode_config_selectorIN3c108BFloat16EjNS0_4plusIjEEEEZZNS1_33reduce_by_key_impl_wrapped_configILNS1_25lookback_scan_determinismE0ES3_S9_PKS6_NS0_17constant_iteratorIjlEEPS6_PlSH_S8_NS0_8equal_toIS6_EEEE10hipError_tPvRmT2_T3_mT4_T5_T6_T7_T8_P12ihipStream_tbENKUlT_T0_E_clISt17integral_constantIbLb0EES10_IbLb1EEEEDaSW_SX_EUlSW_E_NS1_11comp_targetILNS1_3genE3ELNS1_11target_archE908ELNS1_3gpuE7ELNS1_3repE0EEENS1_30default_config_static_selectorELNS0_4arch9wavefront6targetE0EEEvT1_.numbered_sgpr, 0
	.set _ZN7rocprim17ROCPRIM_400000_NS6detail17trampoline_kernelINS0_14default_configENS1_33run_length_encode_config_selectorIN3c108BFloat16EjNS0_4plusIjEEEEZZNS1_33reduce_by_key_impl_wrapped_configILNS1_25lookback_scan_determinismE0ES3_S9_PKS6_NS0_17constant_iteratorIjlEEPS6_PlSH_S8_NS0_8equal_toIS6_EEEE10hipError_tPvRmT2_T3_mT4_T5_T6_T7_T8_P12ihipStream_tbENKUlT_T0_E_clISt17integral_constantIbLb0EES10_IbLb1EEEEDaSW_SX_EUlSW_E_NS1_11comp_targetILNS1_3genE3ELNS1_11target_archE908ELNS1_3gpuE7ELNS1_3repE0EEENS1_30default_config_static_selectorELNS0_4arch9wavefront6targetE0EEEvT1_.num_named_barrier, 0
	.set _ZN7rocprim17ROCPRIM_400000_NS6detail17trampoline_kernelINS0_14default_configENS1_33run_length_encode_config_selectorIN3c108BFloat16EjNS0_4plusIjEEEEZZNS1_33reduce_by_key_impl_wrapped_configILNS1_25lookback_scan_determinismE0ES3_S9_PKS6_NS0_17constant_iteratorIjlEEPS6_PlSH_S8_NS0_8equal_toIS6_EEEE10hipError_tPvRmT2_T3_mT4_T5_T6_T7_T8_P12ihipStream_tbENKUlT_T0_E_clISt17integral_constantIbLb0EES10_IbLb1EEEEDaSW_SX_EUlSW_E_NS1_11comp_targetILNS1_3genE3ELNS1_11target_archE908ELNS1_3gpuE7ELNS1_3repE0EEENS1_30default_config_static_selectorELNS0_4arch9wavefront6targetE0EEEvT1_.private_seg_size, 0
	.set _ZN7rocprim17ROCPRIM_400000_NS6detail17trampoline_kernelINS0_14default_configENS1_33run_length_encode_config_selectorIN3c108BFloat16EjNS0_4plusIjEEEEZZNS1_33reduce_by_key_impl_wrapped_configILNS1_25lookback_scan_determinismE0ES3_S9_PKS6_NS0_17constant_iteratorIjlEEPS6_PlSH_S8_NS0_8equal_toIS6_EEEE10hipError_tPvRmT2_T3_mT4_T5_T6_T7_T8_P12ihipStream_tbENKUlT_T0_E_clISt17integral_constantIbLb0EES10_IbLb1EEEEDaSW_SX_EUlSW_E_NS1_11comp_targetILNS1_3genE3ELNS1_11target_archE908ELNS1_3gpuE7ELNS1_3repE0EEENS1_30default_config_static_selectorELNS0_4arch9wavefront6targetE0EEEvT1_.uses_vcc, 0
	.set _ZN7rocprim17ROCPRIM_400000_NS6detail17trampoline_kernelINS0_14default_configENS1_33run_length_encode_config_selectorIN3c108BFloat16EjNS0_4plusIjEEEEZZNS1_33reduce_by_key_impl_wrapped_configILNS1_25lookback_scan_determinismE0ES3_S9_PKS6_NS0_17constant_iteratorIjlEEPS6_PlSH_S8_NS0_8equal_toIS6_EEEE10hipError_tPvRmT2_T3_mT4_T5_T6_T7_T8_P12ihipStream_tbENKUlT_T0_E_clISt17integral_constantIbLb0EES10_IbLb1EEEEDaSW_SX_EUlSW_E_NS1_11comp_targetILNS1_3genE3ELNS1_11target_archE908ELNS1_3gpuE7ELNS1_3repE0EEENS1_30default_config_static_selectorELNS0_4arch9wavefront6targetE0EEEvT1_.uses_flat_scratch, 0
	.set _ZN7rocprim17ROCPRIM_400000_NS6detail17trampoline_kernelINS0_14default_configENS1_33run_length_encode_config_selectorIN3c108BFloat16EjNS0_4plusIjEEEEZZNS1_33reduce_by_key_impl_wrapped_configILNS1_25lookback_scan_determinismE0ES3_S9_PKS6_NS0_17constant_iteratorIjlEEPS6_PlSH_S8_NS0_8equal_toIS6_EEEE10hipError_tPvRmT2_T3_mT4_T5_T6_T7_T8_P12ihipStream_tbENKUlT_T0_E_clISt17integral_constantIbLb0EES10_IbLb1EEEEDaSW_SX_EUlSW_E_NS1_11comp_targetILNS1_3genE3ELNS1_11target_archE908ELNS1_3gpuE7ELNS1_3repE0EEENS1_30default_config_static_selectorELNS0_4arch9wavefront6targetE0EEEvT1_.has_dyn_sized_stack, 0
	.set _ZN7rocprim17ROCPRIM_400000_NS6detail17trampoline_kernelINS0_14default_configENS1_33run_length_encode_config_selectorIN3c108BFloat16EjNS0_4plusIjEEEEZZNS1_33reduce_by_key_impl_wrapped_configILNS1_25lookback_scan_determinismE0ES3_S9_PKS6_NS0_17constant_iteratorIjlEEPS6_PlSH_S8_NS0_8equal_toIS6_EEEE10hipError_tPvRmT2_T3_mT4_T5_T6_T7_T8_P12ihipStream_tbENKUlT_T0_E_clISt17integral_constantIbLb0EES10_IbLb1EEEEDaSW_SX_EUlSW_E_NS1_11comp_targetILNS1_3genE3ELNS1_11target_archE908ELNS1_3gpuE7ELNS1_3repE0EEENS1_30default_config_static_selectorELNS0_4arch9wavefront6targetE0EEEvT1_.has_recursion, 0
	.set _ZN7rocprim17ROCPRIM_400000_NS6detail17trampoline_kernelINS0_14default_configENS1_33run_length_encode_config_selectorIN3c108BFloat16EjNS0_4plusIjEEEEZZNS1_33reduce_by_key_impl_wrapped_configILNS1_25lookback_scan_determinismE0ES3_S9_PKS6_NS0_17constant_iteratorIjlEEPS6_PlSH_S8_NS0_8equal_toIS6_EEEE10hipError_tPvRmT2_T3_mT4_T5_T6_T7_T8_P12ihipStream_tbENKUlT_T0_E_clISt17integral_constantIbLb0EES10_IbLb1EEEEDaSW_SX_EUlSW_E_NS1_11comp_targetILNS1_3genE3ELNS1_11target_archE908ELNS1_3gpuE7ELNS1_3repE0EEENS1_30default_config_static_selectorELNS0_4arch9wavefront6targetE0EEEvT1_.has_indirect_call, 0
	.section	.AMDGPU.csdata,"",@progbits
; Kernel info:
; codeLenInByte = 0
; TotalNumSgprs: 0
; NumVgprs: 0
; ScratchSize: 0
; MemoryBound: 0
; FloatMode: 240
; IeeeMode: 1
; LDSByteSize: 0 bytes/workgroup (compile time only)
; SGPRBlocks: 0
; VGPRBlocks: 0
; NumSGPRsForWavesPerEU: 1
; NumVGPRsForWavesPerEU: 1
; NamedBarCnt: 0
; Occupancy: 16
; WaveLimiterHint : 0
; COMPUTE_PGM_RSRC2:SCRATCH_EN: 0
; COMPUTE_PGM_RSRC2:USER_SGPR: 2
; COMPUTE_PGM_RSRC2:TRAP_HANDLER: 0
; COMPUTE_PGM_RSRC2:TGID_X_EN: 1
; COMPUTE_PGM_RSRC2:TGID_Y_EN: 0
; COMPUTE_PGM_RSRC2:TGID_Z_EN: 0
; COMPUTE_PGM_RSRC2:TIDIG_COMP_CNT: 0
	.section	.text._ZN7rocprim17ROCPRIM_400000_NS6detail17trampoline_kernelINS0_14default_configENS1_33run_length_encode_config_selectorIN3c108BFloat16EjNS0_4plusIjEEEEZZNS1_33reduce_by_key_impl_wrapped_configILNS1_25lookback_scan_determinismE0ES3_S9_PKS6_NS0_17constant_iteratorIjlEEPS6_PlSH_S8_NS0_8equal_toIS6_EEEE10hipError_tPvRmT2_T3_mT4_T5_T6_T7_T8_P12ihipStream_tbENKUlT_T0_E_clISt17integral_constantIbLb0EES10_IbLb1EEEEDaSW_SX_EUlSW_E_NS1_11comp_targetILNS1_3genE2ELNS1_11target_archE906ELNS1_3gpuE6ELNS1_3repE0EEENS1_30default_config_static_selectorELNS0_4arch9wavefront6targetE0EEEvT1_,"axG",@progbits,_ZN7rocprim17ROCPRIM_400000_NS6detail17trampoline_kernelINS0_14default_configENS1_33run_length_encode_config_selectorIN3c108BFloat16EjNS0_4plusIjEEEEZZNS1_33reduce_by_key_impl_wrapped_configILNS1_25lookback_scan_determinismE0ES3_S9_PKS6_NS0_17constant_iteratorIjlEEPS6_PlSH_S8_NS0_8equal_toIS6_EEEE10hipError_tPvRmT2_T3_mT4_T5_T6_T7_T8_P12ihipStream_tbENKUlT_T0_E_clISt17integral_constantIbLb0EES10_IbLb1EEEEDaSW_SX_EUlSW_E_NS1_11comp_targetILNS1_3genE2ELNS1_11target_archE906ELNS1_3gpuE6ELNS1_3repE0EEENS1_30default_config_static_selectorELNS0_4arch9wavefront6targetE0EEEvT1_,comdat
	.protected	_ZN7rocprim17ROCPRIM_400000_NS6detail17trampoline_kernelINS0_14default_configENS1_33run_length_encode_config_selectorIN3c108BFloat16EjNS0_4plusIjEEEEZZNS1_33reduce_by_key_impl_wrapped_configILNS1_25lookback_scan_determinismE0ES3_S9_PKS6_NS0_17constant_iteratorIjlEEPS6_PlSH_S8_NS0_8equal_toIS6_EEEE10hipError_tPvRmT2_T3_mT4_T5_T6_T7_T8_P12ihipStream_tbENKUlT_T0_E_clISt17integral_constantIbLb0EES10_IbLb1EEEEDaSW_SX_EUlSW_E_NS1_11comp_targetILNS1_3genE2ELNS1_11target_archE906ELNS1_3gpuE6ELNS1_3repE0EEENS1_30default_config_static_selectorELNS0_4arch9wavefront6targetE0EEEvT1_ ; -- Begin function _ZN7rocprim17ROCPRIM_400000_NS6detail17trampoline_kernelINS0_14default_configENS1_33run_length_encode_config_selectorIN3c108BFloat16EjNS0_4plusIjEEEEZZNS1_33reduce_by_key_impl_wrapped_configILNS1_25lookback_scan_determinismE0ES3_S9_PKS6_NS0_17constant_iteratorIjlEEPS6_PlSH_S8_NS0_8equal_toIS6_EEEE10hipError_tPvRmT2_T3_mT4_T5_T6_T7_T8_P12ihipStream_tbENKUlT_T0_E_clISt17integral_constantIbLb0EES10_IbLb1EEEEDaSW_SX_EUlSW_E_NS1_11comp_targetILNS1_3genE2ELNS1_11target_archE906ELNS1_3gpuE6ELNS1_3repE0EEENS1_30default_config_static_selectorELNS0_4arch9wavefront6targetE0EEEvT1_
	.globl	_ZN7rocprim17ROCPRIM_400000_NS6detail17trampoline_kernelINS0_14default_configENS1_33run_length_encode_config_selectorIN3c108BFloat16EjNS0_4plusIjEEEEZZNS1_33reduce_by_key_impl_wrapped_configILNS1_25lookback_scan_determinismE0ES3_S9_PKS6_NS0_17constant_iteratorIjlEEPS6_PlSH_S8_NS0_8equal_toIS6_EEEE10hipError_tPvRmT2_T3_mT4_T5_T6_T7_T8_P12ihipStream_tbENKUlT_T0_E_clISt17integral_constantIbLb0EES10_IbLb1EEEEDaSW_SX_EUlSW_E_NS1_11comp_targetILNS1_3genE2ELNS1_11target_archE906ELNS1_3gpuE6ELNS1_3repE0EEENS1_30default_config_static_selectorELNS0_4arch9wavefront6targetE0EEEvT1_
	.p2align	8
	.type	_ZN7rocprim17ROCPRIM_400000_NS6detail17trampoline_kernelINS0_14default_configENS1_33run_length_encode_config_selectorIN3c108BFloat16EjNS0_4plusIjEEEEZZNS1_33reduce_by_key_impl_wrapped_configILNS1_25lookback_scan_determinismE0ES3_S9_PKS6_NS0_17constant_iteratorIjlEEPS6_PlSH_S8_NS0_8equal_toIS6_EEEE10hipError_tPvRmT2_T3_mT4_T5_T6_T7_T8_P12ihipStream_tbENKUlT_T0_E_clISt17integral_constantIbLb0EES10_IbLb1EEEEDaSW_SX_EUlSW_E_NS1_11comp_targetILNS1_3genE2ELNS1_11target_archE906ELNS1_3gpuE6ELNS1_3repE0EEENS1_30default_config_static_selectorELNS0_4arch9wavefront6targetE0EEEvT1_,@function
_ZN7rocprim17ROCPRIM_400000_NS6detail17trampoline_kernelINS0_14default_configENS1_33run_length_encode_config_selectorIN3c108BFloat16EjNS0_4plusIjEEEEZZNS1_33reduce_by_key_impl_wrapped_configILNS1_25lookback_scan_determinismE0ES3_S9_PKS6_NS0_17constant_iteratorIjlEEPS6_PlSH_S8_NS0_8equal_toIS6_EEEE10hipError_tPvRmT2_T3_mT4_T5_T6_T7_T8_P12ihipStream_tbENKUlT_T0_E_clISt17integral_constantIbLb0EES10_IbLb1EEEEDaSW_SX_EUlSW_E_NS1_11comp_targetILNS1_3genE2ELNS1_11target_archE906ELNS1_3gpuE6ELNS1_3repE0EEENS1_30default_config_static_selectorELNS0_4arch9wavefront6targetE0EEEvT1_: ; @_ZN7rocprim17ROCPRIM_400000_NS6detail17trampoline_kernelINS0_14default_configENS1_33run_length_encode_config_selectorIN3c108BFloat16EjNS0_4plusIjEEEEZZNS1_33reduce_by_key_impl_wrapped_configILNS1_25lookback_scan_determinismE0ES3_S9_PKS6_NS0_17constant_iteratorIjlEEPS6_PlSH_S8_NS0_8equal_toIS6_EEEE10hipError_tPvRmT2_T3_mT4_T5_T6_T7_T8_P12ihipStream_tbENKUlT_T0_E_clISt17integral_constantIbLb0EES10_IbLb1EEEEDaSW_SX_EUlSW_E_NS1_11comp_targetILNS1_3genE2ELNS1_11target_archE906ELNS1_3gpuE6ELNS1_3repE0EEENS1_30default_config_static_selectorELNS0_4arch9wavefront6targetE0EEEvT1_
; %bb.0:
	.section	.rodata,"a",@progbits
	.p2align	6, 0x0
	.amdhsa_kernel _ZN7rocprim17ROCPRIM_400000_NS6detail17trampoline_kernelINS0_14default_configENS1_33run_length_encode_config_selectorIN3c108BFloat16EjNS0_4plusIjEEEEZZNS1_33reduce_by_key_impl_wrapped_configILNS1_25lookback_scan_determinismE0ES3_S9_PKS6_NS0_17constant_iteratorIjlEEPS6_PlSH_S8_NS0_8equal_toIS6_EEEE10hipError_tPvRmT2_T3_mT4_T5_T6_T7_T8_P12ihipStream_tbENKUlT_T0_E_clISt17integral_constantIbLb0EES10_IbLb1EEEEDaSW_SX_EUlSW_E_NS1_11comp_targetILNS1_3genE2ELNS1_11target_archE906ELNS1_3gpuE6ELNS1_3repE0EEENS1_30default_config_static_selectorELNS0_4arch9wavefront6targetE0EEEvT1_
		.amdhsa_group_segment_fixed_size 0
		.amdhsa_private_segment_fixed_size 0
		.amdhsa_kernarg_size 128
		.amdhsa_user_sgpr_count 2
		.amdhsa_user_sgpr_dispatch_ptr 0
		.amdhsa_user_sgpr_queue_ptr 0
		.amdhsa_user_sgpr_kernarg_segment_ptr 1
		.amdhsa_user_sgpr_dispatch_id 0
		.amdhsa_user_sgpr_kernarg_preload_length 0
		.amdhsa_user_sgpr_kernarg_preload_offset 0
		.amdhsa_user_sgpr_private_segment_size 0
		.amdhsa_wavefront_size32 1
		.amdhsa_uses_dynamic_stack 0
		.amdhsa_enable_private_segment 0
		.amdhsa_system_sgpr_workgroup_id_x 1
		.amdhsa_system_sgpr_workgroup_id_y 0
		.amdhsa_system_sgpr_workgroup_id_z 0
		.amdhsa_system_sgpr_workgroup_info 0
		.amdhsa_system_vgpr_workitem_id 0
		.amdhsa_next_free_vgpr 1
		.amdhsa_next_free_sgpr 1
		.amdhsa_named_barrier_count 0
		.amdhsa_reserve_vcc 0
		.amdhsa_float_round_mode_32 0
		.amdhsa_float_round_mode_16_64 0
		.amdhsa_float_denorm_mode_32 3
		.amdhsa_float_denorm_mode_16_64 3
		.amdhsa_fp16_overflow 0
		.amdhsa_memory_ordered 1
		.amdhsa_forward_progress 1
		.amdhsa_inst_pref_size 0
		.amdhsa_round_robin_scheduling 0
		.amdhsa_exception_fp_ieee_invalid_op 0
		.amdhsa_exception_fp_denorm_src 0
		.amdhsa_exception_fp_ieee_div_zero 0
		.amdhsa_exception_fp_ieee_overflow 0
		.amdhsa_exception_fp_ieee_underflow 0
		.amdhsa_exception_fp_ieee_inexact 0
		.amdhsa_exception_int_div_zero 0
	.end_amdhsa_kernel
	.section	.text._ZN7rocprim17ROCPRIM_400000_NS6detail17trampoline_kernelINS0_14default_configENS1_33run_length_encode_config_selectorIN3c108BFloat16EjNS0_4plusIjEEEEZZNS1_33reduce_by_key_impl_wrapped_configILNS1_25lookback_scan_determinismE0ES3_S9_PKS6_NS0_17constant_iteratorIjlEEPS6_PlSH_S8_NS0_8equal_toIS6_EEEE10hipError_tPvRmT2_T3_mT4_T5_T6_T7_T8_P12ihipStream_tbENKUlT_T0_E_clISt17integral_constantIbLb0EES10_IbLb1EEEEDaSW_SX_EUlSW_E_NS1_11comp_targetILNS1_3genE2ELNS1_11target_archE906ELNS1_3gpuE6ELNS1_3repE0EEENS1_30default_config_static_selectorELNS0_4arch9wavefront6targetE0EEEvT1_,"axG",@progbits,_ZN7rocprim17ROCPRIM_400000_NS6detail17trampoline_kernelINS0_14default_configENS1_33run_length_encode_config_selectorIN3c108BFloat16EjNS0_4plusIjEEEEZZNS1_33reduce_by_key_impl_wrapped_configILNS1_25lookback_scan_determinismE0ES3_S9_PKS6_NS0_17constant_iteratorIjlEEPS6_PlSH_S8_NS0_8equal_toIS6_EEEE10hipError_tPvRmT2_T3_mT4_T5_T6_T7_T8_P12ihipStream_tbENKUlT_T0_E_clISt17integral_constantIbLb0EES10_IbLb1EEEEDaSW_SX_EUlSW_E_NS1_11comp_targetILNS1_3genE2ELNS1_11target_archE906ELNS1_3gpuE6ELNS1_3repE0EEENS1_30default_config_static_selectorELNS0_4arch9wavefront6targetE0EEEvT1_,comdat
.Lfunc_end887:
	.size	_ZN7rocprim17ROCPRIM_400000_NS6detail17trampoline_kernelINS0_14default_configENS1_33run_length_encode_config_selectorIN3c108BFloat16EjNS0_4plusIjEEEEZZNS1_33reduce_by_key_impl_wrapped_configILNS1_25lookback_scan_determinismE0ES3_S9_PKS6_NS0_17constant_iteratorIjlEEPS6_PlSH_S8_NS0_8equal_toIS6_EEEE10hipError_tPvRmT2_T3_mT4_T5_T6_T7_T8_P12ihipStream_tbENKUlT_T0_E_clISt17integral_constantIbLb0EES10_IbLb1EEEEDaSW_SX_EUlSW_E_NS1_11comp_targetILNS1_3genE2ELNS1_11target_archE906ELNS1_3gpuE6ELNS1_3repE0EEENS1_30default_config_static_selectorELNS0_4arch9wavefront6targetE0EEEvT1_, .Lfunc_end887-_ZN7rocprim17ROCPRIM_400000_NS6detail17trampoline_kernelINS0_14default_configENS1_33run_length_encode_config_selectorIN3c108BFloat16EjNS0_4plusIjEEEEZZNS1_33reduce_by_key_impl_wrapped_configILNS1_25lookback_scan_determinismE0ES3_S9_PKS6_NS0_17constant_iteratorIjlEEPS6_PlSH_S8_NS0_8equal_toIS6_EEEE10hipError_tPvRmT2_T3_mT4_T5_T6_T7_T8_P12ihipStream_tbENKUlT_T0_E_clISt17integral_constantIbLb0EES10_IbLb1EEEEDaSW_SX_EUlSW_E_NS1_11comp_targetILNS1_3genE2ELNS1_11target_archE906ELNS1_3gpuE6ELNS1_3repE0EEENS1_30default_config_static_selectorELNS0_4arch9wavefront6targetE0EEEvT1_
                                        ; -- End function
	.set _ZN7rocprim17ROCPRIM_400000_NS6detail17trampoline_kernelINS0_14default_configENS1_33run_length_encode_config_selectorIN3c108BFloat16EjNS0_4plusIjEEEEZZNS1_33reduce_by_key_impl_wrapped_configILNS1_25lookback_scan_determinismE0ES3_S9_PKS6_NS0_17constant_iteratorIjlEEPS6_PlSH_S8_NS0_8equal_toIS6_EEEE10hipError_tPvRmT2_T3_mT4_T5_T6_T7_T8_P12ihipStream_tbENKUlT_T0_E_clISt17integral_constantIbLb0EES10_IbLb1EEEEDaSW_SX_EUlSW_E_NS1_11comp_targetILNS1_3genE2ELNS1_11target_archE906ELNS1_3gpuE6ELNS1_3repE0EEENS1_30default_config_static_selectorELNS0_4arch9wavefront6targetE0EEEvT1_.num_vgpr, 0
	.set _ZN7rocprim17ROCPRIM_400000_NS6detail17trampoline_kernelINS0_14default_configENS1_33run_length_encode_config_selectorIN3c108BFloat16EjNS0_4plusIjEEEEZZNS1_33reduce_by_key_impl_wrapped_configILNS1_25lookback_scan_determinismE0ES3_S9_PKS6_NS0_17constant_iteratorIjlEEPS6_PlSH_S8_NS0_8equal_toIS6_EEEE10hipError_tPvRmT2_T3_mT4_T5_T6_T7_T8_P12ihipStream_tbENKUlT_T0_E_clISt17integral_constantIbLb0EES10_IbLb1EEEEDaSW_SX_EUlSW_E_NS1_11comp_targetILNS1_3genE2ELNS1_11target_archE906ELNS1_3gpuE6ELNS1_3repE0EEENS1_30default_config_static_selectorELNS0_4arch9wavefront6targetE0EEEvT1_.num_agpr, 0
	.set _ZN7rocprim17ROCPRIM_400000_NS6detail17trampoline_kernelINS0_14default_configENS1_33run_length_encode_config_selectorIN3c108BFloat16EjNS0_4plusIjEEEEZZNS1_33reduce_by_key_impl_wrapped_configILNS1_25lookback_scan_determinismE0ES3_S9_PKS6_NS0_17constant_iteratorIjlEEPS6_PlSH_S8_NS0_8equal_toIS6_EEEE10hipError_tPvRmT2_T3_mT4_T5_T6_T7_T8_P12ihipStream_tbENKUlT_T0_E_clISt17integral_constantIbLb0EES10_IbLb1EEEEDaSW_SX_EUlSW_E_NS1_11comp_targetILNS1_3genE2ELNS1_11target_archE906ELNS1_3gpuE6ELNS1_3repE0EEENS1_30default_config_static_selectorELNS0_4arch9wavefront6targetE0EEEvT1_.numbered_sgpr, 0
	.set _ZN7rocprim17ROCPRIM_400000_NS6detail17trampoline_kernelINS0_14default_configENS1_33run_length_encode_config_selectorIN3c108BFloat16EjNS0_4plusIjEEEEZZNS1_33reduce_by_key_impl_wrapped_configILNS1_25lookback_scan_determinismE0ES3_S9_PKS6_NS0_17constant_iteratorIjlEEPS6_PlSH_S8_NS0_8equal_toIS6_EEEE10hipError_tPvRmT2_T3_mT4_T5_T6_T7_T8_P12ihipStream_tbENKUlT_T0_E_clISt17integral_constantIbLb0EES10_IbLb1EEEEDaSW_SX_EUlSW_E_NS1_11comp_targetILNS1_3genE2ELNS1_11target_archE906ELNS1_3gpuE6ELNS1_3repE0EEENS1_30default_config_static_selectorELNS0_4arch9wavefront6targetE0EEEvT1_.num_named_barrier, 0
	.set _ZN7rocprim17ROCPRIM_400000_NS6detail17trampoline_kernelINS0_14default_configENS1_33run_length_encode_config_selectorIN3c108BFloat16EjNS0_4plusIjEEEEZZNS1_33reduce_by_key_impl_wrapped_configILNS1_25lookback_scan_determinismE0ES3_S9_PKS6_NS0_17constant_iteratorIjlEEPS6_PlSH_S8_NS0_8equal_toIS6_EEEE10hipError_tPvRmT2_T3_mT4_T5_T6_T7_T8_P12ihipStream_tbENKUlT_T0_E_clISt17integral_constantIbLb0EES10_IbLb1EEEEDaSW_SX_EUlSW_E_NS1_11comp_targetILNS1_3genE2ELNS1_11target_archE906ELNS1_3gpuE6ELNS1_3repE0EEENS1_30default_config_static_selectorELNS0_4arch9wavefront6targetE0EEEvT1_.private_seg_size, 0
	.set _ZN7rocprim17ROCPRIM_400000_NS6detail17trampoline_kernelINS0_14default_configENS1_33run_length_encode_config_selectorIN3c108BFloat16EjNS0_4plusIjEEEEZZNS1_33reduce_by_key_impl_wrapped_configILNS1_25lookback_scan_determinismE0ES3_S9_PKS6_NS0_17constant_iteratorIjlEEPS6_PlSH_S8_NS0_8equal_toIS6_EEEE10hipError_tPvRmT2_T3_mT4_T5_T6_T7_T8_P12ihipStream_tbENKUlT_T0_E_clISt17integral_constantIbLb0EES10_IbLb1EEEEDaSW_SX_EUlSW_E_NS1_11comp_targetILNS1_3genE2ELNS1_11target_archE906ELNS1_3gpuE6ELNS1_3repE0EEENS1_30default_config_static_selectorELNS0_4arch9wavefront6targetE0EEEvT1_.uses_vcc, 0
	.set _ZN7rocprim17ROCPRIM_400000_NS6detail17trampoline_kernelINS0_14default_configENS1_33run_length_encode_config_selectorIN3c108BFloat16EjNS0_4plusIjEEEEZZNS1_33reduce_by_key_impl_wrapped_configILNS1_25lookback_scan_determinismE0ES3_S9_PKS6_NS0_17constant_iteratorIjlEEPS6_PlSH_S8_NS0_8equal_toIS6_EEEE10hipError_tPvRmT2_T3_mT4_T5_T6_T7_T8_P12ihipStream_tbENKUlT_T0_E_clISt17integral_constantIbLb0EES10_IbLb1EEEEDaSW_SX_EUlSW_E_NS1_11comp_targetILNS1_3genE2ELNS1_11target_archE906ELNS1_3gpuE6ELNS1_3repE0EEENS1_30default_config_static_selectorELNS0_4arch9wavefront6targetE0EEEvT1_.uses_flat_scratch, 0
	.set _ZN7rocprim17ROCPRIM_400000_NS6detail17trampoline_kernelINS0_14default_configENS1_33run_length_encode_config_selectorIN3c108BFloat16EjNS0_4plusIjEEEEZZNS1_33reduce_by_key_impl_wrapped_configILNS1_25lookback_scan_determinismE0ES3_S9_PKS6_NS0_17constant_iteratorIjlEEPS6_PlSH_S8_NS0_8equal_toIS6_EEEE10hipError_tPvRmT2_T3_mT4_T5_T6_T7_T8_P12ihipStream_tbENKUlT_T0_E_clISt17integral_constantIbLb0EES10_IbLb1EEEEDaSW_SX_EUlSW_E_NS1_11comp_targetILNS1_3genE2ELNS1_11target_archE906ELNS1_3gpuE6ELNS1_3repE0EEENS1_30default_config_static_selectorELNS0_4arch9wavefront6targetE0EEEvT1_.has_dyn_sized_stack, 0
	.set _ZN7rocprim17ROCPRIM_400000_NS6detail17trampoline_kernelINS0_14default_configENS1_33run_length_encode_config_selectorIN3c108BFloat16EjNS0_4plusIjEEEEZZNS1_33reduce_by_key_impl_wrapped_configILNS1_25lookback_scan_determinismE0ES3_S9_PKS6_NS0_17constant_iteratorIjlEEPS6_PlSH_S8_NS0_8equal_toIS6_EEEE10hipError_tPvRmT2_T3_mT4_T5_T6_T7_T8_P12ihipStream_tbENKUlT_T0_E_clISt17integral_constantIbLb0EES10_IbLb1EEEEDaSW_SX_EUlSW_E_NS1_11comp_targetILNS1_3genE2ELNS1_11target_archE906ELNS1_3gpuE6ELNS1_3repE0EEENS1_30default_config_static_selectorELNS0_4arch9wavefront6targetE0EEEvT1_.has_recursion, 0
	.set _ZN7rocprim17ROCPRIM_400000_NS6detail17trampoline_kernelINS0_14default_configENS1_33run_length_encode_config_selectorIN3c108BFloat16EjNS0_4plusIjEEEEZZNS1_33reduce_by_key_impl_wrapped_configILNS1_25lookback_scan_determinismE0ES3_S9_PKS6_NS0_17constant_iteratorIjlEEPS6_PlSH_S8_NS0_8equal_toIS6_EEEE10hipError_tPvRmT2_T3_mT4_T5_T6_T7_T8_P12ihipStream_tbENKUlT_T0_E_clISt17integral_constantIbLb0EES10_IbLb1EEEEDaSW_SX_EUlSW_E_NS1_11comp_targetILNS1_3genE2ELNS1_11target_archE906ELNS1_3gpuE6ELNS1_3repE0EEENS1_30default_config_static_selectorELNS0_4arch9wavefront6targetE0EEEvT1_.has_indirect_call, 0
	.section	.AMDGPU.csdata,"",@progbits
; Kernel info:
; codeLenInByte = 0
; TotalNumSgprs: 0
; NumVgprs: 0
; ScratchSize: 0
; MemoryBound: 0
; FloatMode: 240
; IeeeMode: 1
; LDSByteSize: 0 bytes/workgroup (compile time only)
; SGPRBlocks: 0
; VGPRBlocks: 0
; NumSGPRsForWavesPerEU: 1
; NumVGPRsForWavesPerEU: 1
; NamedBarCnt: 0
; Occupancy: 16
; WaveLimiterHint : 0
; COMPUTE_PGM_RSRC2:SCRATCH_EN: 0
; COMPUTE_PGM_RSRC2:USER_SGPR: 2
; COMPUTE_PGM_RSRC2:TRAP_HANDLER: 0
; COMPUTE_PGM_RSRC2:TGID_X_EN: 1
; COMPUTE_PGM_RSRC2:TGID_Y_EN: 0
; COMPUTE_PGM_RSRC2:TGID_Z_EN: 0
; COMPUTE_PGM_RSRC2:TIDIG_COMP_CNT: 0
	.section	.text._ZN7rocprim17ROCPRIM_400000_NS6detail17trampoline_kernelINS0_14default_configENS1_33run_length_encode_config_selectorIN3c108BFloat16EjNS0_4plusIjEEEEZZNS1_33reduce_by_key_impl_wrapped_configILNS1_25lookback_scan_determinismE0ES3_S9_PKS6_NS0_17constant_iteratorIjlEEPS6_PlSH_S8_NS0_8equal_toIS6_EEEE10hipError_tPvRmT2_T3_mT4_T5_T6_T7_T8_P12ihipStream_tbENKUlT_T0_E_clISt17integral_constantIbLb0EES10_IbLb1EEEEDaSW_SX_EUlSW_E_NS1_11comp_targetILNS1_3genE10ELNS1_11target_archE1201ELNS1_3gpuE5ELNS1_3repE0EEENS1_30default_config_static_selectorELNS0_4arch9wavefront6targetE0EEEvT1_,"axG",@progbits,_ZN7rocprim17ROCPRIM_400000_NS6detail17trampoline_kernelINS0_14default_configENS1_33run_length_encode_config_selectorIN3c108BFloat16EjNS0_4plusIjEEEEZZNS1_33reduce_by_key_impl_wrapped_configILNS1_25lookback_scan_determinismE0ES3_S9_PKS6_NS0_17constant_iteratorIjlEEPS6_PlSH_S8_NS0_8equal_toIS6_EEEE10hipError_tPvRmT2_T3_mT4_T5_T6_T7_T8_P12ihipStream_tbENKUlT_T0_E_clISt17integral_constantIbLb0EES10_IbLb1EEEEDaSW_SX_EUlSW_E_NS1_11comp_targetILNS1_3genE10ELNS1_11target_archE1201ELNS1_3gpuE5ELNS1_3repE0EEENS1_30default_config_static_selectorELNS0_4arch9wavefront6targetE0EEEvT1_,comdat
	.protected	_ZN7rocprim17ROCPRIM_400000_NS6detail17trampoline_kernelINS0_14default_configENS1_33run_length_encode_config_selectorIN3c108BFloat16EjNS0_4plusIjEEEEZZNS1_33reduce_by_key_impl_wrapped_configILNS1_25lookback_scan_determinismE0ES3_S9_PKS6_NS0_17constant_iteratorIjlEEPS6_PlSH_S8_NS0_8equal_toIS6_EEEE10hipError_tPvRmT2_T3_mT4_T5_T6_T7_T8_P12ihipStream_tbENKUlT_T0_E_clISt17integral_constantIbLb0EES10_IbLb1EEEEDaSW_SX_EUlSW_E_NS1_11comp_targetILNS1_3genE10ELNS1_11target_archE1201ELNS1_3gpuE5ELNS1_3repE0EEENS1_30default_config_static_selectorELNS0_4arch9wavefront6targetE0EEEvT1_ ; -- Begin function _ZN7rocprim17ROCPRIM_400000_NS6detail17trampoline_kernelINS0_14default_configENS1_33run_length_encode_config_selectorIN3c108BFloat16EjNS0_4plusIjEEEEZZNS1_33reduce_by_key_impl_wrapped_configILNS1_25lookback_scan_determinismE0ES3_S9_PKS6_NS0_17constant_iteratorIjlEEPS6_PlSH_S8_NS0_8equal_toIS6_EEEE10hipError_tPvRmT2_T3_mT4_T5_T6_T7_T8_P12ihipStream_tbENKUlT_T0_E_clISt17integral_constantIbLb0EES10_IbLb1EEEEDaSW_SX_EUlSW_E_NS1_11comp_targetILNS1_3genE10ELNS1_11target_archE1201ELNS1_3gpuE5ELNS1_3repE0EEENS1_30default_config_static_selectorELNS0_4arch9wavefront6targetE0EEEvT1_
	.globl	_ZN7rocprim17ROCPRIM_400000_NS6detail17trampoline_kernelINS0_14default_configENS1_33run_length_encode_config_selectorIN3c108BFloat16EjNS0_4plusIjEEEEZZNS1_33reduce_by_key_impl_wrapped_configILNS1_25lookback_scan_determinismE0ES3_S9_PKS6_NS0_17constant_iteratorIjlEEPS6_PlSH_S8_NS0_8equal_toIS6_EEEE10hipError_tPvRmT2_T3_mT4_T5_T6_T7_T8_P12ihipStream_tbENKUlT_T0_E_clISt17integral_constantIbLb0EES10_IbLb1EEEEDaSW_SX_EUlSW_E_NS1_11comp_targetILNS1_3genE10ELNS1_11target_archE1201ELNS1_3gpuE5ELNS1_3repE0EEENS1_30default_config_static_selectorELNS0_4arch9wavefront6targetE0EEEvT1_
	.p2align	8
	.type	_ZN7rocprim17ROCPRIM_400000_NS6detail17trampoline_kernelINS0_14default_configENS1_33run_length_encode_config_selectorIN3c108BFloat16EjNS0_4plusIjEEEEZZNS1_33reduce_by_key_impl_wrapped_configILNS1_25lookback_scan_determinismE0ES3_S9_PKS6_NS0_17constant_iteratorIjlEEPS6_PlSH_S8_NS0_8equal_toIS6_EEEE10hipError_tPvRmT2_T3_mT4_T5_T6_T7_T8_P12ihipStream_tbENKUlT_T0_E_clISt17integral_constantIbLb0EES10_IbLb1EEEEDaSW_SX_EUlSW_E_NS1_11comp_targetILNS1_3genE10ELNS1_11target_archE1201ELNS1_3gpuE5ELNS1_3repE0EEENS1_30default_config_static_selectorELNS0_4arch9wavefront6targetE0EEEvT1_,@function
_ZN7rocprim17ROCPRIM_400000_NS6detail17trampoline_kernelINS0_14default_configENS1_33run_length_encode_config_selectorIN3c108BFloat16EjNS0_4plusIjEEEEZZNS1_33reduce_by_key_impl_wrapped_configILNS1_25lookback_scan_determinismE0ES3_S9_PKS6_NS0_17constant_iteratorIjlEEPS6_PlSH_S8_NS0_8equal_toIS6_EEEE10hipError_tPvRmT2_T3_mT4_T5_T6_T7_T8_P12ihipStream_tbENKUlT_T0_E_clISt17integral_constantIbLb0EES10_IbLb1EEEEDaSW_SX_EUlSW_E_NS1_11comp_targetILNS1_3genE10ELNS1_11target_archE1201ELNS1_3gpuE5ELNS1_3repE0EEENS1_30default_config_static_selectorELNS0_4arch9wavefront6targetE0EEEvT1_: ; @_ZN7rocprim17ROCPRIM_400000_NS6detail17trampoline_kernelINS0_14default_configENS1_33run_length_encode_config_selectorIN3c108BFloat16EjNS0_4plusIjEEEEZZNS1_33reduce_by_key_impl_wrapped_configILNS1_25lookback_scan_determinismE0ES3_S9_PKS6_NS0_17constant_iteratorIjlEEPS6_PlSH_S8_NS0_8equal_toIS6_EEEE10hipError_tPvRmT2_T3_mT4_T5_T6_T7_T8_P12ihipStream_tbENKUlT_T0_E_clISt17integral_constantIbLb0EES10_IbLb1EEEEDaSW_SX_EUlSW_E_NS1_11comp_targetILNS1_3genE10ELNS1_11target_archE1201ELNS1_3gpuE5ELNS1_3repE0EEENS1_30default_config_static_selectorELNS0_4arch9wavefront6targetE0EEEvT1_
; %bb.0:
	.section	.rodata,"a",@progbits
	.p2align	6, 0x0
	.amdhsa_kernel _ZN7rocprim17ROCPRIM_400000_NS6detail17trampoline_kernelINS0_14default_configENS1_33run_length_encode_config_selectorIN3c108BFloat16EjNS0_4plusIjEEEEZZNS1_33reduce_by_key_impl_wrapped_configILNS1_25lookback_scan_determinismE0ES3_S9_PKS6_NS0_17constant_iteratorIjlEEPS6_PlSH_S8_NS0_8equal_toIS6_EEEE10hipError_tPvRmT2_T3_mT4_T5_T6_T7_T8_P12ihipStream_tbENKUlT_T0_E_clISt17integral_constantIbLb0EES10_IbLb1EEEEDaSW_SX_EUlSW_E_NS1_11comp_targetILNS1_3genE10ELNS1_11target_archE1201ELNS1_3gpuE5ELNS1_3repE0EEENS1_30default_config_static_selectorELNS0_4arch9wavefront6targetE0EEEvT1_
		.amdhsa_group_segment_fixed_size 0
		.amdhsa_private_segment_fixed_size 0
		.amdhsa_kernarg_size 128
		.amdhsa_user_sgpr_count 2
		.amdhsa_user_sgpr_dispatch_ptr 0
		.amdhsa_user_sgpr_queue_ptr 0
		.amdhsa_user_sgpr_kernarg_segment_ptr 1
		.amdhsa_user_sgpr_dispatch_id 0
		.amdhsa_user_sgpr_kernarg_preload_length 0
		.amdhsa_user_sgpr_kernarg_preload_offset 0
		.amdhsa_user_sgpr_private_segment_size 0
		.amdhsa_wavefront_size32 1
		.amdhsa_uses_dynamic_stack 0
		.amdhsa_enable_private_segment 0
		.amdhsa_system_sgpr_workgroup_id_x 1
		.amdhsa_system_sgpr_workgroup_id_y 0
		.amdhsa_system_sgpr_workgroup_id_z 0
		.amdhsa_system_sgpr_workgroup_info 0
		.amdhsa_system_vgpr_workitem_id 0
		.amdhsa_next_free_vgpr 1
		.amdhsa_next_free_sgpr 1
		.amdhsa_named_barrier_count 0
		.amdhsa_reserve_vcc 0
		.amdhsa_float_round_mode_32 0
		.amdhsa_float_round_mode_16_64 0
		.amdhsa_float_denorm_mode_32 3
		.amdhsa_float_denorm_mode_16_64 3
		.amdhsa_fp16_overflow 0
		.amdhsa_memory_ordered 1
		.amdhsa_forward_progress 1
		.amdhsa_inst_pref_size 0
		.amdhsa_round_robin_scheduling 0
		.amdhsa_exception_fp_ieee_invalid_op 0
		.amdhsa_exception_fp_denorm_src 0
		.amdhsa_exception_fp_ieee_div_zero 0
		.amdhsa_exception_fp_ieee_overflow 0
		.amdhsa_exception_fp_ieee_underflow 0
		.amdhsa_exception_fp_ieee_inexact 0
		.amdhsa_exception_int_div_zero 0
	.end_amdhsa_kernel
	.section	.text._ZN7rocprim17ROCPRIM_400000_NS6detail17trampoline_kernelINS0_14default_configENS1_33run_length_encode_config_selectorIN3c108BFloat16EjNS0_4plusIjEEEEZZNS1_33reduce_by_key_impl_wrapped_configILNS1_25lookback_scan_determinismE0ES3_S9_PKS6_NS0_17constant_iteratorIjlEEPS6_PlSH_S8_NS0_8equal_toIS6_EEEE10hipError_tPvRmT2_T3_mT4_T5_T6_T7_T8_P12ihipStream_tbENKUlT_T0_E_clISt17integral_constantIbLb0EES10_IbLb1EEEEDaSW_SX_EUlSW_E_NS1_11comp_targetILNS1_3genE10ELNS1_11target_archE1201ELNS1_3gpuE5ELNS1_3repE0EEENS1_30default_config_static_selectorELNS0_4arch9wavefront6targetE0EEEvT1_,"axG",@progbits,_ZN7rocprim17ROCPRIM_400000_NS6detail17trampoline_kernelINS0_14default_configENS1_33run_length_encode_config_selectorIN3c108BFloat16EjNS0_4plusIjEEEEZZNS1_33reduce_by_key_impl_wrapped_configILNS1_25lookback_scan_determinismE0ES3_S9_PKS6_NS0_17constant_iteratorIjlEEPS6_PlSH_S8_NS0_8equal_toIS6_EEEE10hipError_tPvRmT2_T3_mT4_T5_T6_T7_T8_P12ihipStream_tbENKUlT_T0_E_clISt17integral_constantIbLb0EES10_IbLb1EEEEDaSW_SX_EUlSW_E_NS1_11comp_targetILNS1_3genE10ELNS1_11target_archE1201ELNS1_3gpuE5ELNS1_3repE0EEENS1_30default_config_static_selectorELNS0_4arch9wavefront6targetE0EEEvT1_,comdat
.Lfunc_end888:
	.size	_ZN7rocprim17ROCPRIM_400000_NS6detail17trampoline_kernelINS0_14default_configENS1_33run_length_encode_config_selectorIN3c108BFloat16EjNS0_4plusIjEEEEZZNS1_33reduce_by_key_impl_wrapped_configILNS1_25lookback_scan_determinismE0ES3_S9_PKS6_NS0_17constant_iteratorIjlEEPS6_PlSH_S8_NS0_8equal_toIS6_EEEE10hipError_tPvRmT2_T3_mT4_T5_T6_T7_T8_P12ihipStream_tbENKUlT_T0_E_clISt17integral_constantIbLb0EES10_IbLb1EEEEDaSW_SX_EUlSW_E_NS1_11comp_targetILNS1_3genE10ELNS1_11target_archE1201ELNS1_3gpuE5ELNS1_3repE0EEENS1_30default_config_static_selectorELNS0_4arch9wavefront6targetE0EEEvT1_, .Lfunc_end888-_ZN7rocprim17ROCPRIM_400000_NS6detail17trampoline_kernelINS0_14default_configENS1_33run_length_encode_config_selectorIN3c108BFloat16EjNS0_4plusIjEEEEZZNS1_33reduce_by_key_impl_wrapped_configILNS1_25lookback_scan_determinismE0ES3_S9_PKS6_NS0_17constant_iteratorIjlEEPS6_PlSH_S8_NS0_8equal_toIS6_EEEE10hipError_tPvRmT2_T3_mT4_T5_T6_T7_T8_P12ihipStream_tbENKUlT_T0_E_clISt17integral_constantIbLb0EES10_IbLb1EEEEDaSW_SX_EUlSW_E_NS1_11comp_targetILNS1_3genE10ELNS1_11target_archE1201ELNS1_3gpuE5ELNS1_3repE0EEENS1_30default_config_static_selectorELNS0_4arch9wavefront6targetE0EEEvT1_
                                        ; -- End function
	.set _ZN7rocprim17ROCPRIM_400000_NS6detail17trampoline_kernelINS0_14default_configENS1_33run_length_encode_config_selectorIN3c108BFloat16EjNS0_4plusIjEEEEZZNS1_33reduce_by_key_impl_wrapped_configILNS1_25lookback_scan_determinismE0ES3_S9_PKS6_NS0_17constant_iteratorIjlEEPS6_PlSH_S8_NS0_8equal_toIS6_EEEE10hipError_tPvRmT2_T3_mT4_T5_T6_T7_T8_P12ihipStream_tbENKUlT_T0_E_clISt17integral_constantIbLb0EES10_IbLb1EEEEDaSW_SX_EUlSW_E_NS1_11comp_targetILNS1_3genE10ELNS1_11target_archE1201ELNS1_3gpuE5ELNS1_3repE0EEENS1_30default_config_static_selectorELNS0_4arch9wavefront6targetE0EEEvT1_.num_vgpr, 0
	.set _ZN7rocprim17ROCPRIM_400000_NS6detail17trampoline_kernelINS0_14default_configENS1_33run_length_encode_config_selectorIN3c108BFloat16EjNS0_4plusIjEEEEZZNS1_33reduce_by_key_impl_wrapped_configILNS1_25lookback_scan_determinismE0ES3_S9_PKS6_NS0_17constant_iteratorIjlEEPS6_PlSH_S8_NS0_8equal_toIS6_EEEE10hipError_tPvRmT2_T3_mT4_T5_T6_T7_T8_P12ihipStream_tbENKUlT_T0_E_clISt17integral_constantIbLb0EES10_IbLb1EEEEDaSW_SX_EUlSW_E_NS1_11comp_targetILNS1_3genE10ELNS1_11target_archE1201ELNS1_3gpuE5ELNS1_3repE0EEENS1_30default_config_static_selectorELNS0_4arch9wavefront6targetE0EEEvT1_.num_agpr, 0
	.set _ZN7rocprim17ROCPRIM_400000_NS6detail17trampoline_kernelINS0_14default_configENS1_33run_length_encode_config_selectorIN3c108BFloat16EjNS0_4plusIjEEEEZZNS1_33reduce_by_key_impl_wrapped_configILNS1_25lookback_scan_determinismE0ES3_S9_PKS6_NS0_17constant_iteratorIjlEEPS6_PlSH_S8_NS0_8equal_toIS6_EEEE10hipError_tPvRmT2_T3_mT4_T5_T6_T7_T8_P12ihipStream_tbENKUlT_T0_E_clISt17integral_constantIbLb0EES10_IbLb1EEEEDaSW_SX_EUlSW_E_NS1_11comp_targetILNS1_3genE10ELNS1_11target_archE1201ELNS1_3gpuE5ELNS1_3repE0EEENS1_30default_config_static_selectorELNS0_4arch9wavefront6targetE0EEEvT1_.numbered_sgpr, 0
	.set _ZN7rocprim17ROCPRIM_400000_NS6detail17trampoline_kernelINS0_14default_configENS1_33run_length_encode_config_selectorIN3c108BFloat16EjNS0_4plusIjEEEEZZNS1_33reduce_by_key_impl_wrapped_configILNS1_25lookback_scan_determinismE0ES3_S9_PKS6_NS0_17constant_iteratorIjlEEPS6_PlSH_S8_NS0_8equal_toIS6_EEEE10hipError_tPvRmT2_T3_mT4_T5_T6_T7_T8_P12ihipStream_tbENKUlT_T0_E_clISt17integral_constantIbLb0EES10_IbLb1EEEEDaSW_SX_EUlSW_E_NS1_11comp_targetILNS1_3genE10ELNS1_11target_archE1201ELNS1_3gpuE5ELNS1_3repE0EEENS1_30default_config_static_selectorELNS0_4arch9wavefront6targetE0EEEvT1_.num_named_barrier, 0
	.set _ZN7rocprim17ROCPRIM_400000_NS6detail17trampoline_kernelINS0_14default_configENS1_33run_length_encode_config_selectorIN3c108BFloat16EjNS0_4plusIjEEEEZZNS1_33reduce_by_key_impl_wrapped_configILNS1_25lookback_scan_determinismE0ES3_S9_PKS6_NS0_17constant_iteratorIjlEEPS6_PlSH_S8_NS0_8equal_toIS6_EEEE10hipError_tPvRmT2_T3_mT4_T5_T6_T7_T8_P12ihipStream_tbENKUlT_T0_E_clISt17integral_constantIbLb0EES10_IbLb1EEEEDaSW_SX_EUlSW_E_NS1_11comp_targetILNS1_3genE10ELNS1_11target_archE1201ELNS1_3gpuE5ELNS1_3repE0EEENS1_30default_config_static_selectorELNS0_4arch9wavefront6targetE0EEEvT1_.private_seg_size, 0
	.set _ZN7rocprim17ROCPRIM_400000_NS6detail17trampoline_kernelINS0_14default_configENS1_33run_length_encode_config_selectorIN3c108BFloat16EjNS0_4plusIjEEEEZZNS1_33reduce_by_key_impl_wrapped_configILNS1_25lookback_scan_determinismE0ES3_S9_PKS6_NS0_17constant_iteratorIjlEEPS6_PlSH_S8_NS0_8equal_toIS6_EEEE10hipError_tPvRmT2_T3_mT4_T5_T6_T7_T8_P12ihipStream_tbENKUlT_T0_E_clISt17integral_constantIbLb0EES10_IbLb1EEEEDaSW_SX_EUlSW_E_NS1_11comp_targetILNS1_3genE10ELNS1_11target_archE1201ELNS1_3gpuE5ELNS1_3repE0EEENS1_30default_config_static_selectorELNS0_4arch9wavefront6targetE0EEEvT1_.uses_vcc, 0
	.set _ZN7rocprim17ROCPRIM_400000_NS6detail17trampoline_kernelINS0_14default_configENS1_33run_length_encode_config_selectorIN3c108BFloat16EjNS0_4plusIjEEEEZZNS1_33reduce_by_key_impl_wrapped_configILNS1_25lookback_scan_determinismE0ES3_S9_PKS6_NS0_17constant_iteratorIjlEEPS6_PlSH_S8_NS0_8equal_toIS6_EEEE10hipError_tPvRmT2_T3_mT4_T5_T6_T7_T8_P12ihipStream_tbENKUlT_T0_E_clISt17integral_constantIbLb0EES10_IbLb1EEEEDaSW_SX_EUlSW_E_NS1_11comp_targetILNS1_3genE10ELNS1_11target_archE1201ELNS1_3gpuE5ELNS1_3repE0EEENS1_30default_config_static_selectorELNS0_4arch9wavefront6targetE0EEEvT1_.uses_flat_scratch, 0
	.set _ZN7rocprim17ROCPRIM_400000_NS6detail17trampoline_kernelINS0_14default_configENS1_33run_length_encode_config_selectorIN3c108BFloat16EjNS0_4plusIjEEEEZZNS1_33reduce_by_key_impl_wrapped_configILNS1_25lookback_scan_determinismE0ES3_S9_PKS6_NS0_17constant_iteratorIjlEEPS6_PlSH_S8_NS0_8equal_toIS6_EEEE10hipError_tPvRmT2_T3_mT4_T5_T6_T7_T8_P12ihipStream_tbENKUlT_T0_E_clISt17integral_constantIbLb0EES10_IbLb1EEEEDaSW_SX_EUlSW_E_NS1_11comp_targetILNS1_3genE10ELNS1_11target_archE1201ELNS1_3gpuE5ELNS1_3repE0EEENS1_30default_config_static_selectorELNS0_4arch9wavefront6targetE0EEEvT1_.has_dyn_sized_stack, 0
	.set _ZN7rocprim17ROCPRIM_400000_NS6detail17trampoline_kernelINS0_14default_configENS1_33run_length_encode_config_selectorIN3c108BFloat16EjNS0_4plusIjEEEEZZNS1_33reduce_by_key_impl_wrapped_configILNS1_25lookback_scan_determinismE0ES3_S9_PKS6_NS0_17constant_iteratorIjlEEPS6_PlSH_S8_NS0_8equal_toIS6_EEEE10hipError_tPvRmT2_T3_mT4_T5_T6_T7_T8_P12ihipStream_tbENKUlT_T0_E_clISt17integral_constantIbLb0EES10_IbLb1EEEEDaSW_SX_EUlSW_E_NS1_11comp_targetILNS1_3genE10ELNS1_11target_archE1201ELNS1_3gpuE5ELNS1_3repE0EEENS1_30default_config_static_selectorELNS0_4arch9wavefront6targetE0EEEvT1_.has_recursion, 0
	.set _ZN7rocprim17ROCPRIM_400000_NS6detail17trampoline_kernelINS0_14default_configENS1_33run_length_encode_config_selectorIN3c108BFloat16EjNS0_4plusIjEEEEZZNS1_33reduce_by_key_impl_wrapped_configILNS1_25lookback_scan_determinismE0ES3_S9_PKS6_NS0_17constant_iteratorIjlEEPS6_PlSH_S8_NS0_8equal_toIS6_EEEE10hipError_tPvRmT2_T3_mT4_T5_T6_T7_T8_P12ihipStream_tbENKUlT_T0_E_clISt17integral_constantIbLb0EES10_IbLb1EEEEDaSW_SX_EUlSW_E_NS1_11comp_targetILNS1_3genE10ELNS1_11target_archE1201ELNS1_3gpuE5ELNS1_3repE0EEENS1_30default_config_static_selectorELNS0_4arch9wavefront6targetE0EEEvT1_.has_indirect_call, 0
	.section	.AMDGPU.csdata,"",@progbits
; Kernel info:
; codeLenInByte = 0
; TotalNumSgprs: 0
; NumVgprs: 0
; ScratchSize: 0
; MemoryBound: 0
; FloatMode: 240
; IeeeMode: 1
; LDSByteSize: 0 bytes/workgroup (compile time only)
; SGPRBlocks: 0
; VGPRBlocks: 0
; NumSGPRsForWavesPerEU: 1
; NumVGPRsForWavesPerEU: 1
; NamedBarCnt: 0
; Occupancy: 16
; WaveLimiterHint : 0
; COMPUTE_PGM_RSRC2:SCRATCH_EN: 0
; COMPUTE_PGM_RSRC2:USER_SGPR: 2
; COMPUTE_PGM_RSRC2:TRAP_HANDLER: 0
; COMPUTE_PGM_RSRC2:TGID_X_EN: 1
; COMPUTE_PGM_RSRC2:TGID_Y_EN: 0
; COMPUTE_PGM_RSRC2:TGID_Z_EN: 0
; COMPUTE_PGM_RSRC2:TIDIG_COMP_CNT: 0
	.section	.text._ZN7rocprim17ROCPRIM_400000_NS6detail17trampoline_kernelINS0_14default_configENS1_33run_length_encode_config_selectorIN3c108BFloat16EjNS0_4plusIjEEEEZZNS1_33reduce_by_key_impl_wrapped_configILNS1_25lookback_scan_determinismE0ES3_S9_PKS6_NS0_17constant_iteratorIjlEEPS6_PlSH_S8_NS0_8equal_toIS6_EEEE10hipError_tPvRmT2_T3_mT4_T5_T6_T7_T8_P12ihipStream_tbENKUlT_T0_E_clISt17integral_constantIbLb0EES10_IbLb1EEEEDaSW_SX_EUlSW_E_NS1_11comp_targetILNS1_3genE10ELNS1_11target_archE1200ELNS1_3gpuE4ELNS1_3repE0EEENS1_30default_config_static_selectorELNS0_4arch9wavefront6targetE0EEEvT1_,"axG",@progbits,_ZN7rocprim17ROCPRIM_400000_NS6detail17trampoline_kernelINS0_14default_configENS1_33run_length_encode_config_selectorIN3c108BFloat16EjNS0_4plusIjEEEEZZNS1_33reduce_by_key_impl_wrapped_configILNS1_25lookback_scan_determinismE0ES3_S9_PKS6_NS0_17constant_iteratorIjlEEPS6_PlSH_S8_NS0_8equal_toIS6_EEEE10hipError_tPvRmT2_T3_mT4_T5_T6_T7_T8_P12ihipStream_tbENKUlT_T0_E_clISt17integral_constantIbLb0EES10_IbLb1EEEEDaSW_SX_EUlSW_E_NS1_11comp_targetILNS1_3genE10ELNS1_11target_archE1200ELNS1_3gpuE4ELNS1_3repE0EEENS1_30default_config_static_selectorELNS0_4arch9wavefront6targetE0EEEvT1_,comdat
	.protected	_ZN7rocprim17ROCPRIM_400000_NS6detail17trampoline_kernelINS0_14default_configENS1_33run_length_encode_config_selectorIN3c108BFloat16EjNS0_4plusIjEEEEZZNS1_33reduce_by_key_impl_wrapped_configILNS1_25lookback_scan_determinismE0ES3_S9_PKS6_NS0_17constant_iteratorIjlEEPS6_PlSH_S8_NS0_8equal_toIS6_EEEE10hipError_tPvRmT2_T3_mT4_T5_T6_T7_T8_P12ihipStream_tbENKUlT_T0_E_clISt17integral_constantIbLb0EES10_IbLb1EEEEDaSW_SX_EUlSW_E_NS1_11comp_targetILNS1_3genE10ELNS1_11target_archE1200ELNS1_3gpuE4ELNS1_3repE0EEENS1_30default_config_static_selectorELNS0_4arch9wavefront6targetE0EEEvT1_ ; -- Begin function _ZN7rocprim17ROCPRIM_400000_NS6detail17trampoline_kernelINS0_14default_configENS1_33run_length_encode_config_selectorIN3c108BFloat16EjNS0_4plusIjEEEEZZNS1_33reduce_by_key_impl_wrapped_configILNS1_25lookback_scan_determinismE0ES3_S9_PKS6_NS0_17constant_iteratorIjlEEPS6_PlSH_S8_NS0_8equal_toIS6_EEEE10hipError_tPvRmT2_T3_mT4_T5_T6_T7_T8_P12ihipStream_tbENKUlT_T0_E_clISt17integral_constantIbLb0EES10_IbLb1EEEEDaSW_SX_EUlSW_E_NS1_11comp_targetILNS1_3genE10ELNS1_11target_archE1200ELNS1_3gpuE4ELNS1_3repE0EEENS1_30default_config_static_selectorELNS0_4arch9wavefront6targetE0EEEvT1_
	.globl	_ZN7rocprim17ROCPRIM_400000_NS6detail17trampoline_kernelINS0_14default_configENS1_33run_length_encode_config_selectorIN3c108BFloat16EjNS0_4plusIjEEEEZZNS1_33reduce_by_key_impl_wrapped_configILNS1_25lookback_scan_determinismE0ES3_S9_PKS6_NS0_17constant_iteratorIjlEEPS6_PlSH_S8_NS0_8equal_toIS6_EEEE10hipError_tPvRmT2_T3_mT4_T5_T6_T7_T8_P12ihipStream_tbENKUlT_T0_E_clISt17integral_constantIbLb0EES10_IbLb1EEEEDaSW_SX_EUlSW_E_NS1_11comp_targetILNS1_3genE10ELNS1_11target_archE1200ELNS1_3gpuE4ELNS1_3repE0EEENS1_30default_config_static_selectorELNS0_4arch9wavefront6targetE0EEEvT1_
	.p2align	8
	.type	_ZN7rocprim17ROCPRIM_400000_NS6detail17trampoline_kernelINS0_14default_configENS1_33run_length_encode_config_selectorIN3c108BFloat16EjNS0_4plusIjEEEEZZNS1_33reduce_by_key_impl_wrapped_configILNS1_25lookback_scan_determinismE0ES3_S9_PKS6_NS0_17constant_iteratorIjlEEPS6_PlSH_S8_NS0_8equal_toIS6_EEEE10hipError_tPvRmT2_T3_mT4_T5_T6_T7_T8_P12ihipStream_tbENKUlT_T0_E_clISt17integral_constantIbLb0EES10_IbLb1EEEEDaSW_SX_EUlSW_E_NS1_11comp_targetILNS1_3genE10ELNS1_11target_archE1200ELNS1_3gpuE4ELNS1_3repE0EEENS1_30default_config_static_selectorELNS0_4arch9wavefront6targetE0EEEvT1_,@function
_ZN7rocprim17ROCPRIM_400000_NS6detail17trampoline_kernelINS0_14default_configENS1_33run_length_encode_config_selectorIN3c108BFloat16EjNS0_4plusIjEEEEZZNS1_33reduce_by_key_impl_wrapped_configILNS1_25lookback_scan_determinismE0ES3_S9_PKS6_NS0_17constant_iteratorIjlEEPS6_PlSH_S8_NS0_8equal_toIS6_EEEE10hipError_tPvRmT2_T3_mT4_T5_T6_T7_T8_P12ihipStream_tbENKUlT_T0_E_clISt17integral_constantIbLb0EES10_IbLb1EEEEDaSW_SX_EUlSW_E_NS1_11comp_targetILNS1_3genE10ELNS1_11target_archE1200ELNS1_3gpuE4ELNS1_3repE0EEENS1_30default_config_static_selectorELNS0_4arch9wavefront6targetE0EEEvT1_: ; @_ZN7rocprim17ROCPRIM_400000_NS6detail17trampoline_kernelINS0_14default_configENS1_33run_length_encode_config_selectorIN3c108BFloat16EjNS0_4plusIjEEEEZZNS1_33reduce_by_key_impl_wrapped_configILNS1_25lookback_scan_determinismE0ES3_S9_PKS6_NS0_17constant_iteratorIjlEEPS6_PlSH_S8_NS0_8equal_toIS6_EEEE10hipError_tPvRmT2_T3_mT4_T5_T6_T7_T8_P12ihipStream_tbENKUlT_T0_E_clISt17integral_constantIbLb0EES10_IbLb1EEEEDaSW_SX_EUlSW_E_NS1_11comp_targetILNS1_3genE10ELNS1_11target_archE1200ELNS1_3gpuE4ELNS1_3repE0EEENS1_30default_config_static_selectorELNS0_4arch9wavefront6targetE0EEEvT1_
; %bb.0:
	.section	.rodata,"a",@progbits
	.p2align	6, 0x0
	.amdhsa_kernel _ZN7rocprim17ROCPRIM_400000_NS6detail17trampoline_kernelINS0_14default_configENS1_33run_length_encode_config_selectorIN3c108BFloat16EjNS0_4plusIjEEEEZZNS1_33reduce_by_key_impl_wrapped_configILNS1_25lookback_scan_determinismE0ES3_S9_PKS6_NS0_17constant_iteratorIjlEEPS6_PlSH_S8_NS0_8equal_toIS6_EEEE10hipError_tPvRmT2_T3_mT4_T5_T6_T7_T8_P12ihipStream_tbENKUlT_T0_E_clISt17integral_constantIbLb0EES10_IbLb1EEEEDaSW_SX_EUlSW_E_NS1_11comp_targetILNS1_3genE10ELNS1_11target_archE1200ELNS1_3gpuE4ELNS1_3repE0EEENS1_30default_config_static_selectorELNS0_4arch9wavefront6targetE0EEEvT1_
		.amdhsa_group_segment_fixed_size 0
		.amdhsa_private_segment_fixed_size 0
		.amdhsa_kernarg_size 128
		.amdhsa_user_sgpr_count 2
		.amdhsa_user_sgpr_dispatch_ptr 0
		.amdhsa_user_sgpr_queue_ptr 0
		.amdhsa_user_sgpr_kernarg_segment_ptr 1
		.amdhsa_user_sgpr_dispatch_id 0
		.amdhsa_user_sgpr_kernarg_preload_length 0
		.amdhsa_user_sgpr_kernarg_preload_offset 0
		.amdhsa_user_sgpr_private_segment_size 0
		.amdhsa_wavefront_size32 1
		.amdhsa_uses_dynamic_stack 0
		.amdhsa_enable_private_segment 0
		.amdhsa_system_sgpr_workgroup_id_x 1
		.amdhsa_system_sgpr_workgroup_id_y 0
		.amdhsa_system_sgpr_workgroup_id_z 0
		.amdhsa_system_sgpr_workgroup_info 0
		.amdhsa_system_vgpr_workitem_id 0
		.amdhsa_next_free_vgpr 1
		.amdhsa_next_free_sgpr 1
		.amdhsa_named_barrier_count 0
		.amdhsa_reserve_vcc 0
		.amdhsa_float_round_mode_32 0
		.amdhsa_float_round_mode_16_64 0
		.amdhsa_float_denorm_mode_32 3
		.amdhsa_float_denorm_mode_16_64 3
		.amdhsa_fp16_overflow 0
		.amdhsa_memory_ordered 1
		.amdhsa_forward_progress 1
		.amdhsa_inst_pref_size 0
		.amdhsa_round_robin_scheduling 0
		.amdhsa_exception_fp_ieee_invalid_op 0
		.amdhsa_exception_fp_denorm_src 0
		.amdhsa_exception_fp_ieee_div_zero 0
		.amdhsa_exception_fp_ieee_overflow 0
		.amdhsa_exception_fp_ieee_underflow 0
		.amdhsa_exception_fp_ieee_inexact 0
		.amdhsa_exception_int_div_zero 0
	.end_amdhsa_kernel
	.section	.text._ZN7rocprim17ROCPRIM_400000_NS6detail17trampoline_kernelINS0_14default_configENS1_33run_length_encode_config_selectorIN3c108BFloat16EjNS0_4plusIjEEEEZZNS1_33reduce_by_key_impl_wrapped_configILNS1_25lookback_scan_determinismE0ES3_S9_PKS6_NS0_17constant_iteratorIjlEEPS6_PlSH_S8_NS0_8equal_toIS6_EEEE10hipError_tPvRmT2_T3_mT4_T5_T6_T7_T8_P12ihipStream_tbENKUlT_T0_E_clISt17integral_constantIbLb0EES10_IbLb1EEEEDaSW_SX_EUlSW_E_NS1_11comp_targetILNS1_3genE10ELNS1_11target_archE1200ELNS1_3gpuE4ELNS1_3repE0EEENS1_30default_config_static_selectorELNS0_4arch9wavefront6targetE0EEEvT1_,"axG",@progbits,_ZN7rocprim17ROCPRIM_400000_NS6detail17trampoline_kernelINS0_14default_configENS1_33run_length_encode_config_selectorIN3c108BFloat16EjNS0_4plusIjEEEEZZNS1_33reduce_by_key_impl_wrapped_configILNS1_25lookback_scan_determinismE0ES3_S9_PKS6_NS0_17constant_iteratorIjlEEPS6_PlSH_S8_NS0_8equal_toIS6_EEEE10hipError_tPvRmT2_T3_mT4_T5_T6_T7_T8_P12ihipStream_tbENKUlT_T0_E_clISt17integral_constantIbLb0EES10_IbLb1EEEEDaSW_SX_EUlSW_E_NS1_11comp_targetILNS1_3genE10ELNS1_11target_archE1200ELNS1_3gpuE4ELNS1_3repE0EEENS1_30default_config_static_selectorELNS0_4arch9wavefront6targetE0EEEvT1_,comdat
.Lfunc_end889:
	.size	_ZN7rocprim17ROCPRIM_400000_NS6detail17trampoline_kernelINS0_14default_configENS1_33run_length_encode_config_selectorIN3c108BFloat16EjNS0_4plusIjEEEEZZNS1_33reduce_by_key_impl_wrapped_configILNS1_25lookback_scan_determinismE0ES3_S9_PKS6_NS0_17constant_iteratorIjlEEPS6_PlSH_S8_NS0_8equal_toIS6_EEEE10hipError_tPvRmT2_T3_mT4_T5_T6_T7_T8_P12ihipStream_tbENKUlT_T0_E_clISt17integral_constantIbLb0EES10_IbLb1EEEEDaSW_SX_EUlSW_E_NS1_11comp_targetILNS1_3genE10ELNS1_11target_archE1200ELNS1_3gpuE4ELNS1_3repE0EEENS1_30default_config_static_selectorELNS0_4arch9wavefront6targetE0EEEvT1_, .Lfunc_end889-_ZN7rocprim17ROCPRIM_400000_NS6detail17trampoline_kernelINS0_14default_configENS1_33run_length_encode_config_selectorIN3c108BFloat16EjNS0_4plusIjEEEEZZNS1_33reduce_by_key_impl_wrapped_configILNS1_25lookback_scan_determinismE0ES3_S9_PKS6_NS0_17constant_iteratorIjlEEPS6_PlSH_S8_NS0_8equal_toIS6_EEEE10hipError_tPvRmT2_T3_mT4_T5_T6_T7_T8_P12ihipStream_tbENKUlT_T0_E_clISt17integral_constantIbLb0EES10_IbLb1EEEEDaSW_SX_EUlSW_E_NS1_11comp_targetILNS1_3genE10ELNS1_11target_archE1200ELNS1_3gpuE4ELNS1_3repE0EEENS1_30default_config_static_selectorELNS0_4arch9wavefront6targetE0EEEvT1_
                                        ; -- End function
	.set _ZN7rocprim17ROCPRIM_400000_NS6detail17trampoline_kernelINS0_14default_configENS1_33run_length_encode_config_selectorIN3c108BFloat16EjNS0_4plusIjEEEEZZNS1_33reduce_by_key_impl_wrapped_configILNS1_25lookback_scan_determinismE0ES3_S9_PKS6_NS0_17constant_iteratorIjlEEPS6_PlSH_S8_NS0_8equal_toIS6_EEEE10hipError_tPvRmT2_T3_mT4_T5_T6_T7_T8_P12ihipStream_tbENKUlT_T0_E_clISt17integral_constantIbLb0EES10_IbLb1EEEEDaSW_SX_EUlSW_E_NS1_11comp_targetILNS1_3genE10ELNS1_11target_archE1200ELNS1_3gpuE4ELNS1_3repE0EEENS1_30default_config_static_selectorELNS0_4arch9wavefront6targetE0EEEvT1_.num_vgpr, 0
	.set _ZN7rocprim17ROCPRIM_400000_NS6detail17trampoline_kernelINS0_14default_configENS1_33run_length_encode_config_selectorIN3c108BFloat16EjNS0_4plusIjEEEEZZNS1_33reduce_by_key_impl_wrapped_configILNS1_25lookback_scan_determinismE0ES3_S9_PKS6_NS0_17constant_iteratorIjlEEPS6_PlSH_S8_NS0_8equal_toIS6_EEEE10hipError_tPvRmT2_T3_mT4_T5_T6_T7_T8_P12ihipStream_tbENKUlT_T0_E_clISt17integral_constantIbLb0EES10_IbLb1EEEEDaSW_SX_EUlSW_E_NS1_11comp_targetILNS1_3genE10ELNS1_11target_archE1200ELNS1_3gpuE4ELNS1_3repE0EEENS1_30default_config_static_selectorELNS0_4arch9wavefront6targetE0EEEvT1_.num_agpr, 0
	.set _ZN7rocprim17ROCPRIM_400000_NS6detail17trampoline_kernelINS0_14default_configENS1_33run_length_encode_config_selectorIN3c108BFloat16EjNS0_4plusIjEEEEZZNS1_33reduce_by_key_impl_wrapped_configILNS1_25lookback_scan_determinismE0ES3_S9_PKS6_NS0_17constant_iteratorIjlEEPS6_PlSH_S8_NS0_8equal_toIS6_EEEE10hipError_tPvRmT2_T3_mT4_T5_T6_T7_T8_P12ihipStream_tbENKUlT_T0_E_clISt17integral_constantIbLb0EES10_IbLb1EEEEDaSW_SX_EUlSW_E_NS1_11comp_targetILNS1_3genE10ELNS1_11target_archE1200ELNS1_3gpuE4ELNS1_3repE0EEENS1_30default_config_static_selectorELNS0_4arch9wavefront6targetE0EEEvT1_.numbered_sgpr, 0
	.set _ZN7rocprim17ROCPRIM_400000_NS6detail17trampoline_kernelINS0_14default_configENS1_33run_length_encode_config_selectorIN3c108BFloat16EjNS0_4plusIjEEEEZZNS1_33reduce_by_key_impl_wrapped_configILNS1_25lookback_scan_determinismE0ES3_S9_PKS6_NS0_17constant_iteratorIjlEEPS6_PlSH_S8_NS0_8equal_toIS6_EEEE10hipError_tPvRmT2_T3_mT4_T5_T6_T7_T8_P12ihipStream_tbENKUlT_T0_E_clISt17integral_constantIbLb0EES10_IbLb1EEEEDaSW_SX_EUlSW_E_NS1_11comp_targetILNS1_3genE10ELNS1_11target_archE1200ELNS1_3gpuE4ELNS1_3repE0EEENS1_30default_config_static_selectorELNS0_4arch9wavefront6targetE0EEEvT1_.num_named_barrier, 0
	.set _ZN7rocprim17ROCPRIM_400000_NS6detail17trampoline_kernelINS0_14default_configENS1_33run_length_encode_config_selectorIN3c108BFloat16EjNS0_4plusIjEEEEZZNS1_33reduce_by_key_impl_wrapped_configILNS1_25lookback_scan_determinismE0ES3_S9_PKS6_NS0_17constant_iteratorIjlEEPS6_PlSH_S8_NS0_8equal_toIS6_EEEE10hipError_tPvRmT2_T3_mT4_T5_T6_T7_T8_P12ihipStream_tbENKUlT_T0_E_clISt17integral_constantIbLb0EES10_IbLb1EEEEDaSW_SX_EUlSW_E_NS1_11comp_targetILNS1_3genE10ELNS1_11target_archE1200ELNS1_3gpuE4ELNS1_3repE0EEENS1_30default_config_static_selectorELNS0_4arch9wavefront6targetE0EEEvT1_.private_seg_size, 0
	.set _ZN7rocprim17ROCPRIM_400000_NS6detail17trampoline_kernelINS0_14default_configENS1_33run_length_encode_config_selectorIN3c108BFloat16EjNS0_4plusIjEEEEZZNS1_33reduce_by_key_impl_wrapped_configILNS1_25lookback_scan_determinismE0ES3_S9_PKS6_NS0_17constant_iteratorIjlEEPS6_PlSH_S8_NS0_8equal_toIS6_EEEE10hipError_tPvRmT2_T3_mT4_T5_T6_T7_T8_P12ihipStream_tbENKUlT_T0_E_clISt17integral_constantIbLb0EES10_IbLb1EEEEDaSW_SX_EUlSW_E_NS1_11comp_targetILNS1_3genE10ELNS1_11target_archE1200ELNS1_3gpuE4ELNS1_3repE0EEENS1_30default_config_static_selectorELNS0_4arch9wavefront6targetE0EEEvT1_.uses_vcc, 0
	.set _ZN7rocprim17ROCPRIM_400000_NS6detail17trampoline_kernelINS0_14default_configENS1_33run_length_encode_config_selectorIN3c108BFloat16EjNS0_4plusIjEEEEZZNS1_33reduce_by_key_impl_wrapped_configILNS1_25lookback_scan_determinismE0ES3_S9_PKS6_NS0_17constant_iteratorIjlEEPS6_PlSH_S8_NS0_8equal_toIS6_EEEE10hipError_tPvRmT2_T3_mT4_T5_T6_T7_T8_P12ihipStream_tbENKUlT_T0_E_clISt17integral_constantIbLb0EES10_IbLb1EEEEDaSW_SX_EUlSW_E_NS1_11comp_targetILNS1_3genE10ELNS1_11target_archE1200ELNS1_3gpuE4ELNS1_3repE0EEENS1_30default_config_static_selectorELNS0_4arch9wavefront6targetE0EEEvT1_.uses_flat_scratch, 0
	.set _ZN7rocprim17ROCPRIM_400000_NS6detail17trampoline_kernelINS0_14default_configENS1_33run_length_encode_config_selectorIN3c108BFloat16EjNS0_4plusIjEEEEZZNS1_33reduce_by_key_impl_wrapped_configILNS1_25lookback_scan_determinismE0ES3_S9_PKS6_NS0_17constant_iteratorIjlEEPS6_PlSH_S8_NS0_8equal_toIS6_EEEE10hipError_tPvRmT2_T3_mT4_T5_T6_T7_T8_P12ihipStream_tbENKUlT_T0_E_clISt17integral_constantIbLb0EES10_IbLb1EEEEDaSW_SX_EUlSW_E_NS1_11comp_targetILNS1_3genE10ELNS1_11target_archE1200ELNS1_3gpuE4ELNS1_3repE0EEENS1_30default_config_static_selectorELNS0_4arch9wavefront6targetE0EEEvT1_.has_dyn_sized_stack, 0
	.set _ZN7rocprim17ROCPRIM_400000_NS6detail17trampoline_kernelINS0_14default_configENS1_33run_length_encode_config_selectorIN3c108BFloat16EjNS0_4plusIjEEEEZZNS1_33reduce_by_key_impl_wrapped_configILNS1_25lookback_scan_determinismE0ES3_S9_PKS6_NS0_17constant_iteratorIjlEEPS6_PlSH_S8_NS0_8equal_toIS6_EEEE10hipError_tPvRmT2_T3_mT4_T5_T6_T7_T8_P12ihipStream_tbENKUlT_T0_E_clISt17integral_constantIbLb0EES10_IbLb1EEEEDaSW_SX_EUlSW_E_NS1_11comp_targetILNS1_3genE10ELNS1_11target_archE1200ELNS1_3gpuE4ELNS1_3repE0EEENS1_30default_config_static_selectorELNS0_4arch9wavefront6targetE0EEEvT1_.has_recursion, 0
	.set _ZN7rocprim17ROCPRIM_400000_NS6detail17trampoline_kernelINS0_14default_configENS1_33run_length_encode_config_selectorIN3c108BFloat16EjNS0_4plusIjEEEEZZNS1_33reduce_by_key_impl_wrapped_configILNS1_25lookback_scan_determinismE0ES3_S9_PKS6_NS0_17constant_iteratorIjlEEPS6_PlSH_S8_NS0_8equal_toIS6_EEEE10hipError_tPvRmT2_T3_mT4_T5_T6_T7_T8_P12ihipStream_tbENKUlT_T0_E_clISt17integral_constantIbLb0EES10_IbLb1EEEEDaSW_SX_EUlSW_E_NS1_11comp_targetILNS1_3genE10ELNS1_11target_archE1200ELNS1_3gpuE4ELNS1_3repE0EEENS1_30default_config_static_selectorELNS0_4arch9wavefront6targetE0EEEvT1_.has_indirect_call, 0
	.section	.AMDGPU.csdata,"",@progbits
; Kernel info:
; codeLenInByte = 0
; TotalNumSgprs: 0
; NumVgprs: 0
; ScratchSize: 0
; MemoryBound: 0
; FloatMode: 240
; IeeeMode: 1
; LDSByteSize: 0 bytes/workgroup (compile time only)
; SGPRBlocks: 0
; VGPRBlocks: 0
; NumSGPRsForWavesPerEU: 1
; NumVGPRsForWavesPerEU: 1
; NamedBarCnt: 0
; Occupancy: 16
; WaveLimiterHint : 0
; COMPUTE_PGM_RSRC2:SCRATCH_EN: 0
; COMPUTE_PGM_RSRC2:USER_SGPR: 2
; COMPUTE_PGM_RSRC2:TRAP_HANDLER: 0
; COMPUTE_PGM_RSRC2:TGID_X_EN: 1
; COMPUTE_PGM_RSRC2:TGID_Y_EN: 0
; COMPUTE_PGM_RSRC2:TGID_Z_EN: 0
; COMPUTE_PGM_RSRC2:TIDIG_COMP_CNT: 0
	.section	.text._ZN7rocprim17ROCPRIM_400000_NS6detail17trampoline_kernelINS0_14default_configENS1_33run_length_encode_config_selectorIN3c108BFloat16EjNS0_4plusIjEEEEZZNS1_33reduce_by_key_impl_wrapped_configILNS1_25lookback_scan_determinismE0ES3_S9_PKS6_NS0_17constant_iteratorIjlEEPS6_PlSH_S8_NS0_8equal_toIS6_EEEE10hipError_tPvRmT2_T3_mT4_T5_T6_T7_T8_P12ihipStream_tbENKUlT_T0_E_clISt17integral_constantIbLb0EES10_IbLb1EEEEDaSW_SX_EUlSW_E_NS1_11comp_targetILNS1_3genE9ELNS1_11target_archE1100ELNS1_3gpuE3ELNS1_3repE0EEENS1_30default_config_static_selectorELNS0_4arch9wavefront6targetE0EEEvT1_,"axG",@progbits,_ZN7rocprim17ROCPRIM_400000_NS6detail17trampoline_kernelINS0_14default_configENS1_33run_length_encode_config_selectorIN3c108BFloat16EjNS0_4plusIjEEEEZZNS1_33reduce_by_key_impl_wrapped_configILNS1_25lookback_scan_determinismE0ES3_S9_PKS6_NS0_17constant_iteratorIjlEEPS6_PlSH_S8_NS0_8equal_toIS6_EEEE10hipError_tPvRmT2_T3_mT4_T5_T6_T7_T8_P12ihipStream_tbENKUlT_T0_E_clISt17integral_constantIbLb0EES10_IbLb1EEEEDaSW_SX_EUlSW_E_NS1_11comp_targetILNS1_3genE9ELNS1_11target_archE1100ELNS1_3gpuE3ELNS1_3repE0EEENS1_30default_config_static_selectorELNS0_4arch9wavefront6targetE0EEEvT1_,comdat
	.protected	_ZN7rocprim17ROCPRIM_400000_NS6detail17trampoline_kernelINS0_14default_configENS1_33run_length_encode_config_selectorIN3c108BFloat16EjNS0_4plusIjEEEEZZNS1_33reduce_by_key_impl_wrapped_configILNS1_25lookback_scan_determinismE0ES3_S9_PKS6_NS0_17constant_iteratorIjlEEPS6_PlSH_S8_NS0_8equal_toIS6_EEEE10hipError_tPvRmT2_T3_mT4_T5_T6_T7_T8_P12ihipStream_tbENKUlT_T0_E_clISt17integral_constantIbLb0EES10_IbLb1EEEEDaSW_SX_EUlSW_E_NS1_11comp_targetILNS1_3genE9ELNS1_11target_archE1100ELNS1_3gpuE3ELNS1_3repE0EEENS1_30default_config_static_selectorELNS0_4arch9wavefront6targetE0EEEvT1_ ; -- Begin function _ZN7rocprim17ROCPRIM_400000_NS6detail17trampoline_kernelINS0_14default_configENS1_33run_length_encode_config_selectorIN3c108BFloat16EjNS0_4plusIjEEEEZZNS1_33reduce_by_key_impl_wrapped_configILNS1_25lookback_scan_determinismE0ES3_S9_PKS6_NS0_17constant_iteratorIjlEEPS6_PlSH_S8_NS0_8equal_toIS6_EEEE10hipError_tPvRmT2_T3_mT4_T5_T6_T7_T8_P12ihipStream_tbENKUlT_T0_E_clISt17integral_constantIbLb0EES10_IbLb1EEEEDaSW_SX_EUlSW_E_NS1_11comp_targetILNS1_3genE9ELNS1_11target_archE1100ELNS1_3gpuE3ELNS1_3repE0EEENS1_30default_config_static_selectorELNS0_4arch9wavefront6targetE0EEEvT1_
	.globl	_ZN7rocprim17ROCPRIM_400000_NS6detail17trampoline_kernelINS0_14default_configENS1_33run_length_encode_config_selectorIN3c108BFloat16EjNS0_4plusIjEEEEZZNS1_33reduce_by_key_impl_wrapped_configILNS1_25lookback_scan_determinismE0ES3_S9_PKS6_NS0_17constant_iteratorIjlEEPS6_PlSH_S8_NS0_8equal_toIS6_EEEE10hipError_tPvRmT2_T3_mT4_T5_T6_T7_T8_P12ihipStream_tbENKUlT_T0_E_clISt17integral_constantIbLb0EES10_IbLb1EEEEDaSW_SX_EUlSW_E_NS1_11comp_targetILNS1_3genE9ELNS1_11target_archE1100ELNS1_3gpuE3ELNS1_3repE0EEENS1_30default_config_static_selectorELNS0_4arch9wavefront6targetE0EEEvT1_
	.p2align	8
	.type	_ZN7rocprim17ROCPRIM_400000_NS6detail17trampoline_kernelINS0_14default_configENS1_33run_length_encode_config_selectorIN3c108BFloat16EjNS0_4plusIjEEEEZZNS1_33reduce_by_key_impl_wrapped_configILNS1_25lookback_scan_determinismE0ES3_S9_PKS6_NS0_17constant_iteratorIjlEEPS6_PlSH_S8_NS0_8equal_toIS6_EEEE10hipError_tPvRmT2_T3_mT4_T5_T6_T7_T8_P12ihipStream_tbENKUlT_T0_E_clISt17integral_constantIbLb0EES10_IbLb1EEEEDaSW_SX_EUlSW_E_NS1_11comp_targetILNS1_3genE9ELNS1_11target_archE1100ELNS1_3gpuE3ELNS1_3repE0EEENS1_30default_config_static_selectorELNS0_4arch9wavefront6targetE0EEEvT1_,@function
_ZN7rocprim17ROCPRIM_400000_NS6detail17trampoline_kernelINS0_14default_configENS1_33run_length_encode_config_selectorIN3c108BFloat16EjNS0_4plusIjEEEEZZNS1_33reduce_by_key_impl_wrapped_configILNS1_25lookback_scan_determinismE0ES3_S9_PKS6_NS0_17constant_iteratorIjlEEPS6_PlSH_S8_NS0_8equal_toIS6_EEEE10hipError_tPvRmT2_T3_mT4_T5_T6_T7_T8_P12ihipStream_tbENKUlT_T0_E_clISt17integral_constantIbLb0EES10_IbLb1EEEEDaSW_SX_EUlSW_E_NS1_11comp_targetILNS1_3genE9ELNS1_11target_archE1100ELNS1_3gpuE3ELNS1_3repE0EEENS1_30default_config_static_selectorELNS0_4arch9wavefront6targetE0EEEvT1_: ; @_ZN7rocprim17ROCPRIM_400000_NS6detail17trampoline_kernelINS0_14default_configENS1_33run_length_encode_config_selectorIN3c108BFloat16EjNS0_4plusIjEEEEZZNS1_33reduce_by_key_impl_wrapped_configILNS1_25lookback_scan_determinismE0ES3_S9_PKS6_NS0_17constant_iteratorIjlEEPS6_PlSH_S8_NS0_8equal_toIS6_EEEE10hipError_tPvRmT2_T3_mT4_T5_T6_T7_T8_P12ihipStream_tbENKUlT_T0_E_clISt17integral_constantIbLb0EES10_IbLb1EEEEDaSW_SX_EUlSW_E_NS1_11comp_targetILNS1_3genE9ELNS1_11target_archE1100ELNS1_3gpuE3ELNS1_3repE0EEENS1_30default_config_static_selectorELNS0_4arch9wavefront6targetE0EEEvT1_
; %bb.0:
	.section	.rodata,"a",@progbits
	.p2align	6, 0x0
	.amdhsa_kernel _ZN7rocprim17ROCPRIM_400000_NS6detail17trampoline_kernelINS0_14default_configENS1_33run_length_encode_config_selectorIN3c108BFloat16EjNS0_4plusIjEEEEZZNS1_33reduce_by_key_impl_wrapped_configILNS1_25lookback_scan_determinismE0ES3_S9_PKS6_NS0_17constant_iteratorIjlEEPS6_PlSH_S8_NS0_8equal_toIS6_EEEE10hipError_tPvRmT2_T3_mT4_T5_T6_T7_T8_P12ihipStream_tbENKUlT_T0_E_clISt17integral_constantIbLb0EES10_IbLb1EEEEDaSW_SX_EUlSW_E_NS1_11comp_targetILNS1_3genE9ELNS1_11target_archE1100ELNS1_3gpuE3ELNS1_3repE0EEENS1_30default_config_static_selectorELNS0_4arch9wavefront6targetE0EEEvT1_
		.amdhsa_group_segment_fixed_size 0
		.amdhsa_private_segment_fixed_size 0
		.amdhsa_kernarg_size 128
		.amdhsa_user_sgpr_count 2
		.amdhsa_user_sgpr_dispatch_ptr 0
		.amdhsa_user_sgpr_queue_ptr 0
		.amdhsa_user_sgpr_kernarg_segment_ptr 1
		.amdhsa_user_sgpr_dispatch_id 0
		.amdhsa_user_sgpr_kernarg_preload_length 0
		.amdhsa_user_sgpr_kernarg_preload_offset 0
		.amdhsa_user_sgpr_private_segment_size 0
		.amdhsa_wavefront_size32 1
		.amdhsa_uses_dynamic_stack 0
		.amdhsa_enable_private_segment 0
		.amdhsa_system_sgpr_workgroup_id_x 1
		.amdhsa_system_sgpr_workgroup_id_y 0
		.amdhsa_system_sgpr_workgroup_id_z 0
		.amdhsa_system_sgpr_workgroup_info 0
		.amdhsa_system_vgpr_workitem_id 0
		.amdhsa_next_free_vgpr 1
		.amdhsa_next_free_sgpr 1
		.amdhsa_named_barrier_count 0
		.amdhsa_reserve_vcc 0
		.amdhsa_float_round_mode_32 0
		.amdhsa_float_round_mode_16_64 0
		.amdhsa_float_denorm_mode_32 3
		.amdhsa_float_denorm_mode_16_64 3
		.amdhsa_fp16_overflow 0
		.amdhsa_memory_ordered 1
		.amdhsa_forward_progress 1
		.amdhsa_inst_pref_size 0
		.amdhsa_round_robin_scheduling 0
		.amdhsa_exception_fp_ieee_invalid_op 0
		.amdhsa_exception_fp_denorm_src 0
		.amdhsa_exception_fp_ieee_div_zero 0
		.amdhsa_exception_fp_ieee_overflow 0
		.amdhsa_exception_fp_ieee_underflow 0
		.amdhsa_exception_fp_ieee_inexact 0
		.amdhsa_exception_int_div_zero 0
	.end_amdhsa_kernel
	.section	.text._ZN7rocprim17ROCPRIM_400000_NS6detail17trampoline_kernelINS0_14default_configENS1_33run_length_encode_config_selectorIN3c108BFloat16EjNS0_4plusIjEEEEZZNS1_33reduce_by_key_impl_wrapped_configILNS1_25lookback_scan_determinismE0ES3_S9_PKS6_NS0_17constant_iteratorIjlEEPS6_PlSH_S8_NS0_8equal_toIS6_EEEE10hipError_tPvRmT2_T3_mT4_T5_T6_T7_T8_P12ihipStream_tbENKUlT_T0_E_clISt17integral_constantIbLb0EES10_IbLb1EEEEDaSW_SX_EUlSW_E_NS1_11comp_targetILNS1_3genE9ELNS1_11target_archE1100ELNS1_3gpuE3ELNS1_3repE0EEENS1_30default_config_static_selectorELNS0_4arch9wavefront6targetE0EEEvT1_,"axG",@progbits,_ZN7rocprim17ROCPRIM_400000_NS6detail17trampoline_kernelINS0_14default_configENS1_33run_length_encode_config_selectorIN3c108BFloat16EjNS0_4plusIjEEEEZZNS1_33reduce_by_key_impl_wrapped_configILNS1_25lookback_scan_determinismE0ES3_S9_PKS6_NS0_17constant_iteratorIjlEEPS6_PlSH_S8_NS0_8equal_toIS6_EEEE10hipError_tPvRmT2_T3_mT4_T5_T6_T7_T8_P12ihipStream_tbENKUlT_T0_E_clISt17integral_constantIbLb0EES10_IbLb1EEEEDaSW_SX_EUlSW_E_NS1_11comp_targetILNS1_3genE9ELNS1_11target_archE1100ELNS1_3gpuE3ELNS1_3repE0EEENS1_30default_config_static_selectorELNS0_4arch9wavefront6targetE0EEEvT1_,comdat
.Lfunc_end890:
	.size	_ZN7rocprim17ROCPRIM_400000_NS6detail17trampoline_kernelINS0_14default_configENS1_33run_length_encode_config_selectorIN3c108BFloat16EjNS0_4plusIjEEEEZZNS1_33reduce_by_key_impl_wrapped_configILNS1_25lookback_scan_determinismE0ES3_S9_PKS6_NS0_17constant_iteratorIjlEEPS6_PlSH_S8_NS0_8equal_toIS6_EEEE10hipError_tPvRmT2_T3_mT4_T5_T6_T7_T8_P12ihipStream_tbENKUlT_T0_E_clISt17integral_constantIbLb0EES10_IbLb1EEEEDaSW_SX_EUlSW_E_NS1_11comp_targetILNS1_3genE9ELNS1_11target_archE1100ELNS1_3gpuE3ELNS1_3repE0EEENS1_30default_config_static_selectorELNS0_4arch9wavefront6targetE0EEEvT1_, .Lfunc_end890-_ZN7rocprim17ROCPRIM_400000_NS6detail17trampoline_kernelINS0_14default_configENS1_33run_length_encode_config_selectorIN3c108BFloat16EjNS0_4plusIjEEEEZZNS1_33reduce_by_key_impl_wrapped_configILNS1_25lookback_scan_determinismE0ES3_S9_PKS6_NS0_17constant_iteratorIjlEEPS6_PlSH_S8_NS0_8equal_toIS6_EEEE10hipError_tPvRmT2_T3_mT4_T5_T6_T7_T8_P12ihipStream_tbENKUlT_T0_E_clISt17integral_constantIbLb0EES10_IbLb1EEEEDaSW_SX_EUlSW_E_NS1_11comp_targetILNS1_3genE9ELNS1_11target_archE1100ELNS1_3gpuE3ELNS1_3repE0EEENS1_30default_config_static_selectorELNS0_4arch9wavefront6targetE0EEEvT1_
                                        ; -- End function
	.set _ZN7rocprim17ROCPRIM_400000_NS6detail17trampoline_kernelINS0_14default_configENS1_33run_length_encode_config_selectorIN3c108BFloat16EjNS0_4plusIjEEEEZZNS1_33reduce_by_key_impl_wrapped_configILNS1_25lookback_scan_determinismE0ES3_S9_PKS6_NS0_17constant_iteratorIjlEEPS6_PlSH_S8_NS0_8equal_toIS6_EEEE10hipError_tPvRmT2_T3_mT4_T5_T6_T7_T8_P12ihipStream_tbENKUlT_T0_E_clISt17integral_constantIbLb0EES10_IbLb1EEEEDaSW_SX_EUlSW_E_NS1_11comp_targetILNS1_3genE9ELNS1_11target_archE1100ELNS1_3gpuE3ELNS1_3repE0EEENS1_30default_config_static_selectorELNS0_4arch9wavefront6targetE0EEEvT1_.num_vgpr, 0
	.set _ZN7rocprim17ROCPRIM_400000_NS6detail17trampoline_kernelINS0_14default_configENS1_33run_length_encode_config_selectorIN3c108BFloat16EjNS0_4plusIjEEEEZZNS1_33reduce_by_key_impl_wrapped_configILNS1_25lookback_scan_determinismE0ES3_S9_PKS6_NS0_17constant_iteratorIjlEEPS6_PlSH_S8_NS0_8equal_toIS6_EEEE10hipError_tPvRmT2_T3_mT4_T5_T6_T7_T8_P12ihipStream_tbENKUlT_T0_E_clISt17integral_constantIbLb0EES10_IbLb1EEEEDaSW_SX_EUlSW_E_NS1_11comp_targetILNS1_3genE9ELNS1_11target_archE1100ELNS1_3gpuE3ELNS1_3repE0EEENS1_30default_config_static_selectorELNS0_4arch9wavefront6targetE0EEEvT1_.num_agpr, 0
	.set _ZN7rocprim17ROCPRIM_400000_NS6detail17trampoline_kernelINS0_14default_configENS1_33run_length_encode_config_selectorIN3c108BFloat16EjNS0_4plusIjEEEEZZNS1_33reduce_by_key_impl_wrapped_configILNS1_25lookback_scan_determinismE0ES3_S9_PKS6_NS0_17constant_iteratorIjlEEPS6_PlSH_S8_NS0_8equal_toIS6_EEEE10hipError_tPvRmT2_T3_mT4_T5_T6_T7_T8_P12ihipStream_tbENKUlT_T0_E_clISt17integral_constantIbLb0EES10_IbLb1EEEEDaSW_SX_EUlSW_E_NS1_11comp_targetILNS1_3genE9ELNS1_11target_archE1100ELNS1_3gpuE3ELNS1_3repE0EEENS1_30default_config_static_selectorELNS0_4arch9wavefront6targetE0EEEvT1_.numbered_sgpr, 0
	.set _ZN7rocprim17ROCPRIM_400000_NS6detail17trampoline_kernelINS0_14default_configENS1_33run_length_encode_config_selectorIN3c108BFloat16EjNS0_4plusIjEEEEZZNS1_33reduce_by_key_impl_wrapped_configILNS1_25lookback_scan_determinismE0ES3_S9_PKS6_NS0_17constant_iteratorIjlEEPS6_PlSH_S8_NS0_8equal_toIS6_EEEE10hipError_tPvRmT2_T3_mT4_T5_T6_T7_T8_P12ihipStream_tbENKUlT_T0_E_clISt17integral_constantIbLb0EES10_IbLb1EEEEDaSW_SX_EUlSW_E_NS1_11comp_targetILNS1_3genE9ELNS1_11target_archE1100ELNS1_3gpuE3ELNS1_3repE0EEENS1_30default_config_static_selectorELNS0_4arch9wavefront6targetE0EEEvT1_.num_named_barrier, 0
	.set _ZN7rocprim17ROCPRIM_400000_NS6detail17trampoline_kernelINS0_14default_configENS1_33run_length_encode_config_selectorIN3c108BFloat16EjNS0_4plusIjEEEEZZNS1_33reduce_by_key_impl_wrapped_configILNS1_25lookback_scan_determinismE0ES3_S9_PKS6_NS0_17constant_iteratorIjlEEPS6_PlSH_S8_NS0_8equal_toIS6_EEEE10hipError_tPvRmT2_T3_mT4_T5_T6_T7_T8_P12ihipStream_tbENKUlT_T0_E_clISt17integral_constantIbLb0EES10_IbLb1EEEEDaSW_SX_EUlSW_E_NS1_11comp_targetILNS1_3genE9ELNS1_11target_archE1100ELNS1_3gpuE3ELNS1_3repE0EEENS1_30default_config_static_selectorELNS0_4arch9wavefront6targetE0EEEvT1_.private_seg_size, 0
	.set _ZN7rocprim17ROCPRIM_400000_NS6detail17trampoline_kernelINS0_14default_configENS1_33run_length_encode_config_selectorIN3c108BFloat16EjNS0_4plusIjEEEEZZNS1_33reduce_by_key_impl_wrapped_configILNS1_25lookback_scan_determinismE0ES3_S9_PKS6_NS0_17constant_iteratorIjlEEPS6_PlSH_S8_NS0_8equal_toIS6_EEEE10hipError_tPvRmT2_T3_mT4_T5_T6_T7_T8_P12ihipStream_tbENKUlT_T0_E_clISt17integral_constantIbLb0EES10_IbLb1EEEEDaSW_SX_EUlSW_E_NS1_11comp_targetILNS1_3genE9ELNS1_11target_archE1100ELNS1_3gpuE3ELNS1_3repE0EEENS1_30default_config_static_selectorELNS0_4arch9wavefront6targetE0EEEvT1_.uses_vcc, 0
	.set _ZN7rocprim17ROCPRIM_400000_NS6detail17trampoline_kernelINS0_14default_configENS1_33run_length_encode_config_selectorIN3c108BFloat16EjNS0_4plusIjEEEEZZNS1_33reduce_by_key_impl_wrapped_configILNS1_25lookback_scan_determinismE0ES3_S9_PKS6_NS0_17constant_iteratorIjlEEPS6_PlSH_S8_NS0_8equal_toIS6_EEEE10hipError_tPvRmT2_T3_mT4_T5_T6_T7_T8_P12ihipStream_tbENKUlT_T0_E_clISt17integral_constantIbLb0EES10_IbLb1EEEEDaSW_SX_EUlSW_E_NS1_11comp_targetILNS1_3genE9ELNS1_11target_archE1100ELNS1_3gpuE3ELNS1_3repE0EEENS1_30default_config_static_selectorELNS0_4arch9wavefront6targetE0EEEvT1_.uses_flat_scratch, 0
	.set _ZN7rocprim17ROCPRIM_400000_NS6detail17trampoline_kernelINS0_14default_configENS1_33run_length_encode_config_selectorIN3c108BFloat16EjNS0_4plusIjEEEEZZNS1_33reduce_by_key_impl_wrapped_configILNS1_25lookback_scan_determinismE0ES3_S9_PKS6_NS0_17constant_iteratorIjlEEPS6_PlSH_S8_NS0_8equal_toIS6_EEEE10hipError_tPvRmT2_T3_mT4_T5_T6_T7_T8_P12ihipStream_tbENKUlT_T0_E_clISt17integral_constantIbLb0EES10_IbLb1EEEEDaSW_SX_EUlSW_E_NS1_11comp_targetILNS1_3genE9ELNS1_11target_archE1100ELNS1_3gpuE3ELNS1_3repE0EEENS1_30default_config_static_selectorELNS0_4arch9wavefront6targetE0EEEvT1_.has_dyn_sized_stack, 0
	.set _ZN7rocprim17ROCPRIM_400000_NS6detail17trampoline_kernelINS0_14default_configENS1_33run_length_encode_config_selectorIN3c108BFloat16EjNS0_4plusIjEEEEZZNS1_33reduce_by_key_impl_wrapped_configILNS1_25lookback_scan_determinismE0ES3_S9_PKS6_NS0_17constant_iteratorIjlEEPS6_PlSH_S8_NS0_8equal_toIS6_EEEE10hipError_tPvRmT2_T3_mT4_T5_T6_T7_T8_P12ihipStream_tbENKUlT_T0_E_clISt17integral_constantIbLb0EES10_IbLb1EEEEDaSW_SX_EUlSW_E_NS1_11comp_targetILNS1_3genE9ELNS1_11target_archE1100ELNS1_3gpuE3ELNS1_3repE0EEENS1_30default_config_static_selectorELNS0_4arch9wavefront6targetE0EEEvT1_.has_recursion, 0
	.set _ZN7rocprim17ROCPRIM_400000_NS6detail17trampoline_kernelINS0_14default_configENS1_33run_length_encode_config_selectorIN3c108BFloat16EjNS0_4plusIjEEEEZZNS1_33reduce_by_key_impl_wrapped_configILNS1_25lookback_scan_determinismE0ES3_S9_PKS6_NS0_17constant_iteratorIjlEEPS6_PlSH_S8_NS0_8equal_toIS6_EEEE10hipError_tPvRmT2_T3_mT4_T5_T6_T7_T8_P12ihipStream_tbENKUlT_T0_E_clISt17integral_constantIbLb0EES10_IbLb1EEEEDaSW_SX_EUlSW_E_NS1_11comp_targetILNS1_3genE9ELNS1_11target_archE1100ELNS1_3gpuE3ELNS1_3repE0EEENS1_30default_config_static_selectorELNS0_4arch9wavefront6targetE0EEEvT1_.has_indirect_call, 0
	.section	.AMDGPU.csdata,"",@progbits
; Kernel info:
; codeLenInByte = 0
; TotalNumSgprs: 0
; NumVgprs: 0
; ScratchSize: 0
; MemoryBound: 0
; FloatMode: 240
; IeeeMode: 1
; LDSByteSize: 0 bytes/workgroup (compile time only)
; SGPRBlocks: 0
; VGPRBlocks: 0
; NumSGPRsForWavesPerEU: 1
; NumVGPRsForWavesPerEU: 1
; NamedBarCnt: 0
; Occupancy: 16
; WaveLimiterHint : 0
; COMPUTE_PGM_RSRC2:SCRATCH_EN: 0
; COMPUTE_PGM_RSRC2:USER_SGPR: 2
; COMPUTE_PGM_RSRC2:TRAP_HANDLER: 0
; COMPUTE_PGM_RSRC2:TGID_X_EN: 1
; COMPUTE_PGM_RSRC2:TGID_Y_EN: 0
; COMPUTE_PGM_RSRC2:TGID_Z_EN: 0
; COMPUTE_PGM_RSRC2:TIDIG_COMP_CNT: 0
	.section	.text._ZN7rocprim17ROCPRIM_400000_NS6detail17trampoline_kernelINS0_14default_configENS1_33run_length_encode_config_selectorIN3c108BFloat16EjNS0_4plusIjEEEEZZNS1_33reduce_by_key_impl_wrapped_configILNS1_25lookback_scan_determinismE0ES3_S9_PKS6_NS0_17constant_iteratorIjlEEPS6_PlSH_S8_NS0_8equal_toIS6_EEEE10hipError_tPvRmT2_T3_mT4_T5_T6_T7_T8_P12ihipStream_tbENKUlT_T0_E_clISt17integral_constantIbLb0EES10_IbLb1EEEEDaSW_SX_EUlSW_E_NS1_11comp_targetILNS1_3genE8ELNS1_11target_archE1030ELNS1_3gpuE2ELNS1_3repE0EEENS1_30default_config_static_selectorELNS0_4arch9wavefront6targetE0EEEvT1_,"axG",@progbits,_ZN7rocprim17ROCPRIM_400000_NS6detail17trampoline_kernelINS0_14default_configENS1_33run_length_encode_config_selectorIN3c108BFloat16EjNS0_4plusIjEEEEZZNS1_33reduce_by_key_impl_wrapped_configILNS1_25lookback_scan_determinismE0ES3_S9_PKS6_NS0_17constant_iteratorIjlEEPS6_PlSH_S8_NS0_8equal_toIS6_EEEE10hipError_tPvRmT2_T3_mT4_T5_T6_T7_T8_P12ihipStream_tbENKUlT_T0_E_clISt17integral_constantIbLb0EES10_IbLb1EEEEDaSW_SX_EUlSW_E_NS1_11comp_targetILNS1_3genE8ELNS1_11target_archE1030ELNS1_3gpuE2ELNS1_3repE0EEENS1_30default_config_static_selectorELNS0_4arch9wavefront6targetE0EEEvT1_,comdat
	.protected	_ZN7rocprim17ROCPRIM_400000_NS6detail17trampoline_kernelINS0_14default_configENS1_33run_length_encode_config_selectorIN3c108BFloat16EjNS0_4plusIjEEEEZZNS1_33reduce_by_key_impl_wrapped_configILNS1_25lookback_scan_determinismE0ES3_S9_PKS6_NS0_17constant_iteratorIjlEEPS6_PlSH_S8_NS0_8equal_toIS6_EEEE10hipError_tPvRmT2_T3_mT4_T5_T6_T7_T8_P12ihipStream_tbENKUlT_T0_E_clISt17integral_constantIbLb0EES10_IbLb1EEEEDaSW_SX_EUlSW_E_NS1_11comp_targetILNS1_3genE8ELNS1_11target_archE1030ELNS1_3gpuE2ELNS1_3repE0EEENS1_30default_config_static_selectorELNS0_4arch9wavefront6targetE0EEEvT1_ ; -- Begin function _ZN7rocprim17ROCPRIM_400000_NS6detail17trampoline_kernelINS0_14default_configENS1_33run_length_encode_config_selectorIN3c108BFloat16EjNS0_4plusIjEEEEZZNS1_33reduce_by_key_impl_wrapped_configILNS1_25lookback_scan_determinismE0ES3_S9_PKS6_NS0_17constant_iteratorIjlEEPS6_PlSH_S8_NS0_8equal_toIS6_EEEE10hipError_tPvRmT2_T3_mT4_T5_T6_T7_T8_P12ihipStream_tbENKUlT_T0_E_clISt17integral_constantIbLb0EES10_IbLb1EEEEDaSW_SX_EUlSW_E_NS1_11comp_targetILNS1_3genE8ELNS1_11target_archE1030ELNS1_3gpuE2ELNS1_3repE0EEENS1_30default_config_static_selectorELNS0_4arch9wavefront6targetE0EEEvT1_
	.globl	_ZN7rocprim17ROCPRIM_400000_NS6detail17trampoline_kernelINS0_14default_configENS1_33run_length_encode_config_selectorIN3c108BFloat16EjNS0_4plusIjEEEEZZNS1_33reduce_by_key_impl_wrapped_configILNS1_25lookback_scan_determinismE0ES3_S9_PKS6_NS0_17constant_iteratorIjlEEPS6_PlSH_S8_NS0_8equal_toIS6_EEEE10hipError_tPvRmT2_T3_mT4_T5_T6_T7_T8_P12ihipStream_tbENKUlT_T0_E_clISt17integral_constantIbLb0EES10_IbLb1EEEEDaSW_SX_EUlSW_E_NS1_11comp_targetILNS1_3genE8ELNS1_11target_archE1030ELNS1_3gpuE2ELNS1_3repE0EEENS1_30default_config_static_selectorELNS0_4arch9wavefront6targetE0EEEvT1_
	.p2align	8
	.type	_ZN7rocprim17ROCPRIM_400000_NS6detail17trampoline_kernelINS0_14default_configENS1_33run_length_encode_config_selectorIN3c108BFloat16EjNS0_4plusIjEEEEZZNS1_33reduce_by_key_impl_wrapped_configILNS1_25lookback_scan_determinismE0ES3_S9_PKS6_NS0_17constant_iteratorIjlEEPS6_PlSH_S8_NS0_8equal_toIS6_EEEE10hipError_tPvRmT2_T3_mT4_T5_T6_T7_T8_P12ihipStream_tbENKUlT_T0_E_clISt17integral_constantIbLb0EES10_IbLb1EEEEDaSW_SX_EUlSW_E_NS1_11comp_targetILNS1_3genE8ELNS1_11target_archE1030ELNS1_3gpuE2ELNS1_3repE0EEENS1_30default_config_static_selectorELNS0_4arch9wavefront6targetE0EEEvT1_,@function
_ZN7rocprim17ROCPRIM_400000_NS6detail17trampoline_kernelINS0_14default_configENS1_33run_length_encode_config_selectorIN3c108BFloat16EjNS0_4plusIjEEEEZZNS1_33reduce_by_key_impl_wrapped_configILNS1_25lookback_scan_determinismE0ES3_S9_PKS6_NS0_17constant_iteratorIjlEEPS6_PlSH_S8_NS0_8equal_toIS6_EEEE10hipError_tPvRmT2_T3_mT4_T5_T6_T7_T8_P12ihipStream_tbENKUlT_T0_E_clISt17integral_constantIbLb0EES10_IbLb1EEEEDaSW_SX_EUlSW_E_NS1_11comp_targetILNS1_3genE8ELNS1_11target_archE1030ELNS1_3gpuE2ELNS1_3repE0EEENS1_30default_config_static_selectorELNS0_4arch9wavefront6targetE0EEEvT1_: ; @_ZN7rocprim17ROCPRIM_400000_NS6detail17trampoline_kernelINS0_14default_configENS1_33run_length_encode_config_selectorIN3c108BFloat16EjNS0_4plusIjEEEEZZNS1_33reduce_by_key_impl_wrapped_configILNS1_25lookback_scan_determinismE0ES3_S9_PKS6_NS0_17constant_iteratorIjlEEPS6_PlSH_S8_NS0_8equal_toIS6_EEEE10hipError_tPvRmT2_T3_mT4_T5_T6_T7_T8_P12ihipStream_tbENKUlT_T0_E_clISt17integral_constantIbLb0EES10_IbLb1EEEEDaSW_SX_EUlSW_E_NS1_11comp_targetILNS1_3genE8ELNS1_11target_archE1030ELNS1_3gpuE2ELNS1_3repE0EEENS1_30default_config_static_selectorELNS0_4arch9wavefront6targetE0EEEvT1_
; %bb.0:
	.section	.rodata,"a",@progbits
	.p2align	6, 0x0
	.amdhsa_kernel _ZN7rocprim17ROCPRIM_400000_NS6detail17trampoline_kernelINS0_14default_configENS1_33run_length_encode_config_selectorIN3c108BFloat16EjNS0_4plusIjEEEEZZNS1_33reduce_by_key_impl_wrapped_configILNS1_25lookback_scan_determinismE0ES3_S9_PKS6_NS0_17constant_iteratorIjlEEPS6_PlSH_S8_NS0_8equal_toIS6_EEEE10hipError_tPvRmT2_T3_mT4_T5_T6_T7_T8_P12ihipStream_tbENKUlT_T0_E_clISt17integral_constantIbLb0EES10_IbLb1EEEEDaSW_SX_EUlSW_E_NS1_11comp_targetILNS1_3genE8ELNS1_11target_archE1030ELNS1_3gpuE2ELNS1_3repE0EEENS1_30default_config_static_selectorELNS0_4arch9wavefront6targetE0EEEvT1_
		.amdhsa_group_segment_fixed_size 0
		.amdhsa_private_segment_fixed_size 0
		.amdhsa_kernarg_size 128
		.amdhsa_user_sgpr_count 2
		.amdhsa_user_sgpr_dispatch_ptr 0
		.amdhsa_user_sgpr_queue_ptr 0
		.amdhsa_user_sgpr_kernarg_segment_ptr 1
		.amdhsa_user_sgpr_dispatch_id 0
		.amdhsa_user_sgpr_kernarg_preload_length 0
		.amdhsa_user_sgpr_kernarg_preload_offset 0
		.amdhsa_user_sgpr_private_segment_size 0
		.amdhsa_wavefront_size32 1
		.amdhsa_uses_dynamic_stack 0
		.amdhsa_enable_private_segment 0
		.amdhsa_system_sgpr_workgroup_id_x 1
		.amdhsa_system_sgpr_workgroup_id_y 0
		.amdhsa_system_sgpr_workgroup_id_z 0
		.amdhsa_system_sgpr_workgroup_info 0
		.amdhsa_system_vgpr_workitem_id 0
		.amdhsa_next_free_vgpr 1
		.amdhsa_next_free_sgpr 1
		.amdhsa_named_barrier_count 0
		.amdhsa_reserve_vcc 0
		.amdhsa_float_round_mode_32 0
		.amdhsa_float_round_mode_16_64 0
		.amdhsa_float_denorm_mode_32 3
		.amdhsa_float_denorm_mode_16_64 3
		.amdhsa_fp16_overflow 0
		.amdhsa_memory_ordered 1
		.amdhsa_forward_progress 1
		.amdhsa_inst_pref_size 0
		.amdhsa_round_robin_scheduling 0
		.amdhsa_exception_fp_ieee_invalid_op 0
		.amdhsa_exception_fp_denorm_src 0
		.amdhsa_exception_fp_ieee_div_zero 0
		.amdhsa_exception_fp_ieee_overflow 0
		.amdhsa_exception_fp_ieee_underflow 0
		.amdhsa_exception_fp_ieee_inexact 0
		.amdhsa_exception_int_div_zero 0
	.end_amdhsa_kernel
	.section	.text._ZN7rocprim17ROCPRIM_400000_NS6detail17trampoline_kernelINS0_14default_configENS1_33run_length_encode_config_selectorIN3c108BFloat16EjNS0_4plusIjEEEEZZNS1_33reduce_by_key_impl_wrapped_configILNS1_25lookback_scan_determinismE0ES3_S9_PKS6_NS0_17constant_iteratorIjlEEPS6_PlSH_S8_NS0_8equal_toIS6_EEEE10hipError_tPvRmT2_T3_mT4_T5_T6_T7_T8_P12ihipStream_tbENKUlT_T0_E_clISt17integral_constantIbLb0EES10_IbLb1EEEEDaSW_SX_EUlSW_E_NS1_11comp_targetILNS1_3genE8ELNS1_11target_archE1030ELNS1_3gpuE2ELNS1_3repE0EEENS1_30default_config_static_selectorELNS0_4arch9wavefront6targetE0EEEvT1_,"axG",@progbits,_ZN7rocprim17ROCPRIM_400000_NS6detail17trampoline_kernelINS0_14default_configENS1_33run_length_encode_config_selectorIN3c108BFloat16EjNS0_4plusIjEEEEZZNS1_33reduce_by_key_impl_wrapped_configILNS1_25lookback_scan_determinismE0ES3_S9_PKS6_NS0_17constant_iteratorIjlEEPS6_PlSH_S8_NS0_8equal_toIS6_EEEE10hipError_tPvRmT2_T3_mT4_T5_T6_T7_T8_P12ihipStream_tbENKUlT_T0_E_clISt17integral_constantIbLb0EES10_IbLb1EEEEDaSW_SX_EUlSW_E_NS1_11comp_targetILNS1_3genE8ELNS1_11target_archE1030ELNS1_3gpuE2ELNS1_3repE0EEENS1_30default_config_static_selectorELNS0_4arch9wavefront6targetE0EEEvT1_,comdat
.Lfunc_end891:
	.size	_ZN7rocprim17ROCPRIM_400000_NS6detail17trampoline_kernelINS0_14default_configENS1_33run_length_encode_config_selectorIN3c108BFloat16EjNS0_4plusIjEEEEZZNS1_33reduce_by_key_impl_wrapped_configILNS1_25lookback_scan_determinismE0ES3_S9_PKS6_NS0_17constant_iteratorIjlEEPS6_PlSH_S8_NS0_8equal_toIS6_EEEE10hipError_tPvRmT2_T3_mT4_T5_T6_T7_T8_P12ihipStream_tbENKUlT_T0_E_clISt17integral_constantIbLb0EES10_IbLb1EEEEDaSW_SX_EUlSW_E_NS1_11comp_targetILNS1_3genE8ELNS1_11target_archE1030ELNS1_3gpuE2ELNS1_3repE0EEENS1_30default_config_static_selectorELNS0_4arch9wavefront6targetE0EEEvT1_, .Lfunc_end891-_ZN7rocprim17ROCPRIM_400000_NS6detail17trampoline_kernelINS0_14default_configENS1_33run_length_encode_config_selectorIN3c108BFloat16EjNS0_4plusIjEEEEZZNS1_33reduce_by_key_impl_wrapped_configILNS1_25lookback_scan_determinismE0ES3_S9_PKS6_NS0_17constant_iteratorIjlEEPS6_PlSH_S8_NS0_8equal_toIS6_EEEE10hipError_tPvRmT2_T3_mT4_T5_T6_T7_T8_P12ihipStream_tbENKUlT_T0_E_clISt17integral_constantIbLb0EES10_IbLb1EEEEDaSW_SX_EUlSW_E_NS1_11comp_targetILNS1_3genE8ELNS1_11target_archE1030ELNS1_3gpuE2ELNS1_3repE0EEENS1_30default_config_static_selectorELNS0_4arch9wavefront6targetE0EEEvT1_
                                        ; -- End function
	.set _ZN7rocprim17ROCPRIM_400000_NS6detail17trampoline_kernelINS0_14default_configENS1_33run_length_encode_config_selectorIN3c108BFloat16EjNS0_4plusIjEEEEZZNS1_33reduce_by_key_impl_wrapped_configILNS1_25lookback_scan_determinismE0ES3_S9_PKS6_NS0_17constant_iteratorIjlEEPS6_PlSH_S8_NS0_8equal_toIS6_EEEE10hipError_tPvRmT2_T3_mT4_T5_T6_T7_T8_P12ihipStream_tbENKUlT_T0_E_clISt17integral_constantIbLb0EES10_IbLb1EEEEDaSW_SX_EUlSW_E_NS1_11comp_targetILNS1_3genE8ELNS1_11target_archE1030ELNS1_3gpuE2ELNS1_3repE0EEENS1_30default_config_static_selectorELNS0_4arch9wavefront6targetE0EEEvT1_.num_vgpr, 0
	.set _ZN7rocprim17ROCPRIM_400000_NS6detail17trampoline_kernelINS0_14default_configENS1_33run_length_encode_config_selectorIN3c108BFloat16EjNS0_4plusIjEEEEZZNS1_33reduce_by_key_impl_wrapped_configILNS1_25lookback_scan_determinismE0ES3_S9_PKS6_NS0_17constant_iteratorIjlEEPS6_PlSH_S8_NS0_8equal_toIS6_EEEE10hipError_tPvRmT2_T3_mT4_T5_T6_T7_T8_P12ihipStream_tbENKUlT_T0_E_clISt17integral_constantIbLb0EES10_IbLb1EEEEDaSW_SX_EUlSW_E_NS1_11comp_targetILNS1_3genE8ELNS1_11target_archE1030ELNS1_3gpuE2ELNS1_3repE0EEENS1_30default_config_static_selectorELNS0_4arch9wavefront6targetE0EEEvT1_.num_agpr, 0
	.set _ZN7rocprim17ROCPRIM_400000_NS6detail17trampoline_kernelINS0_14default_configENS1_33run_length_encode_config_selectorIN3c108BFloat16EjNS0_4plusIjEEEEZZNS1_33reduce_by_key_impl_wrapped_configILNS1_25lookback_scan_determinismE0ES3_S9_PKS6_NS0_17constant_iteratorIjlEEPS6_PlSH_S8_NS0_8equal_toIS6_EEEE10hipError_tPvRmT2_T3_mT4_T5_T6_T7_T8_P12ihipStream_tbENKUlT_T0_E_clISt17integral_constantIbLb0EES10_IbLb1EEEEDaSW_SX_EUlSW_E_NS1_11comp_targetILNS1_3genE8ELNS1_11target_archE1030ELNS1_3gpuE2ELNS1_3repE0EEENS1_30default_config_static_selectorELNS0_4arch9wavefront6targetE0EEEvT1_.numbered_sgpr, 0
	.set _ZN7rocprim17ROCPRIM_400000_NS6detail17trampoline_kernelINS0_14default_configENS1_33run_length_encode_config_selectorIN3c108BFloat16EjNS0_4plusIjEEEEZZNS1_33reduce_by_key_impl_wrapped_configILNS1_25lookback_scan_determinismE0ES3_S9_PKS6_NS0_17constant_iteratorIjlEEPS6_PlSH_S8_NS0_8equal_toIS6_EEEE10hipError_tPvRmT2_T3_mT4_T5_T6_T7_T8_P12ihipStream_tbENKUlT_T0_E_clISt17integral_constantIbLb0EES10_IbLb1EEEEDaSW_SX_EUlSW_E_NS1_11comp_targetILNS1_3genE8ELNS1_11target_archE1030ELNS1_3gpuE2ELNS1_3repE0EEENS1_30default_config_static_selectorELNS0_4arch9wavefront6targetE0EEEvT1_.num_named_barrier, 0
	.set _ZN7rocprim17ROCPRIM_400000_NS6detail17trampoline_kernelINS0_14default_configENS1_33run_length_encode_config_selectorIN3c108BFloat16EjNS0_4plusIjEEEEZZNS1_33reduce_by_key_impl_wrapped_configILNS1_25lookback_scan_determinismE0ES3_S9_PKS6_NS0_17constant_iteratorIjlEEPS6_PlSH_S8_NS0_8equal_toIS6_EEEE10hipError_tPvRmT2_T3_mT4_T5_T6_T7_T8_P12ihipStream_tbENKUlT_T0_E_clISt17integral_constantIbLb0EES10_IbLb1EEEEDaSW_SX_EUlSW_E_NS1_11comp_targetILNS1_3genE8ELNS1_11target_archE1030ELNS1_3gpuE2ELNS1_3repE0EEENS1_30default_config_static_selectorELNS0_4arch9wavefront6targetE0EEEvT1_.private_seg_size, 0
	.set _ZN7rocprim17ROCPRIM_400000_NS6detail17trampoline_kernelINS0_14default_configENS1_33run_length_encode_config_selectorIN3c108BFloat16EjNS0_4plusIjEEEEZZNS1_33reduce_by_key_impl_wrapped_configILNS1_25lookback_scan_determinismE0ES3_S9_PKS6_NS0_17constant_iteratorIjlEEPS6_PlSH_S8_NS0_8equal_toIS6_EEEE10hipError_tPvRmT2_T3_mT4_T5_T6_T7_T8_P12ihipStream_tbENKUlT_T0_E_clISt17integral_constantIbLb0EES10_IbLb1EEEEDaSW_SX_EUlSW_E_NS1_11comp_targetILNS1_3genE8ELNS1_11target_archE1030ELNS1_3gpuE2ELNS1_3repE0EEENS1_30default_config_static_selectorELNS0_4arch9wavefront6targetE0EEEvT1_.uses_vcc, 0
	.set _ZN7rocprim17ROCPRIM_400000_NS6detail17trampoline_kernelINS0_14default_configENS1_33run_length_encode_config_selectorIN3c108BFloat16EjNS0_4plusIjEEEEZZNS1_33reduce_by_key_impl_wrapped_configILNS1_25lookback_scan_determinismE0ES3_S9_PKS6_NS0_17constant_iteratorIjlEEPS6_PlSH_S8_NS0_8equal_toIS6_EEEE10hipError_tPvRmT2_T3_mT4_T5_T6_T7_T8_P12ihipStream_tbENKUlT_T0_E_clISt17integral_constantIbLb0EES10_IbLb1EEEEDaSW_SX_EUlSW_E_NS1_11comp_targetILNS1_3genE8ELNS1_11target_archE1030ELNS1_3gpuE2ELNS1_3repE0EEENS1_30default_config_static_selectorELNS0_4arch9wavefront6targetE0EEEvT1_.uses_flat_scratch, 0
	.set _ZN7rocprim17ROCPRIM_400000_NS6detail17trampoline_kernelINS0_14default_configENS1_33run_length_encode_config_selectorIN3c108BFloat16EjNS0_4plusIjEEEEZZNS1_33reduce_by_key_impl_wrapped_configILNS1_25lookback_scan_determinismE0ES3_S9_PKS6_NS0_17constant_iteratorIjlEEPS6_PlSH_S8_NS0_8equal_toIS6_EEEE10hipError_tPvRmT2_T3_mT4_T5_T6_T7_T8_P12ihipStream_tbENKUlT_T0_E_clISt17integral_constantIbLb0EES10_IbLb1EEEEDaSW_SX_EUlSW_E_NS1_11comp_targetILNS1_3genE8ELNS1_11target_archE1030ELNS1_3gpuE2ELNS1_3repE0EEENS1_30default_config_static_selectorELNS0_4arch9wavefront6targetE0EEEvT1_.has_dyn_sized_stack, 0
	.set _ZN7rocprim17ROCPRIM_400000_NS6detail17trampoline_kernelINS0_14default_configENS1_33run_length_encode_config_selectorIN3c108BFloat16EjNS0_4plusIjEEEEZZNS1_33reduce_by_key_impl_wrapped_configILNS1_25lookback_scan_determinismE0ES3_S9_PKS6_NS0_17constant_iteratorIjlEEPS6_PlSH_S8_NS0_8equal_toIS6_EEEE10hipError_tPvRmT2_T3_mT4_T5_T6_T7_T8_P12ihipStream_tbENKUlT_T0_E_clISt17integral_constantIbLb0EES10_IbLb1EEEEDaSW_SX_EUlSW_E_NS1_11comp_targetILNS1_3genE8ELNS1_11target_archE1030ELNS1_3gpuE2ELNS1_3repE0EEENS1_30default_config_static_selectorELNS0_4arch9wavefront6targetE0EEEvT1_.has_recursion, 0
	.set _ZN7rocprim17ROCPRIM_400000_NS6detail17trampoline_kernelINS0_14default_configENS1_33run_length_encode_config_selectorIN3c108BFloat16EjNS0_4plusIjEEEEZZNS1_33reduce_by_key_impl_wrapped_configILNS1_25lookback_scan_determinismE0ES3_S9_PKS6_NS0_17constant_iteratorIjlEEPS6_PlSH_S8_NS0_8equal_toIS6_EEEE10hipError_tPvRmT2_T3_mT4_T5_T6_T7_T8_P12ihipStream_tbENKUlT_T0_E_clISt17integral_constantIbLb0EES10_IbLb1EEEEDaSW_SX_EUlSW_E_NS1_11comp_targetILNS1_3genE8ELNS1_11target_archE1030ELNS1_3gpuE2ELNS1_3repE0EEENS1_30default_config_static_selectorELNS0_4arch9wavefront6targetE0EEEvT1_.has_indirect_call, 0
	.section	.AMDGPU.csdata,"",@progbits
; Kernel info:
; codeLenInByte = 0
; TotalNumSgprs: 0
; NumVgprs: 0
; ScratchSize: 0
; MemoryBound: 0
; FloatMode: 240
; IeeeMode: 1
; LDSByteSize: 0 bytes/workgroup (compile time only)
; SGPRBlocks: 0
; VGPRBlocks: 0
; NumSGPRsForWavesPerEU: 1
; NumVGPRsForWavesPerEU: 1
; NamedBarCnt: 0
; Occupancy: 16
; WaveLimiterHint : 0
; COMPUTE_PGM_RSRC2:SCRATCH_EN: 0
; COMPUTE_PGM_RSRC2:USER_SGPR: 2
; COMPUTE_PGM_RSRC2:TRAP_HANDLER: 0
; COMPUTE_PGM_RSRC2:TGID_X_EN: 1
; COMPUTE_PGM_RSRC2:TGID_Y_EN: 0
; COMPUTE_PGM_RSRC2:TGID_Z_EN: 0
; COMPUTE_PGM_RSRC2:TIDIG_COMP_CNT: 0
	.section	.text._ZN2at6native8internal12_GLOBAL__N_126adjacent_difference_kernelIPKN3c104HalfEEEvlT_Pi,"axG",@progbits,_ZN2at6native8internal12_GLOBAL__N_126adjacent_difference_kernelIPKN3c104HalfEEEvlT_Pi,comdat
	.globl	_ZN2at6native8internal12_GLOBAL__N_126adjacent_difference_kernelIPKN3c104HalfEEEvlT_Pi ; -- Begin function _ZN2at6native8internal12_GLOBAL__N_126adjacent_difference_kernelIPKN3c104HalfEEEvlT_Pi
	.p2align	8
	.type	_ZN2at6native8internal12_GLOBAL__N_126adjacent_difference_kernelIPKN3c104HalfEEEvlT_Pi,@function
_ZN2at6native8internal12_GLOBAL__N_126adjacent_difference_kernelIPKN3c104HalfEEEvlT_Pi: ; @_ZN2at6native8internal12_GLOBAL__N_126adjacent_difference_kernelIPKN3c104HalfEEEvlT_Pi
; %bb.0:
	s_clause 0x1
	s_load_b32 s2, s[0:1], 0x24
	s_load_b128 s[4:7], s[0:1], 0x0
	s_bfe_u32 s9, ttmp6, 0x4000c
	s_and_b32 s8, ttmp6, 15
	s_add_co_i32 s9, s9, 1
	s_getreg_b32 s10, hwreg(HW_REG_IB_STS2, 6, 4)
	s_mul_i32 s9, ttmp9, s9
	s_mov_b32 s3, 0
	s_add_co_i32 s8, s8, s9
	s_cmp_eq_u32 s10, 0
	v_mov_b32_e32 v1, 0
	s_mov_b32 s15, s3
	s_cselect_b32 s14, ttmp9, s8
	s_mov_b32 s13, s3
	s_wait_kmcnt 0x0
	s_and_b32 s12, s2, 0xffff
	s_mov_b32 s2, exec_lo
	s_mul_u64 s[8:9], s[12:13], s[14:15]
	s_delay_alu instid0(SALU_CYCLE_1) | instskip(NEXT) | instid1(VALU_DEP_1)
	v_add_nc_u64_e32 v[4:5], s[8:9], v[0:1]
	v_cmpx_gt_i64_e64 s[4:5], v[4:5]
	s_cbranch_execz .LBB892_5
; %bb.1:
	s_add_nc_u64 s[16:17], s[0:1], 24
	v_dual_mov_b32 v2, v1 :: v_dual_mov_b32 v3, v4
	s_load_b32 s2, s[16:17], 0x0
	s_load_b64 s[10:11], s[0:1], 0x10
	s_mul_i32 s13, s14, s12
	s_wait_xcnt 0x0
	s_mov_b32 s0, s3
	s_wait_kmcnt 0x0
	s_mul_i32 s2, s2, s12
	s_mov_b32 s12, s3
	s_mov_b32 s1, s2
	s_branch .LBB892_3
.LBB892_2:                              ;   in Loop: Header=BB892_3 Depth=1
	s_wait_xcnt 0x0
	s_or_b32 exec_lo, exec_lo, s14
	v_add_nc_u64_e32 v[0:1], s[2:3], v[0:1]
	v_ashrrev_i64 v[8:9], 30, v[2:3]
	v_add_nc_u64_e32 v[2:3], s[0:1], v[2:3]
	s_delay_alu instid0(VALU_DEP_3) | instskip(NEXT) | instid1(VALU_DEP_1)
	v_add_nc_u64_e32 v[6:7], s[8:9], v[0:1]
	v_cmp_le_i64_e32 vcc_lo, s[4:5], v[6:7]
	s_delay_alu instid0(VALU_DEP_4)
	v_add_nc_u64_e32 v[6:7], s[10:11], v[8:9]
	s_or_b32 s12, vcc_lo, s12
	global_store_b32 v[6:7], v4, off
	s_wait_xcnt 0x0
	s_and_not1_b32 exec_lo, exec_lo, s12
	s_cbranch_execz .LBB892_5
.LBB892_3:                              ; =>This Inner Loop Header: Depth=1
	v_dual_mov_b32 v4, 0 :: v_dual_add_nc_u32 v5, s13, v0
	s_mov_b32 s14, exec_lo
	s_delay_alu instid0(VALU_DEP_1)
	v_cmpx_lt_i32_e32 0, v5
	s_cbranch_execz .LBB892_2
; %bb.4:                                ;   in Loop: Header=BB892_3 Depth=1
	v_add_nc_u32_e32 v4, s8, v0
	s_delay_alu instid0(VALU_DEP_1)
	v_add_nc_u32_e32 v5, -1, v4
	s_clause 0x1
	global_load_u16 v6, v4, s[6:7] scale_offset
	global_load_u16 v7, v5, s[6:7] scale_offset
	s_wait_loadcnt 0x0
	v_cmp_neq_f16_e32 vcc_lo, v6, v7
	s_wait_xcnt 0x1
	v_cndmask_b32_e64 v4, 0, 1, vcc_lo
	s_branch .LBB892_2
.LBB892_5:
	s_endpgm
	.section	.rodata,"a",@progbits
	.p2align	6, 0x0
	.amdhsa_kernel _ZN2at6native8internal12_GLOBAL__N_126adjacent_difference_kernelIPKN3c104HalfEEEvlT_Pi
		.amdhsa_group_segment_fixed_size 0
		.amdhsa_private_segment_fixed_size 0
		.amdhsa_kernarg_size 280
		.amdhsa_user_sgpr_count 2
		.amdhsa_user_sgpr_dispatch_ptr 0
		.amdhsa_user_sgpr_queue_ptr 0
		.amdhsa_user_sgpr_kernarg_segment_ptr 1
		.amdhsa_user_sgpr_dispatch_id 0
		.amdhsa_user_sgpr_kernarg_preload_length 0
		.amdhsa_user_sgpr_kernarg_preload_offset 0
		.amdhsa_user_sgpr_private_segment_size 0
		.amdhsa_wavefront_size32 1
		.amdhsa_uses_dynamic_stack 0
		.amdhsa_enable_private_segment 0
		.amdhsa_system_sgpr_workgroup_id_x 1
		.amdhsa_system_sgpr_workgroup_id_y 0
		.amdhsa_system_sgpr_workgroup_id_z 0
		.amdhsa_system_sgpr_workgroup_info 0
		.amdhsa_system_vgpr_workitem_id 0
		.amdhsa_next_free_vgpr 10
		.amdhsa_next_free_sgpr 18
		.amdhsa_named_barrier_count 0
		.amdhsa_reserve_vcc 1
		.amdhsa_float_round_mode_32 0
		.amdhsa_float_round_mode_16_64 0
		.amdhsa_float_denorm_mode_32 3
		.amdhsa_float_denorm_mode_16_64 3
		.amdhsa_fp16_overflow 0
		.amdhsa_memory_ordered 1
		.amdhsa_forward_progress 1
		.amdhsa_inst_pref_size 3
		.amdhsa_round_robin_scheduling 0
		.amdhsa_exception_fp_ieee_invalid_op 0
		.amdhsa_exception_fp_denorm_src 0
		.amdhsa_exception_fp_ieee_div_zero 0
		.amdhsa_exception_fp_ieee_overflow 0
		.amdhsa_exception_fp_ieee_underflow 0
		.amdhsa_exception_fp_ieee_inexact 0
		.amdhsa_exception_int_div_zero 0
	.end_amdhsa_kernel
	.section	.text._ZN2at6native8internal12_GLOBAL__N_126adjacent_difference_kernelIPKN3c104HalfEEEvlT_Pi,"axG",@progbits,_ZN2at6native8internal12_GLOBAL__N_126adjacent_difference_kernelIPKN3c104HalfEEEvlT_Pi,comdat
.Lfunc_end892:
	.size	_ZN2at6native8internal12_GLOBAL__N_126adjacent_difference_kernelIPKN3c104HalfEEEvlT_Pi, .Lfunc_end892-_ZN2at6native8internal12_GLOBAL__N_126adjacent_difference_kernelIPKN3c104HalfEEEvlT_Pi
                                        ; -- End function
	.set _ZN2at6native8internal12_GLOBAL__N_126adjacent_difference_kernelIPKN3c104HalfEEEvlT_Pi.num_vgpr, 10
	.set _ZN2at6native8internal12_GLOBAL__N_126adjacent_difference_kernelIPKN3c104HalfEEEvlT_Pi.num_agpr, 0
	.set _ZN2at6native8internal12_GLOBAL__N_126adjacent_difference_kernelIPKN3c104HalfEEEvlT_Pi.numbered_sgpr, 18
	.set _ZN2at6native8internal12_GLOBAL__N_126adjacent_difference_kernelIPKN3c104HalfEEEvlT_Pi.num_named_barrier, 0
	.set _ZN2at6native8internal12_GLOBAL__N_126adjacent_difference_kernelIPKN3c104HalfEEEvlT_Pi.private_seg_size, 0
	.set _ZN2at6native8internal12_GLOBAL__N_126adjacent_difference_kernelIPKN3c104HalfEEEvlT_Pi.uses_vcc, 1
	.set _ZN2at6native8internal12_GLOBAL__N_126adjacent_difference_kernelIPKN3c104HalfEEEvlT_Pi.uses_flat_scratch, 0
	.set _ZN2at6native8internal12_GLOBAL__N_126adjacent_difference_kernelIPKN3c104HalfEEEvlT_Pi.has_dyn_sized_stack, 0
	.set _ZN2at6native8internal12_GLOBAL__N_126adjacent_difference_kernelIPKN3c104HalfEEEvlT_Pi.has_recursion, 0
	.set _ZN2at6native8internal12_GLOBAL__N_126adjacent_difference_kernelIPKN3c104HalfEEEvlT_Pi.has_indirect_call, 0
	.section	.AMDGPU.csdata,"",@progbits
; Kernel info:
; codeLenInByte = 336
; TotalNumSgprs: 20
; NumVgprs: 10
; ScratchSize: 0
; MemoryBound: 0
; FloatMode: 240
; IeeeMode: 1
; LDSByteSize: 0 bytes/workgroup (compile time only)
; SGPRBlocks: 0
; VGPRBlocks: 0
; NumSGPRsForWavesPerEU: 20
; NumVGPRsForWavesPerEU: 10
; NamedBarCnt: 0
; Occupancy: 16
; WaveLimiterHint : 0
; COMPUTE_PGM_RSRC2:SCRATCH_EN: 0
; COMPUTE_PGM_RSRC2:USER_SGPR: 2
; COMPUTE_PGM_RSRC2:TRAP_HANDLER: 0
; COMPUTE_PGM_RSRC2:TGID_X_EN: 1
; COMPUTE_PGM_RSRC2:TGID_Y_EN: 0
; COMPUTE_PGM_RSRC2:TGID_Z_EN: 0
; COMPUTE_PGM_RSRC2:TIDIG_COMP_CNT: 0
	.section	.text._ZN7rocprim17ROCPRIM_400000_NS6detail17trampoline_kernelINS0_14default_configENS1_25partition_config_selectorILNS1_17partition_subalgoE8EN3c104HalfENS0_10empty_typeEbEEZZNS1_14partition_implILS5_8ELb0ES3_jPKS7_PS8_PKS8_NS0_5tupleIJPS7_S8_EEENSG_IJSD_SD_EEENS0_18inequality_wrapperIN6hipcub16HIPCUB_304000_NS8EqualityEEEPlJS8_EEE10hipError_tPvRmT3_T4_T5_T6_T7_T9_mT8_P12ihipStream_tbDpT10_ENKUlT_T0_E_clISt17integral_constantIbLb0EES19_EEDaS14_S15_EUlS14_E_NS1_11comp_targetILNS1_3genE0ELNS1_11target_archE4294967295ELNS1_3gpuE0ELNS1_3repE0EEENS1_30default_config_static_selectorELNS0_4arch9wavefront6targetE0EEEvT1_,"axG",@progbits,_ZN7rocprim17ROCPRIM_400000_NS6detail17trampoline_kernelINS0_14default_configENS1_25partition_config_selectorILNS1_17partition_subalgoE8EN3c104HalfENS0_10empty_typeEbEEZZNS1_14partition_implILS5_8ELb0ES3_jPKS7_PS8_PKS8_NS0_5tupleIJPS7_S8_EEENSG_IJSD_SD_EEENS0_18inequality_wrapperIN6hipcub16HIPCUB_304000_NS8EqualityEEEPlJS8_EEE10hipError_tPvRmT3_T4_T5_T6_T7_T9_mT8_P12ihipStream_tbDpT10_ENKUlT_T0_E_clISt17integral_constantIbLb0EES19_EEDaS14_S15_EUlS14_E_NS1_11comp_targetILNS1_3genE0ELNS1_11target_archE4294967295ELNS1_3gpuE0ELNS1_3repE0EEENS1_30default_config_static_selectorELNS0_4arch9wavefront6targetE0EEEvT1_,comdat
	.protected	_ZN7rocprim17ROCPRIM_400000_NS6detail17trampoline_kernelINS0_14default_configENS1_25partition_config_selectorILNS1_17partition_subalgoE8EN3c104HalfENS0_10empty_typeEbEEZZNS1_14partition_implILS5_8ELb0ES3_jPKS7_PS8_PKS8_NS0_5tupleIJPS7_S8_EEENSG_IJSD_SD_EEENS0_18inequality_wrapperIN6hipcub16HIPCUB_304000_NS8EqualityEEEPlJS8_EEE10hipError_tPvRmT3_T4_T5_T6_T7_T9_mT8_P12ihipStream_tbDpT10_ENKUlT_T0_E_clISt17integral_constantIbLb0EES19_EEDaS14_S15_EUlS14_E_NS1_11comp_targetILNS1_3genE0ELNS1_11target_archE4294967295ELNS1_3gpuE0ELNS1_3repE0EEENS1_30default_config_static_selectorELNS0_4arch9wavefront6targetE0EEEvT1_ ; -- Begin function _ZN7rocprim17ROCPRIM_400000_NS6detail17trampoline_kernelINS0_14default_configENS1_25partition_config_selectorILNS1_17partition_subalgoE8EN3c104HalfENS0_10empty_typeEbEEZZNS1_14partition_implILS5_8ELb0ES3_jPKS7_PS8_PKS8_NS0_5tupleIJPS7_S8_EEENSG_IJSD_SD_EEENS0_18inequality_wrapperIN6hipcub16HIPCUB_304000_NS8EqualityEEEPlJS8_EEE10hipError_tPvRmT3_T4_T5_T6_T7_T9_mT8_P12ihipStream_tbDpT10_ENKUlT_T0_E_clISt17integral_constantIbLb0EES19_EEDaS14_S15_EUlS14_E_NS1_11comp_targetILNS1_3genE0ELNS1_11target_archE4294967295ELNS1_3gpuE0ELNS1_3repE0EEENS1_30default_config_static_selectorELNS0_4arch9wavefront6targetE0EEEvT1_
	.globl	_ZN7rocprim17ROCPRIM_400000_NS6detail17trampoline_kernelINS0_14default_configENS1_25partition_config_selectorILNS1_17partition_subalgoE8EN3c104HalfENS0_10empty_typeEbEEZZNS1_14partition_implILS5_8ELb0ES3_jPKS7_PS8_PKS8_NS0_5tupleIJPS7_S8_EEENSG_IJSD_SD_EEENS0_18inequality_wrapperIN6hipcub16HIPCUB_304000_NS8EqualityEEEPlJS8_EEE10hipError_tPvRmT3_T4_T5_T6_T7_T9_mT8_P12ihipStream_tbDpT10_ENKUlT_T0_E_clISt17integral_constantIbLb0EES19_EEDaS14_S15_EUlS14_E_NS1_11comp_targetILNS1_3genE0ELNS1_11target_archE4294967295ELNS1_3gpuE0ELNS1_3repE0EEENS1_30default_config_static_selectorELNS0_4arch9wavefront6targetE0EEEvT1_
	.p2align	8
	.type	_ZN7rocprim17ROCPRIM_400000_NS6detail17trampoline_kernelINS0_14default_configENS1_25partition_config_selectorILNS1_17partition_subalgoE8EN3c104HalfENS0_10empty_typeEbEEZZNS1_14partition_implILS5_8ELb0ES3_jPKS7_PS8_PKS8_NS0_5tupleIJPS7_S8_EEENSG_IJSD_SD_EEENS0_18inequality_wrapperIN6hipcub16HIPCUB_304000_NS8EqualityEEEPlJS8_EEE10hipError_tPvRmT3_T4_T5_T6_T7_T9_mT8_P12ihipStream_tbDpT10_ENKUlT_T0_E_clISt17integral_constantIbLb0EES19_EEDaS14_S15_EUlS14_E_NS1_11comp_targetILNS1_3genE0ELNS1_11target_archE4294967295ELNS1_3gpuE0ELNS1_3repE0EEENS1_30default_config_static_selectorELNS0_4arch9wavefront6targetE0EEEvT1_,@function
_ZN7rocprim17ROCPRIM_400000_NS6detail17trampoline_kernelINS0_14default_configENS1_25partition_config_selectorILNS1_17partition_subalgoE8EN3c104HalfENS0_10empty_typeEbEEZZNS1_14partition_implILS5_8ELb0ES3_jPKS7_PS8_PKS8_NS0_5tupleIJPS7_S8_EEENSG_IJSD_SD_EEENS0_18inequality_wrapperIN6hipcub16HIPCUB_304000_NS8EqualityEEEPlJS8_EEE10hipError_tPvRmT3_T4_T5_T6_T7_T9_mT8_P12ihipStream_tbDpT10_ENKUlT_T0_E_clISt17integral_constantIbLb0EES19_EEDaS14_S15_EUlS14_E_NS1_11comp_targetILNS1_3genE0ELNS1_11target_archE4294967295ELNS1_3gpuE0ELNS1_3repE0EEENS1_30default_config_static_selectorELNS0_4arch9wavefront6targetE0EEEvT1_: ; @_ZN7rocprim17ROCPRIM_400000_NS6detail17trampoline_kernelINS0_14default_configENS1_25partition_config_selectorILNS1_17partition_subalgoE8EN3c104HalfENS0_10empty_typeEbEEZZNS1_14partition_implILS5_8ELb0ES3_jPKS7_PS8_PKS8_NS0_5tupleIJPS7_S8_EEENSG_IJSD_SD_EEENS0_18inequality_wrapperIN6hipcub16HIPCUB_304000_NS8EqualityEEEPlJS8_EEE10hipError_tPvRmT3_T4_T5_T6_T7_T9_mT8_P12ihipStream_tbDpT10_ENKUlT_T0_E_clISt17integral_constantIbLb0EES19_EEDaS14_S15_EUlS14_E_NS1_11comp_targetILNS1_3genE0ELNS1_11target_archE4294967295ELNS1_3gpuE0ELNS1_3repE0EEENS1_30default_config_static_selectorELNS0_4arch9wavefront6targetE0EEEvT1_
; %bb.0:
	s_clause 0x3
	s_load_b128 s[4:7], s[0:1], 0x8
	s_load_b128 s[36:39], s[0:1], 0x40
	s_load_b32 s12, s[0:1], 0x68
	s_load_b64 s[2:3], s[0:1], 0x50
	s_bfe_u32 s10, ttmp6, 0x4000c
	s_and_b32 s8, ttmp6, 15
	s_add_co_i32 s10, s10, 1
	s_mov_b32 s9, 0
	s_mul_i32 s10, ttmp9, s10
	s_getreg_b32 s13, hwreg(HW_REG_IB_STS2, 6, 4)
	s_add_co_i32 s14, s8, s10
	v_mov_b32_e32 v52, v0
	s_wait_kmcnt 0x0
	s_lshl_b64 s[10:11], s[6:7], 1
	s_load_b64 s[34:35], s[38:39], 0x0
	s_mul_i32 s8, s12, 0x1e00
	s_cmp_eq_u32 s13, 0
	s_add_nc_u64 s[10:11], s[4:5], s[10:11]
	s_add_nc_u64 s[4:5], s[6:7], s[8:9]
	s_wait_xcnt 0x0
	s_cselect_b32 s38, ttmp9, s14
	s_add_co_i32 s8, s8, s6
	v_cmp_le_u64_e64 s3, s[2:3], s[4:5]
	s_add_co_i32 s12, s12, -1
	s_sub_co_i32 s39, s2, s8
	s_cmp_eq_u32 s38, s12
	s_mul_i32 s8, s38, 0x1e00
	s_cselect_b32 s31, -1, 0
	s_mov_b32 s4, -1
	s_and_b32 s40, s31, s3
	s_lshl_b64 s[2:3], s[8:9], 1
	s_xor_b32 s33, s40, -1
	s_add_nc_u64 s[2:3], s[10:11], s[2:3]
	s_and_b32 vcc_lo, exec_lo, s33
	s_cbranch_vccz .LBB893_2
; %bb.1:
	s_clause 0x1d
	global_load_u16 v1, v0, s[2:3] scale_offset
	global_load_u16 v2, v0, s[2:3] offset:512 scale_offset
	global_load_u16 v3, v0, s[2:3] offset:1024 scale_offset
	;; [unrolled: 1-line block ×29, first 2 shown]
	v_lshlrev_b32_e32 v31, 1, v0
	s_mov_b32 s4, 0
	s_wait_loadcnt 0x1d
	ds_store_b16 v31, v1
	s_wait_loadcnt 0x1c
	ds_store_b16 v31, v2 offset:512
	s_wait_loadcnt 0x1b
	ds_store_b16 v31, v3 offset:1024
	;; [unrolled: 2-line block ×29, first 2 shown]
	s_wait_dscnt 0x0
	s_barrier_signal -1
	s_barrier_wait -1
.LBB893_2:
	s_and_not1_b32 vcc_lo, exec_lo, s4
	s_addk_co_i32 s39, 0x1e00
	s_cbranch_vccnz .LBB893_64
; %bb.3:
	s_mov_b32 s4, exec_lo
                                        ; implicit-def: $vgpr1
	v_cmpx_gt_u32_e64 s39, v0
	s_cbranch_execz .LBB893_5
; %bb.4:
	global_load_u16 v1, v0, s[2:3] scale_offset
.LBB893_5:
	s_wait_xcnt 0x0
	s_or_b32 exec_lo, exec_lo, s4
	v_or_b32_e32 v2, 0x100, v0
	s_delay_alu instid0(VALU_DEP_1)
	v_cmp_gt_u32_e32 vcc_lo, s39, v2
                                        ; implicit-def: $vgpr2
	s_and_saveexec_b32 s4, vcc_lo
	s_cbranch_execz .LBB893_7
; %bb.6:
	global_load_u16 v2, v0, s[2:3] offset:512 scale_offset
.LBB893_7:
	s_wait_xcnt 0x0
	s_or_b32 exec_lo, exec_lo, s4
	v_or_b32_e32 v3, 0x200, v0
	s_delay_alu instid0(VALU_DEP_1)
	v_cmp_gt_u32_e32 vcc_lo, s39, v3
                                        ; implicit-def: $vgpr3
	s_and_saveexec_b32 s4, vcc_lo
	s_cbranch_execz .LBB893_9
; %bb.8:
	global_load_u16 v3, v0, s[2:3] offset:1024 scale_offset
.LBB893_9:
	s_wait_xcnt 0x0
	s_or_b32 exec_lo, exec_lo, s4
	v_or_b32_e32 v4, 0x300, v0
	s_delay_alu instid0(VALU_DEP_1)
	v_cmp_gt_u32_e32 vcc_lo, s39, v4
                                        ; implicit-def: $vgpr4
	s_and_saveexec_b32 s4, vcc_lo
	s_cbranch_execz .LBB893_11
; %bb.10:
	global_load_u16 v4, v0, s[2:3] offset:1536 scale_offset
.LBB893_11:
	s_wait_xcnt 0x0
	s_or_b32 exec_lo, exec_lo, s4
	v_or_b32_e32 v5, 0x400, v0
	s_delay_alu instid0(VALU_DEP_1)
	v_cmp_gt_u32_e32 vcc_lo, s39, v5
                                        ; implicit-def: $vgpr5
	s_and_saveexec_b32 s4, vcc_lo
	s_cbranch_execz .LBB893_13
; %bb.12:
	global_load_u16 v5, v0, s[2:3] offset:2048 scale_offset
.LBB893_13:
	s_wait_xcnt 0x0
	s_or_b32 exec_lo, exec_lo, s4
	v_or_b32_e32 v6, 0x500, v0
	s_delay_alu instid0(VALU_DEP_1)
	v_cmp_gt_u32_e32 vcc_lo, s39, v6
                                        ; implicit-def: $vgpr6
	s_and_saveexec_b32 s4, vcc_lo
	s_cbranch_execz .LBB893_15
; %bb.14:
	global_load_u16 v6, v0, s[2:3] offset:2560 scale_offset
.LBB893_15:
	s_wait_xcnt 0x0
	s_or_b32 exec_lo, exec_lo, s4
	v_or_b32_e32 v7, 0x600, v0
	s_delay_alu instid0(VALU_DEP_1)
	v_cmp_gt_u32_e32 vcc_lo, s39, v7
                                        ; implicit-def: $vgpr7
	s_and_saveexec_b32 s4, vcc_lo
	s_cbranch_execz .LBB893_17
; %bb.16:
	global_load_u16 v7, v0, s[2:3] offset:3072 scale_offset
.LBB893_17:
	s_wait_xcnt 0x0
	s_or_b32 exec_lo, exec_lo, s4
	v_or_b32_e32 v8, 0x700, v0
	s_delay_alu instid0(VALU_DEP_1)
	v_cmp_gt_u32_e32 vcc_lo, s39, v8
                                        ; implicit-def: $vgpr8
	s_and_saveexec_b32 s4, vcc_lo
	s_cbranch_execz .LBB893_19
; %bb.18:
	global_load_u16 v8, v0, s[2:3] offset:3584 scale_offset
.LBB893_19:
	s_wait_xcnt 0x0
	s_or_b32 exec_lo, exec_lo, s4
	v_or_b32_e32 v9, 0x800, v0
	s_delay_alu instid0(VALU_DEP_1)
	v_cmp_gt_u32_e32 vcc_lo, s39, v9
                                        ; implicit-def: $vgpr9
	s_and_saveexec_b32 s4, vcc_lo
	s_cbranch_execz .LBB893_21
; %bb.20:
	global_load_u16 v9, v0, s[2:3] offset:4096 scale_offset
.LBB893_21:
	s_wait_xcnt 0x0
	s_or_b32 exec_lo, exec_lo, s4
	v_or_b32_e32 v10, 0x900, v0
	s_delay_alu instid0(VALU_DEP_1)
	v_cmp_gt_u32_e32 vcc_lo, s39, v10
                                        ; implicit-def: $vgpr10
	s_and_saveexec_b32 s4, vcc_lo
	s_cbranch_execz .LBB893_23
; %bb.22:
	global_load_u16 v10, v0, s[2:3] offset:4608 scale_offset
.LBB893_23:
	s_wait_xcnt 0x0
	s_or_b32 exec_lo, exec_lo, s4
	v_or_b32_e32 v11, 0xa00, v0
	s_delay_alu instid0(VALU_DEP_1)
	v_cmp_gt_u32_e32 vcc_lo, s39, v11
                                        ; implicit-def: $vgpr11
	s_and_saveexec_b32 s4, vcc_lo
	s_cbranch_execz .LBB893_25
; %bb.24:
	global_load_u16 v11, v0, s[2:3] offset:5120 scale_offset
.LBB893_25:
	s_wait_xcnt 0x0
	s_or_b32 exec_lo, exec_lo, s4
	v_or_b32_e32 v12, 0xb00, v0
	s_delay_alu instid0(VALU_DEP_1)
	v_cmp_gt_u32_e32 vcc_lo, s39, v12
                                        ; implicit-def: $vgpr12
	s_and_saveexec_b32 s4, vcc_lo
	s_cbranch_execz .LBB893_27
; %bb.26:
	global_load_u16 v12, v0, s[2:3] offset:5632 scale_offset
.LBB893_27:
	s_wait_xcnt 0x0
	s_or_b32 exec_lo, exec_lo, s4
	v_or_b32_e32 v13, 0xc00, v0
	s_delay_alu instid0(VALU_DEP_1)
	v_cmp_gt_u32_e32 vcc_lo, s39, v13
                                        ; implicit-def: $vgpr13
	s_and_saveexec_b32 s4, vcc_lo
	s_cbranch_execz .LBB893_29
; %bb.28:
	global_load_u16 v13, v0, s[2:3] offset:6144 scale_offset
.LBB893_29:
	s_wait_xcnt 0x0
	s_or_b32 exec_lo, exec_lo, s4
	v_or_b32_e32 v14, 0xd00, v0
	s_delay_alu instid0(VALU_DEP_1)
	v_cmp_gt_u32_e32 vcc_lo, s39, v14
                                        ; implicit-def: $vgpr14
	s_and_saveexec_b32 s4, vcc_lo
	s_cbranch_execz .LBB893_31
; %bb.30:
	global_load_u16 v14, v0, s[2:3] offset:6656 scale_offset
.LBB893_31:
	s_wait_xcnt 0x0
	s_or_b32 exec_lo, exec_lo, s4
	v_or_b32_e32 v15, 0xe00, v0
	s_delay_alu instid0(VALU_DEP_1)
	v_cmp_gt_u32_e32 vcc_lo, s39, v15
                                        ; implicit-def: $vgpr15
	s_and_saveexec_b32 s4, vcc_lo
	s_cbranch_execz .LBB893_33
; %bb.32:
	global_load_u16 v15, v0, s[2:3] offset:7168 scale_offset
.LBB893_33:
	s_wait_xcnt 0x0
	s_or_b32 exec_lo, exec_lo, s4
	v_or_b32_e32 v16, 0xf00, v0
	s_delay_alu instid0(VALU_DEP_1)
	v_cmp_gt_u32_e32 vcc_lo, s39, v16
                                        ; implicit-def: $vgpr16
	s_and_saveexec_b32 s4, vcc_lo
	s_cbranch_execz .LBB893_35
; %bb.34:
	global_load_u16 v16, v0, s[2:3] offset:7680 scale_offset
.LBB893_35:
	s_wait_xcnt 0x0
	s_or_b32 exec_lo, exec_lo, s4
	v_or_b32_e32 v17, 0x1000, v0
	s_delay_alu instid0(VALU_DEP_1)
	v_cmp_gt_u32_e32 vcc_lo, s39, v17
                                        ; implicit-def: $vgpr17
	s_and_saveexec_b32 s4, vcc_lo
	s_cbranch_execz .LBB893_37
; %bb.36:
	global_load_u16 v17, v0, s[2:3] offset:8192 scale_offset
.LBB893_37:
	s_wait_xcnt 0x0
	s_or_b32 exec_lo, exec_lo, s4
	v_or_b32_e32 v18, 0x1100, v0
	s_delay_alu instid0(VALU_DEP_1)
	v_cmp_gt_u32_e32 vcc_lo, s39, v18
                                        ; implicit-def: $vgpr18
	s_and_saveexec_b32 s4, vcc_lo
	s_cbranch_execz .LBB893_39
; %bb.38:
	global_load_u16 v18, v0, s[2:3] offset:8704 scale_offset
.LBB893_39:
	s_wait_xcnt 0x0
	s_or_b32 exec_lo, exec_lo, s4
	v_or_b32_e32 v19, 0x1200, v0
	s_delay_alu instid0(VALU_DEP_1)
	v_cmp_gt_u32_e32 vcc_lo, s39, v19
                                        ; implicit-def: $vgpr19
	s_and_saveexec_b32 s4, vcc_lo
	s_cbranch_execz .LBB893_41
; %bb.40:
	global_load_u16 v19, v0, s[2:3] offset:9216 scale_offset
.LBB893_41:
	s_wait_xcnt 0x0
	s_or_b32 exec_lo, exec_lo, s4
	v_or_b32_e32 v20, 0x1300, v0
	s_delay_alu instid0(VALU_DEP_1)
	v_cmp_gt_u32_e32 vcc_lo, s39, v20
                                        ; implicit-def: $vgpr20
	s_and_saveexec_b32 s4, vcc_lo
	s_cbranch_execz .LBB893_43
; %bb.42:
	global_load_u16 v20, v0, s[2:3] offset:9728 scale_offset
.LBB893_43:
	s_wait_xcnt 0x0
	s_or_b32 exec_lo, exec_lo, s4
	v_or_b32_e32 v21, 0x1400, v0
	s_delay_alu instid0(VALU_DEP_1)
	v_cmp_gt_u32_e32 vcc_lo, s39, v21
                                        ; implicit-def: $vgpr21
	s_and_saveexec_b32 s4, vcc_lo
	s_cbranch_execz .LBB893_45
; %bb.44:
	global_load_u16 v21, v0, s[2:3] offset:10240 scale_offset
.LBB893_45:
	s_wait_xcnt 0x0
	s_or_b32 exec_lo, exec_lo, s4
	v_or_b32_e32 v22, 0x1500, v0
	s_delay_alu instid0(VALU_DEP_1)
	v_cmp_gt_u32_e32 vcc_lo, s39, v22
                                        ; implicit-def: $vgpr22
	s_and_saveexec_b32 s4, vcc_lo
	s_cbranch_execz .LBB893_47
; %bb.46:
	global_load_u16 v22, v0, s[2:3] offset:10752 scale_offset
.LBB893_47:
	s_wait_xcnt 0x0
	s_or_b32 exec_lo, exec_lo, s4
	v_or_b32_e32 v23, 0x1600, v0
	s_delay_alu instid0(VALU_DEP_1)
	v_cmp_gt_u32_e32 vcc_lo, s39, v23
                                        ; implicit-def: $vgpr23
	s_and_saveexec_b32 s4, vcc_lo
	s_cbranch_execz .LBB893_49
; %bb.48:
	global_load_u16 v23, v0, s[2:3] offset:11264 scale_offset
.LBB893_49:
	s_wait_xcnt 0x0
	s_or_b32 exec_lo, exec_lo, s4
	v_or_b32_e32 v24, 0x1700, v0
	s_delay_alu instid0(VALU_DEP_1)
	v_cmp_gt_u32_e32 vcc_lo, s39, v24
                                        ; implicit-def: $vgpr24
	s_and_saveexec_b32 s4, vcc_lo
	s_cbranch_execz .LBB893_51
; %bb.50:
	global_load_u16 v24, v0, s[2:3] offset:11776 scale_offset
.LBB893_51:
	s_wait_xcnt 0x0
	s_or_b32 exec_lo, exec_lo, s4
	v_or_b32_e32 v25, 0x1800, v0
	s_delay_alu instid0(VALU_DEP_1)
	v_cmp_gt_u32_e32 vcc_lo, s39, v25
                                        ; implicit-def: $vgpr25
	s_and_saveexec_b32 s4, vcc_lo
	s_cbranch_execz .LBB893_53
; %bb.52:
	global_load_u16 v25, v0, s[2:3] offset:12288 scale_offset
.LBB893_53:
	s_wait_xcnt 0x0
	s_or_b32 exec_lo, exec_lo, s4
	v_or_b32_e32 v26, 0x1900, v0
	s_delay_alu instid0(VALU_DEP_1)
	v_cmp_gt_u32_e32 vcc_lo, s39, v26
                                        ; implicit-def: $vgpr26
	s_and_saveexec_b32 s4, vcc_lo
	s_cbranch_execz .LBB893_55
; %bb.54:
	global_load_u16 v26, v0, s[2:3] offset:12800 scale_offset
.LBB893_55:
	s_wait_xcnt 0x0
	s_or_b32 exec_lo, exec_lo, s4
	v_or_b32_e32 v27, 0x1a00, v0
	s_delay_alu instid0(VALU_DEP_1)
	v_cmp_gt_u32_e32 vcc_lo, s39, v27
                                        ; implicit-def: $vgpr27
	s_and_saveexec_b32 s4, vcc_lo
	s_cbranch_execz .LBB893_57
; %bb.56:
	global_load_u16 v27, v0, s[2:3] offset:13312 scale_offset
.LBB893_57:
	s_wait_xcnt 0x0
	s_or_b32 exec_lo, exec_lo, s4
	v_or_b32_e32 v28, 0x1b00, v0
	s_delay_alu instid0(VALU_DEP_1)
	v_cmp_gt_u32_e32 vcc_lo, s39, v28
                                        ; implicit-def: $vgpr28
	s_and_saveexec_b32 s4, vcc_lo
	s_cbranch_execz .LBB893_59
; %bb.58:
	global_load_u16 v28, v0, s[2:3] offset:13824 scale_offset
.LBB893_59:
	s_wait_xcnt 0x0
	s_or_b32 exec_lo, exec_lo, s4
	v_or_b32_e32 v29, 0x1c00, v0
	s_delay_alu instid0(VALU_DEP_1)
	v_cmp_gt_u32_e32 vcc_lo, s39, v29
                                        ; implicit-def: $vgpr29
	s_and_saveexec_b32 s4, vcc_lo
	s_cbranch_execz .LBB893_61
; %bb.60:
	global_load_u16 v29, v0, s[2:3] offset:14336 scale_offset
.LBB893_61:
	s_wait_xcnt 0x0
	s_or_b32 exec_lo, exec_lo, s4
	v_or_b32_e32 v30, 0x1d00, v0
	s_delay_alu instid0(VALU_DEP_1)
	v_cmp_gt_u32_e32 vcc_lo, s39, v30
                                        ; implicit-def: $vgpr30
	s_and_saveexec_b32 s4, vcc_lo
	s_cbranch_execz .LBB893_63
; %bb.62:
	global_load_u16 v30, v0, s[2:3] offset:14848 scale_offset
.LBB893_63:
	s_wait_xcnt 0x0
	s_or_b32 exec_lo, exec_lo, s4
	v_lshlrev_b32_e32 v31, 1, v0
	s_wait_loadcnt 0x0
	ds_store_b16 v31, v1
	ds_store_b16 v31, v2 offset:512
	ds_store_b16 v31, v3 offset:1024
	;; [unrolled: 1-line block ×29, first 2 shown]
	s_wait_dscnt 0x0
	s_barrier_signal -1
	s_barrier_wait -1
.LBB893_64:
	v_mul_u32_u24_e32 v2, 30, v0
	s_cmp_lg_u32 s38, 0
	s_mov_b32 s42, 0
	s_cselect_b32 s41, -1, 0
	s_delay_alu instid0(VALU_DEP_1)
	v_lshlrev_b32_e32 v3, 1, v2
	s_cmp_lg_u64 s[6:7], 0
	ds_load_b32 v1, v3 offset:56
	ds_load_2addr_b32 v[46:47], v3 offset1:1
	ds_load_2addr_b32 v[44:45], v3 offset0:2 offset1:3
	ds_load_2addr_b32 v[42:43], v3 offset0:4 offset1:5
	;; [unrolled: 1-line block ×6, first 2 shown]
	s_cselect_b32 s4, -1, 0
	s_wait_dscnt 0x0
	s_or_b32 s4, s41, s4
	s_barrier_signal -1
	s_and_b32 vcc_lo, exec_lo, s4
	s_barrier_wait -1
	v_lshrrev_b32_e32 v51, 16, v1
	s_cbranch_vccz .LBB893_69
; %bb.65:
	v_dual_mov_b32 v4, 0 :: v_dual_lshlrev_b32 v5, 1, v0
	s_and_b32 vcc_lo, exec_lo, s33
	global_load_u16 v4, v4, s[2:3] offset:-2
	ds_store_b16 v5, v51
	s_cbranch_vccz .LBB893_70
; %bb.66:
	s_wait_loadcnt 0x0
	v_mov_b32_e32 v6, v4
	s_mov_b32 s2, 0
	s_mov_b32 s3, exec_lo
	s_wait_dscnt 0x0
	s_barrier_signal -1
	s_barrier_wait -1
	v_cmpx_ne_u32_e32 0, v0
; %bb.67:
	v_add_nc_u32_e32 v6, -2, v5
	ds_load_u16 v6, v6
; %bb.68:
	s_or_b32 exec_lo, exec_lo, s3
	v_dual_lshrrev_b32 v7, 16, v35 :: v_dual_lshrrev_b32 v8, 16, v34
	v_cmp_neq_f16_e32 vcc_lo, v1, v51
	s_wait_dscnt 0x0
	v_cmp_neq_f16_e64 s43, v46, v6
	v_cndmask_b32_e64 v53, 0, 1, vcc_lo
	v_cmp_neq_f16_e32 vcc_lo, v7, v1
	v_cndmask_b32_e64 v54, 0, 1, vcc_lo
	v_cmp_neq_f16_e32 vcc_lo, v35, v7
	v_lshrrev_b32_e32 v7, 16, v37
	v_cndmask_b32_e64 v55, 0, 1, vcc_lo
	v_cmp_neq_f16_e32 vcc_lo, v8, v35
	v_cndmask_b32_e64 v56, 0, 1, vcc_lo
	v_cmp_neq_f16_e32 vcc_lo, v34, v8
	v_lshrrev_b32_e32 v8, 16, v36
	;; [unrolled: 5-line block ×12, first 2 shown]
	v_cndmask_b32_e64 v77, 0, 1, vcc_lo
	v_cmp_neq_f16_e32 vcc_lo, v7, v44
	v_cndmask_b32_e64 v78, 0, 1, vcc_lo
	v_cmp_neq_f16_e32 vcc_lo, v47, v7
	;; [unrolled: 2-line block ×4, first 2 shown]
	v_cndmask_b32_e64 v81, 0, 1, vcc_lo
	s_and_b32 vcc_lo, exec_lo, s2
	s_cbranch_vccnz .LBB893_71
	s_branch .LBB893_74
.LBB893_69:
                                        ; implicit-def: $sgpr43
                                        ; implicit-def: $vgpr81
                                        ; implicit-def: $vgpr80
                                        ; implicit-def: $vgpr79
                                        ; implicit-def: $vgpr78
                                        ; implicit-def: $vgpr77
                                        ; implicit-def: $vgpr76
                                        ; implicit-def: $vgpr75
                                        ; implicit-def: $vgpr74
                                        ; implicit-def: $vgpr73
                                        ; implicit-def: $vgpr72
                                        ; implicit-def: $vgpr71
                                        ; implicit-def: $vgpr70
                                        ; implicit-def: $vgpr69
                                        ; implicit-def: $vgpr68
                                        ; implicit-def: $vgpr67
                                        ; implicit-def: $vgpr66
                                        ; implicit-def: $vgpr65
                                        ; implicit-def: $vgpr64
                                        ; implicit-def: $vgpr63
                                        ; implicit-def: $vgpr62
                                        ; implicit-def: $vgpr61
                                        ; implicit-def: $vgpr60
                                        ; implicit-def: $vgpr59
                                        ; implicit-def: $vgpr58
                                        ; implicit-def: $vgpr57
                                        ; implicit-def: $vgpr56
                                        ; implicit-def: $vgpr55
                                        ; implicit-def: $vgpr54
                                        ; implicit-def: $vgpr53
	s_branch .LBB893_75
.LBB893_70:
	s_wait_xcnt 0x0
                                        ; implicit-def: $sgpr43
                                        ; implicit-def: $vgpr81
                                        ; implicit-def: $vgpr80
                                        ; implicit-def: $vgpr79
                                        ; implicit-def: $vgpr78
                                        ; implicit-def: $vgpr77
                                        ; implicit-def: $vgpr76
                                        ; implicit-def: $vgpr75
                                        ; implicit-def: $vgpr74
                                        ; implicit-def: $vgpr73
                                        ; implicit-def: $vgpr72
                                        ; implicit-def: $vgpr71
                                        ; implicit-def: $vgpr70
                                        ; implicit-def: $vgpr69
                                        ; implicit-def: $vgpr68
                                        ; implicit-def: $vgpr67
                                        ; implicit-def: $vgpr66
                                        ; implicit-def: $vgpr65
                                        ; implicit-def: $vgpr64
                                        ; implicit-def: $vgpr63
                                        ; implicit-def: $vgpr62
                                        ; implicit-def: $vgpr61
                                        ; implicit-def: $vgpr60
                                        ; implicit-def: $vgpr59
                                        ; implicit-def: $vgpr58
                                        ; implicit-def: $vgpr57
                                        ; implicit-def: $vgpr56
                                        ; implicit-def: $vgpr55
                                        ; implicit-def: $vgpr54
                                        ; implicit-def: $vgpr53
	s_cbranch_execz .LBB893_74
.LBB893_71:
	s_mov_b32 s2, exec_lo
	s_wait_loadcnt_dscnt 0x0
	s_barrier_signal -1
	s_barrier_wait -1
	v_cmpx_ne_u32_e32 0, v0
; %bb.72:
	v_add_nc_u32_e32 v4, -2, v5
	ds_load_u16 v4, v4
; %bb.73:
	s_or_b32 exec_lo, exec_lo, s2
	v_dual_add_nc_u32 v5, 29, v2 :: v_dual_add_nc_u32 v6, 28, v2
	v_dual_lshrrev_b32 v7, 16, v35 :: v_dual_add_nc_u32 v8, 27, v2
	v_cmp_neq_f16_e32 vcc_lo, v1, v51
	s_delay_alu instid0(VALU_DEP_3) | instskip(NEXT) | instid1(VALU_DEP_4)
	v_cmp_gt_u32_e64 s2, s39, v5
	v_cmp_gt_u32_e64 s3, s39, v6
	s_delay_alu instid0(VALU_DEP_4)
	v_cmp_neq_f16_e64 s4, v7, v1
	v_cmp_gt_u32_e64 s5, s39, v8
	v_add_nc_u32_e32 v5, 26, v2
	s_and_b32 s2, s2, vcc_lo
	v_cmp_neq_f16_e32 vcc_lo, v35, v7
	v_lshrrev_b32_e32 v6, 16, v34
	v_add_nc_u32_e32 v7, 25, v2
	v_cndmask_b32_e64 v53, 0, 1, s2
	s_and_b32 s2, s3, s4
	s_and_b32 s4, s5, vcc_lo
	v_cndmask_b32_e64 v54, 0, 1, s2
	v_cmp_gt_u32_e64 s2, s39, v5
	v_cmp_neq_f16_e64 s3, v6, v35
	v_cndmask_b32_e64 v55, 0, 1, s4
	v_cmp_gt_u32_e32 vcc_lo, s39, v7
	v_cmp_neq_f16_e64 s4, v34, v6
	v_dual_add_nc_u32 v5, 24, v2 :: v_dual_lshrrev_b32 v6, 16, v37
	s_and_b32 s2, s2, s3
	v_add_nc_u32_e32 v7, 23, v2
	v_cndmask_b32_e64 v56, 0, 1, s2
	s_and_b32 s2, vcc_lo, s4
	v_cmp_gt_u32_e32 vcc_lo, s39, v5
	v_cndmask_b32_e64 v57, 0, 1, s2
	v_cmp_neq_f16_e64 s2, v6, v34
	v_cmp_neq_f16_e64 s4, v37, v6
	v_add_nc_u32_e32 v5, 22, v2
	v_cmp_gt_u32_e64 s3, s39, v7
	v_dual_lshrrev_b32 v6, 16, v36 :: v_dual_add_nc_u32 v7, 21, v2
	s_and_b32 s2, vcc_lo, s2
	v_cmp_gt_u32_e32 vcc_lo, s39, v5
	v_cndmask_b32_e64 v58, 0, 1, s2
	s_delay_alu instid0(VALU_DEP_3)
	v_cmp_neq_f16_e64 s2, v6, v37
	s_and_b32 s3, s3, s4
	v_cmp_neq_f16_e64 s4, v36, v6
	v_cndmask_b32_e64 v59, 0, 1, s3
	v_cmp_gt_u32_e64 s3, s39, v7
	v_dual_add_nc_u32 v5, 20, v2 :: v_dual_lshrrev_b32 v6, 16, v39
	s_and_b32 s2, vcc_lo, s2
	v_add_nc_u32_e32 v7, 19, v2
	v_cndmask_b32_e64 v60, 0, 1, s2
	s_and_b32 s2, s3, s4
	v_cmp_gt_u32_e32 vcc_lo, s39, v5
	v_cndmask_b32_e64 v61, 0, 1, s2
	v_cmp_neq_f16_e64 s2, v6, v36
	v_cmp_neq_f16_e64 s4, v39, v6
	v_add_nc_u32_e32 v5, 18, v2
	v_cmp_gt_u32_e64 s3, s39, v7
	v_lshrrev_b32_e32 v6, 16, v38
	v_add_nc_u32_e32 v7, 17, v2
	s_and_b32 s2, vcc_lo, s2
	v_cmp_gt_u32_e32 vcc_lo, s39, v5
	v_cndmask_b32_e64 v62, 0, 1, s2
	v_cmp_neq_f16_e64 s2, v6, v39
	s_and_b32 s3, s3, s4
	v_cmp_neq_f16_e64 s4, v38, v6
	v_cndmask_b32_e64 v63, 0, 1, s3
	v_add_nc_u32_e32 v5, 16, v2
	v_cmp_gt_u32_e64 s3, s39, v7
	v_dual_lshrrev_b32 v6, 16, v41 :: v_dual_add_nc_u32 v7, 15, v2
	s_and_b32 s2, vcc_lo, s2
	v_cmp_gt_u32_e32 vcc_lo, s39, v5
	v_cndmask_b32_e64 v64, 0, 1, s2
	s_and_b32 s2, s3, s4
	v_cmp_gt_u32_e64 s3, s39, v7
	v_cndmask_b32_e64 v65, 0, 1, s2
	v_cmp_neq_f16_e64 s2, v6, v38
	v_cmp_neq_f16_e64 s4, v41, v6
	v_dual_add_nc_u32 v5, 14, v2 :: v_dual_lshrrev_b32 v6, 16, v40
	v_add_nc_u32_e32 v7, 13, v2
	s_and_b32 s2, vcc_lo, s2
	s_and_b32 s3, s3, s4
	v_cndmask_b32_e64 v66, 0, 1, s2
	v_cmp_gt_u32_e32 vcc_lo, s39, v5
	v_cmp_neq_f16_e64 s2, v6, v41
	v_cndmask_b32_e64 v67, 0, 1, s3
	v_cmp_neq_f16_e64 s4, v40, v6
	v_add_nc_u32_e32 v5, 12, v2
	v_cmp_gt_u32_e64 s3, s39, v7
	v_dual_lshrrev_b32 v6, 16, v43 :: v_dual_add_nc_u32 v7, 11, v2
	s_and_b32 s2, vcc_lo, s2
	v_cmp_gt_u32_e32 vcc_lo, s39, v5
	v_cndmask_b32_e64 v68, 0, 1, s2
	s_and_b32 s2, s3, s4
	v_cmp_gt_u32_e64 s3, s39, v7
	v_cndmask_b32_e64 v69, 0, 1, s2
	v_cmp_neq_f16_e64 s2, v6, v40
	v_cmp_neq_f16_e64 s4, v43, v6
	v_dual_add_nc_u32 v5, 10, v2 :: v_dual_add_nc_u32 v7, 9, v2
	v_lshrrev_b32_e32 v6, 16, v42
	s_and_b32 s2, vcc_lo, s2
	s_and_b32 s3, s3, s4
	v_cndmask_b32_e64 v70, 0, 1, s2
	v_cmp_gt_u32_e32 vcc_lo, s39, v5
	v_cmp_neq_f16_e64 s2, v6, v43
	v_cndmask_b32_e64 v71, 0, 1, s3
	v_cmp_gt_u32_e64 s3, s39, v7
	v_cmp_neq_f16_e64 s4, v42, v6
	v_dual_add_nc_u32 v5, 8, v2 :: v_dual_lshrrev_b32 v6, 16, v45
	s_and_b32 s2, vcc_lo, s2
	v_add_nc_u32_e32 v7, 7, v2
	v_cndmask_b32_e64 v72, 0, 1, s2
	s_and_b32 s2, s3, s4
	v_cmp_gt_u32_e32 vcc_lo, s39, v5
	v_cndmask_b32_e64 v73, 0, 1, s2
	v_cmp_neq_f16_e64 s2, v6, v42
	v_cmp_neq_f16_e64 s4, v45, v6
	v_add_nc_u32_e32 v5, 6, v2
	v_cmp_gt_u32_e64 s3, s39, v7
	v_dual_lshrrev_b32 v6, 16, v44 :: v_dual_add_nc_u32 v7, 5, v2
	s_and_b32 s2, vcc_lo, s2
	v_cmp_gt_u32_e32 vcc_lo, s39, v5
	v_cndmask_b32_e64 v74, 0, 1, s2
	s_delay_alu instid0(VALU_DEP_3)
	v_cmp_neq_f16_e64 s2, v6, v45
	s_and_b32 s3, s3, s4
	v_cmp_neq_f16_e64 s4, v44, v6
	v_cndmask_b32_e64 v75, 0, 1, s3
	v_cmp_gt_u32_e64 s3, s39, v7
	v_dual_add_nc_u32 v5, 4, v2 :: v_dual_lshrrev_b32 v6, 16, v47
	s_and_b32 s2, vcc_lo, s2
	v_add_nc_u32_e32 v7, 3, v2
	v_cndmask_b32_e64 v76, 0, 1, s2
	s_and_b32 s2, s3, s4
	v_cmp_gt_u32_e32 vcc_lo, s39, v5
	v_cndmask_b32_e64 v77, 0, 1, s2
	v_cmp_neq_f16_e64 s2, v6, v44
	v_cmp_neq_f16_e64 s4, v47, v6
	v_add_nc_u32_e32 v5, 2, v2
	v_cmp_gt_u32_e64 s3, s39, v7
	v_lshrrev_b32_e32 v6, 16, v46
	v_or_b32_e32 v7, 1, v2
	s_and_b32 s2, vcc_lo, s2
	v_cmp_gt_u32_e32 vcc_lo, s39, v5
	v_cndmask_b32_e64 v78, 0, 1, s2
	v_cmp_neq_f16_e64 s2, v6, v47
	s_and_b32 s3, s3, s4
	v_cmp_neq_f16_e64 s4, v46, v6
	v_cndmask_b32_e64 v79, 0, 1, s3
	v_cmp_gt_u32_e64 s3, s39, v7
	s_and_b32 s2, vcc_lo, s2
	v_cmp_gt_u32_e32 vcc_lo, s39, v2
	v_cndmask_b32_e64 v80, 0, 1, s2
	s_wait_dscnt 0x0
	v_cmp_neq_f16_e64 s2, v46, v4
	s_and_b32 s3, s3, s4
	s_delay_alu instid0(SALU_CYCLE_1)
	v_cndmask_b32_e64 v81, 0, 1, s3
	s_and_b32 s43, vcc_lo, s2
.LBB893_74:
	s_mov_b32 s42, -1
	s_cbranch_execnz .LBB893_83
.LBB893_75:
	v_mad_i32_i24 v3, 0xffffffc6, v0, v3
	s_and_b32 vcc_lo, exec_lo, s33
	ds_store_b16 v3, v51
	s_cbranch_vccz .LBB893_79
; %bb.76:
	s_wait_loadcnt 0x0
	v_dual_lshrrev_b32 v4, 16, v35 :: v_dual_lshrrev_b32 v5, 16, v34
	v_lshrrev_b32_e32 v6, 16, v37
	v_cmp_ne_u32_e64 s30, 0, v0
	s_mov_b32 s44, 0
	v_cmp_neq_f16_e64 s2, v4, v1
	v_cmp_neq_f16_e64 s3, v35, v4
	;; [unrolled: 1-line block ×3, first 2 shown]
	v_lshrrev_b32_e32 v4, 16, v36
	v_cmp_neq_f16_e64 s5, v34, v5
	v_lshrrev_b32_e32 v5, 16, v39
	v_cmp_neq_f16_e64 s6, v6, v34
	v_cmp_neq_f16_e64 s7, v37, v6
	;; [unrolled: 1-line block ×3, first 2 shown]
	v_lshrrev_b32_e32 v6, 16, v38
	v_cmp_neq_f16_e64 s9, v36, v4
	v_cmp_neq_f16_e64 s10, v5, v36
	v_lshrrev_b32_e32 v4, 16, v41
	v_cmp_neq_f16_e64 s11, v39, v5
	v_lshrrev_b32_e32 v5, 16, v40
	v_cmp_neq_f16_e64 s12, v6, v39
	v_cmp_neq_f16_e64 s13, v38, v6
	;; [unrolled: 1-line block ×3, first 2 shown]
	v_lshrrev_b32_e32 v6, 16, v43
	v_cmp_neq_f16_e64 s15, v41, v4
	v_cmp_neq_f16_e64 s16, v5, v41
	v_lshrrev_b32_e32 v4, 16, v42
	v_cmp_neq_f16_e64 s17, v40, v5
	v_lshrrev_b32_e32 v5, 16, v45
	v_cmp_neq_f16_e64 s18, v6, v40
	v_cmp_neq_f16_e64 s19, v43, v6
	;; [unrolled: 1-line block ×4, first 2 shown]
	v_lshrrev_b32_e32 v4, 16, v44
	v_cmp_neq_f16_e64 s22, v5, v42
	v_lshrrev_b32_e32 v6, 16, v47
	v_cmp_neq_f16_e64 s23, v45, v5
	;; [unrolled: 2-line block ×3, first 2 shown]
	v_cmp_neq_f16_e64 s25, v44, v4
	v_cmp_neq_f16_e64 s26, v6, v44
	;; [unrolled: 1-line block ×5, first 2 shown]
	v_cmp_neq_f16_e32 vcc_lo, v1, v51
	s_wait_dscnt 0x0
	s_barrier_signal -1
	s_barrier_wait -1
                                        ; implicit-def: $sgpr43
	s_and_saveexec_b32 s45, s30
	s_delay_alu instid0(SALU_CYCLE_1)
	s_xor_b32 s30, exec_lo, s45
	s_cbranch_execz .LBB893_78
; %bb.77:
	v_add_nc_u32_e32 v4, -2, v3
	s_or_b32 s42, s42, exec_lo
	ds_load_u16 v4, v4
	s_wait_dscnt 0x0
	v_cmp_neq_f16_e64 s43, v4, v46
.LBB893_78:
	s_or_b32 exec_lo, exec_lo, s30
	v_cndmask_b32_e64 v53, 0, 1, vcc_lo
	v_cndmask_b32_e64 v54, 0, 1, s2
	v_cndmask_b32_e64 v55, 0, 1, s3
	v_cndmask_b32_e64 v56, 0, 1, s4
	v_cndmask_b32_e64 v57, 0, 1, s5
	v_cndmask_b32_e64 v58, 0, 1, s6
	v_cndmask_b32_e64 v59, 0, 1, s7
	v_cndmask_b32_e64 v60, 0, 1, s8
	v_cndmask_b32_e64 v61, 0, 1, s9
	v_cndmask_b32_e64 v62, 0, 1, s10
	v_cndmask_b32_e64 v63, 0, 1, s11
	v_cndmask_b32_e64 v64, 0, 1, s12
	v_cndmask_b32_e64 v65, 0, 1, s13
	v_cndmask_b32_e64 v66, 0, 1, s14
	v_cndmask_b32_e64 v67, 0, 1, s15
	v_cndmask_b32_e64 v68, 0, 1, s16
	v_cndmask_b32_e64 v69, 0, 1, s17
	v_cndmask_b32_e64 v70, 0, 1, s18
	v_cndmask_b32_e64 v71, 0, 1, s19
	v_cndmask_b32_e64 v72, 0, 1, s20
	v_cndmask_b32_e64 v73, 0, 1, s21
	v_cndmask_b32_e64 v74, 0, 1, s22
	v_cndmask_b32_e64 v75, 0, 1, s23
	v_cndmask_b32_e64 v76, 0, 1, s24
	v_cndmask_b32_e64 v77, 0, 1, s25
	v_cndmask_b32_e64 v78, 0, 1, s26
	v_cndmask_b32_e64 v79, 0, 1, s27
	v_cndmask_b32_e64 v80, 0, 1, s28
	v_cndmask_b32_e64 v81, 0, 1, s29
	s_and_b32 vcc_lo, exec_lo, s44
	s_cbranch_vccnz .LBB893_80
	s_branch .LBB893_83
.LBB893_79:
                                        ; implicit-def: $sgpr43
                                        ; implicit-def: $vgpr81
                                        ; implicit-def: $vgpr80
                                        ; implicit-def: $vgpr79
                                        ; implicit-def: $vgpr78
                                        ; implicit-def: $vgpr77
                                        ; implicit-def: $vgpr76
                                        ; implicit-def: $vgpr75
                                        ; implicit-def: $vgpr74
                                        ; implicit-def: $vgpr73
                                        ; implicit-def: $vgpr72
                                        ; implicit-def: $vgpr71
                                        ; implicit-def: $vgpr70
                                        ; implicit-def: $vgpr69
                                        ; implicit-def: $vgpr68
                                        ; implicit-def: $vgpr67
                                        ; implicit-def: $vgpr66
                                        ; implicit-def: $vgpr65
                                        ; implicit-def: $vgpr64
                                        ; implicit-def: $vgpr63
                                        ; implicit-def: $vgpr62
                                        ; implicit-def: $vgpr61
                                        ; implicit-def: $vgpr60
                                        ; implicit-def: $vgpr59
                                        ; implicit-def: $vgpr58
                                        ; implicit-def: $vgpr57
                                        ; implicit-def: $vgpr56
                                        ; implicit-def: $vgpr55
                                        ; implicit-def: $vgpr54
                                        ; implicit-def: $vgpr53
	s_cbranch_execz .LBB893_83
.LBB893_80:
	s_wait_loadcnt 0x0
	v_dual_add_nc_u32 v4, 29, v2 :: v_dual_add_nc_u32 v5, 28, v2
	v_lshrrev_b32_e32 v6, 16, v35
	v_cmp_neq_f16_e32 vcc_lo, v1, v51
	v_add_nc_u32_e32 v8, 13, v2
	s_delay_alu instid0(VALU_DEP_4)
	v_cmp_gt_u32_e64 s2, s39, v4
	v_add_nc_u32_e32 v4, 27, v2
	v_cmp_gt_u32_e64 s3, s39, v5
	v_cmp_neq_f16_e64 s4, v6, v1
	v_add_nc_u32_e32 v5, 26, v2
	s_and_b32 s11, s2, vcc_lo
	v_cmp_gt_u32_e32 vcc_lo, s39, v4
	v_dual_lshrrev_b32 v4, 16, v34 :: v_dual_lshrrev_b32 v7, 16, v37
	s_and_b32 s12, s3, s4
	v_cmp_neq_f16_e64 s2, v35, v6
	v_add_nc_u32_e32 v6, 25, v2
	v_cmp_gt_u32_e64 s3, s39, v5
	v_add_nc_u32_e32 v5, 24, v2
	v_cmp_neq_f16_e64 s4, v4, v35
	v_cmp_neq_f16_e64 s6, v34, v4
	v_add_nc_u32_e32 v4, 23, v2
	v_cmp_gt_u32_e64 s5, s39, v6
	v_cmp_gt_u32_e64 s7, s39, v5
	s_and_b32 s13, vcc_lo, s2
	v_add_nc_u32_e32 v5, 22, v2
	v_cmp_gt_u32_e32 vcc_lo, s39, v4
	v_lshrrev_b32_e32 v4, 16, v36
	v_cmp_neq_f16_e64 s8, v7, v34
	s_and_b32 s14, s3, s4
	s_and_b32 s15, s5, s6
	v_cmp_neq_f16_e64 s2, v37, v7
	v_add_nc_u32_e32 v6, 21, v2
	v_cmp_gt_u32_e64 s3, s39, v5
	v_dual_add_nc_u32 v5, 20, v2 :: v_dual_lshrrev_b32 v7, 16, v39
	v_cmp_neq_f16_e64 s4, v4, v37
	v_cmp_neq_f16_e64 s6, v36, v4
	v_add_nc_u32_e32 v4, 19, v2
	s_and_b32 s16, s7, s8
	v_cmp_gt_u32_e64 s5, s39, v6
	v_cmp_gt_u32_e64 s7, s39, v5
	s_and_b32 s17, vcc_lo, s2
	v_dual_add_nc_u32 v5, 18, v2 :: v_dual_add_nc_u32 v6, 17, v2
	v_cmp_gt_u32_e32 vcc_lo, s39, v4
	v_lshrrev_b32_e32 v4, 16, v38
	v_cmp_neq_f16_e64 s8, v7, v36
	s_and_b32 s18, s3, s4
	s_and_b32 s19, s5, s6
	v_cmp_neq_f16_e64 s2, v39, v7
	v_cmp_gt_u32_e64 s3, s39, v5
	v_dual_add_nc_u32 v5, 16, v2 :: v_dual_lshrrev_b32 v7, 16, v41
	v_cmp_neq_f16_e64 s4, v4, v39
	v_cmp_neq_f16_e64 s6, v38, v4
	v_add_nc_u32_e32 v4, 15, v2
	s_and_b32 s20, s7, s8
	v_cmp_gt_u32_e64 s5, s39, v6
	v_cmp_gt_u32_e64 s7, s39, v5
	s_and_b32 s21, vcc_lo, s2
	v_dual_add_nc_u32 v5, 14, v2 :: v_dual_lshrrev_b32 v6, 16, v40
	v_cmp_gt_u32_e32 vcc_lo, s39, v4
	v_cmp_neq_f16_e64 s2, v41, v7
	v_add_nc_u32_e32 v4, 12, v2
	s_and_b32 s22, s3, s4
	v_cmp_gt_u32_e64 s3, s39, v5
	v_cmp_neq_f16_e64 s4, v6, v41
	s_and_b32 s25, vcc_lo, s2
	v_lshrrev_b32_e32 v5, 16, v43
	v_cmp_gt_u32_e32 vcc_lo, s39, v4
	v_add_nc_u32_e32 v4, 11, v2
	v_cmp_neq_f16_e64 s8, v7, v38
	s_and_b32 s23, s5, s6
	v_cmp_gt_u32_e64 s5, s39, v8
	v_cmp_neq_f16_e64 s6, v40, v6
	s_and_b32 s26, s3, s4
	v_cmp_neq_f16_e64 s2, v5, v40
	v_dual_add_nc_u32 v6, 10, v2 :: v_dual_add_nc_u32 v8, 9, v2
	v_lshrrev_b32_e32 v7, 16, v42
	v_cmp_gt_u32_e64 s3, s39, v4
	v_add_nc_u32_e32 v4, 8, v2
	s_and_b32 s27, s5, s6
	v_cmp_neq_f16_e64 s4, v43, v5
	v_cmp_gt_u32_e64 s5, s39, v6
	s_and_b32 s28, vcc_lo, s2
	v_lshrrev_b32_e32 v5, 16, v45
	v_cmp_neq_f16_e64 s6, v7, v43
	v_add_nc_u32_e32 v6, 7, v2
	v_cmp_gt_u32_e32 vcc_lo, s39, v4
	v_add_nc_u32_e32 v4, 6, v2
	s_and_b32 s24, s7, s8
	v_cmp_neq_f16_e64 s8, v42, v7
	s_and_b32 s29, s3, s4
	s_and_b32 s30, s5, s6
	v_lshrrev_b32_e32 v7, 16, v44
	v_cmp_neq_f16_e64 s2, v5, v42
	v_cmp_gt_u32_e64 s3, s39, v6
	v_cmp_neq_f16_e64 s4, v45, v5
	v_cmp_gt_u32_e64 s5, s39, v4
	v_dual_add_nc_u32 v4, 5, v2 :: v_dual_add_nc_u32 v5, 4, v2
	v_cmp_gt_u32_e64 s7, s39, v8
	v_cmp_neq_f16_e64 s6, v7, v45
	s_and_b32 s45, vcc_lo, s2
	s_and_b32 s46, s3, s4
	v_lshrrev_b32_e32 v6, 16, v47
	v_cmp_gt_u32_e32 vcc_lo, s39, v4
	v_cmp_neq_f16_e64 s2, v44, v7
	v_cmp_gt_u32_e64 s3, s39, v5
	v_dual_add_nc_u32 v4, 3, v2 :: v_dual_add_nc_u32 v5, 2, v2
	v_or_b32_e32 v8, 1, v2
	v_lshrrev_b32_e32 v7, 16, v46
	s_and_b32 s44, s7, s8
	s_and_b32 s47, s5, s6
	v_cmp_neq_f16_e64 s4, v6, v44
	v_cmp_gt_u32_e64 s5, s39, v4
	v_cmp_neq_f16_e64 s6, v47, v6
	v_cmp_gt_u32_e64 s7, s39, v5
	;; [unrolled: 2-line block ×3, first 2 shown]
	v_cmp_neq_f16_e64 s10, v46, v7
	s_and_b32 s48, vcc_lo, s2
	s_and_b32 s3, s3, s4
	s_and_b32 s4, s5, s6
	;; [unrolled: 1-line block ×4, first 2 shown]
	s_mov_b32 s7, exec_lo
	s_wait_dscnt 0x0
	s_barrier_signal -1
	s_barrier_wait -1
                                        ; implicit-def: $sgpr43
	v_cmpx_ne_u32_e32 0, v0
	s_cbranch_execz .LBB893_82
; %bb.81:
	v_add_nc_u32_e32 v3, -2, v3
	v_cmp_gt_u32_e32 vcc_lo, s39, v2
	s_or_b32 s42, s42, exec_lo
	ds_load_u16 v3, v3
	s_wait_dscnt 0x0
	v_cmp_neq_f16_e64 s2, v3, v46
	s_and_b32 s43, vcc_lo, s2
.LBB893_82:
	s_or_b32 exec_lo, exec_lo, s7
	v_cndmask_b32_e64 v53, 0, 1, s11
	v_cndmask_b32_e64 v54, 0, 1, s12
	;; [unrolled: 1-line block ×29, first 2 shown]
.LBB893_83:
	v_mov_b32_e32 v82, 1
	s_and_saveexec_b32 s2, s42
; %bb.84:
	v_cndmask_b32_e64 v82, 0, 1, s43
; %bb.85:
	s_or_b32 exec_lo, exec_lo, s2
	s_load_b64 s[10:11], s[0:1], 0x60
	s_and_not1_b32 vcc_lo, exec_lo, s40
	s_cbranch_vccnz .LBB893_87
; %bb.86:
	s_wait_loadcnt 0x0
	v_dual_add_nc_u32 v4, 2, v2 :: v_dual_bitop2_b32 v3, 1, v2 bitop3:0x54
	v_cmp_gt_u32_e32 vcc_lo, s39, v2
	v_add_nc_u32_e32 v5, 4, v2
	v_cndmask_b32_e32 v82, 0, v82, vcc_lo
	s_delay_alu instid0(VALU_DEP_4) | instskip(SKIP_3) | instid1(VALU_DEP_3)
	v_cmp_gt_u32_e32 vcc_lo, s39, v3
	v_dual_add_nc_u32 v3, 3, v2 :: v_dual_cndmask_b32 v81, 0, v81, vcc_lo
	v_cmp_gt_u32_e32 vcc_lo, s39, v4
	v_dual_add_nc_u32 v4, 5, v2 :: v_dual_cndmask_b32 v80, 0, v80, vcc_lo
	v_cmp_gt_u32_e32 vcc_lo, s39, v3
	v_cndmask_b32_e32 v79, 0, v79, vcc_lo
	v_cmp_gt_u32_e32 vcc_lo, s39, v5
	v_add_nc_u32_e32 v5, 8, v2
	v_cndmask_b32_e32 v78, 0, v78, vcc_lo
	v_cmp_gt_u32_e32 vcc_lo, s39, v4
	v_dual_add_nc_u32 v3, 6, v2 :: v_dual_add_nc_u32 v4, 7, v2
	v_cndmask_b32_e32 v77, 0, v77, vcc_lo
	s_delay_alu instid0(VALU_DEP_2) | instskip(SKIP_1) | instid1(VALU_DEP_4)
	v_cmp_gt_u32_e32 vcc_lo, s39, v3
	v_dual_cndmask_b32 v76, 0, v76 :: v_dual_add_nc_u32 v3, 9, v2
	v_cmp_gt_u32_e32 vcc_lo, s39, v4
	v_cndmask_b32_e32 v75, 0, v75, vcc_lo
	v_cmp_gt_u32_e32 vcc_lo, s39, v5
	v_add_nc_u32_e32 v5, 12, v2
	v_cndmask_b32_e32 v74, 0, v74, vcc_lo
	v_cmp_gt_u32_e32 vcc_lo, s39, v3
	v_dual_add_nc_u32 v4, 10, v2 :: v_dual_add_nc_u32 v3, 11, v2
	v_cndmask_b32_e32 v73, 0, v73, vcc_lo
	s_delay_alu instid0(VALU_DEP_2) | instskip(SKIP_1) | instid1(VALU_DEP_4)
	v_cmp_gt_u32_e32 vcc_lo, s39, v4
	v_dual_add_nc_u32 v4, 13, v2 :: v_dual_cndmask_b32 v72, 0, v72, vcc_lo
	v_cmp_gt_u32_e32 vcc_lo, s39, v3
	v_cndmask_b32_e32 v71, 0, v71, vcc_lo
	v_cmp_gt_u32_e32 vcc_lo, s39, v5
	v_add_nc_u32_e32 v5, 16, v2
	v_cndmask_b32_e32 v70, 0, v70, vcc_lo
	v_cmp_gt_u32_e32 vcc_lo, s39, v4
	v_dual_add_nc_u32 v3, 14, v2 :: v_dual_add_nc_u32 v4, 15, v2
	v_cndmask_b32_e32 v69, 0, v69, vcc_lo
	s_delay_alu instid0(VALU_DEP_2) | instskip(SKIP_1) | instid1(VALU_DEP_4)
	v_cmp_gt_u32_e32 vcc_lo, s39, v3
	v_dual_cndmask_b32 v68, 0, v68 :: v_dual_add_nc_u32 v3, 17, v2
	v_cmp_gt_u32_e32 vcc_lo, s39, v4
	v_cndmask_b32_e32 v67, 0, v67, vcc_lo
	v_cmp_gt_u32_e32 vcc_lo, s39, v5
	v_add_nc_u32_e32 v5, 20, v2
	v_cndmask_b32_e32 v66, 0, v66, vcc_lo
	v_cmp_gt_u32_e32 vcc_lo, s39, v3
	v_dual_add_nc_u32 v4, 18, v2 :: v_dual_add_nc_u32 v3, 19, v2
	v_cndmask_b32_e32 v65, 0, v65, vcc_lo
	s_delay_alu instid0(VALU_DEP_2) | instskip(SKIP_1) | instid1(VALU_DEP_4)
	v_cmp_gt_u32_e32 vcc_lo, s39, v4
	v_dual_add_nc_u32 v4, 21, v2 :: v_dual_cndmask_b32 v64, 0, v64, vcc_lo
	v_cmp_gt_u32_e32 vcc_lo, s39, v3
	v_cndmask_b32_e32 v63, 0, v63, vcc_lo
	v_cmp_gt_u32_e32 vcc_lo, s39, v5
	v_add_nc_u32_e32 v5, 24, v2
	v_cndmask_b32_e32 v62, 0, v62, vcc_lo
	v_cmp_gt_u32_e32 vcc_lo, s39, v4
	v_dual_add_nc_u32 v3, 22, v2 :: v_dual_add_nc_u32 v4, 23, v2
	v_cndmask_b32_e32 v61, 0, v61, vcc_lo
	s_delay_alu instid0(VALU_DEP_2) | instskip(SKIP_1) | instid1(VALU_DEP_4)
	v_cmp_gt_u32_e32 vcc_lo, s39, v3
	v_dual_cndmask_b32 v60, 0, v60 :: v_dual_add_nc_u32 v3, 25, v2
	v_cmp_gt_u32_e32 vcc_lo, s39, v4
	v_cndmask_b32_e32 v59, 0, v59, vcc_lo
	v_cmp_gt_u32_e32 vcc_lo, s39, v5
	v_add_nc_u32_e32 v5, 28, v2
	v_cndmask_b32_e32 v58, 0, v58, vcc_lo
	v_cmp_gt_u32_e32 vcc_lo, s39, v3
	v_dual_add_nc_u32 v4, 26, v2 :: v_dual_add_nc_u32 v3, 27, v2
	v_dual_cndmask_b32 v57, 0, v57 :: v_dual_add_nc_u32 v2, 29, v2
	s_delay_alu instid0(VALU_DEP_2) | instskip(SKIP_1) | instid1(VALU_DEP_4)
	v_cmp_gt_u32_e32 vcc_lo, s39, v4
	v_cndmask_b32_e32 v56, 0, v56, vcc_lo
	v_cmp_gt_u32_e32 vcc_lo, s39, v3
	v_cndmask_b32_e32 v55, 0, v55, vcc_lo
	;; [unrolled: 2-line block ×4, first 2 shown]
.LBB893_87:
	s_delay_alu instid0(VALU_DEP_3) | instskip(NEXT) | instid1(VALU_DEP_2)
	v_and_b32_e32 v83, 0xff, v54
	v_and_b32_e32 v2, 0xff, v53
	;; [unrolled: 1-line block ×6, first 2 shown]
	v_dual_add_nc_u32 v2, v83, v2 :: v_dual_bitop2_b32 v3, 31, v0 bitop3:0x54
	v_and_b32_e32 v88, 0xff, v60
	v_and_b32_e32 v89, 0xff, v59
	;; [unrolled: 1-line block ×3, first 2 shown]
	s_delay_alu instid0(VALU_DEP_4)
	v_add3_u32 v2, v2, v85, v84
	v_and_b32_e32 v91, 0xff, v61
	v_and_b32_e32 v92, 0xff, v64
	v_and_b32_e32 v93, 0xff, v63
	v_and_b32_e32 v94, 0xff, v66
	v_add3_u32 v2, v2, v87, v86
	v_and_b32_e32 v95, 0xff, v65
	v_and_b32_e32 v96, 0xff, v68
	v_and_b32_e32 v97, 0xff, v67
	v_and_b32_e32 v98, 0xff, v70
	;; [unrolled: 5-line block ×4, first 2 shown]
	v_add3_u32 v2, v2, v93, v92
	v_and_b32_e32 v107, 0xff, v77
	v_mbcnt_lo_u32_b32 v112, -1, 0
	v_and_b32_e32 v108, 0xff, v80
	v_and_b32_e32 v109, 0xff, v79
	v_add3_u32 v2, v2, v95, v94
	v_and_b32_e32 v110, 0xffff, v82
	s_wait_loadcnt 0x0
	v_and_b32_e32 v4, 15, v112
	v_and_b32_e32 v111, 0xff, v81
	v_cmp_eq_u32_e64 s2, v0, v3
	v_add3_u32 v2, v2, v97, v96
	v_and_b32_e32 v3, 16, v112
	v_cmp_eq_u32_e64 s7, 0, v4
	v_cmp_lt_u32_e64 s6, 1, v4
	v_cmp_lt_u32_e64 s5, 3, v4
	v_add3_u32 v2, v2, v99, v98
	v_cmp_lt_u32_e64 s4, 7, v4
	v_cmp_eq_u32_e64 s3, 0, v3
	v_lshrrev_b32_e32 v113, 5, v0
	s_and_b32 vcc_lo, exec_lo, s41
	v_add3_u32 v2, v2, v101, v100
	s_mov_b32 s8, -1
	s_wait_dscnt 0x0
	s_barrier_signal -1
	s_barrier_wait -1
	v_add3_u32 v2, v2, v103, v102
	s_delay_alu instid0(VALU_DEP_1) | instskip(NEXT) | instid1(VALU_DEP_1)
	v_add3_u32 v2, v2, v105, v104
	v_add3_u32 v2, v2, v107, v106
	s_delay_alu instid0(VALU_DEP_1) | instskip(NEXT) | instid1(VALU_DEP_1)
	v_add3_u32 v2, v2, v109, v108
	v_add3_u32 v114, v2, v111, v110
	s_cbranch_vccz .LBB893_109
; %bb.88:
	s_delay_alu instid0(VALU_DEP_1) | instskip(NEXT) | instid1(VALU_DEP_1)
	v_mov_b32_dpp v2, v114 row_shr:1 row_mask:0xf bank_mask:0xf
	v_cndmask_b32_e64 v2, v2, 0, s7
	s_delay_alu instid0(VALU_DEP_1) | instskip(NEXT) | instid1(VALU_DEP_1)
	v_add_nc_u32_e32 v2, v2, v114
	v_mov_b32_dpp v3, v2 row_shr:2 row_mask:0xf bank_mask:0xf
	s_delay_alu instid0(VALU_DEP_1) | instskip(NEXT) | instid1(VALU_DEP_1)
	v_cndmask_b32_e64 v3, 0, v3, s6
	v_add_nc_u32_e32 v2, v2, v3
	s_delay_alu instid0(VALU_DEP_1) | instskip(NEXT) | instid1(VALU_DEP_1)
	v_mov_b32_dpp v3, v2 row_shr:4 row_mask:0xf bank_mask:0xf
	v_cndmask_b32_e64 v3, 0, v3, s5
	s_delay_alu instid0(VALU_DEP_1) | instskip(NEXT) | instid1(VALU_DEP_1)
	v_add_nc_u32_e32 v2, v2, v3
	v_mov_b32_dpp v3, v2 row_shr:8 row_mask:0xf bank_mask:0xf
	s_delay_alu instid0(VALU_DEP_1) | instskip(NEXT) | instid1(VALU_DEP_1)
	v_cndmask_b32_e64 v3, 0, v3, s4
	v_add_nc_u32_e32 v2, v2, v3
	ds_swizzle_b32 v3, v2 offset:swizzle(BROADCAST,32,15)
	s_wait_dscnt 0x0
	v_cndmask_b32_e64 v3, v3, 0, s3
	s_delay_alu instid0(VALU_DEP_1)
	v_add_nc_u32_e32 v2, v2, v3
	s_and_saveexec_b32 s8, s2
; %bb.89:
	v_lshlrev_b32_e32 v3, 2, v113
	ds_store_b32 v3, v2
; %bb.90:
	s_or_b32 exec_lo, exec_lo, s8
	s_delay_alu instid0(SALU_CYCLE_1)
	s_mov_b32 s8, exec_lo
	s_wait_dscnt 0x0
	s_barrier_signal -1
	s_barrier_wait -1
	v_cmpx_gt_u32_e32 8, v0
	s_cbranch_execz .LBB893_92
; %bb.91:
	v_and_b32_e32 v5, 7, v112
	s_delay_alu instid0(VALU_DEP_1) | instskip(SKIP_4) | instid1(VALU_DEP_1)
	v_cmp_ne_u32_e32 vcc_lo, 0, v5
	v_lshlrev_b32_e32 v3, 2, v0
	ds_load_b32 v4, v3
	s_wait_dscnt 0x0
	v_mov_b32_dpp v6, v4 row_shr:1 row_mask:0xf bank_mask:0xf
	v_cndmask_b32_e32 v6, 0, v6, vcc_lo
	v_cmp_lt_u32_e32 vcc_lo, 1, v5
	s_delay_alu instid0(VALU_DEP_2) | instskip(NEXT) | instid1(VALU_DEP_1)
	v_add_nc_u32_e32 v4, v6, v4
	v_mov_b32_dpp v6, v4 row_shr:2 row_mask:0xf bank_mask:0xf
	s_delay_alu instid0(VALU_DEP_1) | instskip(SKIP_1) | instid1(VALU_DEP_2)
	v_cndmask_b32_e32 v6, 0, v6, vcc_lo
	v_cmp_lt_u32_e32 vcc_lo, 3, v5
	v_add_nc_u32_e32 v4, v4, v6
	s_delay_alu instid0(VALU_DEP_1) | instskip(NEXT) | instid1(VALU_DEP_1)
	v_mov_b32_dpp v6, v4 row_shr:4 row_mask:0xf bank_mask:0xf
	v_cndmask_b32_e32 v5, 0, v6, vcc_lo
	s_delay_alu instid0(VALU_DEP_1)
	v_add_nc_u32_e32 v4, v4, v5
	ds_store_b32 v3, v4
.LBB893_92:
	s_or_b32 exec_lo, exec_lo, s8
	s_delay_alu instid0(SALU_CYCLE_1)
	s_mov_b32 s9, exec_lo
	v_cmp_gt_u32_e32 vcc_lo, 32, v0
	s_wait_dscnt 0x0
	s_barrier_signal -1
	s_barrier_wait -1
                                        ; implicit-def: $vgpr10
	v_cmpx_lt_u32_e32 31, v0
	s_cbranch_execz .LBB893_94
; %bb.93:
	v_lshl_add_u32 v3, v113, 2, -4
	ds_load_b32 v10, v3
	s_wait_dscnt 0x0
	v_add_nc_u32_e32 v2, v10, v2
.LBB893_94:
	s_or_b32 exec_lo, exec_lo, s9
	v_sub_co_u32 v3, s8, v112, 1
	s_delay_alu instid0(VALU_DEP_1) | instskip(NEXT) | instid1(VALU_DEP_1)
	v_cmp_gt_i32_e64 s9, 0, v3
	v_cndmask_b32_e64 v3, v3, v112, s9
	s_delay_alu instid0(VALU_DEP_1)
	v_lshlrev_b32_e32 v3, 2, v3
	ds_bpermute_b32 v11, v3, v2
	s_and_saveexec_b32 s9, vcc_lo
	s_cbranch_execz .LBB893_114
; %bb.95:
	v_mov_b32_e32 v9, 0
	ds_load_b32 v2, v9 offset:28
	s_and_saveexec_b32 s12, s8
	s_cbranch_execz .LBB893_97
; %bb.96:
	s_add_co_i32 s13, s38, 32
	s_delay_alu instid0(SALU_CYCLE_1)
	v_dual_mov_b32 v3, 1 :: v_dual_mov_b32 v4, s13
	s_wait_xcnt 0x0
	s_wait_dscnt 0x0
	s_wait_kmcnt 0x0
	global_store_b64 v4, v[2:3], s[10:11] scale_offset scope:SCOPE_DEV
.LBB893_97:
	s_wait_xcnt 0x0
	s_or_b32 exec_lo, exec_lo, s12
	v_xad_u32 v4, v112, -1, s38
	s_mov_b32 s13, 0
	s_mov_b32 s12, exec_lo
	s_delay_alu instid0(VALU_DEP_1)
	v_add_nc_u32_e32 v8, 32, v4
	s_wait_kmcnt 0x0
	global_load_b64 v[6:7], v8, s[10:11] scale_offset scope:SCOPE_DEV
	s_wait_loadcnt 0x0
	v_and_b32_e32 v3, 0xff, v7
	s_wait_xcnt 0x0
	s_delay_alu instid0(VALU_DEP_1)
	v_cmpx_eq_u16_e32 0, v3
	s_cbranch_execz .LBB893_101
; %bb.98:
	v_lshl_add_u64 v[8:9], v[8:9], 3, s[10:11]
.LBB893_99:                             ; =>This Inner Loop Header: Depth=1
	global_load_b64 v[6:7], v[8:9], off scope:SCOPE_DEV
	s_wait_loadcnt 0x0
	v_and_b32_e32 v3, 0xff, v7
	s_delay_alu instid0(VALU_DEP_1)
	v_cmp_ne_u16_e32 vcc_lo, 0, v3
	s_or_b32 s13, vcc_lo, s13
	s_wait_xcnt 0x0
	s_and_not1_b32 exec_lo, exec_lo, s13
	s_cbranch_execnz .LBB893_99
; %bb.100:
	s_or_b32 exec_lo, exec_lo, s13
.LBB893_101:
	s_delay_alu instid0(SALU_CYCLE_1)
	s_or_b32 exec_lo, exec_lo, s12
	v_cmp_ne_u32_e32 vcc_lo, 31, v112
	v_lshlrev_b32_e64 v13, v112, -1
	v_lshl_or_b32 v20, v112, 2, 64
	v_dual_add_nc_u32 v15, 2, v112 :: v_dual_add_nc_u32 v17, 4, v112
	v_add_co_ci_u32_e64 v3, null, 0, v112, vcc_lo
	v_dual_add_nc_u32 v19, 8, v112 :: v_dual_add_nc_u32 v21, 16, v112
	s_delay_alu instid0(VALU_DEP_2)
	v_lshlrev_b32_e32 v12, 2, v3
	v_and_b32_e32 v3, 0xff, v7
	ds_bpermute_b32 v5, v12, v6
	v_cmp_eq_u16_e32 vcc_lo, 2, v3
	v_and_or_b32 v3, vcc_lo, v13, 0x80000000
	v_cmp_gt_u32_e32 vcc_lo, 30, v112
	s_delay_alu instid0(VALU_DEP_2) | instskip(SKIP_1) | instid1(VALU_DEP_2)
	v_ctz_i32_b32_e32 v3, v3
	v_cndmask_b32_e64 v8, 0, 2, vcc_lo
	v_cmp_lt_u32_e32 vcc_lo, v112, v3
	s_delay_alu instid0(VALU_DEP_2) | instskip(SKIP_3) | instid1(VALU_DEP_2)
	v_add_lshl_u32 v14, v8, v112, 2
	s_wait_dscnt 0x0
	v_cndmask_b32_e32 v5, 0, v5, vcc_lo
	v_cmp_gt_u32_e32 vcc_lo, 28, v112
	v_add_nc_u32_e32 v5, v5, v6
	v_cndmask_b32_e64 v8, 0, 4, vcc_lo
	v_cmp_le_u32_e32 vcc_lo, v15, v3
	ds_bpermute_b32 v6, v14, v5
	v_add_lshl_u32 v16, v8, v112, 2
	s_wait_dscnt 0x0
	v_cndmask_b32_e32 v6, 0, v6, vcc_lo
	v_cmp_gt_u32_e32 vcc_lo, 24, v112
	v_cndmask_b32_e64 v8, 0, 8, vcc_lo
	v_cmp_le_u32_e32 vcc_lo, v17, v3
	s_delay_alu instid0(VALU_DEP_4) | instskip(NEXT) | instid1(VALU_DEP_3)
	v_add_nc_u32_e32 v5, v5, v6
	v_add_lshl_u32 v18, v8, v112, 2
	ds_bpermute_b32 v6, v16, v5
	s_wait_dscnt 0x0
	v_cndmask_b32_e32 v6, 0, v6, vcc_lo
	v_cmp_le_u32_e32 vcc_lo, v19, v3
	s_delay_alu instid0(VALU_DEP_2) | instskip(SKIP_4) | instid1(VALU_DEP_2)
	v_add_nc_u32_e32 v5, v5, v6
	ds_bpermute_b32 v6, v18, v5
	s_wait_dscnt 0x0
	v_cndmask_b32_e32 v6, 0, v6, vcc_lo
	v_cmp_le_u32_e32 vcc_lo, v21, v3
	v_add_nc_u32_e32 v5, v5, v6
	ds_bpermute_b32 v6, v20, v5
	s_wait_dscnt 0x0
	v_cndmask_b32_e32 v3, 0, v6, vcc_lo
	s_delay_alu instid0(VALU_DEP_1)
	v_dual_mov_b32 v5, 0 :: v_dual_add_nc_u32 v6, v5, v3
	s_branch .LBB893_104
.LBB893_102:                            ;   in Loop: Header=BB893_104 Depth=1
	s_or_b32 exec_lo, exec_lo, s12
	v_and_b32_e32 v8, 0xff, v7
	ds_bpermute_b32 v9, v12, v6
	v_subrev_nc_u32_e32 v4, 32, v4
	s_mov_b32 s12, 0
	v_cmp_eq_u16_e32 vcc_lo, 2, v8
	v_and_or_b32 v8, vcc_lo, v13, 0x80000000
	s_delay_alu instid0(VALU_DEP_1) | instskip(NEXT) | instid1(VALU_DEP_1)
	v_ctz_i32_b32_e32 v8, v8
	v_cmp_lt_u32_e32 vcc_lo, v112, v8
	s_wait_dscnt 0x0
	v_cndmask_b32_e32 v9, 0, v9, vcc_lo
	v_cmp_le_u32_e32 vcc_lo, v15, v8
	s_delay_alu instid0(VALU_DEP_2) | instskip(SKIP_4) | instid1(VALU_DEP_2)
	v_add_nc_u32_e32 v6, v9, v6
	ds_bpermute_b32 v9, v14, v6
	s_wait_dscnt 0x0
	v_cndmask_b32_e32 v9, 0, v9, vcc_lo
	v_cmp_le_u32_e32 vcc_lo, v17, v8
	v_add_nc_u32_e32 v6, v6, v9
	ds_bpermute_b32 v9, v16, v6
	s_wait_dscnt 0x0
	v_cndmask_b32_e32 v9, 0, v9, vcc_lo
	v_cmp_le_u32_e32 vcc_lo, v19, v8
	s_delay_alu instid0(VALU_DEP_2) | instskip(SKIP_4) | instid1(VALU_DEP_2)
	v_add_nc_u32_e32 v6, v6, v9
	ds_bpermute_b32 v9, v18, v6
	s_wait_dscnt 0x0
	v_cndmask_b32_e32 v9, 0, v9, vcc_lo
	v_cmp_le_u32_e32 vcc_lo, v21, v8
	v_add_nc_u32_e32 v6, v6, v9
	ds_bpermute_b32 v9, v20, v6
	s_wait_dscnt 0x0
	v_cndmask_b32_e32 v8, 0, v9, vcc_lo
	s_delay_alu instid0(VALU_DEP_1)
	v_add3_u32 v6, v8, v3, v6
.LBB893_103:                            ;   in Loop: Header=BB893_104 Depth=1
	s_and_b32 vcc_lo, exec_lo, s12
	s_cbranch_vccnz .LBB893_110
.LBB893_104:                            ; =>This Loop Header: Depth=1
                                        ;     Child Loop BB893_107 Depth 2
	v_and_b32_e32 v3, 0xff, v7
	s_mov_b32 s12, -1
                                        ; implicit-def: $vgpr7
	s_delay_alu instid0(VALU_DEP_1)
	v_cmp_ne_u16_e32 vcc_lo, 2, v3
	v_mov_b32_e32 v3, v6
                                        ; implicit-def: $vgpr6
	s_cmp_lg_u32 vcc_lo, exec_lo
	s_cbranch_scc1 .LBB893_103
; %bb.105:                              ;   in Loop: Header=BB893_104 Depth=1
	global_load_b64 v[6:7], v4, s[10:11] scale_offset scope:SCOPE_DEV
	s_mov_b32 s12, exec_lo
	s_wait_loadcnt 0x0
	v_and_b32_e32 v8, 0xff, v7
	s_wait_xcnt 0x0
	s_delay_alu instid0(VALU_DEP_1)
	v_cmpx_eq_u16_e32 0, v8
	s_cbranch_execz .LBB893_102
; %bb.106:                              ;   in Loop: Header=BB893_104 Depth=1
	v_lshl_add_u64 v[8:9], v[4:5], 3, s[10:11]
	s_mov_b32 s13, 0
.LBB893_107:                            ;   Parent Loop BB893_104 Depth=1
                                        ; =>  This Inner Loop Header: Depth=2
	global_load_b64 v[6:7], v[8:9], off scope:SCOPE_DEV
	s_wait_loadcnt 0x0
	v_and_b32_e32 v22, 0xff, v7
	s_delay_alu instid0(VALU_DEP_1)
	v_cmp_ne_u16_e32 vcc_lo, 0, v22
	s_or_b32 s13, vcc_lo, s13
	s_wait_xcnt 0x0
	s_and_not1_b32 exec_lo, exec_lo, s13
	s_cbranch_execnz .LBB893_107
; %bb.108:                              ;   in Loop: Header=BB893_104 Depth=1
	s_or_b32 exec_lo, exec_lo, s13
	s_branch .LBB893_102
.LBB893_109:
                                        ; implicit-def: $vgpr50
                                        ; implicit-def: $vgpr48
                                        ; implicit-def: $vgpr2_vgpr3_vgpr4_vgpr5_vgpr6_vgpr7_vgpr8_vgpr9_vgpr10_vgpr11_vgpr12_vgpr13_vgpr14_vgpr15_vgpr16_vgpr17_vgpr18_vgpr19_vgpr20_vgpr21_vgpr22_vgpr23_vgpr24_vgpr25_vgpr26_vgpr27_vgpr28_vgpr29_vgpr30_vgpr31_vgpr32_vgpr33
	s_and_b32 vcc_lo, exec_lo, s8
	s_cbranch_vccnz .LBB893_115
	s_branch .LBB893_124
.LBB893_110:
	s_and_saveexec_b32 s12, s8
	s_cbranch_execz .LBB893_112
; %bb.111:
	s_add_co_i32 s13, s38, 32
	v_dual_mov_b32 v5, 2 :: v_dual_add_nc_u32 v4, v3, v2
	v_dual_mov_b32 v6, s13 :: v_dual_mov_b32 v7, 0
	global_store_b64 v6, v[4:5], s[10:11] scale_offset scope:SCOPE_DEV
	ds_store_b64 v7, v[2:3] offset:15360
.LBB893_112:
	s_wait_xcnt 0x0
	s_or_b32 exec_lo, exec_lo, s12
	v_cmp_eq_u32_e32 vcc_lo, 0, v0
	s_and_b32 exec_lo, exec_lo, vcc_lo
; %bb.113:
	v_mov_b32_e32 v2, 0
	ds_store_b32 v2, v3 offset:28
.LBB893_114:
	s_or_b32 exec_lo, exec_lo, s9
	s_wait_dscnt 0x0
	v_dual_mov_b32 v28, 0 :: v_dual_cndmask_b32 v3, v11, v10, s8
	s_wait_storecnt 0x0
	s_barrier_signal -1
	s_barrier_wait -1
	ds_load_b32 v2, v28 offset:28
	v_cmp_ne_u32_e32 vcc_lo, 0, v0
	s_wait_dscnt 0x0
	s_barrier_signal -1
	s_barrier_wait -1
	v_cndmask_b32_e32 v3, 0, v3, vcc_lo
	ds_load_b64 v[48:49], v28 offset:15360
	v_add_nc_u32_e32 v2, v2, v3
	s_wait_dscnt 0x0
	s_delay_alu instid0(VALU_DEP_1) | instskip(NEXT) | instid1(VALU_DEP_1)
	v_dual_mov_b32 v50, v49 :: v_dual_add_nc_u32 v3, v2, v110
	v_add_nc_u32_e32 v4, v3, v111
	s_delay_alu instid0(VALU_DEP_1) | instskip(NEXT) | instid1(VALU_DEP_1)
	v_add_nc_u32_e32 v5, v4, v108
	v_add_nc_u32_e32 v6, v5, v109
	s_delay_alu instid0(VALU_DEP_1) | instskip(NEXT) | instid1(VALU_DEP_1)
	v_add_nc_u32_e32 v7, v6, v106
	;; [unrolled: 3-line block ×13, first 2 shown]
	v_add_nc_u32_e32 v30, v29, v85
	s_delay_alu instid0(VALU_DEP_1)
	v_add_nc_u32_e32 v31, v30, v83
	s_branch .LBB893_124
.LBB893_115:
	v_mov_b32_dpp v2, v114 row_shr:1 row_mask:0xf bank_mask:0xf
	s_delay_alu instid0(VALU_DEP_1) | instskip(NEXT) | instid1(VALU_DEP_1)
	v_cndmask_b32_e64 v2, v2, 0, s7
	v_add_nc_u32_e32 v2, v2, v114
	s_delay_alu instid0(VALU_DEP_1) | instskip(NEXT) | instid1(VALU_DEP_1)
	v_mov_b32_dpp v3, v2 row_shr:2 row_mask:0xf bank_mask:0xf
	v_cndmask_b32_e64 v3, 0, v3, s6
	s_delay_alu instid0(VALU_DEP_1) | instskip(NEXT) | instid1(VALU_DEP_1)
	v_add_nc_u32_e32 v2, v2, v3
	v_mov_b32_dpp v3, v2 row_shr:4 row_mask:0xf bank_mask:0xf
	s_delay_alu instid0(VALU_DEP_1) | instskip(NEXT) | instid1(VALU_DEP_1)
	v_cndmask_b32_e64 v3, 0, v3, s5
	v_add_nc_u32_e32 v2, v2, v3
	s_delay_alu instid0(VALU_DEP_1) | instskip(NEXT) | instid1(VALU_DEP_1)
	v_mov_b32_dpp v3, v2 row_shr:8 row_mask:0xf bank_mask:0xf
	v_cndmask_b32_e64 v3, 0, v3, s4
	s_delay_alu instid0(VALU_DEP_1) | instskip(SKIP_3) | instid1(VALU_DEP_1)
	v_add_nc_u32_e32 v2, v2, v3
	ds_swizzle_b32 v3, v2 offset:swizzle(BROADCAST,32,15)
	s_wait_dscnt 0x0
	v_cndmask_b32_e64 v3, v3, 0, s3
	v_add_nc_u32_e32 v2, v2, v3
	s_and_saveexec_b32 s3, s2
; %bb.116:
	v_lshlrev_b32_e32 v3, 2, v113
	ds_store_b32 v3, v2
; %bb.117:
	s_or_b32 exec_lo, exec_lo, s3
	s_delay_alu instid0(SALU_CYCLE_1)
	s_mov_b32 s2, exec_lo
	s_wait_dscnt 0x0
	s_barrier_signal -1
	s_barrier_wait -1
	v_cmpx_gt_u32_e32 8, v0
	s_cbranch_execz .LBB893_119
; %bb.118:
	v_and_b32_e32 v5, 7, v112
	s_delay_alu instid0(VALU_DEP_1) | instskip(SKIP_4) | instid1(VALU_DEP_1)
	v_cmp_ne_u32_e32 vcc_lo, 0, v5
	v_lshlrev_b32_e32 v3, 2, v0
	ds_load_b32 v4, v3
	s_wait_dscnt 0x0
	v_mov_b32_dpp v6, v4 row_shr:1 row_mask:0xf bank_mask:0xf
	v_cndmask_b32_e32 v6, 0, v6, vcc_lo
	v_cmp_lt_u32_e32 vcc_lo, 1, v5
	s_delay_alu instid0(VALU_DEP_2) | instskip(NEXT) | instid1(VALU_DEP_1)
	v_add_nc_u32_e32 v4, v6, v4
	v_mov_b32_dpp v6, v4 row_shr:2 row_mask:0xf bank_mask:0xf
	s_delay_alu instid0(VALU_DEP_1) | instskip(SKIP_1) | instid1(VALU_DEP_2)
	v_cndmask_b32_e32 v6, 0, v6, vcc_lo
	v_cmp_lt_u32_e32 vcc_lo, 3, v5
	v_add_nc_u32_e32 v4, v4, v6
	s_delay_alu instid0(VALU_DEP_1) | instskip(NEXT) | instid1(VALU_DEP_1)
	v_mov_b32_dpp v6, v4 row_shr:4 row_mask:0xf bank_mask:0xf
	v_cndmask_b32_e32 v5, 0, v6, vcc_lo
	s_delay_alu instid0(VALU_DEP_1)
	v_add_nc_u32_e32 v4, v4, v5
	ds_store_b32 v3, v4
.LBB893_119:
	s_or_b32 exec_lo, exec_lo, s2
	v_dual_mov_b32 v4, 0 :: v_dual_mov_b32 v3, 0
	s_mov_b32 s2, exec_lo
	s_wait_dscnt 0x0
	s_barrier_signal -1
	s_barrier_wait -1
	v_cmpx_lt_u32_e32 31, v0
; %bb.120:
	v_lshl_add_u32 v3, v113, 2, -4
	ds_load_b32 v3, v3
; %bb.121:
	s_or_b32 exec_lo, exec_lo, s2
	v_sub_co_u32 v5, vcc_lo, v112, 1
	ds_load_b32 v48, v4 offset:28
	s_wait_dscnt 0x1
	v_add_nc_u32_e32 v2, v3, v2
	v_cmp_gt_i32_e64 s2, 0, v5
	s_delay_alu instid0(VALU_DEP_1) | instskip(SKIP_1) | instid1(VALU_DEP_2)
	v_cndmask_b32_e64 v5, v5, v112, s2
	v_cmp_eq_u32_e64 s2, 0, v0
	v_lshlrev_b32_e32 v5, 2, v5
	ds_bpermute_b32 v2, v5, v2
	s_and_saveexec_b32 s3, s2
	s_cbranch_execz .LBB893_123
; %bb.122:
	v_dual_mov_b32 v4, 0 :: v_dual_mov_b32 v49, 2
	s_wait_xcnt 0x0
	s_wait_dscnt 0x1
	s_wait_kmcnt 0x0
	global_store_b64 v4, v[48:49], s[10:11] offset:256 scope:SCOPE_DEV
.LBB893_123:
	s_wait_xcnt 0x0
	s_or_b32 exec_lo, exec_lo, s3
	s_wait_dscnt 0x0
	v_dual_cndmask_b32 v2, v2, v3, vcc_lo :: v_dual_mov_b32 v50, 0
	s_wait_storecnt 0x0
	s_barrier_signal -1
	s_barrier_wait -1
	s_delay_alu instid0(VALU_DEP_1) | instskip(NEXT) | instid1(VALU_DEP_1)
	v_cndmask_b32_e64 v2, v2, 0, s2
	v_add_nc_u32_e32 v3, v2, v110
	s_delay_alu instid0(VALU_DEP_1) | instskip(NEXT) | instid1(VALU_DEP_1)
	v_add_nc_u32_e32 v4, v3, v111
	v_add_nc_u32_e32 v5, v4, v108
	s_delay_alu instid0(VALU_DEP_1) | instskip(NEXT) | instid1(VALU_DEP_1)
	v_add_nc_u32_e32 v6, v5, v109
	;; [unrolled: 3-line block ×14, first 2 shown]
	v_add_nc_u32_e32 v31, v30, v83
.LBB893_124:
	s_load_b64 s[2:3], s[0:1], 0x28
	v_cmp_gt_u32_e32 vcc_lo, 0x101, v48
	v_dual_lshrrev_b32 v32, 16, v35 :: v_dual_lshrrev_b32 v33, 16, v34
	v_dual_lshrrev_b32 v49, 16, v37 :: v_dual_lshrrev_b32 v93, 16, v46
	;; [unrolled: 1-line block ×7, first 2 shown]
	v_and_b32_e32 v82, 1, v82
	s_wait_xcnt 0x0
	s_mov_b32 s0, -1
	s_cbranch_vccnz .LBB893_128
; %bb.125:
	s_and_b32 vcc_lo, exec_lo, s0
	s_cbranch_vccnz .LBB893_189
.LBB893_126:
	v_cmp_eq_u32_e32 vcc_lo, 0, v0
	s_and_b32 s0, vcc_lo, s31
	s_delay_alu instid0(SALU_CYCLE_1)
	s_and_saveexec_b32 s1, s0
	s_cbranch_execnz .LBB893_264
.LBB893_127:
	s_sendmsg sendmsg(MSG_DEALLOC_VGPRS)
	s_endpgm
.LBB893_128:
	v_add_nc_u32_e32 v94, v50, v48
	v_cmp_eq_u32_e64 s0, 1, v82
	s_wait_kmcnt 0x0
	s_lshl_b64 s[4:5], s[34:35], 1
	s_delay_alu instid0(SALU_CYCLE_1) | instskip(SKIP_2) | instid1(SALU_CYCLE_1)
	s_add_nc_u64 s[4:5], s[2:3], s[4:5]
	v_cmp_lt_u32_e32 vcc_lo, v2, v94
	s_or_b32 s1, s33, vcc_lo
	s_and_b32 s1, s1, s0
	s_delay_alu instid0(SALU_CYCLE_1)
	s_and_saveexec_b32 s0, s1
	s_cbranch_execz .LBB893_130
; %bb.129:
	global_store_b16 v2, v46, s[4:5] scale_offset
.LBB893_130:
	s_wait_xcnt 0x0
	s_or_b32 exec_lo, exec_lo, s0
	v_and_b32_e32 v95, 1, v81
	v_cmp_lt_u32_e32 vcc_lo, v3, v94
	s_delay_alu instid0(VALU_DEP_2) | instskip(SKIP_1) | instid1(SALU_CYCLE_1)
	v_cmp_eq_u32_e64 s0, 1, v95
	s_or_b32 s1, s33, vcc_lo
	s_and_b32 s1, s1, s0
	s_delay_alu instid0(SALU_CYCLE_1)
	s_and_saveexec_b32 s0, s1
	s_cbranch_execz .LBB893_132
; %bb.131:
	global_store_b16 v3, v93, s[4:5] scale_offset
.LBB893_132:
	s_wait_xcnt 0x0
	s_or_b32 exec_lo, exec_lo, s0
	v_and_b32_e32 v95, 1, v80
	v_cmp_lt_u32_e32 vcc_lo, v4, v94
	s_delay_alu instid0(VALU_DEP_2) | instskip(SKIP_1) | instid1(SALU_CYCLE_1)
	v_cmp_eq_u32_e64 s0, 1, v95
	;; [unrolled: 14-line block ×29, first 2 shown]
	s_or_b32 s1, s33, vcc_lo
	s_and_b32 s1, s1, s0
	s_delay_alu instid0(SALU_CYCLE_1)
	s_and_saveexec_b32 s0, s1
	s_cbranch_execz .LBB893_188
; %bb.187:
	global_store_b16 v31, v51, s[4:5] scale_offset
.LBB893_188:
	s_wait_xcnt 0x0
	s_or_b32 exec_lo, exec_lo, s0
	s_branch .LBB893_126
.LBB893_189:
	s_mov_b32 s0, exec_lo
	v_cmpx_eq_u32_e32 1, v82
; %bb.190:
	v_sub_nc_u32_e32 v2, v2, v50
	s_delay_alu instid0(VALU_DEP_1)
	v_lshlrev_b32_e32 v2, 1, v2
	ds_store_b16 v2, v46
; %bb.191:
	s_or_b32 exec_lo, exec_lo, s0
	v_and_b32_e32 v2, 1, v81
	s_mov_b32 s0, exec_lo
	s_delay_alu instid0(VALU_DEP_1)
	v_cmpx_eq_u32_e32 1, v2
; %bb.192:
	v_sub_nc_u32_e32 v2, v3, v50
	s_delay_alu instid0(VALU_DEP_1)
	v_lshlrev_b32_e32 v2, 1, v2
	ds_store_b16 v2, v93
; %bb.193:
	s_or_b32 exec_lo, exec_lo, s0
	v_and_b32_e32 v2, 1, v80
	s_mov_b32 s0, exec_lo
	s_delay_alu instid0(VALU_DEP_1)
	v_cmpx_eq_u32_e32 1, v2
; %bb.194:
	v_sub_nc_u32_e32 v2, v4, v50
	s_delay_alu instid0(VALU_DEP_1)
	v_lshlrev_b32_e32 v2, 1, v2
	ds_store_b16 v2, v47
; %bb.195:
	s_or_b32 exec_lo, exec_lo, s0
	v_and_b32_e32 v2, 1, v79
	s_mov_b32 s0, exec_lo
	s_delay_alu instid0(VALU_DEP_1)
	v_cmpx_eq_u32_e32 1, v2
; %bb.196:
	v_sub_nc_u32_e32 v2, v5, v50
	s_delay_alu instid0(VALU_DEP_1)
	v_lshlrev_b32_e32 v2, 1, v2
	ds_store_b16 v2, v92
; %bb.197:
	s_or_b32 exec_lo, exec_lo, s0
	v_and_b32_e32 v2, 1, v78
	s_mov_b32 s0, exec_lo
	s_delay_alu instid0(VALU_DEP_1)
	v_cmpx_eq_u32_e32 1, v2
; %bb.198:
	v_sub_nc_u32_e32 v2, v6, v50
	s_delay_alu instid0(VALU_DEP_1)
	v_lshlrev_b32_e32 v2, 1, v2
	ds_store_b16 v2, v44
; %bb.199:
	s_or_b32 exec_lo, exec_lo, s0
	v_and_b32_e32 v2, 1, v77
	s_mov_b32 s0, exec_lo
	s_delay_alu instid0(VALU_DEP_1)
	v_cmpx_eq_u32_e32 1, v2
; %bb.200:
	v_sub_nc_u32_e32 v2, v7, v50
	s_delay_alu instid0(VALU_DEP_1)
	v_lshlrev_b32_e32 v2, 1, v2
	ds_store_b16 v2, v91
; %bb.201:
	s_or_b32 exec_lo, exec_lo, s0
	v_and_b32_e32 v2, 1, v76
	s_mov_b32 s0, exec_lo
	s_delay_alu instid0(VALU_DEP_1)
	v_cmpx_eq_u32_e32 1, v2
; %bb.202:
	v_sub_nc_u32_e32 v2, v8, v50
	s_delay_alu instid0(VALU_DEP_1)
	v_lshlrev_b32_e32 v2, 1, v2
	ds_store_b16 v2, v45
; %bb.203:
	s_or_b32 exec_lo, exec_lo, s0
	v_and_b32_e32 v2, 1, v75
	s_mov_b32 s0, exec_lo
	s_delay_alu instid0(VALU_DEP_1)
	v_cmpx_eq_u32_e32 1, v2
; %bb.204:
	v_sub_nc_u32_e32 v2, v9, v50
	s_delay_alu instid0(VALU_DEP_1)
	v_lshlrev_b32_e32 v2, 1, v2
	ds_store_b16 v2, v90
; %bb.205:
	s_or_b32 exec_lo, exec_lo, s0
	v_and_b32_e32 v2, 1, v74
	s_mov_b32 s0, exec_lo
	s_delay_alu instid0(VALU_DEP_1)
	v_cmpx_eq_u32_e32 1, v2
; %bb.206:
	v_sub_nc_u32_e32 v2, v10, v50
	s_delay_alu instid0(VALU_DEP_1)
	v_lshlrev_b32_e32 v2, 1, v2
	ds_store_b16 v2, v42
; %bb.207:
	s_or_b32 exec_lo, exec_lo, s0
	v_and_b32_e32 v2, 1, v73
	s_mov_b32 s0, exec_lo
	s_delay_alu instid0(VALU_DEP_1)
	v_cmpx_eq_u32_e32 1, v2
; %bb.208:
	v_sub_nc_u32_e32 v2, v11, v50
	s_delay_alu instid0(VALU_DEP_1)
	v_lshlrev_b32_e32 v2, 1, v2
	ds_store_b16 v2, v89
; %bb.209:
	s_or_b32 exec_lo, exec_lo, s0
	v_and_b32_e32 v2, 1, v72
	s_mov_b32 s0, exec_lo
	s_delay_alu instid0(VALU_DEP_1)
	v_cmpx_eq_u32_e32 1, v2
; %bb.210:
	v_sub_nc_u32_e32 v2, v12, v50
	s_delay_alu instid0(VALU_DEP_1)
	v_lshlrev_b32_e32 v2, 1, v2
	ds_store_b16 v2, v43
; %bb.211:
	s_or_b32 exec_lo, exec_lo, s0
	v_and_b32_e32 v2, 1, v71
	s_mov_b32 s0, exec_lo
	s_delay_alu instid0(VALU_DEP_1)
	v_cmpx_eq_u32_e32 1, v2
; %bb.212:
	v_sub_nc_u32_e32 v2, v13, v50
	s_delay_alu instid0(VALU_DEP_1)
	v_lshlrev_b32_e32 v2, 1, v2
	ds_store_b16 v2, v88
; %bb.213:
	s_or_b32 exec_lo, exec_lo, s0
	v_and_b32_e32 v2, 1, v70
	s_mov_b32 s0, exec_lo
	s_delay_alu instid0(VALU_DEP_1)
	v_cmpx_eq_u32_e32 1, v2
; %bb.214:
	v_sub_nc_u32_e32 v2, v14, v50
	s_delay_alu instid0(VALU_DEP_1)
	v_lshlrev_b32_e32 v2, 1, v2
	ds_store_b16 v2, v40
; %bb.215:
	s_or_b32 exec_lo, exec_lo, s0
	v_and_b32_e32 v2, 1, v69
	s_mov_b32 s0, exec_lo
	s_delay_alu instid0(VALU_DEP_1)
	v_cmpx_eq_u32_e32 1, v2
; %bb.216:
	v_sub_nc_u32_e32 v2, v15, v50
	s_delay_alu instid0(VALU_DEP_1)
	v_lshlrev_b32_e32 v2, 1, v2
	ds_store_b16 v2, v87
; %bb.217:
	s_or_b32 exec_lo, exec_lo, s0
	v_and_b32_e32 v2, 1, v68
	s_mov_b32 s0, exec_lo
	s_delay_alu instid0(VALU_DEP_1)
	v_cmpx_eq_u32_e32 1, v2
; %bb.218:
	v_sub_nc_u32_e32 v2, v16, v50
	s_delay_alu instid0(VALU_DEP_1)
	v_lshlrev_b32_e32 v2, 1, v2
	ds_store_b16 v2, v41
; %bb.219:
	s_or_b32 exec_lo, exec_lo, s0
	v_and_b32_e32 v2, 1, v67
	s_mov_b32 s0, exec_lo
	s_delay_alu instid0(VALU_DEP_1)
	v_cmpx_eq_u32_e32 1, v2
; %bb.220:
	v_sub_nc_u32_e32 v2, v17, v50
	s_delay_alu instid0(VALU_DEP_1)
	v_lshlrev_b32_e32 v2, 1, v2
	ds_store_b16 v2, v86
; %bb.221:
	s_or_b32 exec_lo, exec_lo, s0
	v_and_b32_e32 v2, 1, v66
	s_mov_b32 s0, exec_lo
	s_delay_alu instid0(VALU_DEP_1)
	v_cmpx_eq_u32_e32 1, v2
; %bb.222:
	v_sub_nc_u32_e32 v2, v18, v50
	s_delay_alu instid0(VALU_DEP_1)
	v_lshlrev_b32_e32 v2, 1, v2
	ds_store_b16 v2, v38
; %bb.223:
	s_or_b32 exec_lo, exec_lo, s0
	v_and_b32_e32 v2, 1, v65
	s_mov_b32 s0, exec_lo
	s_delay_alu instid0(VALU_DEP_1)
	v_cmpx_eq_u32_e32 1, v2
; %bb.224:
	v_sub_nc_u32_e32 v2, v19, v50
	s_delay_alu instid0(VALU_DEP_1)
	v_lshlrev_b32_e32 v2, 1, v2
	ds_store_b16 v2, v85
; %bb.225:
	s_or_b32 exec_lo, exec_lo, s0
	v_and_b32_e32 v2, 1, v64
	s_mov_b32 s0, exec_lo
	s_delay_alu instid0(VALU_DEP_1)
	v_cmpx_eq_u32_e32 1, v2
; %bb.226:
	v_sub_nc_u32_e32 v2, v20, v50
	s_delay_alu instid0(VALU_DEP_1)
	v_lshlrev_b32_e32 v2, 1, v2
	ds_store_b16 v2, v39
; %bb.227:
	s_or_b32 exec_lo, exec_lo, s0
	v_and_b32_e32 v2, 1, v63
	s_mov_b32 s0, exec_lo
	s_delay_alu instid0(VALU_DEP_1)
	v_cmpx_eq_u32_e32 1, v2
; %bb.228:
	v_sub_nc_u32_e32 v2, v21, v50
	s_delay_alu instid0(VALU_DEP_1)
	v_lshlrev_b32_e32 v2, 1, v2
	ds_store_b16 v2, v84
; %bb.229:
	s_or_b32 exec_lo, exec_lo, s0
	v_and_b32_e32 v2, 1, v62
	s_mov_b32 s0, exec_lo
	s_delay_alu instid0(VALU_DEP_1)
	v_cmpx_eq_u32_e32 1, v2
; %bb.230:
	v_sub_nc_u32_e32 v2, v22, v50
	s_delay_alu instid0(VALU_DEP_1)
	v_lshlrev_b32_e32 v2, 1, v2
	ds_store_b16 v2, v36
; %bb.231:
	s_or_b32 exec_lo, exec_lo, s0
	v_and_b32_e32 v2, 1, v61
	s_mov_b32 s0, exec_lo
	s_delay_alu instid0(VALU_DEP_1)
	v_cmpx_eq_u32_e32 1, v2
; %bb.232:
	v_sub_nc_u32_e32 v2, v23, v50
	s_delay_alu instid0(VALU_DEP_1)
	v_lshlrev_b32_e32 v2, 1, v2
	ds_store_b16 v2, v83
; %bb.233:
	s_or_b32 exec_lo, exec_lo, s0
	v_and_b32_e32 v2, 1, v60
	s_mov_b32 s0, exec_lo
	s_delay_alu instid0(VALU_DEP_1)
	v_cmpx_eq_u32_e32 1, v2
; %bb.234:
	v_sub_nc_u32_e32 v2, v24, v50
	s_delay_alu instid0(VALU_DEP_1)
	v_lshlrev_b32_e32 v2, 1, v2
	ds_store_b16 v2, v37
; %bb.235:
	s_or_b32 exec_lo, exec_lo, s0
	v_and_b32_e32 v2, 1, v59
	s_mov_b32 s0, exec_lo
	s_delay_alu instid0(VALU_DEP_1)
	v_cmpx_eq_u32_e32 1, v2
; %bb.236:
	v_sub_nc_u32_e32 v2, v25, v50
	s_delay_alu instid0(VALU_DEP_1)
	v_lshlrev_b32_e32 v2, 1, v2
	ds_store_b16 v2, v49
; %bb.237:
	s_or_b32 exec_lo, exec_lo, s0
	v_and_b32_e32 v2, 1, v58
	s_mov_b32 s0, exec_lo
	s_delay_alu instid0(VALU_DEP_1)
	v_cmpx_eq_u32_e32 1, v2
; %bb.238:
	v_sub_nc_u32_e32 v2, v26, v50
	s_delay_alu instid0(VALU_DEP_1)
	v_lshlrev_b32_e32 v2, 1, v2
	ds_store_b16 v2, v34
; %bb.239:
	s_or_b32 exec_lo, exec_lo, s0
	v_and_b32_e32 v2, 1, v57
	s_mov_b32 s0, exec_lo
	s_delay_alu instid0(VALU_DEP_1)
	v_cmpx_eq_u32_e32 1, v2
; %bb.240:
	v_sub_nc_u32_e32 v2, v27, v50
	s_delay_alu instid0(VALU_DEP_1)
	v_lshlrev_b32_e32 v2, 1, v2
	ds_store_b16 v2, v33
; %bb.241:
	s_or_b32 exec_lo, exec_lo, s0
	v_and_b32_e32 v2, 1, v56
	s_mov_b32 s0, exec_lo
	s_delay_alu instid0(VALU_DEP_1)
	v_cmpx_eq_u32_e32 1, v2
; %bb.242:
	v_sub_nc_u32_e32 v2, v28, v50
	s_delay_alu instid0(VALU_DEP_1)
	v_lshlrev_b32_e32 v2, 1, v2
	ds_store_b16 v2, v35
; %bb.243:
	s_or_b32 exec_lo, exec_lo, s0
	v_and_b32_e32 v2, 1, v55
	s_mov_b32 s0, exec_lo
	s_delay_alu instid0(VALU_DEP_1)
	v_cmpx_eq_u32_e32 1, v2
; %bb.244:
	v_sub_nc_u32_e32 v2, v29, v50
	s_delay_alu instid0(VALU_DEP_1)
	v_lshlrev_b32_e32 v2, 1, v2
	ds_store_b16 v2, v32
; %bb.245:
	s_or_b32 exec_lo, exec_lo, s0
	v_and_b32_e32 v2, 1, v54
	s_mov_b32 s0, exec_lo
	s_delay_alu instid0(VALU_DEP_1)
	v_cmpx_eq_u32_e32 1, v2
; %bb.246:
	v_sub_nc_u32_e32 v2, v30, v50
	s_delay_alu instid0(VALU_DEP_1)
	v_lshlrev_b32_e32 v2, 1, v2
	ds_store_b16 v2, v1
; %bb.247:
	s_or_b32 exec_lo, exec_lo, s0
	v_and_b32_e32 v1, 1, v53
	s_mov_b32 s0, exec_lo
	s_delay_alu instid0(VALU_DEP_1)
	v_cmpx_eq_u32_e32 1, v1
; %bb.248:
	v_sub_nc_u32_e32 v1, v31, v50
	s_delay_alu instid0(VALU_DEP_1)
	v_lshlrev_b32_e32 v1, 1, v1
	ds_store_b16 v1, v51
; %bb.249:
	s_or_b32 exec_lo, exec_lo, s0
	v_or_b32_e32 v1, 0x100, v0
	v_mov_b32_e32 v51, 0
	s_wait_kmcnt 0x0
	s_lshl_b64 s[0:1], s[34:35], 1
	s_wait_storecnt_dscnt 0x0
	s_add_nc_u64 s[0:1], s[2:3], s[0:1]
	v_max_u32_e32 v3, v48, v1
	v_lshlrev_b64_e32 v[4:5], 1, v[50:51]
	s_mov_b32 s3, -1
	s_barrier_signal -1
	s_barrier_wait -1
	v_xad_u32 v2, v0, -1, v3
	s_delay_alu instid0(VALU_DEP_2) | instskip(SKIP_1) | instid1(VALU_DEP_2)
	v_add_nc_u64_e32 v[8:9], s[0:1], v[4:5]
	s_mov_b32 s1, exec_lo
	v_cmp_gt_u32_e64 s0, 0x1b00, v2
	v_cmpx_lt_u32_e32 0x1aff, v2
	s_cbranch_execz .LBB893_260
; %bb.250:
	v_sub_nc_u32_e32 v3, v0, v3
	s_mov_b32 s2, exec_lo
	s_delay_alu instid0(VALU_DEP_1) | instskip(NEXT) | instid1(VALU_DEP_1)
	v_or_b32_e32 v3, 0xff, v3
	v_cmpx_ge_u32_e64 v3, v0
	s_cbranch_execz .LBB893_259
; %bb.251:
	v_lshrrev_b32_e32 v12, 8, v2
	v_or_b32_e32 v3, 0x300, v0
	v_or_b32_e32 v2, 0x200, v0
	s_delay_alu instid0(VALU_DEP_3) | instskip(NEXT) | instid1(VALU_DEP_1)
	v_dual_mov_b32 v17, 0 :: v_dual_add_nc_u32 v4, -3, v12
	v_lshrrev_b32_e32 v5, 2, v4
	v_lshlrev_b32_e32 v13, 1, v0
	v_cmp_lt_u32_e32 vcc_lo, 11, v4
	s_delay_alu instid0(VALU_DEP_3)
	v_add_nc_u32_e32 v14, 1, v5
	v_mov_b64_e32 v[6:7], v[2:3]
	v_mov_b64_e32 v[4:5], v[0:1]
	s_and_saveexec_b32 s3, vcc_lo
	s_cbranch_execz .LBB893_255
; %bb.252:
	v_mov_b64_e32 v[6:7], v[2:3]
	v_mov_b64_e32 v[4:5], v[0:1]
	v_and_b32_e32 v15, 0x7ffffffc, v14
	v_dual_mov_b32 v11, 0 :: v_dual_mov_b32 v16, v13
	s_mov_b32 s4, 0
	s_mov_b32 s5, 0
.LBB893_253:                            ; =>This Inner Loop Header: Depth=1
	s_delay_alu instid0(VALU_DEP_1) | instskip(SKIP_2) | instid1(VALU_DEP_3)
	v_dual_mov_b32 v10, v4 :: v_dual_mov_b32 v21, v11
	v_add_nc_u32_e32 v15, -4, v15
	v_dual_mov_b32 v27, v11 :: v_dual_add_nc_u32 v20, 0x400, v5
	v_lshl_add_u64 v[34:35], v[10:11], 1, v[8:9]
	v_mov_b32_e32 v10, v5
	ds_load_u16 v1, v16
	ds_load_u16 v42, v16 offset:512
	ds_load_u16 v43, v16 offset:1024
	;; [unrolled: 1-line block ×7, first 2 shown]
	v_dual_mov_b32 v33, v11 :: v_dual_add_nc_u32 v26, 0x800, v5
	s_add_co_i32 s5, s5, 16
	s_delay_alu instid0(SALU_CYCLE_1)
	v_dual_mov_b32 v17, s5 :: v_dual_add_nc_u32 v32, 0xc00, v5
	v_add_nc_u32_e32 v5, 0x1000, v5
	v_lshl_add_u64 v[36:37], v[10:11], 1, v[8:9]
	v_mov_b32_e32 v10, v6
	ds_load_u16 v51, v16 offset:4096
	ds_load_u16 v52, v16 offset:4608
	;; [unrolled: 1-line block ×8, first 2 shown]
	v_dual_mov_b32 v19, v11 :: v_dual_add_nc_u32 v2, 0x400, v7
	v_dual_mov_b32 v25, v11 :: v_dual_add_nc_u32 v22, 0x800, v7
	v_lshl_add_u64 v[38:39], v[10:11], 1, v[8:9]
	v_mov_b32_e32 v10, v7
	v_dual_mov_b32 v31, v11 :: v_dual_add_nc_u32 v28, 0xc00, v7
	v_add_nc_u32_e32 v7, 0x1000, v7
	s_wait_dscnt 0xf
	global_store_b16 v[34:35], v1, off
	s_wait_dscnt 0xe
	global_store_b16 v[36:37], v42, off
	;; [unrolled: 2-line block ×3, first 2 shown]
	v_lshl_add_u64 v[40:41], v[10:11], 1, v[8:9]
	v_add_nc_u32_e32 v10, 0x400, v4
	v_dual_mov_b32 v3, v11 :: v_dual_add_nc_u32 v18, 0x400, v6
	v_dual_mov_b32 v23, v11 :: v_dual_add_nc_u32 v24, 0x800, v6
	s_wait_xcnt 0x2
	s_delay_alu instid0(VALU_DEP_3)
	v_lshl_add_u64 v[34:35], v[10:11], 1, v[8:9]
	v_add_nc_u32_e32 v10, 0x800, v4
	v_cmp_eq_u32_e32 vcc_lo, 0, v15
	v_lshl_add_u64 v[20:21], v[20:21], 1, v[8:9]
	s_wait_dscnt 0xc
	global_store_b16 v[40:41], v44, off
	s_wait_dscnt 0xb
	global_store_b16 v[34:35], v45, off
	v_dual_mov_b32 v29, v11 :: v_dual_add_nc_u32 v30, 0xc00, v6
	s_wait_xcnt 0x0
	v_lshl_add_u64 v[34:35], v[10:11], 1, v[8:9]
	v_add_nc_u32_e32 v10, 0xc00, v4
	v_add_nc_u32_e32 v16, 0x2000, v16
	v_lshl_add_u64 v[18:19], v[18:19], 1, v[8:9]
	v_add_nc_u32_e32 v6, 0x1000, v6
	v_add_nc_u32_e32 v4, 0x1000, v4
	v_lshl_add_u64 v[2:3], v[2:3], 1, v[8:9]
	v_lshl_add_u64 v[26:27], v[26:27], 1, v[8:9]
	v_lshl_add_u64 v[24:25], v[24:25], 1, v[8:9]
	v_lshl_add_u64 v[22:23], v[22:23], 1, v[8:9]
	s_or_b32 s4, vcc_lo, s4
	s_wait_dscnt 0xa
	global_store_b16 v[20:21], v46, off
	s_wait_dscnt 0x9
	global_store_b16 v[18:19], v47, off
	;; [unrolled: 2-line block ×3, first 2 shown]
	s_wait_xcnt 0x0
	v_lshl_add_u64 v[2:3], v[10:11], 1, v[8:9]
	v_lshl_add_u64 v[32:33], v[32:33], 1, v[8:9]
	;; [unrolled: 1-line block ×4, first 2 shown]
	s_wait_dscnt 0x7
	global_store_b16 v[34:35], v51, off
	s_wait_dscnt 0x6
	global_store_b16 v[26:27], v52, off
	;; [unrolled: 2-line block ×8, first 2 shown]
	s_wait_xcnt 0x0
	s_and_not1_b32 exec_lo, exec_lo, s4
	s_cbranch_execnz .LBB893_253
; %bb.254:
	s_or_b32 exec_lo, exec_lo, s4
.LBB893_255:
	s_delay_alu instid0(SALU_CYCLE_1) | instskip(SKIP_3) | instid1(VALU_DEP_1)
	s_or_b32 exec_lo, exec_lo, s3
	v_and_b32_e32 v1, 3, v14
	s_mov_b32 s4, 0
	s_mov_b32 s3, exec_lo
	v_cmpx_ne_u32_e32 0, v1
	s_cbranch_execz .LBB893_258
; %bb.256:
	v_lshl_or_b32 v10, v17, 9, v13
	v_mov_b32_e32 v3, 0
.LBB893_257:                            ; =>This Inner Loop Header: Depth=1
	v_dual_mov_b32 v2, v4 :: v_dual_add_nc_u32 v1, -1, v1
	ds_load_u16 v11, v10
	ds_load_u16 v13, v10 offset:512
	ds_load_u16 v22, v10 offset:1024
	;; [unrolled: 1-line block ×3, first 2 shown]
	v_add_nc_u32_e32 v4, 0x400, v4
	v_add_nc_u32_e32 v10, 0x800, v10
	v_lshl_add_u64 v[14:15], v[2:3], 1, v[8:9]
	v_dual_mov_b32 v2, v5 :: v_dual_add_nc_u32 v5, 0x400, v5
	v_cmp_eq_u32_e32 vcc_lo, 0, v1
	s_delay_alu instid0(VALU_DEP_2) | instskip(SKIP_3) | instid1(VALU_DEP_2)
	v_lshl_add_u64 v[16:17], v[2:3], 1, v[8:9]
	v_mov_b32_e32 v2, v6
	v_add_nc_u32_e32 v6, 0x400, v6
	s_or_b32 s4, vcc_lo, s4
	v_lshl_add_u64 v[18:19], v[2:3], 1, v[8:9]
	v_dual_mov_b32 v2, v7 :: v_dual_add_nc_u32 v7, 0x400, v7
	s_delay_alu instid0(VALU_DEP_1)
	v_lshl_add_u64 v[20:21], v[2:3], 1, v[8:9]
	s_wait_dscnt 0x3
	global_store_b16 v[14:15], v11, off
	s_wait_dscnt 0x2
	global_store_b16 v[16:17], v13, off
	;; [unrolled: 2-line block ×4, first 2 shown]
	s_wait_xcnt 0x0
	s_and_not1_b32 exec_lo, exec_lo, s4
	s_cbranch_execnz .LBB893_257
.LBB893_258:
	s_or_b32 exec_lo, exec_lo, s3
	v_add_nc_u32_e32 v1, 1, v12
	s_delay_alu instid0(VALU_DEP_1) | instskip(NEXT) | instid1(VALU_DEP_1)
	v_and_b32_e32 v2, 0x1fffffc, v1
	v_cmp_ne_u32_e32 vcc_lo, v1, v2
	v_lshl_or_b32 v52, v2, 8, v0
	s_or_not1_b32 s3, vcc_lo, exec_lo
.LBB893_259:
	s_or_b32 exec_lo, exec_lo, s2
	s_delay_alu instid0(SALU_CYCLE_1) | instskip(SKIP_1) | instid1(SALU_CYCLE_1)
	s_and_not1_b32 s0, s0, exec_lo
	s_and_b32 s2, s3, exec_lo
	s_or_b32 s0, s0, s2
.LBB893_260:
	s_or_b32 exec_lo, exec_lo, s1
	s_and_saveexec_b32 s1, s0
	s_cbranch_execz .LBB893_263
; %bb.261:
	v_lshlrev_b32_e32 v1, 1, v52
	s_mov_b32 s0, 0
.LBB893_262:                            ; =>This Inner Loop Header: Depth=1
	ds_load_u16 v2, v1
	v_readfirstlane_b32 s2, v8
	v_readfirstlane_b32 s3, v9
	v_add_nc_u32_e32 v1, 0x200, v1
	s_wait_dscnt 0x0
	global_store_b16 v52, v2, s[2:3] scale_offset
	s_wait_xcnt 0x0
	v_add_nc_u32_e32 v52, 0x100, v52
	s_delay_alu instid0(VALU_DEP_1) | instskip(SKIP_1) | instid1(SALU_CYCLE_1)
	v_cmp_ge_u32_e32 vcc_lo, v52, v48
	s_or_b32 s0, vcc_lo, s0
	s_and_not1_b32 exec_lo, exec_lo, s0
	s_cbranch_execnz .LBB893_262
.LBB893_263:
	s_or_b32 exec_lo, exec_lo, s1
	v_cmp_eq_u32_e32 vcc_lo, 0, v0
	s_and_b32 s0, vcc_lo, s31
	s_delay_alu instid0(SALU_CYCLE_1)
	s_and_saveexec_b32 s1, s0
	s_cbranch_execz .LBB893_127
.LBB893_264:
	v_mov_b32_e32 v49, 0
	s_wait_kmcnt 0x0
	s_delay_alu instid0(VALU_DEP_1) | instskip(SKIP_1) | instid1(VALU_DEP_1)
	v_add_nc_u64_e32 v[0:1], s[34:35], v[48:49]
	v_mov_b32_e32 v51, v49
	v_add_nc_u64_e32 v[0:1], v[0:1], v[50:51]
	global_store_b64 v49, v[0:1], s[36:37]
	s_sendmsg sendmsg(MSG_DEALLOC_VGPRS)
	s_endpgm
	.section	.rodata,"a",@progbits
	.p2align	6, 0x0
	.amdhsa_kernel _ZN7rocprim17ROCPRIM_400000_NS6detail17trampoline_kernelINS0_14default_configENS1_25partition_config_selectorILNS1_17partition_subalgoE8EN3c104HalfENS0_10empty_typeEbEEZZNS1_14partition_implILS5_8ELb0ES3_jPKS7_PS8_PKS8_NS0_5tupleIJPS7_S8_EEENSG_IJSD_SD_EEENS0_18inequality_wrapperIN6hipcub16HIPCUB_304000_NS8EqualityEEEPlJS8_EEE10hipError_tPvRmT3_T4_T5_T6_T7_T9_mT8_P12ihipStream_tbDpT10_ENKUlT_T0_E_clISt17integral_constantIbLb0EES19_EEDaS14_S15_EUlS14_E_NS1_11comp_targetILNS1_3genE0ELNS1_11target_archE4294967295ELNS1_3gpuE0ELNS1_3repE0EEENS1_30default_config_static_selectorELNS0_4arch9wavefront6targetE0EEEvT1_
		.amdhsa_group_segment_fixed_size 15368
		.amdhsa_private_segment_fixed_size 0
		.amdhsa_kernarg_size 112
		.amdhsa_user_sgpr_count 2
		.amdhsa_user_sgpr_dispatch_ptr 0
		.amdhsa_user_sgpr_queue_ptr 0
		.amdhsa_user_sgpr_kernarg_segment_ptr 1
		.amdhsa_user_sgpr_dispatch_id 0
		.amdhsa_user_sgpr_kernarg_preload_length 0
		.amdhsa_user_sgpr_kernarg_preload_offset 0
		.amdhsa_user_sgpr_private_segment_size 0
		.amdhsa_wavefront_size32 1
		.amdhsa_uses_dynamic_stack 0
		.amdhsa_enable_private_segment 0
		.amdhsa_system_sgpr_workgroup_id_x 1
		.amdhsa_system_sgpr_workgroup_id_y 0
		.amdhsa_system_sgpr_workgroup_id_z 0
		.amdhsa_system_sgpr_workgroup_info 0
		.amdhsa_system_vgpr_workitem_id 0
		.amdhsa_next_free_vgpr 115
		.amdhsa_next_free_sgpr 49
		.amdhsa_named_barrier_count 0
		.amdhsa_reserve_vcc 1
		.amdhsa_float_round_mode_32 0
		.amdhsa_float_round_mode_16_64 0
		.amdhsa_float_denorm_mode_32 3
		.amdhsa_float_denorm_mode_16_64 3
		.amdhsa_fp16_overflow 0
		.amdhsa_memory_ordered 1
		.amdhsa_forward_progress 1
		.amdhsa_inst_pref_size 108
		.amdhsa_round_robin_scheduling 0
		.amdhsa_exception_fp_ieee_invalid_op 0
		.amdhsa_exception_fp_denorm_src 0
		.amdhsa_exception_fp_ieee_div_zero 0
		.amdhsa_exception_fp_ieee_overflow 0
		.amdhsa_exception_fp_ieee_underflow 0
		.amdhsa_exception_fp_ieee_inexact 0
		.amdhsa_exception_int_div_zero 0
	.end_amdhsa_kernel
	.section	.text._ZN7rocprim17ROCPRIM_400000_NS6detail17trampoline_kernelINS0_14default_configENS1_25partition_config_selectorILNS1_17partition_subalgoE8EN3c104HalfENS0_10empty_typeEbEEZZNS1_14partition_implILS5_8ELb0ES3_jPKS7_PS8_PKS8_NS0_5tupleIJPS7_S8_EEENSG_IJSD_SD_EEENS0_18inequality_wrapperIN6hipcub16HIPCUB_304000_NS8EqualityEEEPlJS8_EEE10hipError_tPvRmT3_T4_T5_T6_T7_T9_mT8_P12ihipStream_tbDpT10_ENKUlT_T0_E_clISt17integral_constantIbLb0EES19_EEDaS14_S15_EUlS14_E_NS1_11comp_targetILNS1_3genE0ELNS1_11target_archE4294967295ELNS1_3gpuE0ELNS1_3repE0EEENS1_30default_config_static_selectorELNS0_4arch9wavefront6targetE0EEEvT1_,"axG",@progbits,_ZN7rocprim17ROCPRIM_400000_NS6detail17trampoline_kernelINS0_14default_configENS1_25partition_config_selectorILNS1_17partition_subalgoE8EN3c104HalfENS0_10empty_typeEbEEZZNS1_14partition_implILS5_8ELb0ES3_jPKS7_PS8_PKS8_NS0_5tupleIJPS7_S8_EEENSG_IJSD_SD_EEENS0_18inequality_wrapperIN6hipcub16HIPCUB_304000_NS8EqualityEEEPlJS8_EEE10hipError_tPvRmT3_T4_T5_T6_T7_T9_mT8_P12ihipStream_tbDpT10_ENKUlT_T0_E_clISt17integral_constantIbLb0EES19_EEDaS14_S15_EUlS14_E_NS1_11comp_targetILNS1_3genE0ELNS1_11target_archE4294967295ELNS1_3gpuE0ELNS1_3repE0EEENS1_30default_config_static_selectorELNS0_4arch9wavefront6targetE0EEEvT1_,comdat
.Lfunc_end893:
	.size	_ZN7rocprim17ROCPRIM_400000_NS6detail17trampoline_kernelINS0_14default_configENS1_25partition_config_selectorILNS1_17partition_subalgoE8EN3c104HalfENS0_10empty_typeEbEEZZNS1_14partition_implILS5_8ELb0ES3_jPKS7_PS8_PKS8_NS0_5tupleIJPS7_S8_EEENSG_IJSD_SD_EEENS0_18inequality_wrapperIN6hipcub16HIPCUB_304000_NS8EqualityEEEPlJS8_EEE10hipError_tPvRmT3_T4_T5_T6_T7_T9_mT8_P12ihipStream_tbDpT10_ENKUlT_T0_E_clISt17integral_constantIbLb0EES19_EEDaS14_S15_EUlS14_E_NS1_11comp_targetILNS1_3genE0ELNS1_11target_archE4294967295ELNS1_3gpuE0ELNS1_3repE0EEENS1_30default_config_static_selectorELNS0_4arch9wavefront6targetE0EEEvT1_, .Lfunc_end893-_ZN7rocprim17ROCPRIM_400000_NS6detail17trampoline_kernelINS0_14default_configENS1_25partition_config_selectorILNS1_17partition_subalgoE8EN3c104HalfENS0_10empty_typeEbEEZZNS1_14partition_implILS5_8ELb0ES3_jPKS7_PS8_PKS8_NS0_5tupleIJPS7_S8_EEENSG_IJSD_SD_EEENS0_18inequality_wrapperIN6hipcub16HIPCUB_304000_NS8EqualityEEEPlJS8_EEE10hipError_tPvRmT3_T4_T5_T6_T7_T9_mT8_P12ihipStream_tbDpT10_ENKUlT_T0_E_clISt17integral_constantIbLb0EES19_EEDaS14_S15_EUlS14_E_NS1_11comp_targetILNS1_3genE0ELNS1_11target_archE4294967295ELNS1_3gpuE0ELNS1_3repE0EEENS1_30default_config_static_selectorELNS0_4arch9wavefront6targetE0EEEvT1_
                                        ; -- End function
	.set _ZN7rocprim17ROCPRIM_400000_NS6detail17trampoline_kernelINS0_14default_configENS1_25partition_config_selectorILNS1_17partition_subalgoE8EN3c104HalfENS0_10empty_typeEbEEZZNS1_14partition_implILS5_8ELb0ES3_jPKS7_PS8_PKS8_NS0_5tupleIJPS7_S8_EEENSG_IJSD_SD_EEENS0_18inequality_wrapperIN6hipcub16HIPCUB_304000_NS8EqualityEEEPlJS8_EEE10hipError_tPvRmT3_T4_T5_T6_T7_T9_mT8_P12ihipStream_tbDpT10_ENKUlT_T0_E_clISt17integral_constantIbLb0EES19_EEDaS14_S15_EUlS14_E_NS1_11comp_targetILNS1_3genE0ELNS1_11target_archE4294967295ELNS1_3gpuE0ELNS1_3repE0EEENS1_30default_config_static_selectorELNS0_4arch9wavefront6targetE0EEEvT1_.num_vgpr, 115
	.set _ZN7rocprim17ROCPRIM_400000_NS6detail17trampoline_kernelINS0_14default_configENS1_25partition_config_selectorILNS1_17partition_subalgoE8EN3c104HalfENS0_10empty_typeEbEEZZNS1_14partition_implILS5_8ELb0ES3_jPKS7_PS8_PKS8_NS0_5tupleIJPS7_S8_EEENSG_IJSD_SD_EEENS0_18inequality_wrapperIN6hipcub16HIPCUB_304000_NS8EqualityEEEPlJS8_EEE10hipError_tPvRmT3_T4_T5_T6_T7_T9_mT8_P12ihipStream_tbDpT10_ENKUlT_T0_E_clISt17integral_constantIbLb0EES19_EEDaS14_S15_EUlS14_E_NS1_11comp_targetILNS1_3genE0ELNS1_11target_archE4294967295ELNS1_3gpuE0ELNS1_3repE0EEENS1_30default_config_static_selectorELNS0_4arch9wavefront6targetE0EEEvT1_.num_agpr, 0
	.set _ZN7rocprim17ROCPRIM_400000_NS6detail17trampoline_kernelINS0_14default_configENS1_25partition_config_selectorILNS1_17partition_subalgoE8EN3c104HalfENS0_10empty_typeEbEEZZNS1_14partition_implILS5_8ELb0ES3_jPKS7_PS8_PKS8_NS0_5tupleIJPS7_S8_EEENSG_IJSD_SD_EEENS0_18inequality_wrapperIN6hipcub16HIPCUB_304000_NS8EqualityEEEPlJS8_EEE10hipError_tPvRmT3_T4_T5_T6_T7_T9_mT8_P12ihipStream_tbDpT10_ENKUlT_T0_E_clISt17integral_constantIbLb0EES19_EEDaS14_S15_EUlS14_E_NS1_11comp_targetILNS1_3genE0ELNS1_11target_archE4294967295ELNS1_3gpuE0ELNS1_3repE0EEENS1_30default_config_static_selectorELNS0_4arch9wavefront6targetE0EEEvT1_.numbered_sgpr, 49
	.set _ZN7rocprim17ROCPRIM_400000_NS6detail17trampoline_kernelINS0_14default_configENS1_25partition_config_selectorILNS1_17partition_subalgoE8EN3c104HalfENS0_10empty_typeEbEEZZNS1_14partition_implILS5_8ELb0ES3_jPKS7_PS8_PKS8_NS0_5tupleIJPS7_S8_EEENSG_IJSD_SD_EEENS0_18inequality_wrapperIN6hipcub16HIPCUB_304000_NS8EqualityEEEPlJS8_EEE10hipError_tPvRmT3_T4_T5_T6_T7_T9_mT8_P12ihipStream_tbDpT10_ENKUlT_T0_E_clISt17integral_constantIbLb0EES19_EEDaS14_S15_EUlS14_E_NS1_11comp_targetILNS1_3genE0ELNS1_11target_archE4294967295ELNS1_3gpuE0ELNS1_3repE0EEENS1_30default_config_static_selectorELNS0_4arch9wavefront6targetE0EEEvT1_.num_named_barrier, 0
	.set _ZN7rocprim17ROCPRIM_400000_NS6detail17trampoline_kernelINS0_14default_configENS1_25partition_config_selectorILNS1_17partition_subalgoE8EN3c104HalfENS0_10empty_typeEbEEZZNS1_14partition_implILS5_8ELb0ES3_jPKS7_PS8_PKS8_NS0_5tupleIJPS7_S8_EEENSG_IJSD_SD_EEENS0_18inequality_wrapperIN6hipcub16HIPCUB_304000_NS8EqualityEEEPlJS8_EEE10hipError_tPvRmT3_T4_T5_T6_T7_T9_mT8_P12ihipStream_tbDpT10_ENKUlT_T0_E_clISt17integral_constantIbLb0EES19_EEDaS14_S15_EUlS14_E_NS1_11comp_targetILNS1_3genE0ELNS1_11target_archE4294967295ELNS1_3gpuE0ELNS1_3repE0EEENS1_30default_config_static_selectorELNS0_4arch9wavefront6targetE0EEEvT1_.private_seg_size, 0
	.set _ZN7rocprim17ROCPRIM_400000_NS6detail17trampoline_kernelINS0_14default_configENS1_25partition_config_selectorILNS1_17partition_subalgoE8EN3c104HalfENS0_10empty_typeEbEEZZNS1_14partition_implILS5_8ELb0ES3_jPKS7_PS8_PKS8_NS0_5tupleIJPS7_S8_EEENSG_IJSD_SD_EEENS0_18inequality_wrapperIN6hipcub16HIPCUB_304000_NS8EqualityEEEPlJS8_EEE10hipError_tPvRmT3_T4_T5_T6_T7_T9_mT8_P12ihipStream_tbDpT10_ENKUlT_T0_E_clISt17integral_constantIbLb0EES19_EEDaS14_S15_EUlS14_E_NS1_11comp_targetILNS1_3genE0ELNS1_11target_archE4294967295ELNS1_3gpuE0ELNS1_3repE0EEENS1_30default_config_static_selectorELNS0_4arch9wavefront6targetE0EEEvT1_.uses_vcc, 1
	.set _ZN7rocprim17ROCPRIM_400000_NS6detail17trampoline_kernelINS0_14default_configENS1_25partition_config_selectorILNS1_17partition_subalgoE8EN3c104HalfENS0_10empty_typeEbEEZZNS1_14partition_implILS5_8ELb0ES3_jPKS7_PS8_PKS8_NS0_5tupleIJPS7_S8_EEENSG_IJSD_SD_EEENS0_18inequality_wrapperIN6hipcub16HIPCUB_304000_NS8EqualityEEEPlJS8_EEE10hipError_tPvRmT3_T4_T5_T6_T7_T9_mT8_P12ihipStream_tbDpT10_ENKUlT_T0_E_clISt17integral_constantIbLb0EES19_EEDaS14_S15_EUlS14_E_NS1_11comp_targetILNS1_3genE0ELNS1_11target_archE4294967295ELNS1_3gpuE0ELNS1_3repE0EEENS1_30default_config_static_selectorELNS0_4arch9wavefront6targetE0EEEvT1_.uses_flat_scratch, 0
	.set _ZN7rocprim17ROCPRIM_400000_NS6detail17trampoline_kernelINS0_14default_configENS1_25partition_config_selectorILNS1_17partition_subalgoE8EN3c104HalfENS0_10empty_typeEbEEZZNS1_14partition_implILS5_8ELb0ES3_jPKS7_PS8_PKS8_NS0_5tupleIJPS7_S8_EEENSG_IJSD_SD_EEENS0_18inequality_wrapperIN6hipcub16HIPCUB_304000_NS8EqualityEEEPlJS8_EEE10hipError_tPvRmT3_T4_T5_T6_T7_T9_mT8_P12ihipStream_tbDpT10_ENKUlT_T0_E_clISt17integral_constantIbLb0EES19_EEDaS14_S15_EUlS14_E_NS1_11comp_targetILNS1_3genE0ELNS1_11target_archE4294967295ELNS1_3gpuE0ELNS1_3repE0EEENS1_30default_config_static_selectorELNS0_4arch9wavefront6targetE0EEEvT1_.has_dyn_sized_stack, 0
	.set _ZN7rocprim17ROCPRIM_400000_NS6detail17trampoline_kernelINS0_14default_configENS1_25partition_config_selectorILNS1_17partition_subalgoE8EN3c104HalfENS0_10empty_typeEbEEZZNS1_14partition_implILS5_8ELb0ES3_jPKS7_PS8_PKS8_NS0_5tupleIJPS7_S8_EEENSG_IJSD_SD_EEENS0_18inequality_wrapperIN6hipcub16HIPCUB_304000_NS8EqualityEEEPlJS8_EEE10hipError_tPvRmT3_T4_T5_T6_T7_T9_mT8_P12ihipStream_tbDpT10_ENKUlT_T0_E_clISt17integral_constantIbLb0EES19_EEDaS14_S15_EUlS14_E_NS1_11comp_targetILNS1_3genE0ELNS1_11target_archE4294967295ELNS1_3gpuE0ELNS1_3repE0EEENS1_30default_config_static_selectorELNS0_4arch9wavefront6targetE0EEEvT1_.has_recursion, 0
	.set _ZN7rocprim17ROCPRIM_400000_NS6detail17trampoline_kernelINS0_14default_configENS1_25partition_config_selectorILNS1_17partition_subalgoE8EN3c104HalfENS0_10empty_typeEbEEZZNS1_14partition_implILS5_8ELb0ES3_jPKS7_PS8_PKS8_NS0_5tupleIJPS7_S8_EEENSG_IJSD_SD_EEENS0_18inequality_wrapperIN6hipcub16HIPCUB_304000_NS8EqualityEEEPlJS8_EEE10hipError_tPvRmT3_T4_T5_T6_T7_T9_mT8_P12ihipStream_tbDpT10_ENKUlT_T0_E_clISt17integral_constantIbLb0EES19_EEDaS14_S15_EUlS14_E_NS1_11comp_targetILNS1_3genE0ELNS1_11target_archE4294967295ELNS1_3gpuE0ELNS1_3repE0EEENS1_30default_config_static_selectorELNS0_4arch9wavefront6targetE0EEEvT1_.has_indirect_call, 0
	.section	.AMDGPU.csdata,"",@progbits
; Kernel info:
; codeLenInByte = 13720
; TotalNumSgprs: 51
; NumVgprs: 115
; ScratchSize: 0
; MemoryBound: 0
; FloatMode: 240
; IeeeMode: 1
; LDSByteSize: 15368 bytes/workgroup (compile time only)
; SGPRBlocks: 0
; VGPRBlocks: 7
; NumSGPRsForWavesPerEU: 51
; NumVGPRsForWavesPerEU: 115
; NamedBarCnt: 0
; Occupancy: 8
; WaveLimiterHint : 1
; COMPUTE_PGM_RSRC2:SCRATCH_EN: 0
; COMPUTE_PGM_RSRC2:USER_SGPR: 2
; COMPUTE_PGM_RSRC2:TRAP_HANDLER: 0
; COMPUTE_PGM_RSRC2:TGID_X_EN: 1
; COMPUTE_PGM_RSRC2:TGID_Y_EN: 0
; COMPUTE_PGM_RSRC2:TGID_Z_EN: 0
; COMPUTE_PGM_RSRC2:TIDIG_COMP_CNT: 0
	.section	.text._ZN7rocprim17ROCPRIM_400000_NS6detail17trampoline_kernelINS0_14default_configENS1_25partition_config_selectorILNS1_17partition_subalgoE8EN3c104HalfENS0_10empty_typeEbEEZZNS1_14partition_implILS5_8ELb0ES3_jPKS7_PS8_PKS8_NS0_5tupleIJPS7_S8_EEENSG_IJSD_SD_EEENS0_18inequality_wrapperIN6hipcub16HIPCUB_304000_NS8EqualityEEEPlJS8_EEE10hipError_tPvRmT3_T4_T5_T6_T7_T9_mT8_P12ihipStream_tbDpT10_ENKUlT_T0_E_clISt17integral_constantIbLb0EES19_EEDaS14_S15_EUlS14_E_NS1_11comp_targetILNS1_3genE5ELNS1_11target_archE942ELNS1_3gpuE9ELNS1_3repE0EEENS1_30default_config_static_selectorELNS0_4arch9wavefront6targetE0EEEvT1_,"axG",@progbits,_ZN7rocprim17ROCPRIM_400000_NS6detail17trampoline_kernelINS0_14default_configENS1_25partition_config_selectorILNS1_17partition_subalgoE8EN3c104HalfENS0_10empty_typeEbEEZZNS1_14partition_implILS5_8ELb0ES3_jPKS7_PS8_PKS8_NS0_5tupleIJPS7_S8_EEENSG_IJSD_SD_EEENS0_18inequality_wrapperIN6hipcub16HIPCUB_304000_NS8EqualityEEEPlJS8_EEE10hipError_tPvRmT3_T4_T5_T6_T7_T9_mT8_P12ihipStream_tbDpT10_ENKUlT_T0_E_clISt17integral_constantIbLb0EES19_EEDaS14_S15_EUlS14_E_NS1_11comp_targetILNS1_3genE5ELNS1_11target_archE942ELNS1_3gpuE9ELNS1_3repE0EEENS1_30default_config_static_selectorELNS0_4arch9wavefront6targetE0EEEvT1_,comdat
	.protected	_ZN7rocprim17ROCPRIM_400000_NS6detail17trampoline_kernelINS0_14default_configENS1_25partition_config_selectorILNS1_17partition_subalgoE8EN3c104HalfENS0_10empty_typeEbEEZZNS1_14partition_implILS5_8ELb0ES3_jPKS7_PS8_PKS8_NS0_5tupleIJPS7_S8_EEENSG_IJSD_SD_EEENS0_18inequality_wrapperIN6hipcub16HIPCUB_304000_NS8EqualityEEEPlJS8_EEE10hipError_tPvRmT3_T4_T5_T6_T7_T9_mT8_P12ihipStream_tbDpT10_ENKUlT_T0_E_clISt17integral_constantIbLb0EES19_EEDaS14_S15_EUlS14_E_NS1_11comp_targetILNS1_3genE5ELNS1_11target_archE942ELNS1_3gpuE9ELNS1_3repE0EEENS1_30default_config_static_selectorELNS0_4arch9wavefront6targetE0EEEvT1_ ; -- Begin function _ZN7rocprim17ROCPRIM_400000_NS6detail17trampoline_kernelINS0_14default_configENS1_25partition_config_selectorILNS1_17partition_subalgoE8EN3c104HalfENS0_10empty_typeEbEEZZNS1_14partition_implILS5_8ELb0ES3_jPKS7_PS8_PKS8_NS0_5tupleIJPS7_S8_EEENSG_IJSD_SD_EEENS0_18inequality_wrapperIN6hipcub16HIPCUB_304000_NS8EqualityEEEPlJS8_EEE10hipError_tPvRmT3_T4_T5_T6_T7_T9_mT8_P12ihipStream_tbDpT10_ENKUlT_T0_E_clISt17integral_constantIbLb0EES19_EEDaS14_S15_EUlS14_E_NS1_11comp_targetILNS1_3genE5ELNS1_11target_archE942ELNS1_3gpuE9ELNS1_3repE0EEENS1_30default_config_static_selectorELNS0_4arch9wavefront6targetE0EEEvT1_
	.globl	_ZN7rocprim17ROCPRIM_400000_NS6detail17trampoline_kernelINS0_14default_configENS1_25partition_config_selectorILNS1_17partition_subalgoE8EN3c104HalfENS0_10empty_typeEbEEZZNS1_14partition_implILS5_8ELb0ES3_jPKS7_PS8_PKS8_NS0_5tupleIJPS7_S8_EEENSG_IJSD_SD_EEENS0_18inequality_wrapperIN6hipcub16HIPCUB_304000_NS8EqualityEEEPlJS8_EEE10hipError_tPvRmT3_T4_T5_T6_T7_T9_mT8_P12ihipStream_tbDpT10_ENKUlT_T0_E_clISt17integral_constantIbLb0EES19_EEDaS14_S15_EUlS14_E_NS1_11comp_targetILNS1_3genE5ELNS1_11target_archE942ELNS1_3gpuE9ELNS1_3repE0EEENS1_30default_config_static_selectorELNS0_4arch9wavefront6targetE0EEEvT1_
	.p2align	8
	.type	_ZN7rocprim17ROCPRIM_400000_NS6detail17trampoline_kernelINS0_14default_configENS1_25partition_config_selectorILNS1_17partition_subalgoE8EN3c104HalfENS0_10empty_typeEbEEZZNS1_14partition_implILS5_8ELb0ES3_jPKS7_PS8_PKS8_NS0_5tupleIJPS7_S8_EEENSG_IJSD_SD_EEENS0_18inequality_wrapperIN6hipcub16HIPCUB_304000_NS8EqualityEEEPlJS8_EEE10hipError_tPvRmT3_T4_T5_T6_T7_T9_mT8_P12ihipStream_tbDpT10_ENKUlT_T0_E_clISt17integral_constantIbLb0EES19_EEDaS14_S15_EUlS14_E_NS1_11comp_targetILNS1_3genE5ELNS1_11target_archE942ELNS1_3gpuE9ELNS1_3repE0EEENS1_30default_config_static_selectorELNS0_4arch9wavefront6targetE0EEEvT1_,@function
_ZN7rocprim17ROCPRIM_400000_NS6detail17trampoline_kernelINS0_14default_configENS1_25partition_config_selectorILNS1_17partition_subalgoE8EN3c104HalfENS0_10empty_typeEbEEZZNS1_14partition_implILS5_8ELb0ES3_jPKS7_PS8_PKS8_NS0_5tupleIJPS7_S8_EEENSG_IJSD_SD_EEENS0_18inequality_wrapperIN6hipcub16HIPCUB_304000_NS8EqualityEEEPlJS8_EEE10hipError_tPvRmT3_T4_T5_T6_T7_T9_mT8_P12ihipStream_tbDpT10_ENKUlT_T0_E_clISt17integral_constantIbLb0EES19_EEDaS14_S15_EUlS14_E_NS1_11comp_targetILNS1_3genE5ELNS1_11target_archE942ELNS1_3gpuE9ELNS1_3repE0EEENS1_30default_config_static_selectorELNS0_4arch9wavefront6targetE0EEEvT1_: ; @_ZN7rocprim17ROCPRIM_400000_NS6detail17trampoline_kernelINS0_14default_configENS1_25partition_config_selectorILNS1_17partition_subalgoE8EN3c104HalfENS0_10empty_typeEbEEZZNS1_14partition_implILS5_8ELb0ES3_jPKS7_PS8_PKS8_NS0_5tupleIJPS7_S8_EEENSG_IJSD_SD_EEENS0_18inequality_wrapperIN6hipcub16HIPCUB_304000_NS8EqualityEEEPlJS8_EEE10hipError_tPvRmT3_T4_T5_T6_T7_T9_mT8_P12ihipStream_tbDpT10_ENKUlT_T0_E_clISt17integral_constantIbLb0EES19_EEDaS14_S15_EUlS14_E_NS1_11comp_targetILNS1_3genE5ELNS1_11target_archE942ELNS1_3gpuE9ELNS1_3repE0EEENS1_30default_config_static_selectorELNS0_4arch9wavefront6targetE0EEEvT1_
; %bb.0:
	.section	.rodata,"a",@progbits
	.p2align	6, 0x0
	.amdhsa_kernel _ZN7rocprim17ROCPRIM_400000_NS6detail17trampoline_kernelINS0_14default_configENS1_25partition_config_selectorILNS1_17partition_subalgoE8EN3c104HalfENS0_10empty_typeEbEEZZNS1_14partition_implILS5_8ELb0ES3_jPKS7_PS8_PKS8_NS0_5tupleIJPS7_S8_EEENSG_IJSD_SD_EEENS0_18inequality_wrapperIN6hipcub16HIPCUB_304000_NS8EqualityEEEPlJS8_EEE10hipError_tPvRmT3_T4_T5_T6_T7_T9_mT8_P12ihipStream_tbDpT10_ENKUlT_T0_E_clISt17integral_constantIbLb0EES19_EEDaS14_S15_EUlS14_E_NS1_11comp_targetILNS1_3genE5ELNS1_11target_archE942ELNS1_3gpuE9ELNS1_3repE0EEENS1_30default_config_static_selectorELNS0_4arch9wavefront6targetE0EEEvT1_
		.amdhsa_group_segment_fixed_size 0
		.amdhsa_private_segment_fixed_size 0
		.amdhsa_kernarg_size 112
		.amdhsa_user_sgpr_count 2
		.amdhsa_user_sgpr_dispatch_ptr 0
		.amdhsa_user_sgpr_queue_ptr 0
		.amdhsa_user_sgpr_kernarg_segment_ptr 1
		.amdhsa_user_sgpr_dispatch_id 0
		.amdhsa_user_sgpr_kernarg_preload_length 0
		.amdhsa_user_sgpr_kernarg_preload_offset 0
		.amdhsa_user_sgpr_private_segment_size 0
		.amdhsa_wavefront_size32 1
		.amdhsa_uses_dynamic_stack 0
		.amdhsa_enable_private_segment 0
		.amdhsa_system_sgpr_workgroup_id_x 1
		.amdhsa_system_sgpr_workgroup_id_y 0
		.amdhsa_system_sgpr_workgroup_id_z 0
		.amdhsa_system_sgpr_workgroup_info 0
		.amdhsa_system_vgpr_workitem_id 0
		.amdhsa_next_free_vgpr 1
		.amdhsa_next_free_sgpr 1
		.amdhsa_named_barrier_count 0
		.amdhsa_reserve_vcc 0
		.amdhsa_float_round_mode_32 0
		.amdhsa_float_round_mode_16_64 0
		.amdhsa_float_denorm_mode_32 3
		.amdhsa_float_denorm_mode_16_64 3
		.amdhsa_fp16_overflow 0
		.amdhsa_memory_ordered 1
		.amdhsa_forward_progress 1
		.amdhsa_inst_pref_size 0
		.amdhsa_round_robin_scheduling 0
		.amdhsa_exception_fp_ieee_invalid_op 0
		.amdhsa_exception_fp_denorm_src 0
		.amdhsa_exception_fp_ieee_div_zero 0
		.amdhsa_exception_fp_ieee_overflow 0
		.amdhsa_exception_fp_ieee_underflow 0
		.amdhsa_exception_fp_ieee_inexact 0
		.amdhsa_exception_int_div_zero 0
	.end_amdhsa_kernel
	.section	.text._ZN7rocprim17ROCPRIM_400000_NS6detail17trampoline_kernelINS0_14default_configENS1_25partition_config_selectorILNS1_17partition_subalgoE8EN3c104HalfENS0_10empty_typeEbEEZZNS1_14partition_implILS5_8ELb0ES3_jPKS7_PS8_PKS8_NS0_5tupleIJPS7_S8_EEENSG_IJSD_SD_EEENS0_18inequality_wrapperIN6hipcub16HIPCUB_304000_NS8EqualityEEEPlJS8_EEE10hipError_tPvRmT3_T4_T5_T6_T7_T9_mT8_P12ihipStream_tbDpT10_ENKUlT_T0_E_clISt17integral_constantIbLb0EES19_EEDaS14_S15_EUlS14_E_NS1_11comp_targetILNS1_3genE5ELNS1_11target_archE942ELNS1_3gpuE9ELNS1_3repE0EEENS1_30default_config_static_selectorELNS0_4arch9wavefront6targetE0EEEvT1_,"axG",@progbits,_ZN7rocprim17ROCPRIM_400000_NS6detail17trampoline_kernelINS0_14default_configENS1_25partition_config_selectorILNS1_17partition_subalgoE8EN3c104HalfENS0_10empty_typeEbEEZZNS1_14partition_implILS5_8ELb0ES3_jPKS7_PS8_PKS8_NS0_5tupleIJPS7_S8_EEENSG_IJSD_SD_EEENS0_18inequality_wrapperIN6hipcub16HIPCUB_304000_NS8EqualityEEEPlJS8_EEE10hipError_tPvRmT3_T4_T5_T6_T7_T9_mT8_P12ihipStream_tbDpT10_ENKUlT_T0_E_clISt17integral_constantIbLb0EES19_EEDaS14_S15_EUlS14_E_NS1_11comp_targetILNS1_3genE5ELNS1_11target_archE942ELNS1_3gpuE9ELNS1_3repE0EEENS1_30default_config_static_selectorELNS0_4arch9wavefront6targetE0EEEvT1_,comdat
.Lfunc_end894:
	.size	_ZN7rocprim17ROCPRIM_400000_NS6detail17trampoline_kernelINS0_14default_configENS1_25partition_config_selectorILNS1_17partition_subalgoE8EN3c104HalfENS0_10empty_typeEbEEZZNS1_14partition_implILS5_8ELb0ES3_jPKS7_PS8_PKS8_NS0_5tupleIJPS7_S8_EEENSG_IJSD_SD_EEENS0_18inequality_wrapperIN6hipcub16HIPCUB_304000_NS8EqualityEEEPlJS8_EEE10hipError_tPvRmT3_T4_T5_T6_T7_T9_mT8_P12ihipStream_tbDpT10_ENKUlT_T0_E_clISt17integral_constantIbLb0EES19_EEDaS14_S15_EUlS14_E_NS1_11comp_targetILNS1_3genE5ELNS1_11target_archE942ELNS1_3gpuE9ELNS1_3repE0EEENS1_30default_config_static_selectorELNS0_4arch9wavefront6targetE0EEEvT1_, .Lfunc_end894-_ZN7rocprim17ROCPRIM_400000_NS6detail17trampoline_kernelINS0_14default_configENS1_25partition_config_selectorILNS1_17partition_subalgoE8EN3c104HalfENS0_10empty_typeEbEEZZNS1_14partition_implILS5_8ELb0ES3_jPKS7_PS8_PKS8_NS0_5tupleIJPS7_S8_EEENSG_IJSD_SD_EEENS0_18inequality_wrapperIN6hipcub16HIPCUB_304000_NS8EqualityEEEPlJS8_EEE10hipError_tPvRmT3_T4_T5_T6_T7_T9_mT8_P12ihipStream_tbDpT10_ENKUlT_T0_E_clISt17integral_constantIbLb0EES19_EEDaS14_S15_EUlS14_E_NS1_11comp_targetILNS1_3genE5ELNS1_11target_archE942ELNS1_3gpuE9ELNS1_3repE0EEENS1_30default_config_static_selectorELNS0_4arch9wavefront6targetE0EEEvT1_
                                        ; -- End function
	.set _ZN7rocprim17ROCPRIM_400000_NS6detail17trampoline_kernelINS0_14default_configENS1_25partition_config_selectorILNS1_17partition_subalgoE8EN3c104HalfENS0_10empty_typeEbEEZZNS1_14partition_implILS5_8ELb0ES3_jPKS7_PS8_PKS8_NS0_5tupleIJPS7_S8_EEENSG_IJSD_SD_EEENS0_18inequality_wrapperIN6hipcub16HIPCUB_304000_NS8EqualityEEEPlJS8_EEE10hipError_tPvRmT3_T4_T5_T6_T7_T9_mT8_P12ihipStream_tbDpT10_ENKUlT_T0_E_clISt17integral_constantIbLb0EES19_EEDaS14_S15_EUlS14_E_NS1_11comp_targetILNS1_3genE5ELNS1_11target_archE942ELNS1_3gpuE9ELNS1_3repE0EEENS1_30default_config_static_selectorELNS0_4arch9wavefront6targetE0EEEvT1_.num_vgpr, 0
	.set _ZN7rocprim17ROCPRIM_400000_NS6detail17trampoline_kernelINS0_14default_configENS1_25partition_config_selectorILNS1_17partition_subalgoE8EN3c104HalfENS0_10empty_typeEbEEZZNS1_14partition_implILS5_8ELb0ES3_jPKS7_PS8_PKS8_NS0_5tupleIJPS7_S8_EEENSG_IJSD_SD_EEENS0_18inequality_wrapperIN6hipcub16HIPCUB_304000_NS8EqualityEEEPlJS8_EEE10hipError_tPvRmT3_T4_T5_T6_T7_T9_mT8_P12ihipStream_tbDpT10_ENKUlT_T0_E_clISt17integral_constantIbLb0EES19_EEDaS14_S15_EUlS14_E_NS1_11comp_targetILNS1_3genE5ELNS1_11target_archE942ELNS1_3gpuE9ELNS1_3repE0EEENS1_30default_config_static_selectorELNS0_4arch9wavefront6targetE0EEEvT1_.num_agpr, 0
	.set _ZN7rocprim17ROCPRIM_400000_NS6detail17trampoline_kernelINS0_14default_configENS1_25partition_config_selectorILNS1_17partition_subalgoE8EN3c104HalfENS0_10empty_typeEbEEZZNS1_14partition_implILS5_8ELb0ES3_jPKS7_PS8_PKS8_NS0_5tupleIJPS7_S8_EEENSG_IJSD_SD_EEENS0_18inequality_wrapperIN6hipcub16HIPCUB_304000_NS8EqualityEEEPlJS8_EEE10hipError_tPvRmT3_T4_T5_T6_T7_T9_mT8_P12ihipStream_tbDpT10_ENKUlT_T0_E_clISt17integral_constantIbLb0EES19_EEDaS14_S15_EUlS14_E_NS1_11comp_targetILNS1_3genE5ELNS1_11target_archE942ELNS1_3gpuE9ELNS1_3repE0EEENS1_30default_config_static_selectorELNS0_4arch9wavefront6targetE0EEEvT1_.numbered_sgpr, 0
	.set _ZN7rocprim17ROCPRIM_400000_NS6detail17trampoline_kernelINS0_14default_configENS1_25partition_config_selectorILNS1_17partition_subalgoE8EN3c104HalfENS0_10empty_typeEbEEZZNS1_14partition_implILS5_8ELb0ES3_jPKS7_PS8_PKS8_NS0_5tupleIJPS7_S8_EEENSG_IJSD_SD_EEENS0_18inequality_wrapperIN6hipcub16HIPCUB_304000_NS8EqualityEEEPlJS8_EEE10hipError_tPvRmT3_T4_T5_T6_T7_T9_mT8_P12ihipStream_tbDpT10_ENKUlT_T0_E_clISt17integral_constantIbLb0EES19_EEDaS14_S15_EUlS14_E_NS1_11comp_targetILNS1_3genE5ELNS1_11target_archE942ELNS1_3gpuE9ELNS1_3repE0EEENS1_30default_config_static_selectorELNS0_4arch9wavefront6targetE0EEEvT1_.num_named_barrier, 0
	.set _ZN7rocprim17ROCPRIM_400000_NS6detail17trampoline_kernelINS0_14default_configENS1_25partition_config_selectorILNS1_17partition_subalgoE8EN3c104HalfENS0_10empty_typeEbEEZZNS1_14partition_implILS5_8ELb0ES3_jPKS7_PS8_PKS8_NS0_5tupleIJPS7_S8_EEENSG_IJSD_SD_EEENS0_18inequality_wrapperIN6hipcub16HIPCUB_304000_NS8EqualityEEEPlJS8_EEE10hipError_tPvRmT3_T4_T5_T6_T7_T9_mT8_P12ihipStream_tbDpT10_ENKUlT_T0_E_clISt17integral_constantIbLb0EES19_EEDaS14_S15_EUlS14_E_NS1_11comp_targetILNS1_3genE5ELNS1_11target_archE942ELNS1_3gpuE9ELNS1_3repE0EEENS1_30default_config_static_selectorELNS0_4arch9wavefront6targetE0EEEvT1_.private_seg_size, 0
	.set _ZN7rocprim17ROCPRIM_400000_NS6detail17trampoline_kernelINS0_14default_configENS1_25partition_config_selectorILNS1_17partition_subalgoE8EN3c104HalfENS0_10empty_typeEbEEZZNS1_14partition_implILS5_8ELb0ES3_jPKS7_PS8_PKS8_NS0_5tupleIJPS7_S8_EEENSG_IJSD_SD_EEENS0_18inequality_wrapperIN6hipcub16HIPCUB_304000_NS8EqualityEEEPlJS8_EEE10hipError_tPvRmT3_T4_T5_T6_T7_T9_mT8_P12ihipStream_tbDpT10_ENKUlT_T0_E_clISt17integral_constantIbLb0EES19_EEDaS14_S15_EUlS14_E_NS1_11comp_targetILNS1_3genE5ELNS1_11target_archE942ELNS1_3gpuE9ELNS1_3repE0EEENS1_30default_config_static_selectorELNS0_4arch9wavefront6targetE0EEEvT1_.uses_vcc, 0
	.set _ZN7rocprim17ROCPRIM_400000_NS6detail17trampoline_kernelINS0_14default_configENS1_25partition_config_selectorILNS1_17partition_subalgoE8EN3c104HalfENS0_10empty_typeEbEEZZNS1_14partition_implILS5_8ELb0ES3_jPKS7_PS8_PKS8_NS0_5tupleIJPS7_S8_EEENSG_IJSD_SD_EEENS0_18inequality_wrapperIN6hipcub16HIPCUB_304000_NS8EqualityEEEPlJS8_EEE10hipError_tPvRmT3_T4_T5_T6_T7_T9_mT8_P12ihipStream_tbDpT10_ENKUlT_T0_E_clISt17integral_constantIbLb0EES19_EEDaS14_S15_EUlS14_E_NS1_11comp_targetILNS1_3genE5ELNS1_11target_archE942ELNS1_3gpuE9ELNS1_3repE0EEENS1_30default_config_static_selectorELNS0_4arch9wavefront6targetE0EEEvT1_.uses_flat_scratch, 0
	.set _ZN7rocprim17ROCPRIM_400000_NS6detail17trampoline_kernelINS0_14default_configENS1_25partition_config_selectorILNS1_17partition_subalgoE8EN3c104HalfENS0_10empty_typeEbEEZZNS1_14partition_implILS5_8ELb0ES3_jPKS7_PS8_PKS8_NS0_5tupleIJPS7_S8_EEENSG_IJSD_SD_EEENS0_18inequality_wrapperIN6hipcub16HIPCUB_304000_NS8EqualityEEEPlJS8_EEE10hipError_tPvRmT3_T4_T5_T6_T7_T9_mT8_P12ihipStream_tbDpT10_ENKUlT_T0_E_clISt17integral_constantIbLb0EES19_EEDaS14_S15_EUlS14_E_NS1_11comp_targetILNS1_3genE5ELNS1_11target_archE942ELNS1_3gpuE9ELNS1_3repE0EEENS1_30default_config_static_selectorELNS0_4arch9wavefront6targetE0EEEvT1_.has_dyn_sized_stack, 0
	.set _ZN7rocprim17ROCPRIM_400000_NS6detail17trampoline_kernelINS0_14default_configENS1_25partition_config_selectorILNS1_17partition_subalgoE8EN3c104HalfENS0_10empty_typeEbEEZZNS1_14partition_implILS5_8ELb0ES3_jPKS7_PS8_PKS8_NS0_5tupleIJPS7_S8_EEENSG_IJSD_SD_EEENS0_18inequality_wrapperIN6hipcub16HIPCUB_304000_NS8EqualityEEEPlJS8_EEE10hipError_tPvRmT3_T4_T5_T6_T7_T9_mT8_P12ihipStream_tbDpT10_ENKUlT_T0_E_clISt17integral_constantIbLb0EES19_EEDaS14_S15_EUlS14_E_NS1_11comp_targetILNS1_3genE5ELNS1_11target_archE942ELNS1_3gpuE9ELNS1_3repE0EEENS1_30default_config_static_selectorELNS0_4arch9wavefront6targetE0EEEvT1_.has_recursion, 0
	.set _ZN7rocprim17ROCPRIM_400000_NS6detail17trampoline_kernelINS0_14default_configENS1_25partition_config_selectorILNS1_17partition_subalgoE8EN3c104HalfENS0_10empty_typeEbEEZZNS1_14partition_implILS5_8ELb0ES3_jPKS7_PS8_PKS8_NS0_5tupleIJPS7_S8_EEENSG_IJSD_SD_EEENS0_18inequality_wrapperIN6hipcub16HIPCUB_304000_NS8EqualityEEEPlJS8_EEE10hipError_tPvRmT3_T4_T5_T6_T7_T9_mT8_P12ihipStream_tbDpT10_ENKUlT_T0_E_clISt17integral_constantIbLb0EES19_EEDaS14_S15_EUlS14_E_NS1_11comp_targetILNS1_3genE5ELNS1_11target_archE942ELNS1_3gpuE9ELNS1_3repE0EEENS1_30default_config_static_selectorELNS0_4arch9wavefront6targetE0EEEvT1_.has_indirect_call, 0
	.section	.AMDGPU.csdata,"",@progbits
; Kernel info:
; codeLenInByte = 0
; TotalNumSgprs: 0
; NumVgprs: 0
; ScratchSize: 0
; MemoryBound: 0
; FloatMode: 240
; IeeeMode: 1
; LDSByteSize: 0 bytes/workgroup (compile time only)
; SGPRBlocks: 0
; VGPRBlocks: 0
; NumSGPRsForWavesPerEU: 1
; NumVGPRsForWavesPerEU: 1
; NamedBarCnt: 0
; Occupancy: 16
; WaveLimiterHint : 0
; COMPUTE_PGM_RSRC2:SCRATCH_EN: 0
; COMPUTE_PGM_RSRC2:USER_SGPR: 2
; COMPUTE_PGM_RSRC2:TRAP_HANDLER: 0
; COMPUTE_PGM_RSRC2:TGID_X_EN: 1
; COMPUTE_PGM_RSRC2:TGID_Y_EN: 0
; COMPUTE_PGM_RSRC2:TGID_Z_EN: 0
; COMPUTE_PGM_RSRC2:TIDIG_COMP_CNT: 0
	.section	.text._ZN7rocprim17ROCPRIM_400000_NS6detail17trampoline_kernelINS0_14default_configENS1_25partition_config_selectorILNS1_17partition_subalgoE8EN3c104HalfENS0_10empty_typeEbEEZZNS1_14partition_implILS5_8ELb0ES3_jPKS7_PS8_PKS8_NS0_5tupleIJPS7_S8_EEENSG_IJSD_SD_EEENS0_18inequality_wrapperIN6hipcub16HIPCUB_304000_NS8EqualityEEEPlJS8_EEE10hipError_tPvRmT3_T4_T5_T6_T7_T9_mT8_P12ihipStream_tbDpT10_ENKUlT_T0_E_clISt17integral_constantIbLb0EES19_EEDaS14_S15_EUlS14_E_NS1_11comp_targetILNS1_3genE4ELNS1_11target_archE910ELNS1_3gpuE8ELNS1_3repE0EEENS1_30default_config_static_selectorELNS0_4arch9wavefront6targetE0EEEvT1_,"axG",@progbits,_ZN7rocprim17ROCPRIM_400000_NS6detail17trampoline_kernelINS0_14default_configENS1_25partition_config_selectorILNS1_17partition_subalgoE8EN3c104HalfENS0_10empty_typeEbEEZZNS1_14partition_implILS5_8ELb0ES3_jPKS7_PS8_PKS8_NS0_5tupleIJPS7_S8_EEENSG_IJSD_SD_EEENS0_18inequality_wrapperIN6hipcub16HIPCUB_304000_NS8EqualityEEEPlJS8_EEE10hipError_tPvRmT3_T4_T5_T6_T7_T9_mT8_P12ihipStream_tbDpT10_ENKUlT_T0_E_clISt17integral_constantIbLb0EES19_EEDaS14_S15_EUlS14_E_NS1_11comp_targetILNS1_3genE4ELNS1_11target_archE910ELNS1_3gpuE8ELNS1_3repE0EEENS1_30default_config_static_selectorELNS0_4arch9wavefront6targetE0EEEvT1_,comdat
	.protected	_ZN7rocprim17ROCPRIM_400000_NS6detail17trampoline_kernelINS0_14default_configENS1_25partition_config_selectorILNS1_17partition_subalgoE8EN3c104HalfENS0_10empty_typeEbEEZZNS1_14partition_implILS5_8ELb0ES3_jPKS7_PS8_PKS8_NS0_5tupleIJPS7_S8_EEENSG_IJSD_SD_EEENS0_18inequality_wrapperIN6hipcub16HIPCUB_304000_NS8EqualityEEEPlJS8_EEE10hipError_tPvRmT3_T4_T5_T6_T7_T9_mT8_P12ihipStream_tbDpT10_ENKUlT_T0_E_clISt17integral_constantIbLb0EES19_EEDaS14_S15_EUlS14_E_NS1_11comp_targetILNS1_3genE4ELNS1_11target_archE910ELNS1_3gpuE8ELNS1_3repE0EEENS1_30default_config_static_selectorELNS0_4arch9wavefront6targetE0EEEvT1_ ; -- Begin function _ZN7rocprim17ROCPRIM_400000_NS6detail17trampoline_kernelINS0_14default_configENS1_25partition_config_selectorILNS1_17partition_subalgoE8EN3c104HalfENS0_10empty_typeEbEEZZNS1_14partition_implILS5_8ELb0ES3_jPKS7_PS8_PKS8_NS0_5tupleIJPS7_S8_EEENSG_IJSD_SD_EEENS0_18inequality_wrapperIN6hipcub16HIPCUB_304000_NS8EqualityEEEPlJS8_EEE10hipError_tPvRmT3_T4_T5_T6_T7_T9_mT8_P12ihipStream_tbDpT10_ENKUlT_T0_E_clISt17integral_constantIbLb0EES19_EEDaS14_S15_EUlS14_E_NS1_11comp_targetILNS1_3genE4ELNS1_11target_archE910ELNS1_3gpuE8ELNS1_3repE0EEENS1_30default_config_static_selectorELNS0_4arch9wavefront6targetE0EEEvT1_
	.globl	_ZN7rocprim17ROCPRIM_400000_NS6detail17trampoline_kernelINS0_14default_configENS1_25partition_config_selectorILNS1_17partition_subalgoE8EN3c104HalfENS0_10empty_typeEbEEZZNS1_14partition_implILS5_8ELb0ES3_jPKS7_PS8_PKS8_NS0_5tupleIJPS7_S8_EEENSG_IJSD_SD_EEENS0_18inequality_wrapperIN6hipcub16HIPCUB_304000_NS8EqualityEEEPlJS8_EEE10hipError_tPvRmT3_T4_T5_T6_T7_T9_mT8_P12ihipStream_tbDpT10_ENKUlT_T0_E_clISt17integral_constantIbLb0EES19_EEDaS14_S15_EUlS14_E_NS1_11comp_targetILNS1_3genE4ELNS1_11target_archE910ELNS1_3gpuE8ELNS1_3repE0EEENS1_30default_config_static_selectorELNS0_4arch9wavefront6targetE0EEEvT1_
	.p2align	8
	.type	_ZN7rocprim17ROCPRIM_400000_NS6detail17trampoline_kernelINS0_14default_configENS1_25partition_config_selectorILNS1_17partition_subalgoE8EN3c104HalfENS0_10empty_typeEbEEZZNS1_14partition_implILS5_8ELb0ES3_jPKS7_PS8_PKS8_NS0_5tupleIJPS7_S8_EEENSG_IJSD_SD_EEENS0_18inequality_wrapperIN6hipcub16HIPCUB_304000_NS8EqualityEEEPlJS8_EEE10hipError_tPvRmT3_T4_T5_T6_T7_T9_mT8_P12ihipStream_tbDpT10_ENKUlT_T0_E_clISt17integral_constantIbLb0EES19_EEDaS14_S15_EUlS14_E_NS1_11comp_targetILNS1_3genE4ELNS1_11target_archE910ELNS1_3gpuE8ELNS1_3repE0EEENS1_30default_config_static_selectorELNS0_4arch9wavefront6targetE0EEEvT1_,@function
_ZN7rocprim17ROCPRIM_400000_NS6detail17trampoline_kernelINS0_14default_configENS1_25partition_config_selectorILNS1_17partition_subalgoE8EN3c104HalfENS0_10empty_typeEbEEZZNS1_14partition_implILS5_8ELb0ES3_jPKS7_PS8_PKS8_NS0_5tupleIJPS7_S8_EEENSG_IJSD_SD_EEENS0_18inequality_wrapperIN6hipcub16HIPCUB_304000_NS8EqualityEEEPlJS8_EEE10hipError_tPvRmT3_T4_T5_T6_T7_T9_mT8_P12ihipStream_tbDpT10_ENKUlT_T0_E_clISt17integral_constantIbLb0EES19_EEDaS14_S15_EUlS14_E_NS1_11comp_targetILNS1_3genE4ELNS1_11target_archE910ELNS1_3gpuE8ELNS1_3repE0EEENS1_30default_config_static_selectorELNS0_4arch9wavefront6targetE0EEEvT1_: ; @_ZN7rocprim17ROCPRIM_400000_NS6detail17trampoline_kernelINS0_14default_configENS1_25partition_config_selectorILNS1_17partition_subalgoE8EN3c104HalfENS0_10empty_typeEbEEZZNS1_14partition_implILS5_8ELb0ES3_jPKS7_PS8_PKS8_NS0_5tupleIJPS7_S8_EEENSG_IJSD_SD_EEENS0_18inequality_wrapperIN6hipcub16HIPCUB_304000_NS8EqualityEEEPlJS8_EEE10hipError_tPvRmT3_T4_T5_T6_T7_T9_mT8_P12ihipStream_tbDpT10_ENKUlT_T0_E_clISt17integral_constantIbLb0EES19_EEDaS14_S15_EUlS14_E_NS1_11comp_targetILNS1_3genE4ELNS1_11target_archE910ELNS1_3gpuE8ELNS1_3repE0EEENS1_30default_config_static_selectorELNS0_4arch9wavefront6targetE0EEEvT1_
; %bb.0:
	.section	.rodata,"a",@progbits
	.p2align	6, 0x0
	.amdhsa_kernel _ZN7rocprim17ROCPRIM_400000_NS6detail17trampoline_kernelINS0_14default_configENS1_25partition_config_selectorILNS1_17partition_subalgoE8EN3c104HalfENS0_10empty_typeEbEEZZNS1_14partition_implILS5_8ELb0ES3_jPKS7_PS8_PKS8_NS0_5tupleIJPS7_S8_EEENSG_IJSD_SD_EEENS0_18inequality_wrapperIN6hipcub16HIPCUB_304000_NS8EqualityEEEPlJS8_EEE10hipError_tPvRmT3_T4_T5_T6_T7_T9_mT8_P12ihipStream_tbDpT10_ENKUlT_T0_E_clISt17integral_constantIbLb0EES19_EEDaS14_S15_EUlS14_E_NS1_11comp_targetILNS1_3genE4ELNS1_11target_archE910ELNS1_3gpuE8ELNS1_3repE0EEENS1_30default_config_static_selectorELNS0_4arch9wavefront6targetE0EEEvT1_
		.amdhsa_group_segment_fixed_size 0
		.amdhsa_private_segment_fixed_size 0
		.amdhsa_kernarg_size 112
		.amdhsa_user_sgpr_count 2
		.amdhsa_user_sgpr_dispatch_ptr 0
		.amdhsa_user_sgpr_queue_ptr 0
		.amdhsa_user_sgpr_kernarg_segment_ptr 1
		.amdhsa_user_sgpr_dispatch_id 0
		.amdhsa_user_sgpr_kernarg_preload_length 0
		.amdhsa_user_sgpr_kernarg_preload_offset 0
		.amdhsa_user_sgpr_private_segment_size 0
		.amdhsa_wavefront_size32 1
		.amdhsa_uses_dynamic_stack 0
		.amdhsa_enable_private_segment 0
		.amdhsa_system_sgpr_workgroup_id_x 1
		.amdhsa_system_sgpr_workgroup_id_y 0
		.amdhsa_system_sgpr_workgroup_id_z 0
		.amdhsa_system_sgpr_workgroup_info 0
		.amdhsa_system_vgpr_workitem_id 0
		.amdhsa_next_free_vgpr 1
		.amdhsa_next_free_sgpr 1
		.amdhsa_named_barrier_count 0
		.amdhsa_reserve_vcc 0
		.amdhsa_float_round_mode_32 0
		.amdhsa_float_round_mode_16_64 0
		.amdhsa_float_denorm_mode_32 3
		.amdhsa_float_denorm_mode_16_64 3
		.amdhsa_fp16_overflow 0
		.amdhsa_memory_ordered 1
		.amdhsa_forward_progress 1
		.amdhsa_inst_pref_size 0
		.amdhsa_round_robin_scheduling 0
		.amdhsa_exception_fp_ieee_invalid_op 0
		.amdhsa_exception_fp_denorm_src 0
		.amdhsa_exception_fp_ieee_div_zero 0
		.amdhsa_exception_fp_ieee_overflow 0
		.amdhsa_exception_fp_ieee_underflow 0
		.amdhsa_exception_fp_ieee_inexact 0
		.amdhsa_exception_int_div_zero 0
	.end_amdhsa_kernel
	.section	.text._ZN7rocprim17ROCPRIM_400000_NS6detail17trampoline_kernelINS0_14default_configENS1_25partition_config_selectorILNS1_17partition_subalgoE8EN3c104HalfENS0_10empty_typeEbEEZZNS1_14partition_implILS5_8ELb0ES3_jPKS7_PS8_PKS8_NS0_5tupleIJPS7_S8_EEENSG_IJSD_SD_EEENS0_18inequality_wrapperIN6hipcub16HIPCUB_304000_NS8EqualityEEEPlJS8_EEE10hipError_tPvRmT3_T4_T5_T6_T7_T9_mT8_P12ihipStream_tbDpT10_ENKUlT_T0_E_clISt17integral_constantIbLb0EES19_EEDaS14_S15_EUlS14_E_NS1_11comp_targetILNS1_3genE4ELNS1_11target_archE910ELNS1_3gpuE8ELNS1_3repE0EEENS1_30default_config_static_selectorELNS0_4arch9wavefront6targetE0EEEvT1_,"axG",@progbits,_ZN7rocprim17ROCPRIM_400000_NS6detail17trampoline_kernelINS0_14default_configENS1_25partition_config_selectorILNS1_17partition_subalgoE8EN3c104HalfENS0_10empty_typeEbEEZZNS1_14partition_implILS5_8ELb0ES3_jPKS7_PS8_PKS8_NS0_5tupleIJPS7_S8_EEENSG_IJSD_SD_EEENS0_18inequality_wrapperIN6hipcub16HIPCUB_304000_NS8EqualityEEEPlJS8_EEE10hipError_tPvRmT3_T4_T5_T6_T7_T9_mT8_P12ihipStream_tbDpT10_ENKUlT_T0_E_clISt17integral_constantIbLb0EES19_EEDaS14_S15_EUlS14_E_NS1_11comp_targetILNS1_3genE4ELNS1_11target_archE910ELNS1_3gpuE8ELNS1_3repE0EEENS1_30default_config_static_selectorELNS0_4arch9wavefront6targetE0EEEvT1_,comdat
.Lfunc_end895:
	.size	_ZN7rocprim17ROCPRIM_400000_NS6detail17trampoline_kernelINS0_14default_configENS1_25partition_config_selectorILNS1_17partition_subalgoE8EN3c104HalfENS0_10empty_typeEbEEZZNS1_14partition_implILS5_8ELb0ES3_jPKS7_PS8_PKS8_NS0_5tupleIJPS7_S8_EEENSG_IJSD_SD_EEENS0_18inequality_wrapperIN6hipcub16HIPCUB_304000_NS8EqualityEEEPlJS8_EEE10hipError_tPvRmT3_T4_T5_T6_T7_T9_mT8_P12ihipStream_tbDpT10_ENKUlT_T0_E_clISt17integral_constantIbLb0EES19_EEDaS14_S15_EUlS14_E_NS1_11comp_targetILNS1_3genE4ELNS1_11target_archE910ELNS1_3gpuE8ELNS1_3repE0EEENS1_30default_config_static_selectorELNS0_4arch9wavefront6targetE0EEEvT1_, .Lfunc_end895-_ZN7rocprim17ROCPRIM_400000_NS6detail17trampoline_kernelINS0_14default_configENS1_25partition_config_selectorILNS1_17partition_subalgoE8EN3c104HalfENS0_10empty_typeEbEEZZNS1_14partition_implILS5_8ELb0ES3_jPKS7_PS8_PKS8_NS0_5tupleIJPS7_S8_EEENSG_IJSD_SD_EEENS0_18inequality_wrapperIN6hipcub16HIPCUB_304000_NS8EqualityEEEPlJS8_EEE10hipError_tPvRmT3_T4_T5_T6_T7_T9_mT8_P12ihipStream_tbDpT10_ENKUlT_T0_E_clISt17integral_constantIbLb0EES19_EEDaS14_S15_EUlS14_E_NS1_11comp_targetILNS1_3genE4ELNS1_11target_archE910ELNS1_3gpuE8ELNS1_3repE0EEENS1_30default_config_static_selectorELNS0_4arch9wavefront6targetE0EEEvT1_
                                        ; -- End function
	.set _ZN7rocprim17ROCPRIM_400000_NS6detail17trampoline_kernelINS0_14default_configENS1_25partition_config_selectorILNS1_17partition_subalgoE8EN3c104HalfENS0_10empty_typeEbEEZZNS1_14partition_implILS5_8ELb0ES3_jPKS7_PS8_PKS8_NS0_5tupleIJPS7_S8_EEENSG_IJSD_SD_EEENS0_18inequality_wrapperIN6hipcub16HIPCUB_304000_NS8EqualityEEEPlJS8_EEE10hipError_tPvRmT3_T4_T5_T6_T7_T9_mT8_P12ihipStream_tbDpT10_ENKUlT_T0_E_clISt17integral_constantIbLb0EES19_EEDaS14_S15_EUlS14_E_NS1_11comp_targetILNS1_3genE4ELNS1_11target_archE910ELNS1_3gpuE8ELNS1_3repE0EEENS1_30default_config_static_selectorELNS0_4arch9wavefront6targetE0EEEvT1_.num_vgpr, 0
	.set _ZN7rocprim17ROCPRIM_400000_NS6detail17trampoline_kernelINS0_14default_configENS1_25partition_config_selectorILNS1_17partition_subalgoE8EN3c104HalfENS0_10empty_typeEbEEZZNS1_14partition_implILS5_8ELb0ES3_jPKS7_PS8_PKS8_NS0_5tupleIJPS7_S8_EEENSG_IJSD_SD_EEENS0_18inequality_wrapperIN6hipcub16HIPCUB_304000_NS8EqualityEEEPlJS8_EEE10hipError_tPvRmT3_T4_T5_T6_T7_T9_mT8_P12ihipStream_tbDpT10_ENKUlT_T0_E_clISt17integral_constantIbLb0EES19_EEDaS14_S15_EUlS14_E_NS1_11comp_targetILNS1_3genE4ELNS1_11target_archE910ELNS1_3gpuE8ELNS1_3repE0EEENS1_30default_config_static_selectorELNS0_4arch9wavefront6targetE0EEEvT1_.num_agpr, 0
	.set _ZN7rocprim17ROCPRIM_400000_NS6detail17trampoline_kernelINS0_14default_configENS1_25partition_config_selectorILNS1_17partition_subalgoE8EN3c104HalfENS0_10empty_typeEbEEZZNS1_14partition_implILS5_8ELb0ES3_jPKS7_PS8_PKS8_NS0_5tupleIJPS7_S8_EEENSG_IJSD_SD_EEENS0_18inequality_wrapperIN6hipcub16HIPCUB_304000_NS8EqualityEEEPlJS8_EEE10hipError_tPvRmT3_T4_T5_T6_T7_T9_mT8_P12ihipStream_tbDpT10_ENKUlT_T0_E_clISt17integral_constantIbLb0EES19_EEDaS14_S15_EUlS14_E_NS1_11comp_targetILNS1_3genE4ELNS1_11target_archE910ELNS1_3gpuE8ELNS1_3repE0EEENS1_30default_config_static_selectorELNS0_4arch9wavefront6targetE0EEEvT1_.numbered_sgpr, 0
	.set _ZN7rocprim17ROCPRIM_400000_NS6detail17trampoline_kernelINS0_14default_configENS1_25partition_config_selectorILNS1_17partition_subalgoE8EN3c104HalfENS0_10empty_typeEbEEZZNS1_14partition_implILS5_8ELb0ES3_jPKS7_PS8_PKS8_NS0_5tupleIJPS7_S8_EEENSG_IJSD_SD_EEENS0_18inequality_wrapperIN6hipcub16HIPCUB_304000_NS8EqualityEEEPlJS8_EEE10hipError_tPvRmT3_T4_T5_T6_T7_T9_mT8_P12ihipStream_tbDpT10_ENKUlT_T0_E_clISt17integral_constantIbLb0EES19_EEDaS14_S15_EUlS14_E_NS1_11comp_targetILNS1_3genE4ELNS1_11target_archE910ELNS1_3gpuE8ELNS1_3repE0EEENS1_30default_config_static_selectorELNS0_4arch9wavefront6targetE0EEEvT1_.num_named_barrier, 0
	.set _ZN7rocprim17ROCPRIM_400000_NS6detail17trampoline_kernelINS0_14default_configENS1_25partition_config_selectorILNS1_17partition_subalgoE8EN3c104HalfENS0_10empty_typeEbEEZZNS1_14partition_implILS5_8ELb0ES3_jPKS7_PS8_PKS8_NS0_5tupleIJPS7_S8_EEENSG_IJSD_SD_EEENS0_18inequality_wrapperIN6hipcub16HIPCUB_304000_NS8EqualityEEEPlJS8_EEE10hipError_tPvRmT3_T4_T5_T6_T7_T9_mT8_P12ihipStream_tbDpT10_ENKUlT_T0_E_clISt17integral_constantIbLb0EES19_EEDaS14_S15_EUlS14_E_NS1_11comp_targetILNS1_3genE4ELNS1_11target_archE910ELNS1_3gpuE8ELNS1_3repE0EEENS1_30default_config_static_selectorELNS0_4arch9wavefront6targetE0EEEvT1_.private_seg_size, 0
	.set _ZN7rocprim17ROCPRIM_400000_NS6detail17trampoline_kernelINS0_14default_configENS1_25partition_config_selectorILNS1_17partition_subalgoE8EN3c104HalfENS0_10empty_typeEbEEZZNS1_14partition_implILS5_8ELb0ES3_jPKS7_PS8_PKS8_NS0_5tupleIJPS7_S8_EEENSG_IJSD_SD_EEENS0_18inequality_wrapperIN6hipcub16HIPCUB_304000_NS8EqualityEEEPlJS8_EEE10hipError_tPvRmT3_T4_T5_T6_T7_T9_mT8_P12ihipStream_tbDpT10_ENKUlT_T0_E_clISt17integral_constantIbLb0EES19_EEDaS14_S15_EUlS14_E_NS1_11comp_targetILNS1_3genE4ELNS1_11target_archE910ELNS1_3gpuE8ELNS1_3repE0EEENS1_30default_config_static_selectorELNS0_4arch9wavefront6targetE0EEEvT1_.uses_vcc, 0
	.set _ZN7rocprim17ROCPRIM_400000_NS6detail17trampoline_kernelINS0_14default_configENS1_25partition_config_selectorILNS1_17partition_subalgoE8EN3c104HalfENS0_10empty_typeEbEEZZNS1_14partition_implILS5_8ELb0ES3_jPKS7_PS8_PKS8_NS0_5tupleIJPS7_S8_EEENSG_IJSD_SD_EEENS0_18inequality_wrapperIN6hipcub16HIPCUB_304000_NS8EqualityEEEPlJS8_EEE10hipError_tPvRmT3_T4_T5_T6_T7_T9_mT8_P12ihipStream_tbDpT10_ENKUlT_T0_E_clISt17integral_constantIbLb0EES19_EEDaS14_S15_EUlS14_E_NS1_11comp_targetILNS1_3genE4ELNS1_11target_archE910ELNS1_3gpuE8ELNS1_3repE0EEENS1_30default_config_static_selectorELNS0_4arch9wavefront6targetE0EEEvT1_.uses_flat_scratch, 0
	.set _ZN7rocprim17ROCPRIM_400000_NS6detail17trampoline_kernelINS0_14default_configENS1_25partition_config_selectorILNS1_17partition_subalgoE8EN3c104HalfENS0_10empty_typeEbEEZZNS1_14partition_implILS5_8ELb0ES3_jPKS7_PS8_PKS8_NS0_5tupleIJPS7_S8_EEENSG_IJSD_SD_EEENS0_18inequality_wrapperIN6hipcub16HIPCUB_304000_NS8EqualityEEEPlJS8_EEE10hipError_tPvRmT3_T4_T5_T6_T7_T9_mT8_P12ihipStream_tbDpT10_ENKUlT_T0_E_clISt17integral_constantIbLb0EES19_EEDaS14_S15_EUlS14_E_NS1_11comp_targetILNS1_3genE4ELNS1_11target_archE910ELNS1_3gpuE8ELNS1_3repE0EEENS1_30default_config_static_selectorELNS0_4arch9wavefront6targetE0EEEvT1_.has_dyn_sized_stack, 0
	.set _ZN7rocprim17ROCPRIM_400000_NS6detail17trampoline_kernelINS0_14default_configENS1_25partition_config_selectorILNS1_17partition_subalgoE8EN3c104HalfENS0_10empty_typeEbEEZZNS1_14partition_implILS5_8ELb0ES3_jPKS7_PS8_PKS8_NS0_5tupleIJPS7_S8_EEENSG_IJSD_SD_EEENS0_18inequality_wrapperIN6hipcub16HIPCUB_304000_NS8EqualityEEEPlJS8_EEE10hipError_tPvRmT3_T4_T5_T6_T7_T9_mT8_P12ihipStream_tbDpT10_ENKUlT_T0_E_clISt17integral_constantIbLb0EES19_EEDaS14_S15_EUlS14_E_NS1_11comp_targetILNS1_3genE4ELNS1_11target_archE910ELNS1_3gpuE8ELNS1_3repE0EEENS1_30default_config_static_selectorELNS0_4arch9wavefront6targetE0EEEvT1_.has_recursion, 0
	.set _ZN7rocprim17ROCPRIM_400000_NS6detail17trampoline_kernelINS0_14default_configENS1_25partition_config_selectorILNS1_17partition_subalgoE8EN3c104HalfENS0_10empty_typeEbEEZZNS1_14partition_implILS5_8ELb0ES3_jPKS7_PS8_PKS8_NS0_5tupleIJPS7_S8_EEENSG_IJSD_SD_EEENS0_18inequality_wrapperIN6hipcub16HIPCUB_304000_NS8EqualityEEEPlJS8_EEE10hipError_tPvRmT3_T4_T5_T6_T7_T9_mT8_P12ihipStream_tbDpT10_ENKUlT_T0_E_clISt17integral_constantIbLb0EES19_EEDaS14_S15_EUlS14_E_NS1_11comp_targetILNS1_3genE4ELNS1_11target_archE910ELNS1_3gpuE8ELNS1_3repE0EEENS1_30default_config_static_selectorELNS0_4arch9wavefront6targetE0EEEvT1_.has_indirect_call, 0
	.section	.AMDGPU.csdata,"",@progbits
; Kernel info:
; codeLenInByte = 0
; TotalNumSgprs: 0
; NumVgprs: 0
; ScratchSize: 0
; MemoryBound: 0
; FloatMode: 240
; IeeeMode: 1
; LDSByteSize: 0 bytes/workgroup (compile time only)
; SGPRBlocks: 0
; VGPRBlocks: 0
; NumSGPRsForWavesPerEU: 1
; NumVGPRsForWavesPerEU: 1
; NamedBarCnt: 0
; Occupancy: 16
; WaveLimiterHint : 0
; COMPUTE_PGM_RSRC2:SCRATCH_EN: 0
; COMPUTE_PGM_RSRC2:USER_SGPR: 2
; COMPUTE_PGM_RSRC2:TRAP_HANDLER: 0
; COMPUTE_PGM_RSRC2:TGID_X_EN: 1
; COMPUTE_PGM_RSRC2:TGID_Y_EN: 0
; COMPUTE_PGM_RSRC2:TGID_Z_EN: 0
; COMPUTE_PGM_RSRC2:TIDIG_COMP_CNT: 0
	.section	.text._ZN7rocprim17ROCPRIM_400000_NS6detail17trampoline_kernelINS0_14default_configENS1_25partition_config_selectorILNS1_17partition_subalgoE8EN3c104HalfENS0_10empty_typeEbEEZZNS1_14partition_implILS5_8ELb0ES3_jPKS7_PS8_PKS8_NS0_5tupleIJPS7_S8_EEENSG_IJSD_SD_EEENS0_18inequality_wrapperIN6hipcub16HIPCUB_304000_NS8EqualityEEEPlJS8_EEE10hipError_tPvRmT3_T4_T5_T6_T7_T9_mT8_P12ihipStream_tbDpT10_ENKUlT_T0_E_clISt17integral_constantIbLb0EES19_EEDaS14_S15_EUlS14_E_NS1_11comp_targetILNS1_3genE3ELNS1_11target_archE908ELNS1_3gpuE7ELNS1_3repE0EEENS1_30default_config_static_selectorELNS0_4arch9wavefront6targetE0EEEvT1_,"axG",@progbits,_ZN7rocprim17ROCPRIM_400000_NS6detail17trampoline_kernelINS0_14default_configENS1_25partition_config_selectorILNS1_17partition_subalgoE8EN3c104HalfENS0_10empty_typeEbEEZZNS1_14partition_implILS5_8ELb0ES3_jPKS7_PS8_PKS8_NS0_5tupleIJPS7_S8_EEENSG_IJSD_SD_EEENS0_18inequality_wrapperIN6hipcub16HIPCUB_304000_NS8EqualityEEEPlJS8_EEE10hipError_tPvRmT3_T4_T5_T6_T7_T9_mT8_P12ihipStream_tbDpT10_ENKUlT_T0_E_clISt17integral_constantIbLb0EES19_EEDaS14_S15_EUlS14_E_NS1_11comp_targetILNS1_3genE3ELNS1_11target_archE908ELNS1_3gpuE7ELNS1_3repE0EEENS1_30default_config_static_selectorELNS0_4arch9wavefront6targetE0EEEvT1_,comdat
	.protected	_ZN7rocprim17ROCPRIM_400000_NS6detail17trampoline_kernelINS0_14default_configENS1_25partition_config_selectorILNS1_17partition_subalgoE8EN3c104HalfENS0_10empty_typeEbEEZZNS1_14partition_implILS5_8ELb0ES3_jPKS7_PS8_PKS8_NS0_5tupleIJPS7_S8_EEENSG_IJSD_SD_EEENS0_18inequality_wrapperIN6hipcub16HIPCUB_304000_NS8EqualityEEEPlJS8_EEE10hipError_tPvRmT3_T4_T5_T6_T7_T9_mT8_P12ihipStream_tbDpT10_ENKUlT_T0_E_clISt17integral_constantIbLb0EES19_EEDaS14_S15_EUlS14_E_NS1_11comp_targetILNS1_3genE3ELNS1_11target_archE908ELNS1_3gpuE7ELNS1_3repE0EEENS1_30default_config_static_selectorELNS0_4arch9wavefront6targetE0EEEvT1_ ; -- Begin function _ZN7rocprim17ROCPRIM_400000_NS6detail17trampoline_kernelINS0_14default_configENS1_25partition_config_selectorILNS1_17partition_subalgoE8EN3c104HalfENS0_10empty_typeEbEEZZNS1_14partition_implILS5_8ELb0ES3_jPKS7_PS8_PKS8_NS0_5tupleIJPS7_S8_EEENSG_IJSD_SD_EEENS0_18inequality_wrapperIN6hipcub16HIPCUB_304000_NS8EqualityEEEPlJS8_EEE10hipError_tPvRmT3_T4_T5_T6_T7_T9_mT8_P12ihipStream_tbDpT10_ENKUlT_T0_E_clISt17integral_constantIbLb0EES19_EEDaS14_S15_EUlS14_E_NS1_11comp_targetILNS1_3genE3ELNS1_11target_archE908ELNS1_3gpuE7ELNS1_3repE0EEENS1_30default_config_static_selectorELNS0_4arch9wavefront6targetE0EEEvT1_
	.globl	_ZN7rocprim17ROCPRIM_400000_NS6detail17trampoline_kernelINS0_14default_configENS1_25partition_config_selectorILNS1_17partition_subalgoE8EN3c104HalfENS0_10empty_typeEbEEZZNS1_14partition_implILS5_8ELb0ES3_jPKS7_PS8_PKS8_NS0_5tupleIJPS7_S8_EEENSG_IJSD_SD_EEENS0_18inequality_wrapperIN6hipcub16HIPCUB_304000_NS8EqualityEEEPlJS8_EEE10hipError_tPvRmT3_T4_T5_T6_T7_T9_mT8_P12ihipStream_tbDpT10_ENKUlT_T0_E_clISt17integral_constantIbLb0EES19_EEDaS14_S15_EUlS14_E_NS1_11comp_targetILNS1_3genE3ELNS1_11target_archE908ELNS1_3gpuE7ELNS1_3repE0EEENS1_30default_config_static_selectorELNS0_4arch9wavefront6targetE0EEEvT1_
	.p2align	8
	.type	_ZN7rocprim17ROCPRIM_400000_NS6detail17trampoline_kernelINS0_14default_configENS1_25partition_config_selectorILNS1_17partition_subalgoE8EN3c104HalfENS0_10empty_typeEbEEZZNS1_14partition_implILS5_8ELb0ES3_jPKS7_PS8_PKS8_NS0_5tupleIJPS7_S8_EEENSG_IJSD_SD_EEENS0_18inequality_wrapperIN6hipcub16HIPCUB_304000_NS8EqualityEEEPlJS8_EEE10hipError_tPvRmT3_T4_T5_T6_T7_T9_mT8_P12ihipStream_tbDpT10_ENKUlT_T0_E_clISt17integral_constantIbLb0EES19_EEDaS14_S15_EUlS14_E_NS1_11comp_targetILNS1_3genE3ELNS1_11target_archE908ELNS1_3gpuE7ELNS1_3repE0EEENS1_30default_config_static_selectorELNS0_4arch9wavefront6targetE0EEEvT1_,@function
_ZN7rocprim17ROCPRIM_400000_NS6detail17trampoline_kernelINS0_14default_configENS1_25partition_config_selectorILNS1_17partition_subalgoE8EN3c104HalfENS0_10empty_typeEbEEZZNS1_14partition_implILS5_8ELb0ES3_jPKS7_PS8_PKS8_NS0_5tupleIJPS7_S8_EEENSG_IJSD_SD_EEENS0_18inequality_wrapperIN6hipcub16HIPCUB_304000_NS8EqualityEEEPlJS8_EEE10hipError_tPvRmT3_T4_T5_T6_T7_T9_mT8_P12ihipStream_tbDpT10_ENKUlT_T0_E_clISt17integral_constantIbLb0EES19_EEDaS14_S15_EUlS14_E_NS1_11comp_targetILNS1_3genE3ELNS1_11target_archE908ELNS1_3gpuE7ELNS1_3repE0EEENS1_30default_config_static_selectorELNS0_4arch9wavefront6targetE0EEEvT1_: ; @_ZN7rocprim17ROCPRIM_400000_NS6detail17trampoline_kernelINS0_14default_configENS1_25partition_config_selectorILNS1_17partition_subalgoE8EN3c104HalfENS0_10empty_typeEbEEZZNS1_14partition_implILS5_8ELb0ES3_jPKS7_PS8_PKS8_NS0_5tupleIJPS7_S8_EEENSG_IJSD_SD_EEENS0_18inequality_wrapperIN6hipcub16HIPCUB_304000_NS8EqualityEEEPlJS8_EEE10hipError_tPvRmT3_T4_T5_T6_T7_T9_mT8_P12ihipStream_tbDpT10_ENKUlT_T0_E_clISt17integral_constantIbLb0EES19_EEDaS14_S15_EUlS14_E_NS1_11comp_targetILNS1_3genE3ELNS1_11target_archE908ELNS1_3gpuE7ELNS1_3repE0EEENS1_30default_config_static_selectorELNS0_4arch9wavefront6targetE0EEEvT1_
; %bb.0:
	.section	.rodata,"a",@progbits
	.p2align	6, 0x0
	.amdhsa_kernel _ZN7rocprim17ROCPRIM_400000_NS6detail17trampoline_kernelINS0_14default_configENS1_25partition_config_selectorILNS1_17partition_subalgoE8EN3c104HalfENS0_10empty_typeEbEEZZNS1_14partition_implILS5_8ELb0ES3_jPKS7_PS8_PKS8_NS0_5tupleIJPS7_S8_EEENSG_IJSD_SD_EEENS0_18inequality_wrapperIN6hipcub16HIPCUB_304000_NS8EqualityEEEPlJS8_EEE10hipError_tPvRmT3_T4_T5_T6_T7_T9_mT8_P12ihipStream_tbDpT10_ENKUlT_T0_E_clISt17integral_constantIbLb0EES19_EEDaS14_S15_EUlS14_E_NS1_11comp_targetILNS1_3genE3ELNS1_11target_archE908ELNS1_3gpuE7ELNS1_3repE0EEENS1_30default_config_static_selectorELNS0_4arch9wavefront6targetE0EEEvT1_
		.amdhsa_group_segment_fixed_size 0
		.amdhsa_private_segment_fixed_size 0
		.amdhsa_kernarg_size 112
		.amdhsa_user_sgpr_count 2
		.amdhsa_user_sgpr_dispatch_ptr 0
		.amdhsa_user_sgpr_queue_ptr 0
		.amdhsa_user_sgpr_kernarg_segment_ptr 1
		.amdhsa_user_sgpr_dispatch_id 0
		.amdhsa_user_sgpr_kernarg_preload_length 0
		.amdhsa_user_sgpr_kernarg_preload_offset 0
		.amdhsa_user_sgpr_private_segment_size 0
		.amdhsa_wavefront_size32 1
		.amdhsa_uses_dynamic_stack 0
		.amdhsa_enable_private_segment 0
		.amdhsa_system_sgpr_workgroup_id_x 1
		.amdhsa_system_sgpr_workgroup_id_y 0
		.amdhsa_system_sgpr_workgroup_id_z 0
		.amdhsa_system_sgpr_workgroup_info 0
		.amdhsa_system_vgpr_workitem_id 0
		.amdhsa_next_free_vgpr 1
		.amdhsa_next_free_sgpr 1
		.amdhsa_named_barrier_count 0
		.amdhsa_reserve_vcc 0
		.amdhsa_float_round_mode_32 0
		.amdhsa_float_round_mode_16_64 0
		.amdhsa_float_denorm_mode_32 3
		.amdhsa_float_denorm_mode_16_64 3
		.amdhsa_fp16_overflow 0
		.amdhsa_memory_ordered 1
		.amdhsa_forward_progress 1
		.amdhsa_inst_pref_size 0
		.amdhsa_round_robin_scheduling 0
		.amdhsa_exception_fp_ieee_invalid_op 0
		.amdhsa_exception_fp_denorm_src 0
		.amdhsa_exception_fp_ieee_div_zero 0
		.amdhsa_exception_fp_ieee_overflow 0
		.amdhsa_exception_fp_ieee_underflow 0
		.amdhsa_exception_fp_ieee_inexact 0
		.amdhsa_exception_int_div_zero 0
	.end_amdhsa_kernel
	.section	.text._ZN7rocprim17ROCPRIM_400000_NS6detail17trampoline_kernelINS0_14default_configENS1_25partition_config_selectorILNS1_17partition_subalgoE8EN3c104HalfENS0_10empty_typeEbEEZZNS1_14partition_implILS5_8ELb0ES3_jPKS7_PS8_PKS8_NS0_5tupleIJPS7_S8_EEENSG_IJSD_SD_EEENS0_18inequality_wrapperIN6hipcub16HIPCUB_304000_NS8EqualityEEEPlJS8_EEE10hipError_tPvRmT3_T4_T5_T6_T7_T9_mT8_P12ihipStream_tbDpT10_ENKUlT_T0_E_clISt17integral_constantIbLb0EES19_EEDaS14_S15_EUlS14_E_NS1_11comp_targetILNS1_3genE3ELNS1_11target_archE908ELNS1_3gpuE7ELNS1_3repE0EEENS1_30default_config_static_selectorELNS0_4arch9wavefront6targetE0EEEvT1_,"axG",@progbits,_ZN7rocprim17ROCPRIM_400000_NS6detail17trampoline_kernelINS0_14default_configENS1_25partition_config_selectorILNS1_17partition_subalgoE8EN3c104HalfENS0_10empty_typeEbEEZZNS1_14partition_implILS5_8ELb0ES3_jPKS7_PS8_PKS8_NS0_5tupleIJPS7_S8_EEENSG_IJSD_SD_EEENS0_18inequality_wrapperIN6hipcub16HIPCUB_304000_NS8EqualityEEEPlJS8_EEE10hipError_tPvRmT3_T4_T5_T6_T7_T9_mT8_P12ihipStream_tbDpT10_ENKUlT_T0_E_clISt17integral_constantIbLb0EES19_EEDaS14_S15_EUlS14_E_NS1_11comp_targetILNS1_3genE3ELNS1_11target_archE908ELNS1_3gpuE7ELNS1_3repE0EEENS1_30default_config_static_selectorELNS0_4arch9wavefront6targetE0EEEvT1_,comdat
.Lfunc_end896:
	.size	_ZN7rocprim17ROCPRIM_400000_NS6detail17trampoline_kernelINS0_14default_configENS1_25partition_config_selectorILNS1_17partition_subalgoE8EN3c104HalfENS0_10empty_typeEbEEZZNS1_14partition_implILS5_8ELb0ES3_jPKS7_PS8_PKS8_NS0_5tupleIJPS7_S8_EEENSG_IJSD_SD_EEENS0_18inequality_wrapperIN6hipcub16HIPCUB_304000_NS8EqualityEEEPlJS8_EEE10hipError_tPvRmT3_T4_T5_T6_T7_T9_mT8_P12ihipStream_tbDpT10_ENKUlT_T0_E_clISt17integral_constantIbLb0EES19_EEDaS14_S15_EUlS14_E_NS1_11comp_targetILNS1_3genE3ELNS1_11target_archE908ELNS1_3gpuE7ELNS1_3repE0EEENS1_30default_config_static_selectorELNS0_4arch9wavefront6targetE0EEEvT1_, .Lfunc_end896-_ZN7rocprim17ROCPRIM_400000_NS6detail17trampoline_kernelINS0_14default_configENS1_25partition_config_selectorILNS1_17partition_subalgoE8EN3c104HalfENS0_10empty_typeEbEEZZNS1_14partition_implILS5_8ELb0ES3_jPKS7_PS8_PKS8_NS0_5tupleIJPS7_S8_EEENSG_IJSD_SD_EEENS0_18inequality_wrapperIN6hipcub16HIPCUB_304000_NS8EqualityEEEPlJS8_EEE10hipError_tPvRmT3_T4_T5_T6_T7_T9_mT8_P12ihipStream_tbDpT10_ENKUlT_T0_E_clISt17integral_constantIbLb0EES19_EEDaS14_S15_EUlS14_E_NS1_11comp_targetILNS1_3genE3ELNS1_11target_archE908ELNS1_3gpuE7ELNS1_3repE0EEENS1_30default_config_static_selectorELNS0_4arch9wavefront6targetE0EEEvT1_
                                        ; -- End function
	.set _ZN7rocprim17ROCPRIM_400000_NS6detail17trampoline_kernelINS0_14default_configENS1_25partition_config_selectorILNS1_17partition_subalgoE8EN3c104HalfENS0_10empty_typeEbEEZZNS1_14partition_implILS5_8ELb0ES3_jPKS7_PS8_PKS8_NS0_5tupleIJPS7_S8_EEENSG_IJSD_SD_EEENS0_18inequality_wrapperIN6hipcub16HIPCUB_304000_NS8EqualityEEEPlJS8_EEE10hipError_tPvRmT3_T4_T5_T6_T7_T9_mT8_P12ihipStream_tbDpT10_ENKUlT_T0_E_clISt17integral_constantIbLb0EES19_EEDaS14_S15_EUlS14_E_NS1_11comp_targetILNS1_3genE3ELNS1_11target_archE908ELNS1_3gpuE7ELNS1_3repE0EEENS1_30default_config_static_selectorELNS0_4arch9wavefront6targetE0EEEvT1_.num_vgpr, 0
	.set _ZN7rocprim17ROCPRIM_400000_NS6detail17trampoline_kernelINS0_14default_configENS1_25partition_config_selectorILNS1_17partition_subalgoE8EN3c104HalfENS0_10empty_typeEbEEZZNS1_14partition_implILS5_8ELb0ES3_jPKS7_PS8_PKS8_NS0_5tupleIJPS7_S8_EEENSG_IJSD_SD_EEENS0_18inequality_wrapperIN6hipcub16HIPCUB_304000_NS8EqualityEEEPlJS8_EEE10hipError_tPvRmT3_T4_T5_T6_T7_T9_mT8_P12ihipStream_tbDpT10_ENKUlT_T0_E_clISt17integral_constantIbLb0EES19_EEDaS14_S15_EUlS14_E_NS1_11comp_targetILNS1_3genE3ELNS1_11target_archE908ELNS1_3gpuE7ELNS1_3repE0EEENS1_30default_config_static_selectorELNS0_4arch9wavefront6targetE0EEEvT1_.num_agpr, 0
	.set _ZN7rocprim17ROCPRIM_400000_NS6detail17trampoline_kernelINS0_14default_configENS1_25partition_config_selectorILNS1_17partition_subalgoE8EN3c104HalfENS0_10empty_typeEbEEZZNS1_14partition_implILS5_8ELb0ES3_jPKS7_PS8_PKS8_NS0_5tupleIJPS7_S8_EEENSG_IJSD_SD_EEENS0_18inequality_wrapperIN6hipcub16HIPCUB_304000_NS8EqualityEEEPlJS8_EEE10hipError_tPvRmT3_T4_T5_T6_T7_T9_mT8_P12ihipStream_tbDpT10_ENKUlT_T0_E_clISt17integral_constantIbLb0EES19_EEDaS14_S15_EUlS14_E_NS1_11comp_targetILNS1_3genE3ELNS1_11target_archE908ELNS1_3gpuE7ELNS1_3repE0EEENS1_30default_config_static_selectorELNS0_4arch9wavefront6targetE0EEEvT1_.numbered_sgpr, 0
	.set _ZN7rocprim17ROCPRIM_400000_NS6detail17trampoline_kernelINS0_14default_configENS1_25partition_config_selectorILNS1_17partition_subalgoE8EN3c104HalfENS0_10empty_typeEbEEZZNS1_14partition_implILS5_8ELb0ES3_jPKS7_PS8_PKS8_NS0_5tupleIJPS7_S8_EEENSG_IJSD_SD_EEENS0_18inequality_wrapperIN6hipcub16HIPCUB_304000_NS8EqualityEEEPlJS8_EEE10hipError_tPvRmT3_T4_T5_T6_T7_T9_mT8_P12ihipStream_tbDpT10_ENKUlT_T0_E_clISt17integral_constantIbLb0EES19_EEDaS14_S15_EUlS14_E_NS1_11comp_targetILNS1_3genE3ELNS1_11target_archE908ELNS1_3gpuE7ELNS1_3repE0EEENS1_30default_config_static_selectorELNS0_4arch9wavefront6targetE0EEEvT1_.num_named_barrier, 0
	.set _ZN7rocprim17ROCPRIM_400000_NS6detail17trampoline_kernelINS0_14default_configENS1_25partition_config_selectorILNS1_17partition_subalgoE8EN3c104HalfENS0_10empty_typeEbEEZZNS1_14partition_implILS5_8ELb0ES3_jPKS7_PS8_PKS8_NS0_5tupleIJPS7_S8_EEENSG_IJSD_SD_EEENS0_18inequality_wrapperIN6hipcub16HIPCUB_304000_NS8EqualityEEEPlJS8_EEE10hipError_tPvRmT3_T4_T5_T6_T7_T9_mT8_P12ihipStream_tbDpT10_ENKUlT_T0_E_clISt17integral_constantIbLb0EES19_EEDaS14_S15_EUlS14_E_NS1_11comp_targetILNS1_3genE3ELNS1_11target_archE908ELNS1_3gpuE7ELNS1_3repE0EEENS1_30default_config_static_selectorELNS0_4arch9wavefront6targetE0EEEvT1_.private_seg_size, 0
	.set _ZN7rocprim17ROCPRIM_400000_NS6detail17trampoline_kernelINS0_14default_configENS1_25partition_config_selectorILNS1_17partition_subalgoE8EN3c104HalfENS0_10empty_typeEbEEZZNS1_14partition_implILS5_8ELb0ES3_jPKS7_PS8_PKS8_NS0_5tupleIJPS7_S8_EEENSG_IJSD_SD_EEENS0_18inequality_wrapperIN6hipcub16HIPCUB_304000_NS8EqualityEEEPlJS8_EEE10hipError_tPvRmT3_T4_T5_T6_T7_T9_mT8_P12ihipStream_tbDpT10_ENKUlT_T0_E_clISt17integral_constantIbLb0EES19_EEDaS14_S15_EUlS14_E_NS1_11comp_targetILNS1_3genE3ELNS1_11target_archE908ELNS1_3gpuE7ELNS1_3repE0EEENS1_30default_config_static_selectorELNS0_4arch9wavefront6targetE0EEEvT1_.uses_vcc, 0
	.set _ZN7rocprim17ROCPRIM_400000_NS6detail17trampoline_kernelINS0_14default_configENS1_25partition_config_selectorILNS1_17partition_subalgoE8EN3c104HalfENS0_10empty_typeEbEEZZNS1_14partition_implILS5_8ELb0ES3_jPKS7_PS8_PKS8_NS0_5tupleIJPS7_S8_EEENSG_IJSD_SD_EEENS0_18inequality_wrapperIN6hipcub16HIPCUB_304000_NS8EqualityEEEPlJS8_EEE10hipError_tPvRmT3_T4_T5_T6_T7_T9_mT8_P12ihipStream_tbDpT10_ENKUlT_T0_E_clISt17integral_constantIbLb0EES19_EEDaS14_S15_EUlS14_E_NS1_11comp_targetILNS1_3genE3ELNS1_11target_archE908ELNS1_3gpuE7ELNS1_3repE0EEENS1_30default_config_static_selectorELNS0_4arch9wavefront6targetE0EEEvT1_.uses_flat_scratch, 0
	.set _ZN7rocprim17ROCPRIM_400000_NS6detail17trampoline_kernelINS0_14default_configENS1_25partition_config_selectorILNS1_17partition_subalgoE8EN3c104HalfENS0_10empty_typeEbEEZZNS1_14partition_implILS5_8ELb0ES3_jPKS7_PS8_PKS8_NS0_5tupleIJPS7_S8_EEENSG_IJSD_SD_EEENS0_18inequality_wrapperIN6hipcub16HIPCUB_304000_NS8EqualityEEEPlJS8_EEE10hipError_tPvRmT3_T4_T5_T6_T7_T9_mT8_P12ihipStream_tbDpT10_ENKUlT_T0_E_clISt17integral_constantIbLb0EES19_EEDaS14_S15_EUlS14_E_NS1_11comp_targetILNS1_3genE3ELNS1_11target_archE908ELNS1_3gpuE7ELNS1_3repE0EEENS1_30default_config_static_selectorELNS0_4arch9wavefront6targetE0EEEvT1_.has_dyn_sized_stack, 0
	.set _ZN7rocprim17ROCPRIM_400000_NS6detail17trampoline_kernelINS0_14default_configENS1_25partition_config_selectorILNS1_17partition_subalgoE8EN3c104HalfENS0_10empty_typeEbEEZZNS1_14partition_implILS5_8ELb0ES3_jPKS7_PS8_PKS8_NS0_5tupleIJPS7_S8_EEENSG_IJSD_SD_EEENS0_18inequality_wrapperIN6hipcub16HIPCUB_304000_NS8EqualityEEEPlJS8_EEE10hipError_tPvRmT3_T4_T5_T6_T7_T9_mT8_P12ihipStream_tbDpT10_ENKUlT_T0_E_clISt17integral_constantIbLb0EES19_EEDaS14_S15_EUlS14_E_NS1_11comp_targetILNS1_3genE3ELNS1_11target_archE908ELNS1_3gpuE7ELNS1_3repE0EEENS1_30default_config_static_selectorELNS0_4arch9wavefront6targetE0EEEvT1_.has_recursion, 0
	.set _ZN7rocprim17ROCPRIM_400000_NS6detail17trampoline_kernelINS0_14default_configENS1_25partition_config_selectorILNS1_17partition_subalgoE8EN3c104HalfENS0_10empty_typeEbEEZZNS1_14partition_implILS5_8ELb0ES3_jPKS7_PS8_PKS8_NS0_5tupleIJPS7_S8_EEENSG_IJSD_SD_EEENS0_18inequality_wrapperIN6hipcub16HIPCUB_304000_NS8EqualityEEEPlJS8_EEE10hipError_tPvRmT3_T4_T5_T6_T7_T9_mT8_P12ihipStream_tbDpT10_ENKUlT_T0_E_clISt17integral_constantIbLb0EES19_EEDaS14_S15_EUlS14_E_NS1_11comp_targetILNS1_3genE3ELNS1_11target_archE908ELNS1_3gpuE7ELNS1_3repE0EEENS1_30default_config_static_selectorELNS0_4arch9wavefront6targetE0EEEvT1_.has_indirect_call, 0
	.section	.AMDGPU.csdata,"",@progbits
; Kernel info:
; codeLenInByte = 0
; TotalNumSgprs: 0
; NumVgprs: 0
; ScratchSize: 0
; MemoryBound: 0
; FloatMode: 240
; IeeeMode: 1
; LDSByteSize: 0 bytes/workgroup (compile time only)
; SGPRBlocks: 0
; VGPRBlocks: 0
; NumSGPRsForWavesPerEU: 1
; NumVGPRsForWavesPerEU: 1
; NamedBarCnt: 0
; Occupancy: 16
; WaveLimiterHint : 0
; COMPUTE_PGM_RSRC2:SCRATCH_EN: 0
; COMPUTE_PGM_RSRC2:USER_SGPR: 2
; COMPUTE_PGM_RSRC2:TRAP_HANDLER: 0
; COMPUTE_PGM_RSRC2:TGID_X_EN: 1
; COMPUTE_PGM_RSRC2:TGID_Y_EN: 0
; COMPUTE_PGM_RSRC2:TGID_Z_EN: 0
; COMPUTE_PGM_RSRC2:TIDIG_COMP_CNT: 0
	.section	.text._ZN7rocprim17ROCPRIM_400000_NS6detail17trampoline_kernelINS0_14default_configENS1_25partition_config_selectorILNS1_17partition_subalgoE8EN3c104HalfENS0_10empty_typeEbEEZZNS1_14partition_implILS5_8ELb0ES3_jPKS7_PS8_PKS8_NS0_5tupleIJPS7_S8_EEENSG_IJSD_SD_EEENS0_18inequality_wrapperIN6hipcub16HIPCUB_304000_NS8EqualityEEEPlJS8_EEE10hipError_tPvRmT3_T4_T5_T6_T7_T9_mT8_P12ihipStream_tbDpT10_ENKUlT_T0_E_clISt17integral_constantIbLb0EES19_EEDaS14_S15_EUlS14_E_NS1_11comp_targetILNS1_3genE2ELNS1_11target_archE906ELNS1_3gpuE6ELNS1_3repE0EEENS1_30default_config_static_selectorELNS0_4arch9wavefront6targetE0EEEvT1_,"axG",@progbits,_ZN7rocprim17ROCPRIM_400000_NS6detail17trampoline_kernelINS0_14default_configENS1_25partition_config_selectorILNS1_17partition_subalgoE8EN3c104HalfENS0_10empty_typeEbEEZZNS1_14partition_implILS5_8ELb0ES3_jPKS7_PS8_PKS8_NS0_5tupleIJPS7_S8_EEENSG_IJSD_SD_EEENS0_18inequality_wrapperIN6hipcub16HIPCUB_304000_NS8EqualityEEEPlJS8_EEE10hipError_tPvRmT3_T4_T5_T6_T7_T9_mT8_P12ihipStream_tbDpT10_ENKUlT_T0_E_clISt17integral_constantIbLb0EES19_EEDaS14_S15_EUlS14_E_NS1_11comp_targetILNS1_3genE2ELNS1_11target_archE906ELNS1_3gpuE6ELNS1_3repE0EEENS1_30default_config_static_selectorELNS0_4arch9wavefront6targetE0EEEvT1_,comdat
	.protected	_ZN7rocprim17ROCPRIM_400000_NS6detail17trampoline_kernelINS0_14default_configENS1_25partition_config_selectorILNS1_17partition_subalgoE8EN3c104HalfENS0_10empty_typeEbEEZZNS1_14partition_implILS5_8ELb0ES3_jPKS7_PS8_PKS8_NS0_5tupleIJPS7_S8_EEENSG_IJSD_SD_EEENS0_18inequality_wrapperIN6hipcub16HIPCUB_304000_NS8EqualityEEEPlJS8_EEE10hipError_tPvRmT3_T4_T5_T6_T7_T9_mT8_P12ihipStream_tbDpT10_ENKUlT_T0_E_clISt17integral_constantIbLb0EES19_EEDaS14_S15_EUlS14_E_NS1_11comp_targetILNS1_3genE2ELNS1_11target_archE906ELNS1_3gpuE6ELNS1_3repE0EEENS1_30default_config_static_selectorELNS0_4arch9wavefront6targetE0EEEvT1_ ; -- Begin function _ZN7rocprim17ROCPRIM_400000_NS6detail17trampoline_kernelINS0_14default_configENS1_25partition_config_selectorILNS1_17partition_subalgoE8EN3c104HalfENS0_10empty_typeEbEEZZNS1_14partition_implILS5_8ELb0ES3_jPKS7_PS8_PKS8_NS0_5tupleIJPS7_S8_EEENSG_IJSD_SD_EEENS0_18inequality_wrapperIN6hipcub16HIPCUB_304000_NS8EqualityEEEPlJS8_EEE10hipError_tPvRmT3_T4_T5_T6_T7_T9_mT8_P12ihipStream_tbDpT10_ENKUlT_T0_E_clISt17integral_constantIbLb0EES19_EEDaS14_S15_EUlS14_E_NS1_11comp_targetILNS1_3genE2ELNS1_11target_archE906ELNS1_3gpuE6ELNS1_3repE0EEENS1_30default_config_static_selectorELNS0_4arch9wavefront6targetE0EEEvT1_
	.globl	_ZN7rocprim17ROCPRIM_400000_NS6detail17trampoline_kernelINS0_14default_configENS1_25partition_config_selectorILNS1_17partition_subalgoE8EN3c104HalfENS0_10empty_typeEbEEZZNS1_14partition_implILS5_8ELb0ES3_jPKS7_PS8_PKS8_NS0_5tupleIJPS7_S8_EEENSG_IJSD_SD_EEENS0_18inequality_wrapperIN6hipcub16HIPCUB_304000_NS8EqualityEEEPlJS8_EEE10hipError_tPvRmT3_T4_T5_T6_T7_T9_mT8_P12ihipStream_tbDpT10_ENKUlT_T0_E_clISt17integral_constantIbLb0EES19_EEDaS14_S15_EUlS14_E_NS1_11comp_targetILNS1_3genE2ELNS1_11target_archE906ELNS1_3gpuE6ELNS1_3repE0EEENS1_30default_config_static_selectorELNS0_4arch9wavefront6targetE0EEEvT1_
	.p2align	8
	.type	_ZN7rocprim17ROCPRIM_400000_NS6detail17trampoline_kernelINS0_14default_configENS1_25partition_config_selectorILNS1_17partition_subalgoE8EN3c104HalfENS0_10empty_typeEbEEZZNS1_14partition_implILS5_8ELb0ES3_jPKS7_PS8_PKS8_NS0_5tupleIJPS7_S8_EEENSG_IJSD_SD_EEENS0_18inequality_wrapperIN6hipcub16HIPCUB_304000_NS8EqualityEEEPlJS8_EEE10hipError_tPvRmT3_T4_T5_T6_T7_T9_mT8_P12ihipStream_tbDpT10_ENKUlT_T0_E_clISt17integral_constantIbLb0EES19_EEDaS14_S15_EUlS14_E_NS1_11comp_targetILNS1_3genE2ELNS1_11target_archE906ELNS1_3gpuE6ELNS1_3repE0EEENS1_30default_config_static_selectorELNS0_4arch9wavefront6targetE0EEEvT1_,@function
_ZN7rocprim17ROCPRIM_400000_NS6detail17trampoline_kernelINS0_14default_configENS1_25partition_config_selectorILNS1_17partition_subalgoE8EN3c104HalfENS0_10empty_typeEbEEZZNS1_14partition_implILS5_8ELb0ES3_jPKS7_PS8_PKS8_NS0_5tupleIJPS7_S8_EEENSG_IJSD_SD_EEENS0_18inequality_wrapperIN6hipcub16HIPCUB_304000_NS8EqualityEEEPlJS8_EEE10hipError_tPvRmT3_T4_T5_T6_T7_T9_mT8_P12ihipStream_tbDpT10_ENKUlT_T0_E_clISt17integral_constantIbLb0EES19_EEDaS14_S15_EUlS14_E_NS1_11comp_targetILNS1_3genE2ELNS1_11target_archE906ELNS1_3gpuE6ELNS1_3repE0EEENS1_30default_config_static_selectorELNS0_4arch9wavefront6targetE0EEEvT1_: ; @_ZN7rocprim17ROCPRIM_400000_NS6detail17trampoline_kernelINS0_14default_configENS1_25partition_config_selectorILNS1_17partition_subalgoE8EN3c104HalfENS0_10empty_typeEbEEZZNS1_14partition_implILS5_8ELb0ES3_jPKS7_PS8_PKS8_NS0_5tupleIJPS7_S8_EEENSG_IJSD_SD_EEENS0_18inequality_wrapperIN6hipcub16HIPCUB_304000_NS8EqualityEEEPlJS8_EEE10hipError_tPvRmT3_T4_T5_T6_T7_T9_mT8_P12ihipStream_tbDpT10_ENKUlT_T0_E_clISt17integral_constantIbLb0EES19_EEDaS14_S15_EUlS14_E_NS1_11comp_targetILNS1_3genE2ELNS1_11target_archE906ELNS1_3gpuE6ELNS1_3repE0EEENS1_30default_config_static_selectorELNS0_4arch9wavefront6targetE0EEEvT1_
; %bb.0:
	.section	.rodata,"a",@progbits
	.p2align	6, 0x0
	.amdhsa_kernel _ZN7rocprim17ROCPRIM_400000_NS6detail17trampoline_kernelINS0_14default_configENS1_25partition_config_selectorILNS1_17partition_subalgoE8EN3c104HalfENS0_10empty_typeEbEEZZNS1_14partition_implILS5_8ELb0ES3_jPKS7_PS8_PKS8_NS0_5tupleIJPS7_S8_EEENSG_IJSD_SD_EEENS0_18inequality_wrapperIN6hipcub16HIPCUB_304000_NS8EqualityEEEPlJS8_EEE10hipError_tPvRmT3_T4_T5_T6_T7_T9_mT8_P12ihipStream_tbDpT10_ENKUlT_T0_E_clISt17integral_constantIbLb0EES19_EEDaS14_S15_EUlS14_E_NS1_11comp_targetILNS1_3genE2ELNS1_11target_archE906ELNS1_3gpuE6ELNS1_3repE0EEENS1_30default_config_static_selectorELNS0_4arch9wavefront6targetE0EEEvT1_
		.amdhsa_group_segment_fixed_size 0
		.amdhsa_private_segment_fixed_size 0
		.amdhsa_kernarg_size 112
		.amdhsa_user_sgpr_count 2
		.amdhsa_user_sgpr_dispatch_ptr 0
		.amdhsa_user_sgpr_queue_ptr 0
		.amdhsa_user_sgpr_kernarg_segment_ptr 1
		.amdhsa_user_sgpr_dispatch_id 0
		.amdhsa_user_sgpr_kernarg_preload_length 0
		.amdhsa_user_sgpr_kernarg_preload_offset 0
		.amdhsa_user_sgpr_private_segment_size 0
		.amdhsa_wavefront_size32 1
		.amdhsa_uses_dynamic_stack 0
		.amdhsa_enable_private_segment 0
		.amdhsa_system_sgpr_workgroup_id_x 1
		.amdhsa_system_sgpr_workgroup_id_y 0
		.amdhsa_system_sgpr_workgroup_id_z 0
		.amdhsa_system_sgpr_workgroup_info 0
		.amdhsa_system_vgpr_workitem_id 0
		.amdhsa_next_free_vgpr 1
		.amdhsa_next_free_sgpr 1
		.amdhsa_named_barrier_count 0
		.amdhsa_reserve_vcc 0
		.amdhsa_float_round_mode_32 0
		.amdhsa_float_round_mode_16_64 0
		.amdhsa_float_denorm_mode_32 3
		.amdhsa_float_denorm_mode_16_64 3
		.amdhsa_fp16_overflow 0
		.amdhsa_memory_ordered 1
		.amdhsa_forward_progress 1
		.amdhsa_inst_pref_size 0
		.amdhsa_round_robin_scheduling 0
		.amdhsa_exception_fp_ieee_invalid_op 0
		.amdhsa_exception_fp_denorm_src 0
		.amdhsa_exception_fp_ieee_div_zero 0
		.amdhsa_exception_fp_ieee_overflow 0
		.amdhsa_exception_fp_ieee_underflow 0
		.amdhsa_exception_fp_ieee_inexact 0
		.amdhsa_exception_int_div_zero 0
	.end_amdhsa_kernel
	.section	.text._ZN7rocprim17ROCPRIM_400000_NS6detail17trampoline_kernelINS0_14default_configENS1_25partition_config_selectorILNS1_17partition_subalgoE8EN3c104HalfENS0_10empty_typeEbEEZZNS1_14partition_implILS5_8ELb0ES3_jPKS7_PS8_PKS8_NS0_5tupleIJPS7_S8_EEENSG_IJSD_SD_EEENS0_18inequality_wrapperIN6hipcub16HIPCUB_304000_NS8EqualityEEEPlJS8_EEE10hipError_tPvRmT3_T4_T5_T6_T7_T9_mT8_P12ihipStream_tbDpT10_ENKUlT_T0_E_clISt17integral_constantIbLb0EES19_EEDaS14_S15_EUlS14_E_NS1_11comp_targetILNS1_3genE2ELNS1_11target_archE906ELNS1_3gpuE6ELNS1_3repE0EEENS1_30default_config_static_selectorELNS0_4arch9wavefront6targetE0EEEvT1_,"axG",@progbits,_ZN7rocprim17ROCPRIM_400000_NS6detail17trampoline_kernelINS0_14default_configENS1_25partition_config_selectorILNS1_17partition_subalgoE8EN3c104HalfENS0_10empty_typeEbEEZZNS1_14partition_implILS5_8ELb0ES3_jPKS7_PS8_PKS8_NS0_5tupleIJPS7_S8_EEENSG_IJSD_SD_EEENS0_18inequality_wrapperIN6hipcub16HIPCUB_304000_NS8EqualityEEEPlJS8_EEE10hipError_tPvRmT3_T4_T5_T6_T7_T9_mT8_P12ihipStream_tbDpT10_ENKUlT_T0_E_clISt17integral_constantIbLb0EES19_EEDaS14_S15_EUlS14_E_NS1_11comp_targetILNS1_3genE2ELNS1_11target_archE906ELNS1_3gpuE6ELNS1_3repE0EEENS1_30default_config_static_selectorELNS0_4arch9wavefront6targetE0EEEvT1_,comdat
.Lfunc_end897:
	.size	_ZN7rocprim17ROCPRIM_400000_NS6detail17trampoline_kernelINS0_14default_configENS1_25partition_config_selectorILNS1_17partition_subalgoE8EN3c104HalfENS0_10empty_typeEbEEZZNS1_14partition_implILS5_8ELb0ES3_jPKS7_PS8_PKS8_NS0_5tupleIJPS7_S8_EEENSG_IJSD_SD_EEENS0_18inequality_wrapperIN6hipcub16HIPCUB_304000_NS8EqualityEEEPlJS8_EEE10hipError_tPvRmT3_T4_T5_T6_T7_T9_mT8_P12ihipStream_tbDpT10_ENKUlT_T0_E_clISt17integral_constantIbLb0EES19_EEDaS14_S15_EUlS14_E_NS1_11comp_targetILNS1_3genE2ELNS1_11target_archE906ELNS1_3gpuE6ELNS1_3repE0EEENS1_30default_config_static_selectorELNS0_4arch9wavefront6targetE0EEEvT1_, .Lfunc_end897-_ZN7rocprim17ROCPRIM_400000_NS6detail17trampoline_kernelINS0_14default_configENS1_25partition_config_selectorILNS1_17partition_subalgoE8EN3c104HalfENS0_10empty_typeEbEEZZNS1_14partition_implILS5_8ELb0ES3_jPKS7_PS8_PKS8_NS0_5tupleIJPS7_S8_EEENSG_IJSD_SD_EEENS0_18inequality_wrapperIN6hipcub16HIPCUB_304000_NS8EqualityEEEPlJS8_EEE10hipError_tPvRmT3_T4_T5_T6_T7_T9_mT8_P12ihipStream_tbDpT10_ENKUlT_T0_E_clISt17integral_constantIbLb0EES19_EEDaS14_S15_EUlS14_E_NS1_11comp_targetILNS1_3genE2ELNS1_11target_archE906ELNS1_3gpuE6ELNS1_3repE0EEENS1_30default_config_static_selectorELNS0_4arch9wavefront6targetE0EEEvT1_
                                        ; -- End function
	.set _ZN7rocprim17ROCPRIM_400000_NS6detail17trampoline_kernelINS0_14default_configENS1_25partition_config_selectorILNS1_17partition_subalgoE8EN3c104HalfENS0_10empty_typeEbEEZZNS1_14partition_implILS5_8ELb0ES3_jPKS7_PS8_PKS8_NS0_5tupleIJPS7_S8_EEENSG_IJSD_SD_EEENS0_18inequality_wrapperIN6hipcub16HIPCUB_304000_NS8EqualityEEEPlJS8_EEE10hipError_tPvRmT3_T4_T5_T6_T7_T9_mT8_P12ihipStream_tbDpT10_ENKUlT_T0_E_clISt17integral_constantIbLb0EES19_EEDaS14_S15_EUlS14_E_NS1_11comp_targetILNS1_3genE2ELNS1_11target_archE906ELNS1_3gpuE6ELNS1_3repE0EEENS1_30default_config_static_selectorELNS0_4arch9wavefront6targetE0EEEvT1_.num_vgpr, 0
	.set _ZN7rocprim17ROCPRIM_400000_NS6detail17trampoline_kernelINS0_14default_configENS1_25partition_config_selectorILNS1_17partition_subalgoE8EN3c104HalfENS0_10empty_typeEbEEZZNS1_14partition_implILS5_8ELb0ES3_jPKS7_PS8_PKS8_NS0_5tupleIJPS7_S8_EEENSG_IJSD_SD_EEENS0_18inequality_wrapperIN6hipcub16HIPCUB_304000_NS8EqualityEEEPlJS8_EEE10hipError_tPvRmT3_T4_T5_T6_T7_T9_mT8_P12ihipStream_tbDpT10_ENKUlT_T0_E_clISt17integral_constantIbLb0EES19_EEDaS14_S15_EUlS14_E_NS1_11comp_targetILNS1_3genE2ELNS1_11target_archE906ELNS1_3gpuE6ELNS1_3repE0EEENS1_30default_config_static_selectorELNS0_4arch9wavefront6targetE0EEEvT1_.num_agpr, 0
	.set _ZN7rocprim17ROCPRIM_400000_NS6detail17trampoline_kernelINS0_14default_configENS1_25partition_config_selectorILNS1_17partition_subalgoE8EN3c104HalfENS0_10empty_typeEbEEZZNS1_14partition_implILS5_8ELb0ES3_jPKS7_PS8_PKS8_NS0_5tupleIJPS7_S8_EEENSG_IJSD_SD_EEENS0_18inequality_wrapperIN6hipcub16HIPCUB_304000_NS8EqualityEEEPlJS8_EEE10hipError_tPvRmT3_T4_T5_T6_T7_T9_mT8_P12ihipStream_tbDpT10_ENKUlT_T0_E_clISt17integral_constantIbLb0EES19_EEDaS14_S15_EUlS14_E_NS1_11comp_targetILNS1_3genE2ELNS1_11target_archE906ELNS1_3gpuE6ELNS1_3repE0EEENS1_30default_config_static_selectorELNS0_4arch9wavefront6targetE0EEEvT1_.numbered_sgpr, 0
	.set _ZN7rocprim17ROCPRIM_400000_NS6detail17trampoline_kernelINS0_14default_configENS1_25partition_config_selectorILNS1_17partition_subalgoE8EN3c104HalfENS0_10empty_typeEbEEZZNS1_14partition_implILS5_8ELb0ES3_jPKS7_PS8_PKS8_NS0_5tupleIJPS7_S8_EEENSG_IJSD_SD_EEENS0_18inequality_wrapperIN6hipcub16HIPCUB_304000_NS8EqualityEEEPlJS8_EEE10hipError_tPvRmT3_T4_T5_T6_T7_T9_mT8_P12ihipStream_tbDpT10_ENKUlT_T0_E_clISt17integral_constantIbLb0EES19_EEDaS14_S15_EUlS14_E_NS1_11comp_targetILNS1_3genE2ELNS1_11target_archE906ELNS1_3gpuE6ELNS1_3repE0EEENS1_30default_config_static_selectorELNS0_4arch9wavefront6targetE0EEEvT1_.num_named_barrier, 0
	.set _ZN7rocprim17ROCPRIM_400000_NS6detail17trampoline_kernelINS0_14default_configENS1_25partition_config_selectorILNS1_17partition_subalgoE8EN3c104HalfENS0_10empty_typeEbEEZZNS1_14partition_implILS5_8ELb0ES3_jPKS7_PS8_PKS8_NS0_5tupleIJPS7_S8_EEENSG_IJSD_SD_EEENS0_18inequality_wrapperIN6hipcub16HIPCUB_304000_NS8EqualityEEEPlJS8_EEE10hipError_tPvRmT3_T4_T5_T6_T7_T9_mT8_P12ihipStream_tbDpT10_ENKUlT_T0_E_clISt17integral_constantIbLb0EES19_EEDaS14_S15_EUlS14_E_NS1_11comp_targetILNS1_3genE2ELNS1_11target_archE906ELNS1_3gpuE6ELNS1_3repE0EEENS1_30default_config_static_selectorELNS0_4arch9wavefront6targetE0EEEvT1_.private_seg_size, 0
	.set _ZN7rocprim17ROCPRIM_400000_NS6detail17trampoline_kernelINS0_14default_configENS1_25partition_config_selectorILNS1_17partition_subalgoE8EN3c104HalfENS0_10empty_typeEbEEZZNS1_14partition_implILS5_8ELb0ES3_jPKS7_PS8_PKS8_NS0_5tupleIJPS7_S8_EEENSG_IJSD_SD_EEENS0_18inequality_wrapperIN6hipcub16HIPCUB_304000_NS8EqualityEEEPlJS8_EEE10hipError_tPvRmT3_T4_T5_T6_T7_T9_mT8_P12ihipStream_tbDpT10_ENKUlT_T0_E_clISt17integral_constantIbLb0EES19_EEDaS14_S15_EUlS14_E_NS1_11comp_targetILNS1_3genE2ELNS1_11target_archE906ELNS1_3gpuE6ELNS1_3repE0EEENS1_30default_config_static_selectorELNS0_4arch9wavefront6targetE0EEEvT1_.uses_vcc, 0
	.set _ZN7rocprim17ROCPRIM_400000_NS6detail17trampoline_kernelINS0_14default_configENS1_25partition_config_selectorILNS1_17partition_subalgoE8EN3c104HalfENS0_10empty_typeEbEEZZNS1_14partition_implILS5_8ELb0ES3_jPKS7_PS8_PKS8_NS0_5tupleIJPS7_S8_EEENSG_IJSD_SD_EEENS0_18inequality_wrapperIN6hipcub16HIPCUB_304000_NS8EqualityEEEPlJS8_EEE10hipError_tPvRmT3_T4_T5_T6_T7_T9_mT8_P12ihipStream_tbDpT10_ENKUlT_T0_E_clISt17integral_constantIbLb0EES19_EEDaS14_S15_EUlS14_E_NS1_11comp_targetILNS1_3genE2ELNS1_11target_archE906ELNS1_3gpuE6ELNS1_3repE0EEENS1_30default_config_static_selectorELNS0_4arch9wavefront6targetE0EEEvT1_.uses_flat_scratch, 0
	.set _ZN7rocprim17ROCPRIM_400000_NS6detail17trampoline_kernelINS0_14default_configENS1_25partition_config_selectorILNS1_17partition_subalgoE8EN3c104HalfENS0_10empty_typeEbEEZZNS1_14partition_implILS5_8ELb0ES3_jPKS7_PS8_PKS8_NS0_5tupleIJPS7_S8_EEENSG_IJSD_SD_EEENS0_18inequality_wrapperIN6hipcub16HIPCUB_304000_NS8EqualityEEEPlJS8_EEE10hipError_tPvRmT3_T4_T5_T6_T7_T9_mT8_P12ihipStream_tbDpT10_ENKUlT_T0_E_clISt17integral_constantIbLb0EES19_EEDaS14_S15_EUlS14_E_NS1_11comp_targetILNS1_3genE2ELNS1_11target_archE906ELNS1_3gpuE6ELNS1_3repE0EEENS1_30default_config_static_selectorELNS0_4arch9wavefront6targetE0EEEvT1_.has_dyn_sized_stack, 0
	.set _ZN7rocprim17ROCPRIM_400000_NS6detail17trampoline_kernelINS0_14default_configENS1_25partition_config_selectorILNS1_17partition_subalgoE8EN3c104HalfENS0_10empty_typeEbEEZZNS1_14partition_implILS5_8ELb0ES3_jPKS7_PS8_PKS8_NS0_5tupleIJPS7_S8_EEENSG_IJSD_SD_EEENS0_18inequality_wrapperIN6hipcub16HIPCUB_304000_NS8EqualityEEEPlJS8_EEE10hipError_tPvRmT3_T4_T5_T6_T7_T9_mT8_P12ihipStream_tbDpT10_ENKUlT_T0_E_clISt17integral_constantIbLb0EES19_EEDaS14_S15_EUlS14_E_NS1_11comp_targetILNS1_3genE2ELNS1_11target_archE906ELNS1_3gpuE6ELNS1_3repE0EEENS1_30default_config_static_selectorELNS0_4arch9wavefront6targetE0EEEvT1_.has_recursion, 0
	.set _ZN7rocprim17ROCPRIM_400000_NS6detail17trampoline_kernelINS0_14default_configENS1_25partition_config_selectorILNS1_17partition_subalgoE8EN3c104HalfENS0_10empty_typeEbEEZZNS1_14partition_implILS5_8ELb0ES3_jPKS7_PS8_PKS8_NS0_5tupleIJPS7_S8_EEENSG_IJSD_SD_EEENS0_18inequality_wrapperIN6hipcub16HIPCUB_304000_NS8EqualityEEEPlJS8_EEE10hipError_tPvRmT3_T4_T5_T6_T7_T9_mT8_P12ihipStream_tbDpT10_ENKUlT_T0_E_clISt17integral_constantIbLb0EES19_EEDaS14_S15_EUlS14_E_NS1_11comp_targetILNS1_3genE2ELNS1_11target_archE906ELNS1_3gpuE6ELNS1_3repE0EEENS1_30default_config_static_selectorELNS0_4arch9wavefront6targetE0EEEvT1_.has_indirect_call, 0
	.section	.AMDGPU.csdata,"",@progbits
; Kernel info:
; codeLenInByte = 0
; TotalNumSgprs: 0
; NumVgprs: 0
; ScratchSize: 0
; MemoryBound: 0
; FloatMode: 240
; IeeeMode: 1
; LDSByteSize: 0 bytes/workgroup (compile time only)
; SGPRBlocks: 0
; VGPRBlocks: 0
; NumSGPRsForWavesPerEU: 1
; NumVGPRsForWavesPerEU: 1
; NamedBarCnt: 0
; Occupancy: 16
; WaveLimiterHint : 0
; COMPUTE_PGM_RSRC2:SCRATCH_EN: 0
; COMPUTE_PGM_RSRC2:USER_SGPR: 2
; COMPUTE_PGM_RSRC2:TRAP_HANDLER: 0
; COMPUTE_PGM_RSRC2:TGID_X_EN: 1
; COMPUTE_PGM_RSRC2:TGID_Y_EN: 0
; COMPUTE_PGM_RSRC2:TGID_Z_EN: 0
; COMPUTE_PGM_RSRC2:TIDIG_COMP_CNT: 0
	.section	.text._ZN7rocprim17ROCPRIM_400000_NS6detail17trampoline_kernelINS0_14default_configENS1_25partition_config_selectorILNS1_17partition_subalgoE8EN3c104HalfENS0_10empty_typeEbEEZZNS1_14partition_implILS5_8ELb0ES3_jPKS7_PS8_PKS8_NS0_5tupleIJPS7_S8_EEENSG_IJSD_SD_EEENS0_18inequality_wrapperIN6hipcub16HIPCUB_304000_NS8EqualityEEEPlJS8_EEE10hipError_tPvRmT3_T4_T5_T6_T7_T9_mT8_P12ihipStream_tbDpT10_ENKUlT_T0_E_clISt17integral_constantIbLb0EES19_EEDaS14_S15_EUlS14_E_NS1_11comp_targetILNS1_3genE10ELNS1_11target_archE1200ELNS1_3gpuE4ELNS1_3repE0EEENS1_30default_config_static_selectorELNS0_4arch9wavefront6targetE0EEEvT1_,"axG",@progbits,_ZN7rocprim17ROCPRIM_400000_NS6detail17trampoline_kernelINS0_14default_configENS1_25partition_config_selectorILNS1_17partition_subalgoE8EN3c104HalfENS0_10empty_typeEbEEZZNS1_14partition_implILS5_8ELb0ES3_jPKS7_PS8_PKS8_NS0_5tupleIJPS7_S8_EEENSG_IJSD_SD_EEENS0_18inequality_wrapperIN6hipcub16HIPCUB_304000_NS8EqualityEEEPlJS8_EEE10hipError_tPvRmT3_T4_T5_T6_T7_T9_mT8_P12ihipStream_tbDpT10_ENKUlT_T0_E_clISt17integral_constantIbLb0EES19_EEDaS14_S15_EUlS14_E_NS1_11comp_targetILNS1_3genE10ELNS1_11target_archE1200ELNS1_3gpuE4ELNS1_3repE0EEENS1_30default_config_static_selectorELNS0_4arch9wavefront6targetE0EEEvT1_,comdat
	.protected	_ZN7rocprim17ROCPRIM_400000_NS6detail17trampoline_kernelINS0_14default_configENS1_25partition_config_selectorILNS1_17partition_subalgoE8EN3c104HalfENS0_10empty_typeEbEEZZNS1_14partition_implILS5_8ELb0ES3_jPKS7_PS8_PKS8_NS0_5tupleIJPS7_S8_EEENSG_IJSD_SD_EEENS0_18inequality_wrapperIN6hipcub16HIPCUB_304000_NS8EqualityEEEPlJS8_EEE10hipError_tPvRmT3_T4_T5_T6_T7_T9_mT8_P12ihipStream_tbDpT10_ENKUlT_T0_E_clISt17integral_constantIbLb0EES19_EEDaS14_S15_EUlS14_E_NS1_11comp_targetILNS1_3genE10ELNS1_11target_archE1200ELNS1_3gpuE4ELNS1_3repE0EEENS1_30default_config_static_selectorELNS0_4arch9wavefront6targetE0EEEvT1_ ; -- Begin function _ZN7rocprim17ROCPRIM_400000_NS6detail17trampoline_kernelINS0_14default_configENS1_25partition_config_selectorILNS1_17partition_subalgoE8EN3c104HalfENS0_10empty_typeEbEEZZNS1_14partition_implILS5_8ELb0ES3_jPKS7_PS8_PKS8_NS0_5tupleIJPS7_S8_EEENSG_IJSD_SD_EEENS0_18inequality_wrapperIN6hipcub16HIPCUB_304000_NS8EqualityEEEPlJS8_EEE10hipError_tPvRmT3_T4_T5_T6_T7_T9_mT8_P12ihipStream_tbDpT10_ENKUlT_T0_E_clISt17integral_constantIbLb0EES19_EEDaS14_S15_EUlS14_E_NS1_11comp_targetILNS1_3genE10ELNS1_11target_archE1200ELNS1_3gpuE4ELNS1_3repE0EEENS1_30default_config_static_selectorELNS0_4arch9wavefront6targetE0EEEvT1_
	.globl	_ZN7rocprim17ROCPRIM_400000_NS6detail17trampoline_kernelINS0_14default_configENS1_25partition_config_selectorILNS1_17partition_subalgoE8EN3c104HalfENS0_10empty_typeEbEEZZNS1_14partition_implILS5_8ELb0ES3_jPKS7_PS8_PKS8_NS0_5tupleIJPS7_S8_EEENSG_IJSD_SD_EEENS0_18inequality_wrapperIN6hipcub16HIPCUB_304000_NS8EqualityEEEPlJS8_EEE10hipError_tPvRmT3_T4_T5_T6_T7_T9_mT8_P12ihipStream_tbDpT10_ENKUlT_T0_E_clISt17integral_constantIbLb0EES19_EEDaS14_S15_EUlS14_E_NS1_11comp_targetILNS1_3genE10ELNS1_11target_archE1200ELNS1_3gpuE4ELNS1_3repE0EEENS1_30default_config_static_selectorELNS0_4arch9wavefront6targetE0EEEvT1_
	.p2align	8
	.type	_ZN7rocprim17ROCPRIM_400000_NS6detail17trampoline_kernelINS0_14default_configENS1_25partition_config_selectorILNS1_17partition_subalgoE8EN3c104HalfENS0_10empty_typeEbEEZZNS1_14partition_implILS5_8ELb0ES3_jPKS7_PS8_PKS8_NS0_5tupleIJPS7_S8_EEENSG_IJSD_SD_EEENS0_18inequality_wrapperIN6hipcub16HIPCUB_304000_NS8EqualityEEEPlJS8_EEE10hipError_tPvRmT3_T4_T5_T6_T7_T9_mT8_P12ihipStream_tbDpT10_ENKUlT_T0_E_clISt17integral_constantIbLb0EES19_EEDaS14_S15_EUlS14_E_NS1_11comp_targetILNS1_3genE10ELNS1_11target_archE1200ELNS1_3gpuE4ELNS1_3repE0EEENS1_30default_config_static_selectorELNS0_4arch9wavefront6targetE0EEEvT1_,@function
_ZN7rocprim17ROCPRIM_400000_NS6detail17trampoline_kernelINS0_14default_configENS1_25partition_config_selectorILNS1_17partition_subalgoE8EN3c104HalfENS0_10empty_typeEbEEZZNS1_14partition_implILS5_8ELb0ES3_jPKS7_PS8_PKS8_NS0_5tupleIJPS7_S8_EEENSG_IJSD_SD_EEENS0_18inequality_wrapperIN6hipcub16HIPCUB_304000_NS8EqualityEEEPlJS8_EEE10hipError_tPvRmT3_T4_T5_T6_T7_T9_mT8_P12ihipStream_tbDpT10_ENKUlT_T0_E_clISt17integral_constantIbLb0EES19_EEDaS14_S15_EUlS14_E_NS1_11comp_targetILNS1_3genE10ELNS1_11target_archE1200ELNS1_3gpuE4ELNS1_3repE0EEENS1_30default_config_static_selectorELNS0_4arch9wavefront6targetE0EEEvT1_: ; @_ZN7rocprim17ROCPRIM_400000_NS6detail17trampoline_kernelINS0_14default_configENS1_25partition_config_selectorILNS1_17partition_subalgoE8EN3c104HalfENS0_10empty_typeEbEEZZNS1_14partition_implILS5_8ELb0ES3_jPKS7_PS8_PKS8_NS0_5tupleIJPS7_S8_EEENSG_IJSD_SD_EEENS0_18inequality_wrapperIN6hipcub16HIPCUB_304000_NS8EqualityEEEPlJS8_EEE10hipError_tPvRmT3_T4_T5_T6_T7_T9_mT8_P12ihipStream_tbDpT10_ENKUlT_T0_E_clISt17integral_constantIbLb0EES19_EEDaS14_S15_EUlS14_E_NS1_11comp_targetILNS1_3genE10ELNS1_11target_archE1200ELNS1_3gpuE4ELNS1_3repE0EEENS1_30default_config_static_selectorELNS0_4arch9wavefront6targetE0EEEvT1_
; %bb.0:
	.section	.rodata,"a",@progbits
	.p2align	6, 0x0
	.amdhsa_kernel _ZN7rocprim17ROCPRIM_400000_NS6detail17trampoline_kernelINS0_14default_configENS1_25partition_config_selectorILNS1_17partition_subalgoE8EN3c104HalfENS0_10empty_typeEbEEZZNS1_14partition_implILS5_8ELb0ES3_jPKS7_PS8_PKS8_NS0_5tupleIJPS7_S8_EEENSG_IJSD_SD_EEENS0_18inequality_wrapperIN6hipcub16HIPCUB_304000_NS8EqualityEEEPlJS8_EEE10hipError_tPvRmT3_T4_T5_T6_T7_T9_mT8_P12ihipStream_tbDpT10_ENKUlT_T0_E_clISt17integral_constantIbLb0EES19_EEDaS14_S15_EUlS14_E_NS1_11comp_targetILNS1_3genE10ELNS1_11target_archE1200ELNS1_3gpuE4ELNS1_3repE0EEENS1_30default_config_static_selectorELNS0_4arch9wavefront6targetE0EEEvT1_
		.amdhsa_group_segment_fixed_size 0
		.amdhsa_private_segment_fixed_size 0
		.amdhsa_kernarg_size 112
		.amdhsa_user_sgpr_count 2
		.amdhsa_user_sgpr_dispatch_ptr 0
		.amdhsa_user_sgpr_queue_ptr 0
		.amdhsa_user_sgpr_kernarg_segment_ptr 1
		.amdhsa_user_sgpr_dispatch_id 0
		.amdhsa_user_sgpr_kernarg_preload_length 0
		.amdhsa_user_sgpr_kernarg_preload_offset 0
		.amdhsa_user_sgpr_private_segment_size 0
		.amdhsa_wavefront_size32 1
		.amdhsa_uses_dynamic_stack 0
		.amdhsa_enable_private_segment 0
		.amdhsa_system_sgpr_workgroup_id_x 1
		.amdhsa_system_sgpr_workgroup_id_y 0
		.amdhsa_system_sgpr_workgroup_id_z 0
		.amdhsa_system_sgpr_workgroup_info 0
		.amdhsa_system_vgpr_workitem_id 0
		.amdhsa_next_free_vgpr 1
		.amdhsa_next_free_sgpr 1
		.amdhsa_named_barrier_count 0
		.amdhsa_reserve_vcc 0
		.amdhsa_float_round_mode_32 0
		.amdhsa_float_round_mode_16_64 0
		.amdhsa_float_denorm_mode_32 3
		.amdhsa_float_denorm_mode_16_64 3
		.amdhsa_fp16_overflow 0
		.amdhsa_memory_ordered 1
		.amdhsa_forward_progress 1
		.amdhsa_inst_pref_size 0
		.amdhsa_round_robin_scheduling 0
		.amdhsa_exception_fp_ieee_invalid_op 0
		.amdhsa_exception_fp_denorm_src 0
		.amdhsa_exception_fp_ieee_div_zero 0
		.amdhsa_exception_fp_ieee_overflow 0
		.amdhsa_exception_fp_ieee_underflow 0
		.amdhsa_exception_fp_ieee_inexact 0
		.amdhsa_exception_int_div_zero 0
	.end_amdhsa_kernel
	.section	.text._ZN7rocprim17ROCPRIM_400000_NS6detail17trampoline_kernelINS0_14default_configENS1_25partition_config_selectorILNS1_17partition_subalgoE8EN3c104HalfENS0_10empty_typeEbEEZZNS1_14partition_implILS5_8ELb0ES3_jPKS7_PS8_PKS8_NS0_5tupleIJPS7_S8_EEENSG_IJSD_SD_EEENS0_18inequality_wrapperIN6hipcub16HIPCUB_304000_NS8EqualityEEEPlJS8_EEE10hipError_tPvRmT3_T4_T5_T6_T7_T9_mT8_P12ihipStream_tbDpT10_ENKUlT_T0_E_clISt17integral_constantIbLb0EES19_EEDaS14_S15_EUlS14_E_NS1_11comp_targetILNS1_3genE10ELNS1_11target_archE1200ELNS1_3gpuE4ELNS1_3repE0EEENS1_30default_config_static_selectorELNS0_4arch9wavefront6targetE0EEEvT1_,"axG",@progbits,_ZN7rocprim17ROCPRIM_400000_NS6detail17trampoline_kernelINS0_14default_configENS1_25partition_config_selectorILNS1_17partition_subalgoE8EN3c104HalfENS0_10empty_typeEbEEZZNS1_14partition_implILS5_8ELb0ES3_jPKS7_PS8_PKS8_NS0_5tupleIJPS7_S8_EEENSG_IJSD_SD_EEENS0_18inequality_wrapperIN6hipcub16HIPCUB_304000_NS8EqualityEEEPlJS8_EEE10hipError_tPvRmT3_T4_T5_T6_T7_T9_mT8_P12ihipStream_tbDpT10_ENKUlT_T0_E_clISt17integral_constantIbLb0EES19_EEDaS14_S15_EUlS14_E_NS1_11comp_targetILNS1_3genE10ELNS1_11target_archE1200ELNS1_3gpuE4ELNS1_3repE0EEENS1_30default_config_static_selectorELNS0_4arch9wavefront6targetE0EEEvT1_,comdat
.Lfunc_end898:
	.size	_ZN7rocprim17ROCPRIM_400000_NS6detail17trampoline_kernelINS0_14default_configENS1_25partition_config_selectorILNS1_17partition_subalgoE8EN3c104HalfENS0_10empty_typeEbEEZZNS1_14partition_implILS5_8ELb0ES3_jPKS7_PS8_PKS8_NS0_5tupleIJPS7_S8_EEENSG_IJSD_SD_EEENS0_18inequality_wrapperIN6hipcub16HIPCUB_304000_NS8EqualityEEEPlJS8_EEE10hipError_tPvRmT3_T4_T5_T6_T7_T9_mT8_P12ihipStream_tbDpT10_ENKUlT_T0_E_clISt17integral_constantIbLb0EES19_EEDaS14_S15_EUlS14_E_NS1_11comp_targetILNS1_3genE10ELNS1_11target_archE1200ELNS1_3gpuE4ELNS1_3repE0EEENS1_30default_config_static_selectorELNS0_4arch9wavefront6targetE0EEEvT1_, .Lfunc_end898-_ZN7rocprim17ROCPRIM_400000_NS6detail17trampoline_kernelINS0_14default_configENS1_25partition_config_selectorILNS1_17partition_subalgoE8EN3c104HalfENS0_10empty_typeEbEEZZNS1_14partition_implILS5_8ELb0ES3_jPKS7_PS8_PKS8_NS0_5tupleIJPS7_S8_EEENSG_IJSD_SD_EEENS0_18inequality_wrapperIN6hipcub16HIPCUB_304000_NS8EqualityEEEPlJS8_EEE10hipError_tPvRmT3_T4_T5_T6_T7_T9_mT8_P12ihipStream_tbDpT10_ENKUlT_T0_E_clISt17integral_constantIbLb0EES19_EEDaS14_S15_EUlS14_E_NS1_11comp_targetILNS1_3genE10ELNS1_11target_archE1200ELNS1_3gpuE4ELNS1_3repE0EEENS1_30default_config_static_selectorELNS0_4arch9wavefront6targetE0EEEvT1_
                                        ; -- End function
	.set _ZN7rocprim17ROCPRIM_400000_NS6detail17trampoline_kernelINS0_14default_configENS1_25partition_config_selectorILNS1_17partition_subalgoE8EN3c104HalfENS0_10empty_typeEbEEZZNS1_14partition_implILS5_8ELb0ES3_jPKS7_PS8_PKS8_NS0_5tupleIJPS7_S8_EEENSG_IJSD_SD_EEENS0_18inequality_wrapperIN6hipcub16HIPCUB_304000_NS8EqualityEEEPlJS8_EEE10hipError_tPvRmT3_T4_T5_T6_T7_T9_mT8_P12ihipStream_tbDpT10_ENKUlT_T0_E_clISt17integral_constantIbLb0EES19_EEDaS14_S15_EUlS14_E_NS1_11comp_targetILNS1_3genE10ELNS1_11target_archE1200ELNS1_3gpuE4ELNS1_3repE0EEENS1_30default_config_static_selectorELNS0_4arch9wavefront6targetE0EEEvT1_.num_vgpr, 0
	.set _ZN7rocprim17ROCPRIM_400000_NS6detail17trampoline_kernelINS0_14default_configENS1_25partition_config_selectorILNS1_17partition_subalgoE8EN3c104HalfENS0_10empty_typeEbEEZZNS1_14partition_implILS5_8ELb0ES3_jPKS7_PS8_PKS8_NS0_5tupleIJPS7_S8_EEENSG_IJSD_SD_EEENS0_18inequality_wrapperIN6hipcub16HIPCUB_304000_NS8EqualityEEEPlJS8_EEE10hipError_tPvRmT3_T4_T5_T6_T7_T9_mT8_P12ihipStream_tbDpT10_ENKUlT_T0_E_clISt17integral_constantIbLb0EES19_EEDaS14_S15_EUlS14_E_NS1_11comp_targetILNS1_3genE10ELNS1_11target_archE1200ELNS1_3gpuE4ELNS1_3repE0EEENS1_30default_config_static_selectorELNS0_4arch9wavefront6targetE0EEEvT1_.num_agpr, 0
	.set _ZN7rocprim17ROCPRIM_400000_NS6detail17trampoline_kernelINS0_14default_configENS1_25partition_config_selectorILNS1_17partition_subalgoE8EN3c104HalfENS0_10empty_typeEbEEZZNS1_14partition_implILS5_8ELb0ES3_jPKS7_PS8_PKS8_NS0_5tupleIJPS7_S8_EEENSG_IJSD_SD_EEENS0_18inequality_wrapperIN6hipcub16HIPCUB_304000_NS8EqualityEEEPlJS8_EEE10hipError_tPvRmT3_T4_T5_T6_T7_T9_mT8_P12ihipStream_tbDpT10_ENKUlT_T0_E_clISt17integral_constantIbLb0EES19_EEDaS14_S15_EUlS14_E_NS1_11comp_targetILNS1_3genE10ELNS1_11target_archE1200ELNS1_3gpuE4ELNS1_3repE0EEENS1_30default_config_static_selectorELNS0_4arch9wavefront6targetE0EEEvT1_.numbered_sgpr, 0
	.set _ZN7rocprim17ROCPRIM_400000_NS6detail17trampoline_kernelINS0_14default_configENS1_25partition_config_selectorILNS1_17partition_subalgoE8EN3c104HalfENS0_10empty_typeEbEEZZNS1_14partition_implILS5_8ELb0ES3_jPKS7_PS8_PKS8_NS0_5tupleIJPS7_S8_EEENSG_IJSD_SD_EEENS0_18inequality_wrapperIN6hipcub16HIPCUB_304000_NS8EqualityEEEPlJS8_EEE10hipError_tPvRmT3_T4_T5_T6_T7_T9_mT8_P12ihipStream_tbDpT10_ENKUlT_T0_E_clISt17integral_constantIbLb0EES19_EEDaS14_S15_EUlS14_E_NS1_11comp_targetILNS1_3genE10ELNS1_11target_archE1200ELNS1_3gpuE4ELNS1_3repE0EEENS1_30default_config_static_selectorELNS0_4arch9wavefront6targetE0EEEvT1_.num_named_barrier, 0
	.set _ZN7rocprim17ROCPRIM_400000_NS6detail17trampoline_kernelINS0_14default_configENS1_25partition_config_selectorILNS1_17partition_subalgoE8EN3c104HalfENS0_10empty_typeEbEEZZNS1_14partition_implILS5_8ELb0ES3_jPKS7_PS8_PKS8_NS0_5tupleIJPS7_S8_EEENSG_IJSD_SD_EEENS0_18inequality_wrapperIN6hipcub16HIPCUB_304000_NS8EqualityEEEPlJS8_EEE10hipError_tPvRmT3_T4_T5_T6_T7_T9_mT8_P12ihipStream_tbDpT10_ENKUlT_T0_E_clISt17integral_constantIbLb0EES19_EEDaS14_S15_EUlS14_E_NS1_11comp_targetILNS1_3genE10ELNS1_11target_archE1200ELNS1_3gpuE4ELNS1_3repE0EEENS1_30default_config_static_selectorELNS0_4arch9wavefront6targetE0EEEvT1_.private_seg_size, 0
	.set _ZN7rocprim17ROCPRIM_400000_NS6detail17trampoline_kernelINS0_14default_configENS1_25partition_config_selectorILNS1_17partition_subalgoE8EN3c104HalfENS0_10empty_typeEbEEZZNS1_14partition_implILS5_8ELb0ES3_jPKS7_PS8_PKS8_NS0_5tupleIJPS7_S8_EEENSG_IJSD_SD_EEENS0_18inequality_wrapperIN6hipcub16HIPCUB_304000_NS8EqualityEEEPlJS8_EEE10hipError_tPvRmT3_T4_T5_T6_T7_T9_mT8_P12ihipStream_tbDpT10_ENKUlT_T0_E_clISt17integral_constantIbLb0EES19_EEDaS14_S15_EUlS14_E_NS1_11comp_targetILNS1_3genE10ELNS1_11target_archE1200ELNS1_3gpuE4ELNS1_3repE0EEENS1_30default_config_static_selectorELNS0_4arch9wavefront6targetE0EEEvT1_.uses_vcc, 0
	.set _ZN7rocprim17ROCPRIM_400000_NS6detail17trampoline_kernelINS0_14default_configENS1_25partition_config_selectorILNS1_17partition_subalgoE8EN3c104HalfENS0_10empty_typeEbEEZZNS1_14partition_implILS5_8ELb0ES3_jPKS7_PS8_PKS8_NS0_5tupleIJPS7_S8_EEENSG_IJSD_SD_EEENS0_18inequality_wrapperIN6hipcub16HIPCUB_304000_NS8EqualityEEEPlJS8_EEE10hipError_tPvRmT3_T4_T5_T6_T7_T9_mT8_P12ihipStream_tbDpT10_ENKUlT_T0_E_clISt17integral_constantIbLb0EES19_EEDaS14_S15_EUlS14_E_NS1_11comp_targetILNS1_3genE10ELNS1_11target_archE1200ELNS1_3gpuE4ELNS1_3repE0EEENS1_30default_config_static_selectorELNS0_4arch9wavefront6targetE0EEEvT1_.uses_flat_scratch, 0
	.set _ZN7rocprim17ROCPRIM_400000_NS6detail17trampoline_kernelINS0_14default_configENS1_25partition_config_selectorILNS1_17partition_subalgoE8EN3c104HalfENS0_10empty_typeEbEEZZNS1_14partition_implILS5_8ELb0ES3_jPKS7_PS8_PKS8_NS0_5tupleIJPS7_S8_EEENSG_IJSD_SD_EEENS0_18inequality_wrapperIN6hipcub16HIPCUB_304000_NS8EqualityEEEPlJS8_EEE10hipError_tPvRmT3_T4_T5_T6_T7_T9_mT8_P12ihipStream_tbDpT10_ENKUlT_T0_E_clISt17integral_constantIbLb0EES19_EEDaS14_S15_EUlS14_E_NS1_11comp_targetILNS1_3genE10ELNS1_11target_archE1200ELNS1_3gpuE4ELNS1_3repE0EEENS1_30default_config_static_selectorELNS0_4arch9wavefront6targetE0EEEvT1_.has_dyn_sized_stack, 0
	.set _ZN7rocprim17ROCPRIM_400000_NS6detail17trampoline_kernelINS0_14default_configENS1_25partition_config_selectorILNS1_17partition_subalgoE8EN3c104HalfENS0_10empty_typeEbEEZZNS1_14partition_implILS5_8ELb0ES3_jPKS7_PS8_PKS8_NS0_5tupleIJPS7_S8_EEENSG_IJSD_SD_EEENS0_18inequality_wrapperIN6hipcub16HIPCUB_304000_NS8EqualityEEEPlJS8_EEE10hipError_tPvRmT3_T4_T5_T6_T7_T9_mT8_P12ihipStream_tbDpT10_ENKUlT_T0_E_clISt17integral_constantIbLb0EES19_EEDaS14_S15_EUlS14_E_NS1_11comp_targetILNS1_3genE10ELNS1_11target_archE1200ELNS1_3gpuE4ELNS1_3repE0EEENS1_30default_config_static_selectorELNS0_4arch9wavefront6targetE0EEEvT1_.has_recursion, 0
	.set _ZN7rocprim17ROCPRIM_400000_NS6detail17trampoline_kernelINS0_14default_configENS1_25partition_config_selectorILNS1_17partition_subalgoE8EN3c104HalfENS0_10empty_typeEbEEZZNS1_14partition_implILS5_8ELb0ES3_jPKS7_PS8_PKS8_NS0_5tupleIJPS7_S8_EEENSG_IJSD_SD_EEENS0_18inequality_wrapperIN6hipcub16HIPCUB_304000_NS8EqualityEEEPlJS8_EEE10hipError_tPvRmT3_T4_T5_T6_T7_T9_mT8_P12ihipStream_tbDpT10_ENKUlT_T0_E_clISt17integral_constantIbLb0EES19_EEDaS14_S15_EUlS14_E_NS1_11comp_targetILNS1_3genE10ELNS1_11target_archE1200ELNS1_3gpuE4ELNS1_3repE0EEENS1_30default_config_static_selectorELNS0_4arch9wavefront6targetE0EEEvT1_.has_indirect_call, 0
	.section	.AMDGPU.csdata,"",@progbits
; Kernel info:
; codeLenInByte = 0
; TotalNumSgprs: 0
; NumVgprs: 0
; ScratchSize: 0
; MemoryBound: 0
; FloatMode: 240
; IeeeMode: 1
; LDSByteSize: 0 bytes/workgroup (compile time only)
; SGPRBlocks: 0
; VGPRBlocks: 0
; NumSGPRsForWavesPerEU: 1
; NumVGPRsForWavesPerEU: 1
; NamedBarCnt: 0
; Occupancy: 16
; WaveLimiterHint : 0
; COMPUTE_PGM_RSRC2:SCRATCH_EN: 0
; COMPUTE_PGM_RSRC2:USER_SGPR: 2
; COMPUTE_PGM_RSRC2:TRAP_HANDLER: 0
; COMPUTE_PGM_RSRC2:TGID_X_EN: 1
; COMPUTE_PGM_RSRC2:TGID_Y_EN: 0
; COMPUTE_PGM_RSRC2:TGID_Z_EN: 0
; COMPUTE_PGM_RSRC2:TIDIG_COMP_CNT: 0
	.section	.text._ZN7rocprim17ROCPRIM_400000_NS6detail17trampoline_kernelINS0_14default_configENS1_25partition_config_selectorILNS1_17partition_subalgoE8EN3c104HalfENS0_10empty_typeEbEEZZNS1_14partition_implILS5_8ELb0ES3_jPKS7_PS8_PKS8_NS0_5tupleIJPS7_S8_EEENSG_IJSD_SD_EEENS0_18inequality_wrapperIN6hipcub16HIPCUB_304000_NS8EqualityEEEPlJS8_EEE10hipError_tPvRmT3_T4_T5_T6_T7_T9_mT8_P12ihipStream_tbDpT10_ENKUlT_T0_E_clISt17integral_constantIbLb0EES19_EEDaS14_S15_EUlS14_E_NS1_11comp_targetILNS1_3genE9ELNS1_11target_archE1100ELNS1_3gpuE3ELNS1_3repE0EEENS1_30default_config_static_selectorELNS0_4arch9wavefront6targetE0EEEvT1_,"axG",@progbits,_ZN7rocprim17ROCPRIM_400000_NS6detail17trampoline_kernelINS0_14default_configENS1_25partition_config_selectorILNS1_17partition_subalgoE8EN3c104HalfENS0_10empty_typeEbEEZZNS1_14partition_implILS5_8ELb0ES3_jPKS7_PS8_PKS8_NS0_5tupleIJPS7_S8_EEENSG_IJSD_SD_EEENS0_18inequality_wrapperIN6hipcub16HIPCUB_304000_NS8EqualityEEEPlJS8_EEE10hipError_tPvRmT3_T4_T5_T6_T7_T9_mT8_P12ihipStream_tbDpT10_ENKUlT_T0_E_clISt17integral_constantIbLb0EES19_EEDaS14_S15_EUlS14_E_NS1_11comp_targetILNS1_3genE9ELNS1_11target_archE1100ELNS1_3gpuE3ELNS1_3repE0EEENS1_30default_config_static_selectorELNS0_4arch9wavefront6targetE0EEEvT1_,comdat
	.protected	_ZN7rocprim17ROCPRIM_400000_NS6detail17trampoline_kernelINS0_14default_configENS1_25partition_config_selectorILNS1_17partition_subalgoE8EN3c104HalfENS0_10empty_typeEbEEZZNS1_14partition_implILS5_8ELb0ES3_jPKS7_PS8_PKS8_NS0_5tupleIJPS7_S8_EEENSG_IJSD_SD_EEENS0_18inequality_wrapperIN6hipcub16HIPCUB_304000_NS8EqualityEEEPlJS8_EEE10hipError_tPvRmT3_T4_T5_T6_T7_T9_mT8_P12ihipStream_tbDpT10_ENKUlT_T0_E_clISt17integral_constantIbLb0EES19_EEDaS14_S15_EUlS14_E_NS1_11comp_targetILNS1_3genE9ELNS1_11target_archE1100ELNS1_3gpuE3ELNS1_3repE0EEENS1_30default_config_static_selectorELNS0_4arch9wavefront6targetE0EEEvT1_ ; -- Begin function _ZN7rocprim17ROCPRIM_400000_NS6detail17trampoline_kernelINS0_14default_configENS1_25partition_config_selectorILNS1_17partition_subalgoE8EN3c104HalfENS0_10empty_typeEbEEZZNS1_14partition_implILS5_8ELb0ES3_jPKS7_PS8_PKS8_NS0_5tupleIJPS7_S8_EEENSG_IJSD_SD_EEENS0_18inequality_wrapperIN6hipcub16HIPCUB_304000_NS8EqualityEEEPlJS8_EEE10hipError_tPvRmT3_T4_T5_T6_T7_T9_mT8_P12ihipStream_tbDpT10_ENKUlT_T0_E_clISt17integral_constantIbLb0EES19_EEDaS14_S15_EUlS14_E_NS1_11comp_targetILNS1_3genE9ELNS1_11target_archE1100ELNS1_3gpuE3ELNS1_3repE0EEENS1_30default_config_static_selectorELNS0_4arch9wavefront6targetE0EEEvT1_
	.globl	_ZN7rocprim17ROCPRIM_400000_NS6detail17trampoline_kernelINS0_14default_configENS1_25partition_config_selectorILNS1_17partition_subalgoE8EN3c104HalfENS0_10empty_typeEbEEZZNS1_14partition_implILS5_8ELb0ES3_jPKS7_PS8_PKS8_NS0_5tupleIJPS7_S8_EEENSG_IJSD_SD_EEENS0_18inequality_wrapperIN6hipcub16HIPCUB_304000_NS8EqualityEEEPlJS8_EEE10hipError_tPvRmT3_T4_T5_T6_T7_T9_mT8_P12ihipStream_tbDpT10_ENKUlT_T0_E_clISt17integral_constantIbLb0EES19_EEDaS14_S15_EUlS14_E_NS1_11comp_targetILNS1_3genE9ELNS1_11target_archE1100ELNS1_3gpuE3ELNS1_3repE0EEENS1_30default_config_static_selectorELNS0_4arch9wavefront6targetE0EEEvT1_
	.p2align	8
	.type	_ZN7rocprim17ROCPRIM_400000_NS6detail17trampoline_kernelINS0_14default_configENS1_25partition_config_selectorILNS1_17partition_subalgoE8EN3c104HalfENS0_10empty_typeEbEEZZNS1_14partition_implILS5_8ELb0ES3_jPKS7_PS8_PKS8_NS0_5tupleIJPS7_S8_EEENSG_IJSD_SD_EEENS0_18inequality_wrapperIN6hipcub16HIPCUB_304000_NS8EqualityEEEPlJS8_EEE10hipError_tPvRmT3_T4_T5_T6_T7_T9_mT8_P12ihipStream_tbDpT10_ENKUlT_T0_E_clISt17integral_constantIbLb0EES19_EEDaS14_S15_EUlS14_E_NS1_11comp_targetILNS1_3genE9ELNS1_11target_archE1100ELNS1_3gpuE3ELNS1_3repE0EEENS1_30default_config_static_selectorELNS0_4arch9wavefront6targetE0EEEvT1_,@function
_ZN7rocprim17ROCPRIM_400000_NS6detail17trampoline_kernelINS0_14default_configENS1_25partition_config_selectorILNS1_17partition_subalgoE8EN3c104HalfENS0_10empty_typeEbEEZZNS1_14partition_implILS5_8ELb0ES3_jPKS7_PS8_PKS8_NS0_5tupleIJPS7_S8_EEENSG_IJSD_SD_EEENS0_18inequality_wrapperIN6hipcub16HIPCUB_304000_NS8EqualityEEEPlJS8_EEE10hipError_tPvRmT3_T4_T5_T6_T7_T9_mT8_P12ihipStream_tbDpT10_ENKUlT_T0_E_clISt17integral_constantIbLb0EES19_EEDaS14_S15_EUlS14_E_NS1_11comp_targetILNS1_3genE9ELNS1_11target_archE1100ELNS1_3gpuE3ELNS1_3repE0EEENS1_30default_config_static_selectorELNS0_4arch9wavefront6targetE0EEEvT1_: ; @_ZN7rocprim17ROCPRIM_400000_NS6detail17trampoline_kernelINS0_14default_configENS1_25partition_config_selectorILNS1_17partition_subalgoE8EN3c104HalfENS0_10empty_typeEbEEZZNS1_14partition_implILS5_8ELb0ES3_jPKS7_PS8_PKS8_NS0_5tupleIJPS7_S8_EEENSG_IJSD_SD_EEENS0_18inequality_wrapperIN6hipcub16HIPCUB_304000_NS8EqualityEEEPlJS8_EEE10hipError_tPvRmT3_T4_T5_T6_T7_T9_mT8_P12ihipStream_tbDpT10_ENKUlT_T0_E_clISt17integral_constantIbLb0EES19_EEDaS14_S15_EUlS14_E_NS1_11comp_targetILNS1_3genE9ELNS1_11target_archE1100ELNS1_3gpuE3ELNS1_3repE0EEENS1_30default_config_static_selectorELNS0_4arch9wavefront6targetE0EEEvT1_
; %bb.0:
	.section	.rodata,"a",@progbits
	.p2align	6, 0x0
	.amdhsa_kernel _ZN7rocprim17ROCPRIM_400000_NS6detail17trampoline_kernelINS0_14default_configENS1_25partition_config_selectorILNS1_17partition_subalgoE8EN3c104HalfENS0_10empty_typeEbEEZZNS1_14partition_implILS5_8ELb0ES3_jPKS7_PS8_PKS8_NS0_5tupleIJPS7_S8_EEENSG_IJSD_SD_EEENS0_18inequality_wrapperIN6hipcub16HIPCUB_304000_NS8EqualityEEEPlJS8_EEE10hipError_tPvRmT3_T4_T5_T6_T7_T9_mT8_P12ihipStream_tbDpT10_ENKUlT_T0_E_clISt17integral_constantIbLb0EES19_EEDaS14_S15_EUlS14_E_NS1_11comp_targetILNS1_3genE9ELNS1_11target_archE1100ELNS1_3gpuE3ELNS1_3repE0EEENS1_30default_config_static_selectorELNS0_4arch9wavefront6targetE0EEEvT1_
		.amdhsa_group_segment_fixed_size 0
		.amdhsa_private_segment_fixed_size 0
		.amdhsa_kernarg_size 112
		.amdhsa_user_sgpr_count 2
		.amdhsa_user_sgpr_dispatch_ptr 0
		.amdhsa_user_sgpr_queue_ptr 0
		.amdhsa_user_sgpr_kernarg_segment_ptr 1
		.amdhsa_user_sgpr_dispatch_id 0
		.amdhsa_user_sgpr_kernarg_preload_length 0
		.amdhsa_user_sgpr_kernarg_preload_offset 0
		.amdhsa_user_sgpr_private_segment_size 0
		.amdhsa_wavefront_size32 1
		.amdhsa_uses_dynamic_stack 0
		.amdhsa_enable_private_segment 0
		.amdhsa_system_sgpr_workgroup_id_x 1
		.amdhsa_system_sgpr_workgroup_id_y 0
		.amdhsa_system_sgpr_workgroup_id_z 0
		.amdhsa_system_sgpr_workgroup_info 0
		.amdhsa_system_vgpr_workitem_id 0
		.amdhsa_next_free_vgpr 1
		.amdhsa_next_free_sgpr 1
		.amdhsa_named_barrier_count 0
		.amdhsa_reserve_vcc 0
		.amdhsa_float_round_mode_32 0
		.amdhsa_float_round_mode_16_64 0
		.amdhsa_float_denorm_mode_32 3
		.amdhsa_float_denorm_mode_16_64 3
		.amdhsa_fp16_overflow 0
		.amdhsa_memory_ordered 1
		.amdhsa_forward_progress 1
		.amdhsa_inst_pref_size 0
		.amdhsa_round_robin_scheduling 0
		.amdhsa_exception_fp_ieee_invalid_op 0
		.amdhsa_exception_fp_denorm_src 0
		.amdhsa_exception_fp_ieee_div_zero 0
		.amdhsa_exception_fp_ieee_overflow 0
		.amdhsa_exception_fp_ieee_underflow 0
		.amdhsa_exception_fp_ieee_inexact 0
		.amdhsa_exception_int_div_zero 0
	.end_amdhsa_kernel
	.section	.text._ZN7rocprim17ROCPRIM_400000_NS6detail17trampoline_kernelINS0_14default_configENS1_25partition_config_selectorILNS1_17partition_subalgoE8EN3c104HalfENS0_10empty_typeEbEEZZNS1_14partition_implILS5_8ELb0ES3_jPKS7_PS8_PKS8_NS0_5tupleIJPS7_S8_EEENSG_IJSD_SD_EEENS0_18inequality_wrapperIN6hipcub16HIPCUB_304000_NS8EqualityEEEPlJS8_EEE10hipError_tPvRmT3_T4_T5_T6_T7_T9_mT8_P12ihipStream_tbDpT10_ENKUlT_T0_E_clISt17integral_constantIbLb0EES19_EEDaS14_S15_EUlS14_E_NS1_11comp_targetILNS1_3genE9ELNS1_11target_archE1100ELNS1_3gpuE3ELNS1_3repE0EEENS1_30default_config_static_selectorELNS0_4arch9wavefront6targetE0EEEvT1_,"axG",@progbits,_ZN7rocprim17ROCPRIM_400000_NS6detail17trampoline_kernelINS0_14default_configENS1_25partition_config_selectorILNS1_17partition_subalgoE8EN3c104HalfENS0_10empty_typeEbEEZZNS1_14partition_implILS5_8ELb0ES3_jPKS7_PS8_PKS8_NS0_5tupleIJPS7_S8_EEENSG_IJSD_SD_EEENS0_18inequality_wrapperIN6hipcub16HIPCUB_304000_NS8EqualityEEEPlJS8_EEE10hipError_tPvRmT3_T4_T5_T6_T7_T9_mT8_P12ihipStream_tbDpT10_ENKUlT_T0_E_clISt17integral_constantIbLb0EES19_EEDaS14_S15_EUlS14_E_NS1_11comp_targetILNS1_3genE9ELNS1_11target_archE1100ELNS1_3gpuE3ELNS1_3repE0EEENS1_30default_config_static_selectorELNS0_4arch9wavefront6targetE0EEEvT1_,comdat
.Lfunc_end899:
	.size	_ZN7rocprim17ROCPRIM_400000_NS6detail17trampoline_kernelINS0_14default_configENS1_25partition_config_selectorILNS1_17partition_subalgoE8EN3c104HalfENS0_10empty_typeEbEEZZNS1_14partition_implILS5_8ELb0ES3_jPKS7_PS8_PKS8_NS0_5tupleIJPS7_S8_EEENSG_IJSD_SD_EEENS0_18inequality_wrapperIN6hipcub16HIPCUB_304000_NS8EqualityEEEPlJS8_EEE10hipError_tPvRmT3_T4_T5_T6_T7_T9_mT8_P12ihipStream_tbDpT10_ENKUlT_T0_E_clISt17integral_constantIbLb0EES19_EEDaS14_S15_EUlS14_E_NS1_11comp_targetILNS1_3genE9ELNS1_11target_archE1100ELNS1_3gpuE3ELNS1_3repE0EEENS1_30default_config_static_selectorELNS0_4arch9wavefront6targetE0EEEvT1_, .Lfunc_end899-_ZN7rocprim17ROCPRIM_400000_NS6detail17trampoline_kernelINS0_14default_configENS1_25partition_config_selectorILNS1_17partition_subalgoE8EN3c104HalfENS0_10empty_typeEbEEZZNS1_14partition_implILS5_8ELb0ES3_jPKS7_PS8_PKS8_NS0_5tupleIJPS7_S8_EEENSG_IJSD_SD_EEENS0_18inequality_wrapperIN6hipcub16HIPCUB_304000_NS8EqualityEEEPlJS8_EEE10hipError_tPvRmT3_T4_T5_T6_T7_T9_mT8_P12ihipStream_tbDpT10_ENKUlT_T0_E_clISt17integral_constantIbLb0EES19_EEDaS14_S15_EUlS14_E_NS1_11comp_targetILNS1_3genE9ELNS1_11target_archE1100ELNS1_3gpuE3ELNS1_3repE0EEENS1_30default_config_static_selectorELNS0_4arch9wavefront6targetE0EEEvT1_
                                        ; -- End function
	.set _ZN7rocprim17ROCPRIM_400000_NS6detail17trampoline_kernelINS0_14default_configENS1_25partition_config_selectorILNS1_17partition_subalgoE8EN3c104HalfENS0_10empty_typeEbEEZZNS1_14partition_implILS5_8ELb0ES3_jPKS7_PS8_PKS8_NS0_5tupleIJPS7_S8_EEENSG_IJSD_SD_EEENS0_18inequality_wrapperIN6hipcub16HIPCUB_304000_NS8EqualityEEEPlJS8_EEE10hipError_tPvRmT3_T4_T5_T6_T7_T9_mT8_P12ihipStream_tbDpT10_ENKUlT_T0_E_clISt17integral_constantIbLb0EES19_EEDaS14_S15_EUlS14_E_NS1_11comp_targetILNS1_3genE9ELNS1_11target_archE1100ELNS1_3gpuE3ELNS1_3repE0EEENS1_30default_config_static_selectorELNS0_4arch9wavefront6targetE0EEEvT1_.num_vgpr, 0
	.set _ZN7rocprim17ROCPRIM_400000_NS6detail17trampoline_kernelINS0_14default_configENS1_25partition_config_selectorILNS1_17partition_subalgoE8EN3c104HalfENS0_10empty_typeEbEEZZNS1_14partition_implILS5_8ELb0ES3_jPKS7_PS8_PKS8_NS0_5tupleIJPS7_S8_EEENSG_IJSD_SD_EEENS0_18inequality_wrapperIN6hipcub16HIPCUB_304000_NS8EqualityEEEPlJS8_EEE10hipError_tPvRmT3_T4_T5_T6_T7_T9_mT8_P12ihipStream_tbDpT10_ENKUlT_T0_E_clISt17integral_constantIbLb0EES19_EEDaS14_S15_EUlS14_E_NS1_11comp_targetILNS1_3genE9ELNS1_11target_archE1100ELNS1_3gpuE3ELNS1_3repE0EEENS1_30default_config_static_selectorELNS0_4arch9wavefront6targetE0EEEvT1_.num_agpr, 0
	.set _ZN7rocprim17ROCPRIM_400000_NS6detail17trampoline_kernelINS0_14default_configENS1_25partition_config_selectorILNS1_17partition_subalgoE8EN3c104HalfENS0_10empty_typeEbEEZZNS1_14partition_implILS5_8ELb0ES3_jPKS7_PS8_PKS8_NS0_5tupleIJPS7_S8_EEENSG_IJSD_SD_EEENS0_18inequality_wrapperIN6hipcub16HIPCUB_304000_NS8EqualityEEEPlJS8_EEE10hipError_tPvRmT3_T4_T5_T6_T7_T9_mT8_P12ihipStream_tbDpT10_ENKUlT_T0_E_clISt17integral_constantIbLb0EES19_EEDaS14_S15_EUlS14_E_NS1_11comp_targetILNS1_3genE9ELNS1_11target_archE1100ELNS1_3gpuE3ELNS1_3repE0EEENS1_30default_config_static_selectorELNS0_4arch9wavefront6targetE0EEEvT1_.numbered_sgpr, 0
	.set _ZN7rocprim17ROCPRIM_400000_NS6detail17trampoline_kernelINS0_14default_configENS1_25partition_config_selectorILNS1_17partition_subalgoE8EN3c104HalfENS0_10empty_typeEbEEZZNS1_14partition_implILS5_8ELb0ES3_jPKS7_PS8_PKS8_NS0_5tupleIJPS7_S8_EEENSG_IJSD_SD_EEENS0_18inequality_wrapperIN6hipcub16HIPCUB_304000_NS8EqualityEEEPlJS8_EEE10hipError_tPvRmT3_T4_T5_T6_T7_T9_mT8_P12ihipStream_tbDpT10_ENKUlT_T0_E_clISt17integral_constantIbLb0EES19_EEDaS14_S15_EUlS14_E_NS1_11comp_targetILNS1_3genE9ELNS1_11target_archE1100ELNS1_3gpuE3ELNS1_3repE0EEENS1_30default_config_static_selectorELNS0_4arch9wavefront6targetE0EEEvT1_.num_named_barrier, 0
	.set _ZN7rocprim17ROCPRIM_400000_NS6detail17trampoline_kernelINS0_14default_configENS1_25partition_config_selectorILNS1_17partition_subalgoE8EN3c104HalfENS0_10empty_typeEbEEZZNS1_14partition_implILS5_8ELb0ES3_jPKS7_PS8_PKS8_NS0_5tupleIJPS7_S8_EEENSG_IJSD_SD_EEENS0_18inequality_wrapperIN6hipcub16HIPCUB_304000_NS8EqualityEEEPlJS8_EEE10hipError_tPvRmT3_T4_T5_T6_T7_T9_mT8_P12ihipStream_tbDpT10_ENKUlT_T0_E_clISt17integral_constantIbLb0EES19_EEDaS14_S15_EUlS14_E_NS1_11comp_targetILNS1_3genE9ELNS1_11target_archE1100ELNS1_3gpuE3ELNS1_3repE0EEENS1_30default_config_static_selectorELNS0_4arch9wavefront6targetE0EEEvT1_.private_seg_size, 0
	.set _ZN7rocprim17ROCPRIM_400000_NS6detail17trampoline_kernelINS0_14default_configENS1_25partition_config_selectorILNS1_17partition_subalgoE8EN3c104HalfENS0_10empty_typeEbEEZZNS1_14partition_implILS5_8ELb0ES3_jPKS7_PS8_PKS8_NS0_5tupleIJPS7_S8_EEENSG_IJSD_SD_EEENS0_18inequality_wrapperIN6hipcub16HIPCUB_304000_NS8EqualityEEEPlJS8_EEE10hipError_tPvRmT3_T4_T5_T6_T7_T9_mT8_P12ihipStream_tbDpT10_ENKUlT_T0_E_clISt17integral_constantIbLb0EES19_EEDaS14_S15_EUlS14_E_NS1_11comp_targetILNS1_3genE9ELNS1_11target_archE1100ELNS1_3gpuE3ELNS1_3repE0EEENS1_30default_config_static_selectorELNS0_4arch9wavefront6targetE0EEEvT1_.uses_vcc, 0
	.set _ZN7rocprim17ROCPRIM_400000_NS6detail17trampoline_kernelINS0_14default_configENS1_25partition_config_selectorILNS1_17partition_subalgoE8EN3c104HalfENS0_10empty_typeEbEEZZNS1_14partition_implILS5_8ELb0ES3_jPKS7_PS8_PKS8_NS0_5tupleIJPS7_S8_EEENSG_IJSD_SD_EEENS0_18inequality_wrapperIN6hipcub16HIPCUB_304000_NS8EqualityEEEPlJS8_EEE10hipError_tPvRmT3_T4_T5_T6_T7_T9_mT8_P12ihipStream_tbDpT10_ENKUlT_T0_E_clISt17integral_constantIbLb0EES19_EEDaS14_S15_EUlS14_E_NS1_11comp_targetILNS1_3genE9ELNS1_11target_archE1100ELNS1_3gpuE3ELNS1_3repE0EEENS1_30default_config_static_selectorELNS0_4arch9wavefront6targetE0EEEvT1_.uses_flat_scratch, 0
	.set _ZN7rocprim17ROCPRIM_400000_NS6detail17trampoline_kernelINS0_14default_configENS1_25partition_config_selectorILNS1_17partition_subalgoE8EN3c104HalfENS0_10empty_typeEbEEZZNS1_14partition_implILS5_8ELb0ES3_jPKS7_PS8_PKS8_NS0_5tupleIJPS7_S8_EEENSG_IJSD_SD_EEENS0_18inequality_wrapperIN6hipcub16HIPCUB_304000_NS8EqualityEEEPlJS8_EEE10hipError_tPvRmT3_T4_T5_T6_T7_T9_mT8_P12ihipStream_tbDpT10_ENKUlT_T0_E_clISt17integral_constantIbLb0EES19_EEDaS14_S15_EUlS14_E_NS1_11comp_targetILNS1_3genE9ELNS1_11target_archE1100ELNS1_3gpuE3ELNS1_3repE0EEENS1_30default_config_static_selectorELNS0_4arch9wavefront6targetE0EEEvT1_.has_dyn_sized_stack, 0
	.set _ZN7rocprim17ROCPRIM_400000_NS6detail17trampoline_kernelINS0_14default_configENS1_25partition_config_selectorILNS1_17partition_subalgoE8EN3c104HalfENS0_10empty_typeEbEEZZNS1_14partition_implILS5_8ELb0ES3_jPKS7_PS8_PKS8_NS0_5tupleIJPS7_S8_EEENSG_IJSD_SD_EEENS0_18inequality_wrapperIN6hipcub16HIPCUB_304000_NS8EqualityEEEPlJS8_EEE10hipError_tPvRmT3_T4_T5_T6_T7_T9_mT8_P12ihipStream_tbDpT10_ENKUlT_T0_E_clISt17integral_constantIbLb0EES19_EEDaS14_S15_EUlS14_E_NS1_11comp_targetILNS1_3genE9ELNS1_11target_archE1100ELNS1_3gpuE3ELNS1_3repE0EEENS1_30default_config_static_selectorELNS0_4arch9wavefront6targetE0EEEvT1_.has_recursion, 0
	.set _ZN7rocprim17ROCPRIM_400000_NS6detail17trampoline_kernelINS0_14default_configENS1_25partition_config_selectorILNS1_17partition_subalgoE8EN3c104HalfENS0_10empty_typeEbEEZZNS1_14partition_implILS5_8ELb0ES3_jPKS7_PS8_PKS8_NS0_5tupleIJPS7_S8_EEENSG_IJSD_SD_EEENS0_18inequality_wrapperIN6hipcub16HIPCUB_304000_NS8EqualityEEEPlJS8_EEE10hipError_tPvRmT3_T4_T5_T6_T7_T9_mT8_P12ihipStream_tbDpT10_ENKUlT_T0_E_clISt17integral_constantIbLb0EES19_EEDaS14_S15_EUlS14_E_NS1_11comp_targetILNS1_3genE9ELNS1_11target_archE1100ELNS1_3gpuE3ELNS1_3repE0EEENS1_30default_config_static_selectorELNS0_4arch9wavefront6targetE0EEEvT1_.has_indirect_call, 0
	.section	.AMDGPU.csdata,"",@progbits
; Kernel info:
; codeLenInByte = 0
; TotalNumSgprs: 0
; NumVgprs: 0
; ScratchSize: 0
; MemoryBound: 0
; FloatMode: 240
; IeeeMode: 1
; LDSByteSize: 0 bytes/workgroup (compile time only)
; SGPRBlocks: 0
; VGPRBlocks: 0
; NumSGPRsForWavesPerEU: 1
; NumVGPRsForWavesPerEU: 1
; NamedBarCnt: 0
; Occupancy: 16
; WaveLimiterHint : 0
; COMPUTE_PGM_RSRC2:SCRATCH_EN: 0
; COMPUTE_PGM_RSRC2:USER_SGPR: 2
; COMPUTE_PGM_RSRC2:TRAP_HANDLER: 0
; COMPUTE_PGM_RSRC2:TGID_X_EN: 1
; COMPUTE_PGM_RSRC2:TGID_Y_EN: 0
; COMPUTE_PGM_RSRC2:TGID_Z_EN: 0
; COMPUTE_PGM_RSRC2:TIDIG_COMP_CNT: 0
	.section	.text._ZN7rocprim17ROCPRIM_400000_NS6detail17trampoline_kernelINS0_14default_configENS1_25partition_config_selectorILNS1_17partition_subalgoE8EN3c104HalfENS0_10empty_typeEbEEZZNS1_14partition_implILS5_8ELb0ES3_jPKS7_PS8_PKS8_NS0_5tupleIJPS7_S8_EEENSG_IJSD_SD_EEENS0_18inequality_wrapperIN6hipcub16HIPCUB_304000_NS8EqualityEEEPlJS8_EEE10hipError_tPvRmT3_T4_T5_T6_T7_T9_mT8_P12ihipStream_tbDpT10_ENKUlT_T0_E_clISt17integral_constantIbLb0EES19_EEDaS14_S15_EUlS14_E_NS1_11comp_targetILNS1_3genE8ELNS1_11target_archE1030ELNS1_3gpuE2ELNS1_3repE0EEENS1_30default_config_static_selectorELNS0_4arch9wavefront6targetE0EEEvT1_,"axG",@progbits,_ZN7rocprim17ROCPRIM_400000_NS6detail17trampoline_kernelINS0_14default_configENS1_25partition_config_selectorILNS1_17partition_subalgoE8EN3c104HalfENS0_10empty_typeEbEEZZNS1_14partition_implILS5_8ELb0ES3_jPKS7_PS8_PKS8_NS0_5tupleIJPS7_S8_EEENSG_IJSD_SD_EEENS0_18inequality_wrapperIN6hipcub16HIPCUB_304000_NS8EqualityEEEPlJS8_EEE10hipError_tPvRmT3_T4_T5_T6_T7_T9_mT8_P12ihipStream_tbDpT10_ENKUlT_T0_E_clISt17integral_constantIbLb0EES19_EEDaS14_S15_EUlS14_E_NS1_11comp_targetILNS1_3genE8ELNS1_11target_archE1030ELNS1_3gpuE2ELNS1_3repE0EEENS1_30default_config_static_selectorELNS0_4arch9wavefront6targetE0EEEvT1_,comdat
	.protected	_ZN7rocprim17ROCPRIM_400000_NS6detail17trampoline_kernelINS0_14default_configENS1_25partition_config_selectorILNS1_17partition_subalgoE8EN3c104HalfENS0_10empty_typeEbEEZZNS1_14partition_implILS5_8ELb0ES3_jPKS7_PS8_PKS8_NS0_5tupleIJPS7_S8_EEENSG_IJSD_SD_EEENS0_18inequality_wrapperIN6hipcub16HIPCUB_304000_NS8EqualityEEEPlJS8_EEE10hipError_tPvRmT3_T4_T5_T6_T7_T9_mT8_P12ihipStream_tbDpT10_ENKUlT_T0_E_clISt17integral_constantIbLb0EES19_EEDaS14_S15_EUlS14_E_NS1_11comp_targetILNS1_3genE8ELNS1_11target_archE1030ELNS1_3gpuE2ELNS1_3repE0EEENS1_30default_config_static_selectorELNS0_4arch9wavefront6targetE0EEEvT1_ ; -- Begin function _ZN7rocprim17ROCPRIM_400000_NS6detail17trampoline_kernelINS0_14default_configENS1_25partition_config_selectorILNS1_17partition_subalgoE8EN3c104HalfENS0_10empty_typeEbEEZZNS1_14partition_implILS5_8ELb0ES3_jPKS7_PS8_PKS8_NS0_5tupleIJPS7_S8_EEENSG_IJSD_SD_EEENS0_18inequality_wrapperIN6hipcub16HIPCUB_304000_NS8EqualityEEEPlJS8_EEE10hipError_tPvRmT3_T4_T5_T6_T7_T9_mT8_P12ihipStream_tbDpT10_ENKUlT_T0_E_clISt17integral_constantIbLb0EES19_EEDaS14_S15_EUlS14_E_NS1_11comp_targetILNS1_3genE8ELNS1_11target_archE1030ELNS1_3gpuE2ELNS1_3repE0EEENS1_30default_config_static_selectorELNS0_4arch9wavefront6targetE0EEEvT1_
	.globl	_ZN7rocprim17ROCPRIM_400000_NS6detail17trampoline_kernelINS0_14default_configENS1_25partition_config_selectorILNS1_17partition_subalgoE8EN3c104HalfENS0_10empty_typeEbEEZZNS1_14partition_implILS5_8ELb0ES3_jPKS7_PS8_PKS8_NS0_5tupleIJPS7_S8_EEENSG_IJSD_SD_EEENS0_18inequality_wrapperIN6hipcub16HIPCUB_304000_NS8EqualityEEEPlJS8_EEE10hipError_tPvRmT3_T4_T5_T6_T7_T9_mT8_P12ihipStream_tbDpT10_ENKUlT_T0_E_clISt17integral_constantIbLb0EES19_EEDaS14_S15_EUlS14_E_NS1_11comp_targetILNS1_3genE8ELNS1_11target_archE1030ELNS1_3gpuE2ELNS1_3repE0EEENS1_30default_config_static_selectorELNS0_4arch9wavefront6targetE0EEEvT1_
	.p2align	8
	.type	_ZN7rocprim17ROCPRIM_400000_NS6detail17trampoline_kernelINS0_14default_configENS1_25partition_config_selectorILNS1_17partition_subalgoE8EN3c104HalfENS0_10empty_typeEbEEZZNS1_14partition_implILS5_8ELb0ES3_jPKS7_PS8_PKS8_NS0_5tupleIJPS7_S8_EEENSG_IJSD_SD_EEENS0_18inequality_wrapperIN6hipcub16HIPCUB_304000_NS8EqualityEEEPlJS8_EEE10hipError_tPvRmT3_T4_T5_T6_T7_T9_mT8_P12ihipStream_tbDpT10_ENKUlT_T0_E_clISt17integral_constantIbLb0EES19_EEDaS14_S15_EUlS14_E_NS1_11comp_targetILNS1_3genE8ELNS1_11target_archE1030ELNS1_3gpuE2ELNS1_3repE0EEENS1_30default_config_static_selectorELNS0_4arch9wavefront6targetE0EEEvT1_,@function
_ZN7rocprim17ROCPRIM_400000_NS6detail17trampoline_kernelINS0_14default_configENS1_25partition_config_selectorILNS1_17partition_subalgoE8EN3c104HalfENS0_10empty_typeEbEEZZNS1_14partition_implILS5_8ELb0ES3_jPKS7_PS8_PKS8_NS0_5tupleIJPS7_S8_EEENSG_IJSD_SD_EEENS0_18inequality_wrapperIN6hipcub16HIPCUB_304000_NS8EqualityEEEPlJS8_EEE10hipError_tPvRmT3_T4_T5_T6_T7_T9_mT8_P12ihipStream_tbDpT10_ENKUlT_T0_E_clISt17integral_constantIbLb0EES19_EEDaS14_S15_EUlS14_E_NS1_11comp_targetILNS1_3genE8ELNS1_11target_archE1030ELNS1_3gpuE2ELNS1_3repE0EEENS1_30default_config_static_selectorELNS0_4arch9wavefront6targetE0EEEvT1_: ; @_ZN7rocprim17ROCPRIM_400000_NS6detail17trampoline_kernelINS0_14default_configENS1_25partition_config_selectorILNS1_17partition_subalgoE8EN3c104HalfENS0_10empty_typeEbEEZZNS1_14partition_implILS5_8ELb0ES3_jPKS7_PS8_PKS8_NS0_5tupleIJPS7_S8_EEENSG_IJSD_SD_EEENS0_18inequality_wrapperIN6hipcub16HIPCUB_304000_NS8EqualityEEEPlJS8_EEE10hipError_tPvRmT3_T4_T5_T6_T7_T9_mT8_P12ihipStream_tbDpT10_ENKUlT_T0_E_clISt17integral_constantIbLb0EES19_EEDaS14_S15_EUlS14_E_NS1_11comp_targetILNS1_3genE8ELNS1_11target_archE1030ELNS1_3gpuE2ELNS1_3repE0EEENS1_30default_config_static_selectorELNS0_4arch9wavefront6targetE0EEEvT1_
; %bb.0:
	.section	.rodata,"a",@progbits
	.p2align	6, 0x0
	.amdhsa_kernel _ZN7rocprim17ROCPRIM_400000_NS6detail17trampoline_kernelINS0_14default_configENS1_25partition_config_selectorILNS1_17partition_subalgoE8EN3c104HalfENS0_10empty_typeEbEEZZNS1_14partition_implILS5_8ELb0ES3_jPKS7_PS8_PKS8_NS0_5tupleIJPS7_S8_EEENSG_IJSD_SD_EEENS0_18inequality_wrapperIN6hipcub16HIPCUB_304000_NS8EqualityEEEPlJS8_EEE10hipError_tPvRmT3_T4_T5_T6_T7_T9_mT8_P12ihipStream_tbDpT10_ENKUlT_T0_E_clISt17integral_constantIbLb0EES19_EEDaS14_S15_EUlS14_E_NS1_11comp_targetILNS1_3genE8ELNS1_11target_archE1030ELNS1_3gpuE2ELNS1_3repE0EEENS1_30default_config_static_selectorELNS0_4arch9wavefront6targetE0EEEvT1_
		.amdhsa_group_segment_fixed_size 0
		.amdhsa_private_segment_fixed_size 0
		.amdhsa_kernarg_size 112
		.amdhsa_user_sgpr_count 2
		.amdhsa_user_sgpr_dispatch_ptr 0
		.amdhsa_user_sgpr_queue_ptr 0
		.amdhsa_user_sgpr_kernarg_segment_ptr 1
		.amdhsa_user_sgpr_dispatch_id 0
		.amdhsa_user_sgpr_kernarg_preload_length 0
		.amdhsa_user_sgpr_kernarg_preload_offset 0
		.amdhsa_user_sgpr_private_segment_size 0
		.amdhsa_wavefront_size32 1
		.amdhsa_uses_dynamic_stack 0
		.amdhsa_enable_private_segment 0
		.amdhsa_system_sgpr_workgroup_id_x 1
		.amdhsa_system_sgpr_workgroup_id_y 0
		.amdhsa_system_sgpr_workgroup_id_z 0
		.amdhsa_system_sgpr_workgroup_info 0
		.amdhsa_system_vgpr_workitem_id 0
		.amdhsa_next_free_vgpr 1
		.amdhsa_next_free_sgpr 1
		.amdhsa_named_barrier_count 0
		.amdhsa_reserve_vcc 0
		.amdhsa_float_round_mode_32 0
		.amdhsa_float_round_mode_16_64 0
		.amdhsa_float_denorm_mode_32 3
		.amdhsa_float_denorm_mode_16_64 3
		.amdhsa_fp16_overflow 0
		.amdhsa_memory_ordered 1
		.amdhsa_forward_progress 1
		.amdhsa_inst_pref_size 0
		.amdhsa_round_robin_scheduling 0
		.amdhsa_exception_fp_ieee_invalid_op 0
		.amdhsa_exception_fp_denorm_src 0
		.amdhsa_exception_fp_ieee_div_zero 0
		.amdhsa_exception_fp_ieee_overflow 0
		.amdhsa_exception_fp_ieee_underflow 0
		.amdhsa_exception_fp_ieee_inexact 0
		.amdhsa_exception_int_div_zero 0
	.end_amdhsa_kernel
	.section	.text._ZN7rocprim17ROCPRIM_400000_NS6detail17trampoline_kernelINS0_14default_configENS1_25partition_config_selectorILNS1_17partition_subalgoE8EN3c104HalfENS0_10empty_typeEbEEZZNS1_14partition_implILS5_8ELb0ES3_jPKS7_PS8_PKS8_NS0_5tupleIJPS7_S8_EEENSG_IJSD_SD_EEENS0_18inequality_wrapperIN6hipcub16HIPCUB_304000_NS8EqualityEEEPlJS8_EEE10hipError_tPvRmT3_T4_T5_T6_T7_T9_mT8_P12ihipStream_tbDpT10_ENKUlT_T0_E_clISt17integral_constantIbLb0EES19_EEDaS14_S15_EUlS14_E_NS1_11comp_targetILNS1_3genE8ELNS1_11target_archE1030ELNS1_3gpuE2ELNS1_3repE0EEENS1_30default_config_static_selectorELNS0_4arch9wavefront6targetE0EEEvT1_,"axG",@progbits,_ZN7rocprim17ROCPRIM_400000_NS6detail17trampoline_kernelINS0_14default_configENS1_25partition_config_selectorILNS1_17partition_subalgoE8EN3c104HalfENS0_10empty_typeEbEEZZNS1_14partition_implILS5_8ELb0ES3_jPKS7_PS8_PKS8_NS0_5tupleIJPS7_S8_EEENSG_IJSD_SD_EEENS0_18inequality_wrapperIN6hipcub16HIPCUB_304000_NS8EqualityEEEPlJS8_EEE10hipError_tPvRmT3_T4_T5_T6_T7_T9_mT8_P12ihipStream_tbDpT10_ENKUlT_T0_E_clISt17integral_constantIbLb0EES19_EEDaS14_S15_EUlS14_E_NS1_11comp_targetILNS1_3genE8ELNS1_11target_archE1030ELNS1_3gpuE2ELNS1_3repE0EEENS1_30default_config_static_selectorELNS0_4arch9wavefront6targetE0EEEvT1_,comdat
.Lfunc_end900:
	.size	_ZN7rocprim17ROCPRIM_400000_NS6detail17trampoline_kernelINS0_14default_configENS1_25partition_config_selectorILNS1_17partition_subalgoE8EN3c104HalfENS0_10empty_typeEbEEZZNS1_14partition_implILS5_8ELb0ES3_jPKS7_PS8_PKS8_NS0_5tupleIJPS7_S8_EEENSG_IJSD_SD_EEENS0_18inequality_wrapperIN6hipcub16HIPCUB_304000_NS8EqualityEEEPlJS8_EEE10hipError_tPvRmT3_T4_T5_T6_T7_T9_mT8_P12ihipStream_tbDpT10_ENKUlT_T0_E_clISt17integral_constantIbLb0EES19_EEDaS14_S15_EUlS14_E_NS1_11comp_targetILNS1_3genE8ELNS1_11target_archE1030ELNS1_3gpuE2ELNS1_3repE0EEENS1_30default_config_static_selectorELNS0_4arch9wavefront6targetE0EEEvT1_, .Lfunc_end900-_ZN7rocprim17ROCPRIM_400000_NS6detail17trampoline_kernelINS0_14default_configENS1_25partition_config_selectorILNS1_17partition_subalgoE8EN3c104HalfENS0_10empty_typeEbEEZZNS1_14partition_implILS5_8ELb0ES3_jPKS7_PS8_PKS8_NS0_5tupleIJPS7_S8_EEENSG_IJSD_SD_EEENS0_18inequality_wrapperIN6hipcub16HIPCUB_304000_NS8EqualityEEEPlJS8_EEE10hipError_tPvRmT3_T4_T5_T6_T7_T9_mT8_P12ihipStream_tbDpT10_ENKUlT_T0_E_clISt17integral_constantIbLb0EES19_EEDaS14_S15_EUlS14_E_NS1_11comp_targetILNS1_3genE8ELNS1_11target_archE1030ELNS1_3gpuE2ELNS1_3repE0EEENS1_30default_config_static_selectorELNS0_4arch9wavefront6targetE0EEEvT1_
                                        ; -- End function
	.set _ZN7rocprim17ROCPRIM_400000_NS6detail17trampoline_kernelINS0_14default_configENS1_25partition_config_selectorILNS1_17partition_subalgoE8EN3c104HalfENS0_10empty_typeEbEEZZNS1_14partition_implILS5_8ELb0ES3_jPKS7_PS8_PKS8_NS0_5tupleIJPS7_S8_EEENSG_IJSD_SD_EEENS0_18inequality_wrapperIN6hipcub16HIPCUB_304000_NS8EqualityEEEPlJS8_EEE10hipError_tPvRmT3_T4_T5_T6_T7_T9_mT8_P12ihipStream_tbDpT10_ENKUlT_T0_E_clISt17integral_constantIbLb0EES19_EEDaS14_S15_EUlS14_E_NS1_11comp_targetILNS1_3genE8ELNS1_11target_archE1030ELNS1_3gpuE2ELNS1_3repE0EEENS1_30default_config_static_selectorELNS0_4arch9wavefront6targetE0EEEvT1_.num_vgpr, 0
	.set _ZN7rocprim17ROCPRIM_400000_NS6detail17trampoline_kernelINS0_14default_configENS1_25partition_config_selectorILNS1_17partition_subalgoE8EN3c104HalfENS0_10empty_typeEbEEZZNS1_14partition_implILS5_8ELb0ES3_jPKS7_PS8_PKS8_NS0_5tupleIJPS7_S8_EEENSG_IJSD_SD_EEENS0_18inequality_wrapperIN6hipcub16HIPCUB_304000_NS8EqualityEEEPlJS8_EEE10hipError_tPvRmT3_T4_T5_T6_T7_T9_mT8_P12ihipStream_tbDpT10_ENKUlT_T0_E_clISt17integral_constantIbLb0EES19_EEDaS14_S15_EUlS14_E_NS1_11comp_targetILNS1_3genE8ELNS1_11target_archE1030ELNS1_3gpuE2ELNS1_3repE0EEENS1_30default_config_static_selectorELNS0_4arch9wavefront6targetE0EEEvT1_.num_agpr, 0
	.set _ZN7rocprim17ROCPRIM_400000_NS6detail17trampoline_kernelINS0_14default_configENS1_25partition_config_selectorILNS1_17partition_subalgoE8EN3c104HalfENS0_10empty_typeEbEEZZNS1_14partition_implILS5_8ELb0ES3_jPKS7_PS8_PKS8_NS0_5tupleIJPS7_S8_EEENSG_IJSD_SD_EEENS0_18inequality_wrapperIN6hipcub16HIPCUB_304000_NS8EqualityEEEPlJS8_EEE10hipError_tPvRmT3_T4_T5_T6_T7_T9_mT8_P12ihipStream_tbDpT10_ENKUlT_T0_E_clISt17integral_constantIbLb0EES19_EEDaS14_S15_EUlS14_E_NS1_11comp_targetILNS1_3genE8ELNS1_11target_archE1030ELNS1_3gpuE2ELNS1_3repE0EEENS1_30default_config_static_selectorELNS0_4arch9wavefront6targetE0EEEvT1_.numbered_sgpr, 0
	.set _ZN7rocprim17ROCPRIM_400000_NS6detail17trampoline_kernelINS0_14default_configENS1_25partition_config_selectorILNS1_17partition_subalgoE8EN3c104HalfENS0_10empty_typeEbEEZZNS1_14partition_implILS5_8ELb0ES3_jPKS7_PS8_PKS8_NS0_5tupleIJPS7_S8_EEENSG_IJSD_SD_EEENS0_18inequality_wrapperIN6hipcub16HIPCUB_304000_NS8EqualityEEEPlJS8_EEE10hipError_tPvRmT3_T4_T5_T6_T7_T9_mT8_P12ihipStream_tbDpT10_ENKUlT_T0_E_clISt17integral_constantIbLb0EES19_EEDaS14_S15_EUlS14_E_NS1_11comp_targetILNS1_3genE8ELNS1_11target_archE1030ELNS1_3gpuE2ELNS1_3repE0EEENS1_30default_config_static_selectorELNS0_4arch9wavefront6targetE0EEEvT1_.num_named_barrier, 0
	.set _ZN7rocprim17ROCPRIM_400000_NS6detail17trampoline_kernelINS0_14default_configENS1_25partition_config_selectorILNS1_17partition_subalgoE8EN3c104HalfENS0_10empty_typeEbEEZZNS1_14partition_implILS5_8ELb0ES3_jPKS7_PS8_PKS8_NS0_5tupleIJPS7_S8_EEENSG_IJSD_SD_EEENS0_18inequality_wrapperIN6hipcub16HIPCUB_304000_NS8EqualityEEEPlJS8_EEE10hipError_tPvRmT3_T4_T5_T6_T7_T9_mT8_P12ihipStream_tbDpT10_ENKUlT_T0_E_clISt17integral_constantIbLb0EES19_EEDaS14_S15_EUlS14_E_NS1_11comp_targetILNS1_3genE8ELNS1_11target_archE1030ELNS1_3gpuE2ELNS1_3repE0EEENS1_30default_config_static_selectorELNS0_4arch9wavefront6targetE0EEEvT1_.private_seg_size, 0
	.set _ZN7rocprim17ROCPRIM_400000_NS6detail17trampoline_kernelINS0_14default_configENS1_25partition_config_selectorILNS1_17partition_subalgoE8EN3c104HalfENS0_10empty_typeEbEEZZNS1_14partition_implILS5_8ELb0ES3_jPKS7_PS8_PKS8_NS0_5tupleIJPS7_S8_EEENSG_IJSD_SD_EEENS0_18inequality_wrapperIN6hipcub16HIPCUB_304000_NS8EqualityEEEPlJS8_EEE10hipError_tPvRmT3_T4_T5_T6_T7_T9_mT8_P12ihipStream_tbDpT10_ENKUlT_T0_E_clISt17integral_constantIbLb0EES19_EEDaS14_S15_EUlS14_E_NS1_11comp_targetILNS1_3genE8ELNS1_11target_archE1030ELNS1_3gpuE2ELNS1_3repE0EEENS1_30default_config_static_selectorELNS0_4arch9wavefront6targetE0EEEvT1_.uses_vcc, 0
	.set _ZN7rocprim17ROCPRIM_400000_NS6detail17trampoline_kernelINS0_14default_configENS1_25partition_config_selectorILNS1_17partition_subalgoE8EN3c104HalfENS0_10empty_typeEbEEZZNS1_14partition_implILS5_8ELb0ES3_jPKS7_PS8_PKS8_NS0_5tupleIJPS7_S8_EEENSG_IJSD_SD_EEENS0_18inequality_wrapperIN6hipcub16HIPCUB_304000_NS8EqualityEEEPlJS8_EEE10hipError_tPvRmT3_T4_T5_T6_T7_T9_mT8_P12ihipStream_tbDpT10_ENKUlT_T0_E_clISt17integral_constantIbLb0EES19_EEDaS14_S15_EUlS14_E_NS1_11comp_targetILNS1_3genE8ELNS1_11target_archE1030ELNS1_3gpuE2ELNS1_3repE0EEENS1_30default_config_static_selectorELNS0_4arch9wavefront6targetE0EEEvT1_.uses_flat_scratch, 0
	.set _ZN7rocprim17ROCPRIM_400000_NS6detail17trampoline_kernelINS0_14default_configENS1_25partition_config_selectorILNS1_17partition_subalgoE8EN3c104HalfENS0_10empty_typeEbEEZZNS1_14partition_implILS5_8ELb0ES3_jPKS7_PS8_PKS8_NS0_5tupleIJPS7_S8_EEENSG_IJSD_SD_EEENS0_18inequality_wrapperIN6hipcub16HIPCUB_304000_NS8EqualityEEEPlJS8_EEE10hipError_tPvRmT3_T4_T5_T6_T7_T9_mT8_P12ihipStream_tbDpT10_ENKUlT_T0_E_clISt17integral_constantIbLb0EES19_EEDaS14_S15_EUlS14_E_NS1_11comp_targetILNS1_3genE8ELNS1_11target_archE1030ELNS1_3gpuE2ELNS1_3repE0EEENS1_30default_config_static_selectorELNS0_4arch9wavefront6targetE0EEEvT1_.has_dyn_sized_stack, 0
	.set _ZN7rocprim17ROCPRIM_400000_NS6detail17trampoline_kernelINS0_14default_configENS1_25partition_config_selectorILNS1_17partition_subalgoE8EN3c104HalfENS0_10empty_typeEbEEZZNS1_14partition_implILS5_8ELb0ES3_jPKS7_PS8_PKS8_NS0_5tupleIJPS7_S8_EEENSG_IJSD_SD_EEENS0_18inequality_wrapperIN6hipcub16HIPCUB_304000_NS8EqualityEEEPlJS8_EEE10hipError_tPvRmT3_T4_T5_T6_T7_T9_mT8_P12ihipStream_tbDpT10_ENKUlT_T0_E_clISt17integral_constantIbLb0EES19_EEDaS14_S15_EUlS14_E_NS1_11comp_targetILNS1_3genE8ELNS1_11target_archE1030ELNS1_3gpuE2ELNS1_3repE0EEENS1_30default_config_static_selectorELNS0_4arch9wavefront6targetE0EEEvT1_.has_recursion, 0
	.set _ZN7rocprim17ROCPRIM_400000_NS6detail17trampoline_kernelINS0_14default_configENS1_25partition_config_selectorILNS1_17partition_subalgoE8EN3c104HalfENS0_10empty_typeEbEEZZNS1_14partition_implILS5_8ELb0ES3_jPKS7_PS8_PKS8_NS0_5tupleIJPS7_S8_EEENSG_IJSD_SD_EEENS0_18inequality_wrapperIN6hipcub16HIPCUB_304000_NS8EqualityEEEPlJS8_EEE10hipError_tPvRmT3_T4_T5_T6_T7_T9_mT8_P12ihipStream_tbDpT10_ENKUlT_T0_E_clISt17integral_constantIbLb0EES19_EEDaS14_S15_EUlS14_E_NS1_11comp_targetILNS1_3genE8ELNS1_11target_archE1030ELNS1_3gpuE2ELNS1_3repE0EEENS1_30default_config_static_selectorELNS0_4arch9wavefront6targetE0EEEvT1_.has_indirect_call, 0
	.section	.AMDGPU.csdata,"",@progbits
; Kernel info:
; codeLenInByte = 0
; TotalNumSgprs: 0
; NumVgprs: 0
; ScratchSize: 0
; MemoryBound: 0
; FloatMode: 240
; IeeeMode: 1
; LDSByteSize: 0 bytes/workgroup (compile time only)
; SGPRBlocks: 0
; VGPRBlocks: 0
; NumSGPRsForWavesPerEU: 1
; NumVGPRsForWavesPerEU: 1
; NamedBarCnt: 0
; Occupancy: 16
; WaveLimiterHint : 0
; COMPUTE_PGM_RSRC2:SCRATCH_EN: 0
; COMPUTE_PGM_RSRC2:USER_SGPR: 2
; COMPUTE_PGM_RSRC2:TRAP_HANDLER: 0
; COMPUTE_PGM_RSRC2:TGID_X_EN: 1
; COMPUTE_PGM_RSRC2:TGID_Y_EN: 0
; COMPUTE_PGM_RSRC2:TGID_Z_EN: 0
; COMPUTE_PGM_RSRC2:TIDIG_COMP_CNT: 0
	.section	.text._ZN7rocprim17ROCPRIM_400000_NS6detail17trampoline_kernelINS0_14default_configENS1_25partition_config_selectorILNS1_17partition_subalgoE8EN3c104HalfENS0_10empty_typeEbEEZZNS1_14partition_implILS5_8ELb0ES3_jPKS7_PS8_PKS8_NS0_5tupleIJPS7_S8_EEENSG_IJSD_SD_EEENS0_18inequality_wrapperIN6hipcub16HIPCUB_304000_NS8EqualityEEEPlJS8_EEE10hipError_tPvRmT3_T4_T5_T6_T7_T9_mT8_P12ihipStream_tbDpT10_ENKUlT_T0_E_clISt17integral_constantIbLb1EES19_EEDaS14_S15_EUlS14_E_NS1_11comp_targetILNS1_3genE0ELNS1_11target_archE4294967295ELNS1_3gpuE0ELNS1_3repE0EEENS1_30default_config_static_selectorELNS0_4arch9wavefront6targetE0EEEvT1_,"axG",@progbits,_ZN7rocprim17ROCPRIM_400000_NS6detail17trampoline_kernelINS0_14default_configENS1_25partition_config_selectorILNS1_17partition_subalgoE8EN3c104HalfENS0_10empty_typeEbEEZZNS1_14partition_implILS5_8ELb0ES3_jPKS7_PS8_PKS8_NS0_5tupleIJPS7_S8_EEENSG_IJSD_SD_EEENS0_18inequality_wrapperIN6hipcub16HIPCUB_304000_NS8EqualityEEEPlJS8_EEE10hipError_tPvRmT3_T4_T5_T6_T7_T9_mT8_P12ihipStream_tbDpT10_ENKUlT_T0_E_clISt17integral_constantIbLb1EES19_EEDaS14_S15_EUlS14_E_NS1_11comp_targetILNS1_3genE0ELNS1_11target_archE4294967295ELNS1_3gpuE0ELNS1_3repE0EEENS1_30default_config_static_selectorELNS0_4arch9wavefront6targetE0EEEvT1_,comdat
	.protected	_ZN7rocprim17ROCPRIM_400000_NS6detail17trampoline_kernelINS0_14default_configENS1_25partition_config_selectorILNS1_17partition_subalgoE8EN3c104HalfENS0_10empty_typeEbEEZZNS1_14partition_implILS5_8ELb0ES3_jPKS7_PS8_PKS8_NS0_5tupleIJPS7_S8_EEENSG_IJSD_SD_EEENS0_18inequality_wrapperIN6hipcub16HIPCUB_304000_NS8EqualityEEEPlJS8_EEE10hipError_tPvRmT3_T4_T5_T6_T7_T9_mT8_P12ihipStream_tbDpT10_ENKUlT_T0_E_clISt17integral_constantIbLb1EES19_EEDaS14_S15_EUlS14_E_NS1_11comp_targetILNS1_3genE0ELNS1_11target_archE4294967295ELNS1_3gpuE0ELNS1_3repE0EEENS1_30default_config_static_selectorELNS0_4arch9wavefront6targetE0EEEvT1_ ; -- Begin function _ZN7rocprim17ROCPRIM_400000_NS6detail17trampoline_kernelINS0_14default_configENS1_25partition_config_selectorILNS1_17partition_subalgoE8EN3c104HalfENS0_10empty_typeEbEEZZNS1_14partition_implILS5_8ELb0ES3_jPKS7_PS8_PKS8_NS0_5tupleIJPS7_S8_EEENSG_IJSD_SD_EEENS0_18inequality_wrapperIN6hipcub16HIPCUB_304000_NS8EqualityEEEPlJS8_EEE10hipError_tPvRmT3_T4_T5_T6_T7_T9_mT8_P12ihipStream_tbDpT10_ENKUlT_T0_E_clISt17integral_constantIbLb1EES19_EEDaS14_S15_EUlS14_E_NS1_11comp_targetILNS1_3genE0ELNS1_11target_archE4294967295ELNS1_3gpuE0ELNS1_3repE0EEENS1_30default_config_static_selectorELNS0_4arch9wavefront6targetE0EEEvT1_
	.globl	_ZN7rocprim17ROCPRIM_400000_NS6detail17trampoline_kernelINS0_14default_configENS1_25partition_config_selectorILNS1_17partition_subalgoE8EN3c104HalfENS0_10empty_typeEbEEZZNS1_14partition_implILS5_8ELb0ES3_jPKS7_PS8_PKS8_NS0_5tupleIJPS7_S8_EEENSG_IJSD_SD_EEENS0_18inequality_wrapperIN6hipcub16HIPCUB_304000_NS8EqualityEEEPlJS8_EEE10hipError_tPvRmT3_T4_T5_T6_T7_T9_mT8_P12ihipStream_tbDpT10_ENKUlT_T0_E_clISt17integral_constantIbLb1EES19_EEDaS14_S15_EUlS14_E_NS1_11comp_targetILNS1_3genE0ELNS1_11target_archE4294967295ELNS1_3gpuE0ELNS1_3repE0EEENS1_30default_config_static_selectorELNS0_4arch9wavefront6targetE0EEEvT1_
	.p2align	8
	.type	_ZN7rocprim17ROCPRIM_400000_NS6detail17trampoline_kernelINS0_14default_configENS1_25partition_config_selectorILNS1_17partition_subalgoE8EN3c104HalfENS0_10empty_typeEbEEZZNS1_14partition_implILS5_8ELb0ES3_jPKS7_PS8_PKS8_NS0_5tupleIJPS7_S8_EEENSG_IJSD_SD_EEENS0_18inequality_wrapperIN6hipcub16HIPCUB_304000_NS8EqualityEEEPlJS8_EEE10hipError_tPvRmT3_T4_T5_T6_T7_T9_mT8_P12ihipStream_tbDpT10_ENKUlT_T0_E_clISt17integral_constantIbLb1EES19_EEDaS14_S15_EUlS14_E_NS1_11comp_targetILNS1_3genE0ELNS1_11target_archE4294967295ELNS1_3gpuE0ELNS1_3repE0EEENS1_30default_config_static_selectorELNS0_4arch9wavefront6targetE0EEEvT1_,@function
_ZN7rocprim17ROCPRIM_400000_NS6detail17trampoline_kernelINS0_14default_configENS1_25partition_config_selectorILNS1_17partition_subalgoE8EN3c104HalfENS0_10empty_typeEbEEZZNS1_14partition_implILS5_8ELb0ES3_jPKS7_PS8_PKS8_NS0_5tupleIJPS7_S8_EEENSG_IJSD_SD_EEENS0_18inequality_wrapperIN6hipcub16HIPCUB_304000_NS8EqualityEEEPlJS8_EEE10hipError_tPvRmT3_T4_T5_T6_T7_T9_mT8_P12ihipStream_tbDpT10_ENKUlT_T0_E_clISt17integral_constantIbLb1EES19_EEDaS14_S15_EUlS14_E_NS1_11comp_targetILNS1_3genE0ELNS1_11target_archE4294967295ELNS1_3gpuE0ELNS1_3repE0EEENS1_30default_config_static_selectorELNS0_4arch9wavefront6targetE0EEEvT1_: ; @_ZN7rocprim17ROCPRIM_400000_NS6detail17trampoline_kernelINS0_14default_configENS1_25partition_config_selectorILNS1_17partition_subalgoE8EN3c104HalfENS0_10empty_typeEbEEZZNS1_14partition_implILS5_8ELb0ES3_jPKS7_PS8_PKS8_NS0_5tupleIJPS7_S8_EEENSG_IJSD_SD_EEENS0_18inequality_wrapperIN6hipcub16HIPCUB_304000_NS8EqualityEEEPlJS8_EEE10hipError_tPvRmT3_T4_T5_T6_T7_T9_mT8_P12ihipStream_tbDpT10_ENKUlT_T0_E_clISt17integral_constantIbLb1EES19_EEDaS14_S15_EUlS14_E_NS1_11comp_targetILNS1_3genE0ELNS1_11target_archE4294967295ELNS1_3gpuE0ELNS1_3repE0EEENS1_30default_config_static_selectorELNS0_4arch9wavefront6targetE0EEEvT1_
; %bb.0:
	s_endpgm
	.section	.rodata,"a",@progbits
	.p2align	6, 0x0
	.amdhsa_kernel _ZN7rocprim17ROCPRIM_400000_NS6detail17trampoline_kernelINS0_14default_configENS1_25partition_config_selectorILNS1_17partition_subalgoE8EN3c104HalfENS0_10empty_typeEbEEZZNS1_14partition_implILS5_8ELb0ES3_jPKS7_PS8_PKS8_NS0_5tupleIJPS7_S8_EEENSG_IJSD_SD_EEENS0_18inequality_wrapperIN6hipcub16HIPCUB_304000_NS8EqualityEEEPlJS8_EEE10hipError_tPvRmT3_T4_T5_T6_T7_T9_mT8_P12ihipStream_tbDpT10_ENKUlT_T0_E_clISt17integral_constantIbLb1EES19_EEDaS14_S15_EUlS14_E_NS1_11comp_targetILNS1_3genE0ELNS1_11target_archE4294967295ELNS1_3gpuE0ELNS1_3repE0EEENS1_30default_config_static_selectorELNS0_4arch9wavefront6targetE0EEEvT1_
		.amdhsa_group_segment_fixed_size 0
		.amdhsa_private_segment_fixed_size 0
		.amdhsa_kernarg_size 128
		.amdhsa_user_sgpr_count 2
		.amdhsa_user_sgpr_dispatch_ptr 0
		.amdhsa_user_sgpr_queue_ptr 0
		.amdhsa_user_sgpr_kernarg_segment_ptr 1
		.amdhsa_user_sgpr_dispatch_id 0
		.amdhsa_user_sgpr_kernarg_preload_length 0
		.amdhsa_user_sgpr_kernarg_preload_offset 0
		.amdhsa_user_sgpr_private_segment_size 0
		.amdhsa_wavefront_size32 1
		.amdhsa_uses_dynamic_stack 0
		.amdhsa_enable_private_segment 0
		.amdhsa_system_sgpr_workgroup_id_x 1
		.amdhsa_system_sgpr_workgroup_id_y 0
		.amdhsa_system_sgpr_workgroup_id_z 0
		.amdhsa_system_sgpr_workgroup_info 0
		.amdhsa_system_vgpr_workitem_id 0
		.amdhsa_next_free_vgpr 1
		.amdhsa_next_free_sgpr 1
		.amdhsa_named_barrier_count 0
		.amdhsa_reserve_vcc 0
		.amdhsa_float_round_mode_32 0
		.amdhsa_float_round_mode_16_64 0
		.amdhsa_float_denorm_mode_32 3
		.amdhsa_float_denorm_mode_16_64 3
		.amdhsa_fp16_overflow 0
		.amdhsa_memory_ordered 1
		.amdhsa_forward_progress 1
		.amdhsa_inst_pref_size 1
		.amdhsa_round_robin_scheduling 0
		.amdhsa_exception_fp_ieee_invalid_op 0
		.amdhsa_exception_fp_denorm_src 0
		.amdhsa_exception_fp_ieee_div_zero 0
		.amdhsa_exception_fp_ieee_overflow 0
		.amdhsa_exception_fp_ieee_underflow 0
		.amdhsa_exception_fp_ieee_inexact 0
		.amdhsa_exception_int_div_zero 0
	.end_amdhsa_kernel
	.section	.text._ZN7rocprim17ROCPRIM_400000_NS6detail17trampoline_kernelINS0_14default_configENS1_25partition_config_selectorILNS1_17partition_subalgoE8EN3c104HalfENS0_10empty_typeEbEEZZNS1_14partition_implILS5_8ELb0ES3_jPKS7_PS8_PKS8_NS0_5tupleIJPS7_S8_EEENSG_IJSD_SD_EEENS0_18inequality_wrapperIN6hipcub16HIPCUB_304000_NS8EqualityEEEPlJS8_EEE10hipError_tPvRmT3_T4_T5_T6_T7_T9_mT8_P12ihipStream_tbDpT10_ENKUlT_T0_E_clISt17integral_constantIbLb1EES19_EEDaS14_S15_EUlS14_E_NS1_11comp_targetILNS1_3genE0ELNS1_11target_archE4294967295ELNS1_3gpuE0ELNS1_3repE0EEENS1_30default_config_static_selectorELNS0_4arch9wavefront6targetE0EEEvT1_,"axG",@progbits,_ZN7rocprim17ROCPRIM_400000_NS6detail17trampoline_kernelINS0_14default_configENS1_25partition_config_selectorILNS1_17partition_subalgoE8EN3c104HalfENS0_10empty_typeEbEEZZNS1_14partition_implILS5_8ELb0ES3_jPKS7_PS8_PKS8_NS0_5tupleIJPS7_S8_EEENSG_IJSD_SD_EEENS0_18inequality_wrapperIN6hipcub16HIPCUB_304000_NS8EqualityEEEPlJS8_EEE10hipError_tPvRmT3_T4_T5_T6_T7_T9_mT8_P12ihipStream_tbDpT10_ENKUlT_T0_E_clISt17integral_constantIbLb1EES19_EEDaS14_S15_EUlS14_E_NS1_11comp_targetILNS1_3genE0ELNS1_11target_archE4294967295ELNS1_3gpuE0ELNS1_3repE0EEENS1_30default_config_static_selectorELNS0_4arch9wavefront6targetE0EEEvT1_,comdat
.Lfunc_end901:
	.size	_ZN7rocprim17ROCPRIM_400000_NS6detail17trampoline_kernelINS0_14default_configENS1_25partition_config_selectorILNS1_17partition_subalgoE8EN3c104HalfENS0_10empty_typeEbEEZZNS1_14partition_implILS5_8ELb0ES3_jPKS7_PS8_PKS8_NS0_5tupleIJPS7_S8_EEENSG_IJSD_SD_EEENS0_18inequality_wrapperIN6hipcub16HIPCUB_304000_NS8EqualityEEEPlJS8_EEE10hipError_tPvRmT3_T4_T5_T6_T7_T9_mT8_P12ihipStream_tbDpT10_ENKUlT_T0_E_clISt17integral_constantIbLb1EES19_EEDaS14_S15_EUlS14_E_NS1_11comp_targetILNS1_3genE0ELNS1_11target_archE4294967295ELNS1_3gpuE0ELNS1_3repE0EEENS1_30default_config_static_selectorELNS0_4arch9wavefront6targetE0EEEvT1_, .Lfunc_end901-_ZN7rocprim17ROCPRIM_400000_NS6detail17trampoline_kernelINS0_14default_configENS1_25partition_config_selectorILNS1_17partition_subalgoE8EN3c104HalfENS0_10empty_typeEbEEZZNS1_14partition_implILS5_8ELb0ES3_jPKS7_PS8_PKS8_NS0_5tupleIJPS7_S8_EEENSG_IJSD_SD_EEENS0_18inequality_wrapperIN6hipcub16HIPCUB_304000_NS8EqualityEEEPlJS8_EEE10hipError_tPvRmT3_T4_T5_T6_T7_T9_mT8_P12ihipStream_tbDpT10_ENKUlT_T0_E_clISt17integral_constantIbLb1EES19_EEDaS14_S15_EUlS14_E_NS1_11comp_targetILNS1_3genE0ELNS1_11target_archE4294967295ELNS1_3gpuE0ELNS1_3repE0EEENS1_30default_config_static_selectorELNS0_4arch9wavefront6targetE0EEEvT1_
                                        ; -- End function
	.set _ZN7rocprim17ROCPRIM_400000_NS6detail17trampoline_kernelINS0_14default_configENS1_25partition_config_selectorILNS1_17partition_subalgoE8EN3c104HalfENS0_10empty_typeEbEEZZNS1_14partition_implILS5_8ELb0ES3_jPKS7_PS8_PKS8_NS0_5tupleIJPS7_S8_EEENSG_IJSD_SD_EEENS0_18inequality_wrapperIN6hipcub16HIPCUB_304000_NS8EqualityEEEPlJS8_EEE10hipError_tPvRmT3_T4_T5_T6_T7_T9_mT8_P12ihipStream_tbDpT10_ENKUlT_T0_E_clISt17integral_constantIbLb1EES19_EEDaS14_S15_EUlS14_E_NS1_11comp_targetILNS1_3genE0ELNS1_11target_archE4294967295ELNS1_3gpuE0ELNS1_3repE0EEENS1_30default_config_static_selectorELNS0_4arch9wavefront6targetE0EEEvT1_.num_vgpr, 0
	.set _ZN7rocprim17ROCPRIM_400000_NS6detail17trampoline_kernelINS0_14default_configENS1_25partition_config_selectorILNS1_17partition_subalgoE8EN3c104HalfENS0_10empty_typeEbEEZZNS1_14partition_implILS5_8ELb0ES3_jPKS7_PS8_PKS8_NS0_5tupleIJPS7_S8_EEENSG_IJSD_SD_EEENS0_18inequality_wrapperIN6hipcub16HIPCUB_304000_NS8EqualityEEEPlJS8_EEE10hipError_tPvRmT3_T4_T5_T6_T7_T9_mT8_P12ihipStream_tbDpT10_ENKUlT_T0_E_clISt17integral_constantIbLb1EES19_EEDaS14_S15_EUlS14_E_NS1_11comp_targetILNS1_3genE0ELNS1_11target_archE4294967295ELNS1_3gpuE0ELNS1_3repE0EEENS1_30default_config_static_selectorELNS0_4arch9wavefront6targetE0EEEvT1_.num_agpr, 0
	.set _ZN7rocprim17ROCPRIM_400000_NS6detail17trampoline_kernelINS0_14default_configENS1_25partition_config_selectorILNS1_17partition_subalgoE8EN3c104HalfENS0_10empty_typeEbEEZZNS1_14partition_implILS5_8ELb0ES3_jPKS7_PS8_PKS8_NS0_5tupleIJPS7_S8_EEENSG_IJSD_SD_EEENS0_18inequality_wrapperIN6hipcub16HIPCUB_304000_NS8EqualityEEEPlJS8_EEE10hipError_tPvRmT3_T4_T5_T6_T7_T9_mT8_P12ihipStream_tbDpT10_ENKUlT_T0_E_clISt17integral_constantIbLb1EES19_EEDaS14_S15_EUlS14_E_NS1_11comp_targetILNS1_3genE0ELNS1_11target_archE4294967295ELNS1_3gpuE0ELNS1_3repE0EEENS1_30default_config_static_selectorELNS0_4arch9wavefront6targetE0EEEvT1_.numbered_sgpr, 0
	.set _ZN7rocprim17ROCPRIM_400000_NS6detail17trampoline_kernelINS0_14default_configENS1_25partition_config_selectorILNS1_17partition_subalgoE8EN3c104HalfENS0_10empty_typeEbEEZZNS1_14partition_implILS5_8ELb0ES3_jPKS7_PS8_PKS8_NS0_5tupleIJPS7_S8_EEENSG_IJSD_SD_EEENS0_18inequality_wrapperIN6hipcub16HIPCUB_304000_NS8EqualityEEEPlJS8_EEE10hipError_tPvRmT3_T4_T5_T6_T7_T9_mT8_P12ihipStream_tbDpT10_ENKUlT_T0_E_clISt17integral_constantIbLb1EES19_EEDaS14_S15_EUlS14_E_NS1_11comp_targetILNS1_3genE0ELNS1_11target_archE4294967295ELNS1_3gpuE0ELNS1_3repE0EEENS1_30default_config_static_selectorELNS0_4arch9wavefront6targetE0EEEvT1_.num_named_barrier, 0
	.set _ZN7rocprim17ROCPRIM_400000_NS6detail17trampoline_kernelINS0_14default_configENS1_25partition_config_selectorILNS1_17partition_subalgoE8EN3c104HalfENS0_10empty_typeEbEEZZNS1_14partition_implILS5_8ELb0ES3_jPKS7_PS8_PKS8_NS0_5tupleIJPS7_S8_EEENSG_IJSD_SD_EEENS0_18inequality_wrapperIN6hipcub16HIPCUB_304000_NS8EqualityEEEPlJS8_EEE10hipError_tPvRmT3_T4_T5_T6_T7_T9_mT8_P12ihipStream_tbDpT10_ENKUlT_T0_E_clISt17integral_constantIbLb1EES19_EEDaS14_S15_EUlS14_E_NS1_11comp_targetILNS1_3genE0ELNS1_11target_archE4294967295ELNS1_3gpuE0ELNS1_3repE0EEENS1_30default_config_static_selectorELNS0_4arch9wavefront6targetE0EEEvT1_.private_seg_size, 0
	.set _ZN7rocprim17ROCPRIM_400000_NS6detail17trampoline_kernelINS0_14default_configENS1_25partition_config_selectorILNS1_17partition_subalgoE8EN3c104HalfENS0_10empty_typeEbEEZZNS1_14partition_implILS5_8ELb0ES3_jPKS7_PS8_PKS8_NS0_5tupleIJPS7_S8_EEENSG_IJSD_SD_EEENS0_18inequality_wrapperIN6hipcub16HIPCUB_304000_NS8EqualityEEEPlJS8_EEE10hipError_tPvRmT3_T4_T5_T6_T7_T9_mT8_P12ihipStream_tbDpT10_ENKUlT_T0_E_clISt17integral_constantIbLb1EES19_EEDaS14_S15_EUlS14_E_NS1_11comp_targetILNS1_3genE0ELNS1_11target_archE4294967295ELNS1_3gpuE0ELNS1_3repE0EEENS1_30default_config_static_selectorELNS0_4arch9wavefront6targetE0EEEvT1_.uses_vcc, 0
	.set _ZN7rocprim17ROCPRIM_400000_NS6detail17trampoline_kernelINS0_14default_configENS1_25partition_config_selectorILNS1_17partition_subalgoE8EN3c104HalfENS0_10empty_typeEbEEZZNS1_14partition_implILS5_8ELb0ES3_jPKS7_PS8_PKS8_NS0_5tupleIJPS7_S8_EEENSG_IJSD_SD_EEENS0_18inequality_wrapperIN6hipcub16HIPCUB_304000_NS8EqualityEEEPlJS8_EEE10hipError_tPvRmT3_T4_T5_T6_T7_T9_mT8_P12ihipStream_tbDpT10_ENKUlT_T0_E_clISt17integral_constantIbLb1EES19_EEDaS14_S15_EUlS14_E_NS1_11comp_targetILNS1_3genE0ELNS1_11target_archE4294967295ELNS1_3gpuE0ELNS1_3repE0EEENS1_30default_config_static_selectorELNS0_4arch9wavefront6targetE0EEEvT1_.uses_flat_scratch, 0
	.set _ZN7rocprim17ROCPRIM_400000_NS6detail17trampoline_kernelINS0_14default_configENS1_25partition_config_selectorILNS1_17partition_subalgoE8EN3c104HalfENS0_10empty_typeEbEEZZNS1_14partition_implILS5_8ELb0ES3_jPKS7_PS8_PKS8_NS0_5tupleIJPS7_S8_EEENSG_IJSD_SD_EEENS0_18inequality_wrapperIN6hipcub16HIPCUB_304000_NS8EqualityEEEPlJS8_EEE10hipError_tPvRmT3_T4_T5_T6_T7_T9_mT8_P12ihipStream_tbDpT10_ENKUlT_T0_E_clISt17integral_constantIbLb1EES19_EEDaS14_S15_EUlS14_E_NS1_11comp_targetILNS1_3genE0ELNS1_11target_archE4294967295ELNS1_3gpuE0ELNS1_3repE0EEENS1_30default_config_static_selectorELNS0_4arch9wavefront6targetE0EEEvT1_.has_dyn_sized_stack, 0
	.set _ZN7rocprim17ROCPRIM_400000_NS6detail17trampoline_kernelINS0_14default_configENS1_25partition_config_selectorILNS1_17partition_subalgoE8EN3c104HalfENS0_10empty_typeEbEEZZNS1_14partition_implILS5_8ELb0ES3_jPKS7_PS8_PKS8_NS0_5tupleIJPS7_S8_EEENSG_IJSD_SD_EEENS0_18inequality_wrapperIN6hipcub16HIPCUB_304000_NS8EqualityEEEPlJS8_EEE10hipError_tPvRmT3_T4_T5_T6_T7_T9_mT8_P12ihipStream_tbDpT10_ENKUlT_T0_E_clISt17integral_constantIbLb1EES19_EEDaS14_S15_EUlS14_E_NS1_11comp_targetILNS1_3genE0ELNS1_11target_archE4294967295ELNS1_3gpuE0ELNS1_3repE0EEENS1_30default_config_static_selectorELNS0_4arch9wavefront6targetE0EEEvT1_.has_recursion, 0
	.set _ZN7rocprim17ROCPRIM_400000_NS6detail17trampoline_kernelINS0_14default_configENS1_25partition_config_selectorILNS1_17partition_subalgoE8EN3c104HalfENS0_10empty_typeEbEEZZNS1_14partition_implILS5_8ELb0ES3_jPKS7_PS8_PKS8_NS0_5tupleIJPS7_S8_EEENSG_IJSD_SD_EEENS0_18inequality_wrapperIN6hipcub16HIPCUB_304000_NS8EqualityEEEPlJS8_EEE10hipError_tPvRmT3_T4_T5_T6_T7_T9_mT8_P12ihipStream_tbDpT10_ENKUlT_T0_E_clISt17integral_constantIbLb1EES19_EEDaS14_S15_EUlS14_E_NS1_11comp_targetILNS1_3genE0ELNS1_11target_archE4294967295ELNS1_3gpuE0ELNS1_3repE0EEENS1_30default_config_static_selectorELNS0_4arch9wavefront6targetE0EEEvT1_.has_indirect_call, 0
	.section	.AMDGPU.csdata,"",@progbits
; Kernel info:
; codeLenInByte = 4
; TotalNumSgprs: 0
; NumVgprs: 0
; ScratchSize: 0
; MemoryBound: 0
; FloatMode: 240
; IeeeMode: 1
; LDSByteSize: 0 bytes/workgroup (compile time only)
; SGPRBlocks: 0
; VGPRBlocks: 0
; NumSGPRsForWavesPerEU: 1
; NumVGPRsForWavesPerEU: 1
; NamedBarCnt: 0
; Occupancy: 16
; WaveLimiterHint : 0
; COMPUTE_PGM_RSRC2:SCRATCH_EN: 0
; COMPUTE_PGM_RSRC2:USER_SGPR: 2
; COMPUTE_PGM_RSRC2:TRAP_HANDLER: 0
; COMPUTE_PGM_RSRC2:TGID_X_EN: 1
; COMPUTE_PGM_RSRC2:TGID_Y_EN: 0
; COMPUTE_PGM_RSRC2:TGID_Z_EN: 0
; COMPUTE_PGM_RSRC2:TIDIG_COMP_CNT: 0
	.section	.text._ZN7rocprim17ROCPRIM_400000_NS6detail17trampoline_kernelINS0_14default_configENS1_25partition_config_selectorILNS1_17partition_subalgoE8EN3c104HalfENS0_10empty_typeEbEEZZNS1_14partition_implILS5_8ELb0ES3_jPKS7_PS8_PKS8_NS0_5tupleIJPS7_S8_EEENSG_IJSD_SD_EEENS0_18inequality_wrapperIN6hipcub16HIPCUB_304000_NS8EqualityEEEPlJS8_EEE10hipError_tPvRmT3_T4_T5_T6_T7_T9_mT8_P12ihipStream_tbDpT10_ENKUlT_T0_E_clISt17integral_constantIbLb1EES19_EEDaS14_S15_EUlS14_E_NS1_11comp_targetILNS1_3genE5ELNS1_11target_archE942ELNS1_3gpuE9ELNS1_3repE0EEENS1_30default_config_static_selectorELNS0_4arch9wavefront6targetE0EEEvT1_,"axG",@progbits,_ZN7rocprim17ROCPRIM_400000_NS6detail17trampoline_kernelINS0_14default_configENS1_25partition_config_selectorILNS1_17partition_subalgoE8EN3c104HalfENS0_10empty_typeEbEEZZNS1_14partition_implILS5_8ELb0ES3_jPKS7_PS8_PKS8_NS0_5tupleIJPS7_S8_EEENSG_IJSD_SD_EEENS0_18inequality_wrapperIN6hipcub16HIPCUB_304000_NS8EqualityEEEPlJS8_EEE10hipError_tPvRmT3_T4_T5_T6_T7_T9_mT8_P12ihipStream_tbDpT10_ENKUlT_T0_E_clISt17integral_constantIbLb1EES19_EEDaS14_S15_EUlS14_E_NS1_11comp_targetILNS1_3genE5ELNS1_11target_archE942ELNS1_3gpuE9ELNS1_3repE0EEENS1_30default_config_static_selectorELNS0_4arch9wavefront6targetE0EEEvT1_,comdat
	.protected	_ZN7rocprim17ROCPRIM_400000_NS6detail17trampoline_kernelINS0_14default_configENS1_25partition_config_selectorILNS1_17partition_subalgoE8EN3c104HalfENS0_10empty_typeEbEEZZNS1_14partition_implILS5_8ELb0ES3_jPKS7_PS8_PKS8_NS0_5tupleIJPS7_S8_EEENSG_IJSD_SD_EEENS0_18inequality_wrapperIN6hipcub16HIPCUB_304000_NS8EqualityEEEPlJS8_EEE10hipError_tPvRmT3_T4_T5_T6_T7_T9_mT8_P12ihipStream_tbDpT10_ENKUlT_T0_E_clISt17integral_constantIbLb1EES19_EEDaS14_S15_EUlS14_E_NS1_11comp_targetILNS1_3genE5ELNS1_11target_archE942ELNS1_3gpuE9ELNS1_3repE0EEENS1_30default_config_static_selectorELNS0_4arch9wavefront6targetE0EEEvT1_ ; -- Begin function _ZN7rocprim17ROCPRIM_400000_NS6detail17trampoline_kernelINS0_14default_configENS1_25partition_config_selectorILNS1_17partition_subalgoE8EN3c104HalfENS0_10empty_typeEbEEZZNS1_14partition_implILS5_8ELb0ES3_jPKS7_PS8_PKS8_NS0_5tupleIJPS7_S8_EEENSG_IJSD_SD_EEENS0_18inequality_wrapperIN6hipcub16HIPCUB_304000_NS8EqualityEEEPlJS8_EEE10hipError_tPvRmT3_T4_T5_T6_T7_T9_mT8_P12ihipStream_tbDpT10_ENKUlT_T0_E_clISt17integral_constantIbLb1EES19_EEDaS14_S15_EUlS14_E_NS1_11comp_targetILNS1_3genE5ELNS1_11target_archE942ELNS1_3gpuE9ELNS1_3repE0EEENS1_30default_config_static_selectorELNS0_4arch9wavefront6targetE0EEEvT1_
	.globl	_ZN7rocprim17ROCPRIM_400000_NS6detail17trampoline_kernelINS0_14default_configENS1_25partition_config_selectorILNS1_17partition_subalgoE8EN3c104HalfENS0_10empty_typeEbEEZZNS1_14partition_implILS5_8ELb0ES3_jPKS7_PS8_PKS8_NS0_5tupleIJPS7_S8_EEENSG_IJSD_SD_EEENS0_18inequality_wrapperIN6hipcub16HIPCUB_304000_NS8EqualityEEEPlJS8_EEE10hipError_tPvRmT3_T4_T5_T6_T7_T9_mT8_P12ihipStream_tbDpT10_ENKUlT_T0_E_clISt17integral_constantIbLb1EES19_EEDaS14_S15_EUlS14_E_NS1_11comp_targetILNS1_3genE5ELNS1_11target_archE942ELNS1_3gpuE9ELNS1_3repE0EEENS1_30default_config_static_selectorELNS0_4arch9wavefront6targetE0EEEvT1_
	.p2align	8
	.type	_ZN7rocprim17ROCPRIM_400000_NS6detail17trampoline_kernelINS0_14default_configENS1_25partition_config_selectorILNS1_17partition_subalgoE8EN3c104HalfENS0_10empty_typeEbEEZZNS1_14partition_implILS5_8ELb0ES3_jPKS7_PS8_PKS8_NS0_5tupleIJPS7_S8_EEENSG_IJSD_SD_EEENS0_18inequality_wrapperIN6hipcub16HIPCUB_304000_NS8EqualityEEEPlJS8_EEE10hipError_tPvRmT3_T4_T5_T6_T7_T9_mT8_P12ihipStream_tbDpT10_ENKUlT_T0_E_clISt17integral_constantIbLb1EES19_EEDaS14_S15_EUlS14_E_NS1_11comp_targetILNS1_3genE5ELNS1_11target_archE942ELNS1_3gpuE9ELNS1_3repE0EEENS1_30default_config_static_selectorELNS0_4arch9wavefront6targetE0EEEvT1_,@function
_ZN7rocprim17ROCPRIM_400000_NS6detail17trampoline_kernelINS0_14default_configENS1_25partition_config_selectorILNS1_17partition_subalgoE8EN3c104HalfENS0_10empty_typeEbEEZZNS1_14partition_implILS5_8ELb0ES3_jPKS7_PS8_PKS8_NS0_5tupleIJPS7_S8_EEENSG_IJSD_SD_EEENS0_18inequality_wrapperIN6hipcub16HIPCUB_304000_NS8EqualityEEEPlJS8_EEE10hipError_tPvRmT3_T4_T5_T6_T7_T9_mT8_P12ihipStream_tbDpT10_ENKUlT_T0_E_clISt17integral_constantIbLb1EES19_EEDaS14_S15_EUlS14_E_NS1_11comp_targetILNS1_3genE5ELNS1_11target_archE942ELNS1_3gpuE9ELNS1_3repE0EEENS1_30default_config_static_selectorELNS0_4arch9wavefront6targetE0EEEvT1_: ; @_ZN7rocprim17ROCPRIM_400000_NS6detail17trampoline_kernelINS0_14default_configENS1_25partition_config_selectorILNS1_17partition_subalgoE8EN3c104HalfENS0_10empty_typeEbEEZZNS1_14partition_implILS5_8ELb0ES3_jPKS7_PS8_PKS8_NS0_5tupleIJPS7_S8_EEENSG_IJSD_SD_EEENS0_18inequality_wrapperIN6hipcub16HIPCUB_304000_NS8EqualityEEEPlJS8_EEE10hipError_tPvRmT3_T4_T5_T6_T7_T9_mT8_P12ihipStream_tbDpT10_ENKUlT_T0_E_clISt17integral_constantIbLb1EES19_EEDaS14_S15_EUlS14_E_NS1_11comp_targetILNS1_3genE5ELNS1_11target_archE942ELNS1_3gpuE9ELNS1_3repE0EEENS1_30default_config_static_selectorELNS0_4arch9wavefront6targetE0EEEvT1_
; %bb.0:
	.section	.rodata,"a",@progbits
	.p2align	6, 0x0
	.amdhsa_kernel _ZN7rocprim17ROCPRIM_400000_NS6detail17trampoline_kernelINS0_14default_configENS1_25partition_config_selectorILNS1_17partition_subalgoE8EN3c104HalfENS0_10empty_typeEbEEZZNS1_14partition_implILS5_8ELb0ES3_jPKS7_PS8_PKS8_NS0_5tupleIJPS7_S8_EEENSG_IJSD_SD_EEENS0_18inequality_wrapperIN6hipcub16HIPCUB_304000_NS8EqualityEEEPlJS8_EEE10hipError_tPvRmT3_T4_T5_T6_T7_T9_mT8_P12ihipStream_tbDpT10_ENKUlT_T0_E_clISt17integral_constantIbLb1EES19_EEDaS14_S15_EUlS14_E_NS1_11comp_targetILNS1_3genE5ELNS1_11target_archE942ELNS1_3gpuE9ELNS1_3repE0EEENS1_30default_config_static_selectorELNS0_4arch9wavefront6targetE0EEEvT1_
		.amdhsa_group_segment_fixed_size 0
		.amdhsa_private_segment_fixed_size 0
		.amdhsa_kernarg_size 128
		.amdhsa_user_sgpr_count 2
		.amdhsa_user_sgpr_dispatch_ptr 0
		.amdhsa_user_sgpr_queue_ptr 0
		.amdhsa_user_sgpr_kernarg_segment_ptr 1
		.amdhsa_user_sgpr_dispatch_id 0
		.amdhsa_user_sgpr_kernarg_preload_length 0
		.amdhsa_user_sgpr_kernarg_preload_offset 0
		.amdhsa_user_sgpr_private_segment_size 0
		.amdhsa_wavefront_size32 1
		.amdhsa_uses_dynamic_stack 0
		.amdhsa_enable_private_segment 0
		.amdhsa_system_sgpr_workgroup_id_x 1
		.amdhsa_system_sgpr_workgroup_id_y 0
		.amdhsa_system_sgpr_workgroup_id_z 0
		.amdhsa_system_sgpr_workgroup_info 0
		.amdhsa_system_vgpr_workitem_id 0
		.amdhsa_next_free_vgpr 1
		.amdhsa_next_free_sgpr 1
		.amdhsa_named_barrier_count 0
		.amdhsa_reserve_vcc 0
		.amdhsa_float_round_mode_32 0
		.amdhsa_float_round_mode_16_64 0
		.amdhsa_float_denorm_mode_32 3
		.amdhsa_float_denorm_mode_16_64 3
		.amdhsa_fp16_overflow 0
		.amdhsa_memory_ordered 1
		.amdhsa_forward_progress 1
		.amdhsa_inst_pref_size 0
		.amdhsa_round_robin_scheduling 0
		.amdhsa_exception_fp_ieee_invalid_op 0
		.amdhsa_exception_fp_denorm_src 0
		.amdhsa_exception_fp_ieee_div_zero 0
		.amdhsa_exception_fp_ieee_overflow 0
		.amdhsa_exception_fp_ieee_underflow 0
		.amdhsa_exception_fp_ieee_inexact 0
		.amdhsa_exception_int_div_zero 0
	.end_amdhsa_kernel
	.section	.text._ZN7rocprim17ROCPRIM_400000_NS6detail17trampoline_kernelINS0_14default_configENS1_25partition_config_selectorILNS1_17partition_subalgoE8EN3c104HalfENS0_10empty_typeEbEEZZNS1_14partition_implILS5_8ELb0ES3_jPKS7_PS8_PKS8_NS0_5tupleIJPS7_S8_EEENSG_IJSD_SD_EEENS0_18inequality_wrapperIN6hipcub16HIPCUB_304000_NS8EqualityEEEPlJS8_EEE10hipError_tPvRmT3_T4_T5_T6_T7_T9_mT8_P12ihipStream_tbDpT10_ENKUlT_T0_E_clISt17integral_constantIbLb1EES19_EEDaS14_S15_EUlS14_E_NS1_11comp_targetILNS1_3genE5ELNS1_11target_archE942ELNS1_3gpuE9ELNS1_3repE0EEENS1_30default_config_static_selectorELNS0_4arch9wavefront6targetE0EEEvT1_,"axG",@progbits,_ZN7rocprim17ROCPRIM_400000_NS6detail17trampoline_kernelINS0_14default_configENS1_25partition_config_selectorILNS1_17partition_subalgoE8EN3c104HalfENS0_10empty_typeEbEEZZNS1_14partition_implILS5_8ELb0ES3_jPKS7_PS8_PKS8_NS0_5tupleIJPS7_S8_EEENSG_IJSD_SD_EEENS0_18inequality_wrapperIN6hipcub16HIPCUB_304000_NS8EqualityEEEPlJS8_EEE10hipError_tPvRmT3_T4_T5_T6_T7_T9_mT8_P12ihipStream_tbDpT10_ENKUlT_T0_E_clISt17integral_constantIbLb1EES19_EEDaS14_S15_EUlS14_E_NS1_11comp_targetILNS1_3genE5ELNS1_11target_archE942ELNS1_3gpuE9ELNS1_3repE0EEENS1_30default_config_static_selectorELNS0_4arch9wavefront6targetE0EEEvT1_,comdat
.Lfunc_end902:
	.size	_ZN7rocprim17ROCPRIM_400000_NS6detail17trampoline_kernelINS0_14default_configENS1_25partition_config_selectorILNS1_17partition_subalgoE8EN3c104HalfENS0_10empty_typeEbEEZZNS1_14partition_implILS5_8ELb0ES3_jPKS7_PS8_PKS8_NS0_5tupleIJPS7_S8_EEENSG_IJSD_SD_EEENS0_18inequality_wrapperIN6hipcub16HIPCUB_304000_NS8EqualityEEEPlJS8_EEE10hipError_tPvRmT3_T4_T5_T6_T7_T9_mT8_P12ihipStream_tbDpT10_ENKUlT_T0_E_clISt17integral_constantIbLb1EES19_EEDaS14_S15_EUlS14_E_NS1_11comp_targetILNS1_3genE5ELNS1_11target_archE942ELNS1_3gpuE9ELNS1_3repE0EEENS1_30default_config_static_selectorELNS0_4arch9wavefront6targetE0EEEvT1_, .Lfunc_end902-_ZN7rocprim17ROCPRIM_400000_NS6detail17trampoline_kernelINS0_14default_configENS1_25partition_config_selectorILNS1_17partition_subalgoE8EN3c104HalfENS0_10empty_typeEbEEZZNS1_14partition_implILS5_8ELb0ES3_jPKS7_PS8_PKS8_NS0_5tupleIJPS7_S8_EEENSG_IJSD_SD_EEENS0_18inequality_wrapperIN6hipcub16HIPCUB_304000_NS8EqualityEEEPlJS8_EEE10hipError_tPvRmT3_T4_T5_T6_T7_T9_mT8_P12ihipStream_tbDpT10_ENKUlT_T0_E_clISt17integral_constantIbLb1EES19_EEDaS14_S15_EUlS14_E_NS1_11comp_targetILNS1_3genE5ELNS1_11target_archE942ELNS1_3gpuE9ELNS1_3repE0EEENS1_30default_config_static_selectorELNS0_4arch9wavefront6targetE0EEEvT1_
                                        ; -- End function
	.set _ZN7rocprim17ROCPRIM_400000_NS6detail17trampoline_kernelINS0_14default_configENS1_25partition_config_selectorILNS1_17partition_subalgoE8EN3c104HalfENS0_10empty_typeEbEEZZNS1_14partition_implILS5_8ELb0ES3_jPKS7_PS8_PKS8_NS0_5tupleIJPS7_S8_EEENSG_IJSD_SD_EEENS0_18inequality_wrapperIN6hipcub16HIPCUB_304000_NS8EqualityEEEPlJS8_EEE10hipError_tPvRmT3_T4_T5_T6_T7_T9_mT8_P12ihipStream_tbDpT10_ENKUlT_T0_E_clISt17integral_constantIbLb1EES19_EEDaS14_S15_EUlS14_E_NS1_11comp_targetILNS1_3genE5ELNS1_11target_archE942ELNS1_3gpuE9ELNS1_3repE0EEENS1_30default_config_static_selectorELNS0_4arch9wavefront6targetE0EEEvT1_.num_vgpr, 0
	.set _ZN7rocprim17ROCPRIM_400000_NS6detail17trampoline_kernelINS0_14default_configENS1_25partition_config_selectorILNS1_17partition_subalgoE8EN3c104HalfENS0_10empty_typeEbEEZZNS1_14partition_implILS5_8ELb0ES3_jPKS7_PS8_PKS8_NS0_5tupleIJPS7_S8_EEENSG_IJSD_SD_EEENS0_18inequality_wrapperIN6hipcub16HIPCUB_304000_NS8EqualityEEEPlJS8_EEE10hipError_tPvRmT3_T4_T5_T6_T7_T9_mT8_P12ihipStream_tbDpT10_ENKUlT_T0_E_clISt17integral_constantIbLb1EES19_EEDaS14_S15_EUlS14_E_NS1_11comp_targetILNS1_3genE5ELNS1_11target_archE942ELNS1_3gpuE9ELNS1_3repE0EEENS1_30default_config_static_selectorELNS0_4arch9wavefront6targetE0EEEvT1_.num_agpr, 0
	.set _ZN7rocprim17ROCPRIM_400000_NS6detail17trampoline_kernelINS0_14default_configENS1_25partition_config_selectorILNS1_17partition_subalgoE8EN3c104HalfENS0_10empty_typeEbEEZZNS1_14partition_implILS5_8ELb0ES3_jPKS7_PS8_PKS8_NS0_5tupleIJPS7_S8_EEENSG_IJSD_SD_EEENS0_18inequality_wrapperIN6hipcub16HIPCUB_304000_NS8EqualityEEEPlJS8_EEE10hipError_tPvRmT3_T4_T5_T6_T7_T9_mT8_P12ihipStream_tbDpT10_ENKUlT_T0_E_clISt17integral_constantIbLb1EES19_EEDaS14_S15_EUlS14_E_NS1_11comp_targetILNS1_3genE5ELNS1_11target_archE942ELNS1_3gpuE9ELNS1_3repE0EEENS1_30default_config_static_selectorELNS0_4arch9wavefront6targetE0EEEvT1_.numbered_sgpr, 0
	.set _ZN7rocprim17ROCPRIM_400000_NS6detail17trampoline_kernelINS0_14default_configENS1_25partition_config_selectorILNS1_17partition_subalgoE8EN3c104HalfENS0_10empty_typeEbEEZZNS1_14partition_implILS5_8ELb0ES3_jPKS7_PS8_PKS8_NS0_5tupleIJPS7_S8_EEENSG_IJSD_SD_EEENS0_18inequality_wrapperIN6hipcub16HIPCUB_304000_NS8EqualityEEEPlJS8_EEE10hipError_tPvRmT3_T4_T5_T6_T7_T9_mT8_P12ihipStream_tbDpT10_ENKUlT_T0_E_clISt17integral_constantIbLb1EES19_EEDaS14_S15_EUlS14_E_NS1_11comp_targetILNS1_3genE5ELNS1_11target_archE942ELNS1_3gpuE9ELNS1_3repE0EEENS1_30default_config_static_selectorELNS0_4arch9wavefront6targetE0EEEvT1_.num_named_barrier, 0
	.set _ZN7rocprim17ROCPRIM_400000_NS6detail17trampoline_kernelINS0_14default_configENS1_25partition_config_selectorILNS1_17partition_subalgoE8EN3c104HalfENS0_10empty_typeEbEEZZNS1_14partition_implILS5_8ELb0ES3_jPKS7_PS8_PKS8_NS0_5tupleIJPS7_S8_EEENSG_IJSD_SD_EEENS0_18inequality_wrapperIN6hipcub16HIPCUB_304000_NS8EqualityEEEPlJS8_EEE10hipError_tPvRmT3_T4_T5_T6_T7_T9_mT8_P12ihipStream_tbDpT10_ENKUlT_T0_E_clISt17integral_constantIbLb1EES19_EEDaS14_S15_EUlS14_E_NS1_11comp_targetILNS1_3genE5ELNS1_11target_archE942ELNS1_3gpuE9ELNS1_3repE0EEENS1_30default_config_static_selectorELNS0_4arch9wavefront6targetE0EEEvT1_.private_seg_size, 0
	.set _ZN7rocprim17ROCPRIM_400000_NS6detail17trampoline_kernelINS0_14default_configENS1_25partition_config_selectorILNS1_17partition_subalgoE8EN3c104HalfENS0_10empty_typeEbEEZZNS1_14partition_implILS5_8ELb0ES3_jPKS7_PS8_PKS8_NS0_5tupleIJPS7_S8_EEENSG_IJSD_SD_EEENS0_18inequality_wrapperIN6hipcub16HIPCUB_304000_NS8EqualityEEEPlJS8_EEE10hipError_tPvRmT3_T4_T5_T6_T7_T9_mT8_P12ihipStream_tbDpT10_ENKUlT_T0_E_clISt17integral_constantIbLb1EES19_EEDaS14_S15_EUlS14_E_NS1_11comp_targetILNS1_3genE5ELNS1_11target_archE942ELNS1_3gpuE9ELNS1_3repE0EEENS1_30default_config_static_selectorELNS0_4arch9wavefront6targetE0EEEvT1_.uses_vcc, 0
	.set _ZN7rocprim17ROCPRIM_400000_NS6detail17trampoline_kernelINS0_14default_configENS1_25partition_config_selectorILNS1_17partition_subalgoE8EN3c104HalfENS0_10empty_typeEbEEZZNS1_14partition_implILS5_8ELb0ES3_jPKS7_PS8_PKS8_NS0_5tupleIJPS7_S8_EEENSG_IJSD_SD_EEENS0_18inequality_wrapperIN6hipcub16HIPCUB_304000_NS8EqualityEEEPlJS8_EEE10hipError_tPvRmT3_T4_T5_T6_T7_T9_mT8_P12ihipStream_tbDpT10_ENKUlT_T0_E_clISt17integral_constantIbLb1EES19_EEDaS14_S15_EUlS14_E_NS1_11comp_targetILNS1_3genE5ELNS1_11target_archE942ELNS1_3gpuE9ELNS1_3repE0EEENS1_30default_config_static_selectorELNS0_4arch9wavefront6targetE0EEEvT1_.uses_flat_scratch, 0
	.set _ZN7rocprim17ROCPRIM_400000_NS6detail17trampoline_kernelINS0_14default_configENS1_25partition_config_selectorILNS1_17partition_subalgoE8EN3c104HalfENS0_10empty_typeEbEEZZNS1_14partition_implILS5_8ELb0ES3_jPKS7_PS8_PKS8_NS0_5tupleIJPS7_S8_EEENSG_IJSD_SD_EEENS0_18inequality_wrapperIN6hipcub16HIPCUB_304000_NS8EqualityEEEPlJS8_EEE10hipError_tPvRmT3_T4_T5_T6_T7_T9_mT8_P12ihipStream_tbDpT10_ENKUlT_T0_E_clISt17integral_constantIbLb1EES19_EEDaS14_S15_EUlS14_E_NS1_11comp_targetILNS1_3genE5ELNS1_11target_archE942ELNS1_3gpuE9ELNS1_3repE0EEENS1_30default_config_static_selectorELNS0_4arch9wavefront6targetE0EEEvT1_.has_dyn_sized_stack, 0
	.set _ZN7rocprim17ROCPRIM_400000_NS6detail17trampoline_kernelINS0_14default_configENS1_25partition_config_selectorILNS1_17partition_subalgoE8EN3c104HalfENS0_10empty_typeEbEEZZNS1_14partition_implILS5_8ELb0ES3_jPKS7_PS8_PKS8_NS0_5tupleIJPS7_S8_EEENSG_IJSD_SD_EEENS0_18inequality_wrapperIN6hipcub16HIPCUB_304000_NS8EqualityEEEPlJS8_EEE10hipError_tPvRmT3_T4_T5_T6_T7_T9_mT8_P12ihipStream_tbDpT10_ENKUlT_T0_E_clISt17integral_constantIbLb1EES19_EEDaS14_S15_EUlS14_E_NS1_11comp_targetILNS1_3genE5ELNS1_11target_archE942ELNS1_3gpuE9ELNS1_3repE0EEENS1_30default_config_static_selectorELNS0_4arch9wavefront6targetE0EEEvT1_.has_recursion, 0
	.set _ZN7rocprim17ROCPRIM_400000_NS6detail17trampoline_kernelINS0_14default_configENS1_25partition_config_selectorILNS1_17partition_subalgoE8EN3c104HalfENS0_10empty_typeEbEEZZNS1_14partition_implILS5_8ELb0ES3_jPKS7_PS8_PKS8_NS0_5tupleIJPS7_S8_EEENSG_IJSD_SD_EEENS0_18inequality_wrapperIN6hipcub16HIPCUB_304000_NS8EqualityEEEPlJS8_EEE10hipError_tPvRmT3_T4_T5_T6_T7_T9_mT8_P12ihipStream_tbDpT10_ENKUlT_T0_E_clISt17integral_constantIbLb1EES19_EEDaS14_S15_EUlS14_E_NS1_11comp_targetILNS1_3genE5ELNS1_11target_archE942ELNS1_3gpuE9ELNS1_3repE0EEENS1_30default_config_static_selectorELNS0_4arch9wavefront6targetE0EEEvT1_.has_indirect_call, 0
	.section	.AMDGPU.csdata,"",@progbits
; Kernel info:
; codeLenInByte = 0
; TotalNumSgprs: 0
; NumVgprs: 0
; ScratchSize: 0
; MemoryBound: 0
; FloatMode: 240
; IeeeMode: 1
; LDSByteSize: 0 bytes/workgroup (compile time only)
; SGPRBlocks: 0
; VGPRBlocks: 0
; NumSGPRsForWavesPerEU: 1
; NumVGPRsForWavesPerEU: 1
; NamedBarCnt: 0
; Occupancy: 16
; WaveLimiterHint : 0
; COMPUTE_PGM_RSRC2:SCRATCH_EN: 0
; COMPUTE_PGM_RSRC2:USER_SGPR: 2
; COMPUTE_PGM_RSRC2:TRAP_HANDLER: 0
; COMPUTE_PGM_RSRC2:TGID_X_EN: 1
; COMPUTE_PGM_RSRC2:TGID_Y_EN: 0
; COMPUTE_PGM_RSRC2:TGID_Z_EN: 0
; COMPUTE_PGM_RSRC2:TIDIG_COMP_CNT: 0
	.section	.text._ZN7rocprim17ROCPRIM_400000_NS6detail17trampoline_kernelINS0_14default_configENS1_25partition_config_selectorILNS1_17partition_subalgoE8EN3c104HalfENS0_10empty_typeEbEEZZNS1_14partition_implILS5_8ELb0ES3_jPKS7_PS8_PKS8_NS0_5tupleIJPS7_S8_EEENSG_IJSD_SD_EEENS0_18inequality_wrapperIN6hipcub16HIPCUB_304000_NS8EqualityEEEPlJS8_EEE10hipError_tPvRmT3_T4_T5_T6_T7_T9_mT8_P12ihipStream_tbDpT10_ENKUlT_T0_E_clISt17integral_constantIbLb1EES19_EEDaS14_S15_EUlS14_E_NS1_11comp_targetILNS1_3genE4ELNS1_11target_archE910ELNS1_3gpuE8ELNS1_3repE0EEENS1_30default_config_static_selectorELNS0_4arch9wavefront6targetE0EEEvT1_,"axG",@progbits,_ZN7rocprim17ROCPRIM_400000_NS6detail17trampoline_kernelINS0_14default_configENS1_25partition_config_selectorILNS1_17partition_subalgoE8EN3c104HalfENS0_10empty_typeEbEEZZNS1_14partition_implILS5_8ELb0ES3_jPKS7_PS8_PKS8_NS0_5tupleIJPS7_S8_EEENSG_IJSD_SD_EEENS0_18inequality_wrapperIN6hipcub16HIPCUB_304000_NS8EqualityEEEPlJS8_EEE10hipError_tPvRmT3_T4_T5_T6_T7_T9_mT8_P12ihipStream_tbDpT10_ENKUlT_T0_E_clISt17integral_constantIbLb1EES19_EEDaS14_S15_EUlS14_E_NS1_11comp_targetILNS1_3genE4ELNS1_11target_archE910ELNS1_3gpuE8ELNS1_3repE0EEENS1_30default_config_static_selectorELNS0_4arch9wavefront6targetE0EEEvT1_,comdat
	.protected	_ZN7rocprim17ROCPRIM_400000_NS6detail17trampoline_kernelINS0_14default_configENS1_25partition_config_selectorILNS1_17partition_subalgoE8EN3c104HalfENS0_10empty_typeEbEEZZNS1_14partition_implILS5_8ELb0ES3_jPKS7_PS8_PKS8_NS0_5tupleIJPS7_S8_EEENSG_IJSD_SD_EEENS0_18inequality_wrapperIN6hipcub16HIPCUB_304000_NS8EqualityEEEPlJS8_EEE10hipError_tPvRmT3_T4_T5_T6_T7_T9_mT8_P12ihipStream_tbDpT10_ENKUlT_T0_E_clISt17integral_constantIbLb1EES19_EEDaS14_S15_EUlS14_E_NS1_11comp_targetILNS1_3genE4ELNS1_11target_archE910ELNS1_3gpuE8ELNS1_3repE0EEENS1_30default_config_static_selectorELNS0_4arch9wavefront6targetE0EEEvT1_ ; -- Begin function _ZN7rocprim17ROCPRIM_400000_NS6detail17trampoline_kernelINS0_14default_configENS1_25partition_config_selectorILNS1_17partition_subalgoE8EN3c104HalfENS0_10empty_typeEbEEZZNS1_14partition_implILS5_8ELb0ES3_jPKS7_PS8_PKS8_NS0_5tupleIJPS7_S8_EEENSG_IJSD_SD_EEENS0_18inequality_wrapperIN6hipcub16HIPCUB_304000_NS8EqualityEEEPlJS8_EEE10hipError_tPvRmT3_T4_T5_T6_T7_T9_mT8_P12ihipStream_tbDpT10_ENKUlT_T0_E_clISt17integral_constantIbLb1EES19_EEDaS14_S15_EUlS14_E_NS1_11comp_targetILNS1_3genE4ELNS1_11target_archE910ELNS1_3gpuE8ELNS1_3repE0EEENS1_30default_config_static_selectorELNS0_4arch9wavefront6targetE0EEEvT1_
	.globl	_ZN7rocprim17ROCPRIM_400000_NS6detail17trampoline_kernelINS0_14default_configENS1_25partition_config_selectorILNS1_17partition_subalgoE8EN3c104HalfENS0_10empty_typeEbEEZZNS1_14partition_implILS5_8ELb0ES3_jPKS7_PS8_PKS8_NS0_5tupleIJPS7_S8_EEENSG_IJSD_SD_EEENS0_18inequality_wrapperIN6hipcub16HIPCUB_304000_NS8EqualityEEEPlJS8_EEE10hipError_tPvRmT3_T4_T5_T6_T7_T9_mT8_P12ihipStream_tbDpT10_ENKUlT_T0_E_clISt17integral_constantIbLb1EES19_EEDaS14_S15_EUlS14_E_NS1_11comp_targetILNS1_3genE4ELNS1_11target_archE910ELNS1_3gpuE8ELNS1_3repE0EEENS1_30default_config_static_selectorELNS0_4arch9wavefront6targetE0EEEvT1_
	.p2align	8
	.type	_ZN7rocprim17ROCPRIM_400000_NS6detail17trampoline_kernelINS0_14default_configENS1_25partition_config_selectorILNS1_17partition_subalgoE8EN3c104HalfENS0_10empty_typeEbEEZZNS1_14partition_implILS5_8ELb0ES3_jPKS7_PS8_PKS8_NS0_5tupleIJPS7_S8_EEENSG_IJSD_SD_EEENS0_18inequality_wrapperIN6hipcub16HIPCUB_304000_NS8EqualityEEEPlJS8_EEE10hipError_tPvRmT3_T4_T5_T6_T7_T9_mT8_P12ihipStream_tbDpT10_ENKUlT_T0_E_clISt17integral_constantIbLb1EES19_EEDaS14_S15_EUlS14_E_NS1_11comp_targetILNS1_3genE4ELNS1_11target_archE910ELNS1_3gpuE8ELNS1_3repE0EEENS1_30default_config_static_selectorELNS0_4arch9wavefront6targetE0EEEvT1_,@function
_ZN7rocprim17ROCPRIM_400000_NS6detail17trampoline_kernelINS0_14default_configENS1_25partition_config_selectorILNS1_17partition_subalgoE8EN3c104HalfENS0_10empty_typeEbEEZZNS1_14partition_implILS5_8ELb0ES3_jPKS7_PS8_PKS8_NS0_5tupleIJPS7_S8_EEENSG_IJSD_SD_EEENS0_18inequality_wrapperIN6hipcub16HIPCUB_304000_NS8EqualityEEEPlJS8_EEE10hipError_tPvRmT3_T4_T5_T6_T7_T9_mT8_P12ihipStream_tbDpT10_ENKUlT_T0_E_clISt17integral_constantIbLb1EES19_EEDaS14_S15_EUlS14_E_NS1_11comp_targetILNS1_3genE4ELNS1_11target_archE910ELNS1_3gpuE8ELNS1_3repE0EEENS1_30default_config_static_selectorELNS0_4arch9wavefront6targetE0EEEvT1_: ; @_ZN7rocprim17ROCPRIM_400000_NS6detail17trampoline_kernelINS0_14default_configENS1_25partition_config_selectorILNS1_17partition_subalgoE8EN3c104HalfENS0_10empty_typeEbEEZZNS1_14partition_implILS5_8ELb0ES3_jPKS7_PS8_PKS8_NS0_5tupleIJPS7_S8_EEENSG_IJSD_SD_EEENS0_18inequality_wrapperIN6hipcub16HIPCUB_304000_NS8EqualityEEEPlJS8_EEE10hipError_tPvRmT3_T4_T5_T6_T7_T9_mT8_P12ihipStream_tbDpT10_ENKUlT_T0_E_clISt17integral_constantIbLb1EES19_EEDaS14_S15_EUlS14_E_NS1_11comp_targetILNS1_3genE4ELNS1_11target_archE910ELNS1_3gpuE8ELNS1_3repE0EEENS1_30default_config_static_selectorELNS0_4arch9wavefront6targetE0EEEvT1_
; %bb.0:
	.section	.rodata,"a",@progbits
	.p2align	6, 0x0
	.amdhsa_kernel _ZN7rocprim17ROCPRIM_400000_NS6detail17trampoline_kernelINS0_14default_configENS1_25partition_config_selectorILNS1_17partition_subalgoE8EN3c104HalfENS0_10empty_typeEbEEZZNS1_14partition_implILS5_8ELb0ES3_jPKS7_PS8_PKS8_NS0_5tupleIJPS7_S8_EEENSG_IJSD_SD_EEENS0_18inequality_wrapperIN6hipcub16HIPCUB_304000_NS8EqualityEEEPlJS8_EEE10hipError_tPvRmT3_T4_T5_T6_T7_T9_mT8_P12ihipStream_tbDpT10_ENKUlT_T0_E_clISt17integral_constantIbLb1EES19_EEDaS14_S15_EUlS14_E_NS1_11comp_targetILNS1_3genE4ELNS1_11target_archE910ELNS1_3gpuE8ELNS1_3repE0EEENS1_30default_config_static_selectorELNS0_4arch9wavefront6targetE0EEEvT1_
		.amdhsa_group_segment_fixed_size 0
		.amdhsa_private_segment_fixed_size 0
		.amdhsa_kernarg_size 128
		.amdhsa_user_sgpr_count 2
		.amdhsa_user_sgpr_dispatch_ptr 0
		.amdhsa_user_sgpr_queue_ptr 0
		.amdhsa_user_sgpr_kernarg_segment_ptr 1
		.amdhsa_user_sgpr_dispatch_id 0
		.amdhsa_user_sgpr_kernarg_preload_length 0
		.amdhsa_user_sgpr_kernarg_preload_offset 0
		.amdhsa_user_sgpr_private_segment_size 0
		.amdhsa_wavefront_size32 1
		.amdhsa_uses_dynamic_stack 0
		.amdhsa_enable_private_segment 0
		.amdhsa_system_sgpr_workgroup_id_x 1
		.amdhsa_system_sgpr_workgroup_id_y 0
		.amdhsa_system_sgpr_workgroup_id_z 0
		.amdhsa_system_sgpr_workgroup_info 0
		.amdhsa_system_vgpr_workitem_id 0
		.amdhsa_next_free_vgpr 1
		.amdhsa_next_free_sgpr 1
		.amdhsa_named_barrier_count 0
		.amdhsa_reserve_vcc 0
		.amdhsa_float_round_mode_32 0
		.amdhsa_float_round_mode_16_64 0
		.amdhsa_float_denorm_mode_32 3
		.amdhsa_float_denorm_mode_16_64 3
		.amdhsa_fp16_overflow 0
		.amdhsa_memory_ordered 1
		.amdhsa_forward_progress 1
		.amdhsa_inst_pref_size 0
		.amdhsa_round_robin_scheduling 0
		.amdhsa_exception_fp_ieee_invalid_op 0
		.amdhsa_exception_fp_denorm_src 0
		.amdhsa_exception_fp_ieee_div_zero 0
		.amdhsa_exception_fp_ieee_overflow 0
		.amdhsa_exception_fp_ieee_underflow 0
		.amdhsa_exception_fp_ieee_inexact 0
		.amdhsa_exception_int_div_zero 0
	.end_amdhsa_kernel
	.section	.text._ZN7rocprim17ROCPRIM_400000_NS6detail17trampoline_kernelINS0_14default_configENS1_25partition_config_selectorILNS1_17partition_subalgoE8EN3c104HalfENS0_10empty_typeEbEEZZNS1_14partition_implILS5_8ELb0ES3_jPKS7_PS8_PKS8_NS0_5tupleIJPS7_S8_EEENSG_IJSD_SD_EEENS0_18inequality_wrapperIN6hipcub16HIPCUB_304000_NS8EqualityEEEPlJS8_EEE10hipError_tPvRmT3_T4_T5_T6_T7_T9_mT8_P12ihipStream_tbDpT10_ENKUlT_T0_E_clISt17integral_constantIbLb1EES19_EEDaS14_S15_EUlS14_E_NS1_11comp_targetILNS1_3genE4ELNS1_11target_archE910ELNS1_3gpuE8ELNS1_3repE0EEENS1_30default_config_static_selectorELNS0_4arch9wavefront6targetE0EEEvT1_,"axG",@progbits,_ZN7rocprim17ROCPRIM_400000_NS6detail17trampoline_kernelINS0_14default_configENS1_25partition_config_selectorILNS1_17partition_subalgoE8EN3c104HalfENS0_10empty_typeEbEEZZNS1_14partition_implILS5_8ELb0ES3_jPKS7_PS8_PKS8_NS0_5tupleIJPS7_S8_EEENSG_IJSD_SD_EEENS0_18inequality_wrapperIN6hipcub16HIPCUB_304000_NS8EqualityEEEPlJS8_EEE10hipError_tPvRmT3_T4_T5_T6_T7_T9_mT8_P12ihipStream_tbDpT10_ENKUlT_T0_E_clISt17integral_constantIbLb1EES19_EEDaS14_S15_EUlS14_E_NS1_11comp_targetILNS1_3genE4ELNS1_11target_archE910ELNS1_3gpuE8ELNS1_3repE0EEENS1_30default_config_static_selectorELNS0_4arch9wavefront6targetE0EEEvT1_,comdat
.Lfunc_end903:
	.size	_ZN7rocprim17ROCPRIM_400000_NS6detail17trampoline_kernelINS0_14default_configENS1_25partition_config_selectorILNS1_17partition_subalgoE8EN3c104HalfENS0_10empty_typeEbEEZZNS1_14partition_implILS5_8ELb0ES3_jPKS7_PS8_PKS8_NS0_5tupleIJPS7_S8_EEENSG_IJSD_SD_EEENS0_18inequality_wrapperIN6hipcub16HIPCUB_304000_NS8EqualityEEEPlJS8_EEE10hipError_tPvRmT3_T4_T5_T6_T7_T9_mT8_P12ihipStream_tbDpT10_ENKUlT_T0_E_clISt17integral_constantIbLb1EES19_EEDaS14_S15_EUlS14_E_NS1_11comp_targetILNS1_3genE4ELNS1_11target_archE910ELNS1_3gpuE8ELNS1_3repE0EEENS1_30default_config_static_selectorELNS0_4arch9wavefront6targetE0EEEvT1_, .Lfunc_end903-_ZN7rocprim17ROCPRIM_400000_NS6detail17trampoline_kernelINS0_14default_configENS1_25partition_config_selectorILNS1_17partition_subalgoE8EN3c104HalfENS0_10empty_typeEbEEZZNS1_14partition_implILS5_8ELb0ES3_jPKS7_PS8_PKS8_NS0_5tupleIJPS7_S8_EEENSG_IJSD_SD_EEENS0_18inequality_wrapperIN6hipcub16HIPCUB_304000_NS8EqualityEEEPlJS8_EEE10hipError_tPvRmT3_T4_T5_T6_T7_T9_mT8_P12ihipStream_tbDpT10_ENKUlT_T0_E_clISt17integral_constantIbLb1EES19_EEDaS14_S15_EUlS14_E_NS1_11comp_targetILNS1_3genE4ELNS1_11target_archE910ELNS1_3gpuE8ELNS1_3repE0EEENS1_30default_config_static_selectorELNS0_4arch9wavefront6targetE0EEEvT1_
                                        ; -- End function
	.set _ZN7rocprim17ROCPRIM_400000_NS6detail17trampoline_kernelINS0_14default_configENS1_25partition_config_selectorILNS1_17partition_subalgoE8EN3c104HalfENS0_10empty_typeEbEEZZNS1_14partition_implILS5_8ELb0ES3_jPKS7_PS8_PKS8_NS0_5tupleIJPS7_S8_EEENSG_IJSD_SD_EEENS0_18inequality_wrapperIN6hipcub16HIPCUB_304000_NS8EqualityEEEPlJS8_EEE10hipError_tPvRmT3_T4_T5_T6_T7_T9_mT8_P12ihipStream_tbDpT10_ENKUlT_T0_E_clISt17integral_constantIbLb1EES19_EEDaS14_S15_EUlS14_E_NS1_11comp_targetILNS1_3genE4ELNS1_11target_archE910ELNS1_3gpuE8ELNS1_3repE0EEENS1_30default_config_static_selectorELNS0_4arch9wavefront6targetE0EEEvT1_.num_vgpr, 0
	.set _ZN7rocprim17ROCPRIM_400000_NS6detail17trampoline_kernelINS0_14default_configENS1_25partition_config_selectorILNS1_17partition_subalgoE8EN3c104HalfENS0_10empty_typeEbEEZZNS1_14partition_implILS5_8ELb0ES3_jPKS7_PS8_PKS8_NS0_5tupleIJPS7_S8_EEENSG_IJSD_SD_EEENS0_18inequality_wrapperIN6hipcub16HIPCUB_304000_NS8EqualityEEEPlJS8_EEE10hipError_tPvRmT3_T4_T5_T6_T7_T9_mT8_P12ihipStream_tbDpT10_ENKUlT_T0_E_clISt17integral_constantIbLb1EES19_EEDaS14_S15_EUlS14_E_NS1_11comp_targetILNS1_3genE4ELNS1_11target_archE910ELNS1_3gpuE8ELNS1_3repE0EEENS1_30default_config_static_selectorELNS0_4arch9wavefront6targetE0EEEvT1_.num_agpr, 0
	.set _ZN7rocprim17ROCPRIM_400000_NS6detail17trampoline_kernelINS0_14default_configENS1_25partition_config_selectorILNS1_17partition_subalgoE8EN3c104HalfENS0_10empty_typeEbEEZZNS1_14partition_implILS5_8ELb0ES3_jPKS7_PS8_PKS8_NS0_5tupleIJPS7_S8_EEENSG_IJSD_SD_EEENS0_18inequality_wrapperIN6hipcub16HIPCUB_304000_NS8EqualityEEEPlJS8_EEE10hipError_tPvRmT3_T4_T5_T6_T7_T9_mT8_P12ihipStream_tbDpT10_ENKUlT_T0_E_clISt17integral_constantIbLb1EES19_EEDaS14_S15_EUlS14_E_NS1_11comp_targetILNS1_3genE4ELNS1_11target_archE910ELNS1_3gpuE8ELNS1_3repE0EEENS1_30default_config_static_selectorELNS0_4arch9wavefront6targetE0EEEvT1_.numbered_sgpr, 0
	.set _ZN7rocprim17ROCPRIM_400000_NS6detail17trampoline_kernelINS0_14default_configENS1_25partition_config_selectorILNS1_17partition_subalgoE8EN3c104HalfENS0_10empty_typeEbEEZZNS1_14partition_implILS5_8ELb0ES3_jPKS7_PS8_PKS8_NS0_5tupleIJPS7_S8_EEENSG_IJSD_SD_EEENS0_18inequality_wrapperIN6hipcub16HIPCUB_304000_NS8EqualityEEEPlJS8_EEE10hipError_tPvRmT3_T4_T5_T6_T7_T9_mT8_P12ihipStream_tbDpT10_ENKUlT_T0_E_clISt17integral_constantIbLb1EES19_EEDaS14_S15_EUlS14_E_NS1_11comp_targetILNS1_3genE4ELNS1_11target_archE910ELNS1_3gpuE8ELNS1_3repE0EEENS1_30default_config_static_selectorELNS0_4arch9wavefront6targetE0EEEvT1_.num_named_barrier, 0
	.set _ZN7rocprim17ROCPRIM_400000_NS6detail17trampoline_kernelINS0_14default_configENS1_25partition_config_selectorILNS1_17partition_subalgoE8EN3c104HalfENS0_10empty_typeEbEEZZNS1_14partition_implILS5_8ELb0ES3_jPKS7_PS8_PKS8_NS0_5tupleIJPS7_S8_EEENSG_IJSD_SD_EEENS0_18inequality_wrapperIN6hipcub16HIPCUB_304000_NS8EqualityEEEPlJS8_EEE10hipError_tPvRmT3_T4_T5_T6_T7_T9_mT8_P12ihipStream_tbDpT10_ENKUlT_T0_E_clISt17integral_constantIbLb1EES19_EEDaS14_S15_EUlS14_E_NS1_11comp_targetILNS1_3genE4ELNS1_11target_archE910ELNS1_3gpuE8ELNS1_3repE0EEENS1_30default_config_static_selectorELNS0_4arch9wavefront6targetE0EEEvT1_.private_seg_size, 0
	.set _ZN7rocprim17ROCPRIM_400000_NS6detail17trampoline_kernelINS0_14default_configENS1_25partition_config_selectorILNS1_17partition_subalgoE8EN3c104HalfENS0_10empty_typeEbEEZZNS1_14partition_implILS5_8ELb0ES3_jPKS7_PS8_PKS8_NS0_5tupleIJPS7_S8_EEENSG_IJSD_SD_EEENS0_18inequality_wrapperIN6hipcub16HIPCUB_304000_NS8EqualityEEEPlJS8_EEE10hipError_tPvRmT3_T4_T5_T6_T7_T9_mT8_P12ihipStream_tbDpT10_ENKUlT_T0_E_clISt17integral_constantIbLb1EES19_EEDaS14_S15_EUlS14_E_NS1_11comp_targetILNS1_3genE4ELNS1_11target_archE910ELNS1_3gpuE8ELNS1_3repE0EEENS1_30default_config_static_selectorELNS0_4arch9wavefront6targetE0EEEvT1_.uses_vcc, 0
	.set _ZN7rocprim17ROCPRIM_400000_NS6detail17trampoline_kernelINS0_14default_configENS1_25partition_config_selectorILNS1_17partition_subalgoE8EN3c104HalfENS0_10empty_typeEbEEZZNS1_14partition_implILS5_8ELb0ES3_jPKS7_PS8_PKS8_NS0_5tupleIJPS7_S8_EEENSG_IJSD_SD_EEENS0_18inequality_wrapperIN6hipcub16HIPCUB_304000_NS8EqualityEEEPlJS8_EEE10hipError_tPvRmT3_T4_T5_T6_T7_T9_mT8_P12ihipStream_tbDpT10_ENKUlT_T0_E_clISt17integral_constantIbLb1EES19_EEDaS14_S15_EUlS14_E_NS1_11comp_targetILNS1_3genE4ELNS1_11target_archE910ELNS1_3gpuE8ELNS1_3repE0EEENS1_30default_config_static_selectorELNS0_4arch9wavefront6targetE0EEEvT1_.uses_flat_scratch, 0
	.set _ZN7rocprim17ROCPRIM_400000_NS6detail17trampoline_kernelINS0_14default_configENS1_25partition_config_selectorILNS1_17partition_subalgoE8EN3c104HalfENS0_10empty_typeEbEEZZNS1_14partition_implILS5_8ELb0ES3_jPKS7_PS8_PKS8_NS0_5tupleIJPS7_S8_EEENSG_IJSD_SD_EEENS0_18inequality_wrapperIN6hipcub16HIPCUB_304000_NS8EqualityEEEPlJS8_EEE10hipError_tPvRmT3_T4_T5_T6_T7_T9_mT8_P12ihipStream_tbDpT10_ENKUlT_T0_E_clISt17integral_constantIbLb1EES19_EEDaS14_S15_EUlS14_E_NS1_11comp_targetILNS1_3genE4ELNS1_11target_archE910ELNS1_3gpuE8ELNS1_3repE0EEENS1_30default_config_static_selectorELNS0_4arch9wavefront6targetE0EEEvT1_.has_dyn_sized_stack, 0
	.set _ZN7rocprim17ROCPRIM_400000_NS6detail17trampoline_kernelINS0_14default_configENS1_25partition_config_selectorILNS1_17partition_subalgoE8EN3c104HalfENS0_10empty_typeEbEEZZNS1_14partition_implILS5_8ELb0ES3_jPKS7_PS8_PKS8_NS0_5tupleIJPS7_S8_EEENSG_IJSD_SD_EEENS0_18inequality_wrapperIN6hipcub16HIPCUB_304000_NS8EqualityEEEPlJS8_EEE10hipError_tPvRmT3_T4_T5_T6_T7_T9_mT8_P12ihipStream_tbDpT10_ENKUlT_T0_E_clISt17integral_constantIbLb1EES19_EEDaS14_S15_EUlS14_E_NS1_11comp_targetILNS1_3genE4ELNS1_11target_archE910ELNS1_3gpuE8ELNS1_3repE0EEENS1_30default_config_static_selectorELNS0_4arch9wavefront6targetE0EEEvT1_.has_recursion, 0
	.set _ZN7rocprim17ROCPRIM_400000_NS6detail17trampoline_kernelINS0_14default_configENS1_25partition_config_selectorILNS1_17partition_subalgoE8EN3c104HalfENS0_10empty_typeEbEEZZNS1_14partition_implILS5_8ELb0ES3_jPKS7_PS8_PKS8_NS0_5tupleIJPS7_S8_EEENSG_IJSD_SD_EEENS0_18inequality_wrapperIN6hipcub16HIPCUB_304000_NS8EqualityEEEPlJS8_EEE10hipError_tPvRmT3_T4_T5_T6_T7_T9_mT8_P12ihipStream_tbDpT10_ENKUlT_T0_E_clISt17integral_constantIbLb1EES19_EEDaS14_S15_EUlS14_E_NS1_11comp_targetILNS1_3genE4ELNS1_11target_archE910ELNS1_3gpuE8ELNS1_3repE0EEENS1_30default_config_static_selectorELNS0_4arch9wavefront6targetE0EEEvT1_.has_indirect_call, 0
	.section	.AMDGPU.csdata,"",@progbits
; Kernel info:
; codeLenInByte = 0
; TotalNumSgprs: 0
; NumVgprs: 0
; ScratchSize: 0
; MemoryBound: 0
; FloatMode: 240
; IeeeMode: 1
; LDSByteSize: 0 bytes/workgroup (compile time only)
; SGPRBlocks: 0
; VGPRBlocks: 0
; NumSGPRsForWavesPerEU: 1
; NumVGPRsForWavesPerEU: 1
; NamedBarCnt: 0
; Occupancy: 16
; WaveLimiterHint : 0
; COMPUTE_PGM_RSRC2:SCRATCH_EN: 0
; COMPUTE_PGM_RSRC2:USER_SGPR: 2
; COMPUTE_PGM_RSRC2:TRAP_HANDLER: 0
; COMPUTE_PGM_RSRC2:TGID_X_EN: 1
; COMPUTE_PGM_RSRC2:TGID_Y_EN: 0
; COMPUTE_PGM_RSRC2:TGID_Z_EN: 0
; COMPUTE_PGM_RSRC2:TIDIG_COMP_CNT: 0
	.section	.text._ZN7rocprim17ROCPRIM_400000_NS6detail17trampoline_kernelINS0_14default_configENS1_25partition_config_selectorILNS1_17partition_subalgoE8EN3c104HalfENS0_10empty_typeEbEEZZNS1_14partition_implILS5_8ELb0ES3_jPKS7_PS8_PKS8_NS0_5tupleIJPS7_S8_EEENSG_IJSD_SD_EEENS0_18inequality_wrapperIN6hipcub16HIPCUB_304000_NS8EqualityEEEPlJS8_EEE10hipError_tPvRmT3_T4_T5_T6_T7_T9_mT8_P12ihipStream_tbDpT10_ENKUlT_T0_E_clISt17integral_constantIbLb1EES19_EEDaS14_S15_EUlS14_E_NS1_11comp_targetILNS1_3genE3ELNS1_11target_archE908ELNS1_3gpuE7ELNS1_3repE0EEENS1_30default_config_static_selectorELNS0_4arch9wavefront6targetE0EEEvT1_,"axG",@progbits,_ZN7rocprim17ROCPRIM_400000_NS6detail17trampoline_kernelINS0_14default_configENS1_25partition_config_selectorILNS1_17partition_subalgoE8EN3c104HalfENS0_10empty_typeEbEEZZNS1_14partition_implILS5_8ELb0ES3_jPKS7_PS8_PKS8_NS0_5tupleIJPS7_S8_EEENSG_IJSD_SD_EEENS0_18inequality_wrapperIN6hipcub16HIPCUB_304000_NS8EqualityEEEPlJS8_EEE10hipError_tPvRmT3_T4_T5_T6_T7_T9_mT8_P12ihipStream_tbDpT10_ENKUlT_T0_E_clISt17integral_constantIbLb1EES19_EEDaS14_S15_EUlS14_E_NS1_11comp_targetILNS1_3genE3ELNS1_11target_archE908ELNS1_3gpuE7ELNS1_3repE0EEENS1_30default_config_static_selectorELNS0_4arch9wavefront6targetE0EEEvT1_,comdat
	.protected	_ZN7rocprim17ROCPRIM_400000_NS6detail17trampoline_kernelINS0_14default_configENS1_25partition_config_selectorILNS1_17partition_subalgoE8EN3c104HalfENS0_10empty_typeEbEEZZNS1_14partition_implILS5_8ELb0ES3_jPKS7_PS8_PKS8_NS0_5tupleIJPS7_S8_EEENSG_IJSD_SD_EEENS0_18inequality_wrapperIN6hipcub16HIPCUB_304000_NS8EqualityEEEPlJS8_EEE10hipError_tPvRmT3_T4_T5_T6_T7_T9_mT8_P12ihipStream_tbDpT10_ENKUlT_T0_E_clISt17integral_constantIbLb1EES19_EEDaS14_S15_EUlS14_E_NS1_11comp_targetILNS1_3genE3ELNS1_11target_archE908ELNS1_3gpuE7ELNS1_3repE0EEENS1_30default_config_static_selectorELNS0_4arch9wavefront6targetE0EEEvT1_ ; -- Begin function _ZN7rocprim17ROCPRIM_400000_NS6detail17trampoline_kernelINS0_14default_configENS1_25partition_config_selectorILNS1_17partition_subalgoE8EN3c104HalfENS0_10empty_typeEbEEZZNS1_14partition_implILS5_8ELb0ES3_jPKS7_PS8_PKS8_NS0_5tupleIJPS7_S8_EEENSG_IJSD_SD_EEENS0_18inequality_wrapperIN6hipcub16HIPCUB_304000_NS8EqualityEEEPlJS8_EEE10hipError_tPvRmT3_T4_T5_T6_T7_T9_mT8_P12ihipStream_tbDpT10_ENKUlT_T0_E_clISt17integral_constantIbLb1EES19_EEDaS14_S15_EUlS14_E_NS1_11comp_targetILNS1_3genE3ELNS1_11target_archE908ELNS1_3gpuE7ELNS1_3repE0EEENS1_30default_config_static_selectorELNS0_4arch9wavefront6targetE0EEEvT1_
	.globl	_ZN7rocprim17ROCPRIM_400000_NS6detail17trampoline_kernelINS0_14default_configENS1_25partition_config_selectorILNS1_17partition_subalgoE8EN3c104HalfENS0_10empty_typeEbEEZZNS1_14partition_implILS5_8ELb0ES3_jPKS7_PS8_PKS8_NS0_5tupleIJPS7_S8_EEENSG_IJSD_SD_EEENS0_18inequality_wrapperIN6hipcub16HIPCUB_304000_NS8EqualityEEEPlJS8_EEE10hipError_tPvRmT3_T4_T5_T6_T7_T9_mT8_P12ihipStream_tbDpT10_ENKUlT_T0_E_clISt17integral_constantIbLb1EES19_EEDaS14_S15_EUlS14_E_NS1_11comp_targetILNS1_3genE3ELNS1_11target_archE908ELNS1_3gpuE7ELNS1_3repE0EEENS1_30default_config_static_selectorELNS0_4arch9wavefront6targetE0EEEvT1_
	.p2align	8
	.type	_ZN7rocprim17ROCPRIM_400000_NS6detail17trampoline_kernelINS0_14default_configENS1_25partition_config_selectorILNS1_17partition_subalgoE8EN3c104HalfENS0_10empty_typeEbEEZZNS1_14partition_implILS5_8ELb0ES3_jPKS7_PS8_PKS8_NS0_5tupleIJPS7_S8_EEENSG_IJSD_SD_EEENS0_18inequality_wrapperIN6hipcub16HIPCUB_304000_NS8EqualityEEEPlJS8_EEE10hipError_tPvRmT3_T4_T5_T6_T7_T9_mT8_P12ihipStream_tbDpT10_ENKUlT_T0_E_clISt17integral_constantIbLb1EES19_EEDaS14_S15_EUlS14_E_NS1_11comp_targetILNS1_3genE3ELNS1_11target_archE908ELNS1_3gpuE7ELNS1_3repE0EEENS1_30default_config_static_selectorELNS0_4arch9wavefront6targetE0EEEvT1_,@function
_ZN7rocprim17ROCPRIM_400000_NS6detail17trampoline_kernelINS0_14default_configENS1_25partition_config_selectorILNS1_17partition_subalgoE8EN3c104HalfENS0_10empty_typeEbEEZZNS1_14partition_implILS5_8ELb0ES3_jPKS7_PS8_PKS8_NS0_5tupleIJPS7_S8_EEENSG_IJSD_SD_EEENS0_18inequality_wrapperIN6hipcub16HIPCUB_304000_NS8EqualityEEEPlJS8_EEE10hipError_tPvRmT3_T4_T5_T6_T7_T9_mT8_P12ihipStream_tbDpT10_ENKUlT_T0_E_clISt17integral_constantIbLb1EES19_EEDaS14_S15_EUlS14_E_NS1_11comp_targetILNS1_3genE3ELNS1_11target_archE908ELNS1_3gpuE7ELNS1_3repE0EEENS1_30default_config_static_selectorELNS0_4arch9wavefront6targetE0EEEvT1_: ; @_ZN7rocprim17ROCPRIM_400000_NS6detail17trampoline_kernelINS0_14default_configENS1_25partition_config_selectorILNS1_17partition_subalgoE8EN3c104HalfENS0_10empty_typeEbEEZZNS1_14partition_implILS5_8ELb0ES3_jPKS7_PS8_PKS8_NS0_5tupleIJPS7_S8_EEENSG_IJSD_SD_EEENS0_18inequality_wrapperIN6hipcub16HIPCUB_304000_NS8EqualityEEEPlJS8_EEE10hipError_tPvRmT3_T4_T5_T6_T7_T9_mT8_P12ihipStream_tbDpT10_ENKUlT_T0_E_clISt17integral_constantIbLb1EES19_EEDaS14_S15_EUlS14_E_NS1_11comp_targetILNS1_3genE3ELNS1_11target_archE908ELNS1_3gpuE7ELNS1_3repE0EEENS1_30default_config_static_selectorELNS0_4arch9wavefront6targetE0EEEvT1_
; %bb.0:
	.section	.rodata,"a",@progbits
	.p2align	6, 0x0
	.amdhsa_kernel _ZN7rocprim17ROCPRIM_400000_NS6detail17trampoline_kernelINS0_14default_configENS1_25partition_config_selectorILNS1_17partition_subalgoE8EN3c104HalfENS0_10empty_typeEbEEZZNS1_14partition_implILS5_8ELb0ES3_jPKS7_PS8_PKS8_NS0_5tupleIJPS7_S8_EEENSG_IJSD_SD_EEENS0_18inequality_wrapperIN6hipcub16HIPCUB_304000_NS8EqualityEEEPlJS8_EEE10hipError_tPvRmT3_T4_T5_T6_T7_T9_mT8_P12ihipStream_tbDpT10_ENKUlT_T0_E_clISt17integral_constantIbLb1EES19_EEDaS14_S15_EUlS14_E_NS1_11comp_targetILNS1_3genE3ELNS1_11target_archE908ELNS1_3gpuE7ELNS1_3repE0EEENS1_30default_config_static_selectorELNS0_4arch9wavefront6targetE0EEEvT1_
		.amdhsa_group_segment_fixed_size 0
		.amdhsa_private_segment_fixed_size 0
		.amdhsa_kernarg_size 128
		.amdhsa_user_sgpr_count 2
		.amdhsa_user_sgpr_dispatch_ptr 0
		.amdhsa_user_sgpr_queue_ptr 0
		.amdhsa_user_sgpr_kernarg_segment_ptr 1
		.amdhsa_user_sgpr_dispatch_id 0
		.amdhsa_user_sgpr_kernarg_preload_length 0
		.amdhsa_user_sgpr_kernarg_preload_offset 0
		.amdhsa_user_sgpr_private_segment_size 0
		.amdhsa_wavefront_size32 1
		.amdhsa_uses_dynamic_stack 0
		.amdhsa_enable_private_segment 0
		.amdhsa_system_sgpr_workgroup_id_x 1
		.amdhsa_system_sgpr_workgroup_id_y 0
		.amdhsa_system_sgpr_workgroup_id_z 0
		.amdhsa_system_sgpr_workgroup_info 0
		.amdhsa_system_vgpr_workitem_id 0
		.amdhsa_next_free_vgpr 1
		.amdhsa_next_free_sgpr 1
		.amdhsa_named_barrier_count 0
		.amdhsa_reserve_vcc 0
		.amdhsa_float_round_mode_32 0
		.amdhsa_float_round_mode_16_64 0
		.amdhsa_float_denorm_mode_32 3
		.amdhsa_float_denorm_mode_16_64 3
		.amdhsa_fp16_overflow 0
		.amdhsa_memory_ordered 1
		.amdhsa_forward_progress 1
		.amdhsa_inst_pref_size 0
		.amdhsa_round_robin_scheduling 0
		.amdhsa_exception_fp_ieee_invalid_op 0
		.amdhsa_exception_fp_denorm_src 0
		.amdhsa_exception_fp_ieee_div_zero 0
		.amdhsa_exception_fp_ieee_overflow 0
		.amdhsa_exception_fp_ieee_underflow 0
		.amdhsa_exception_fp_ieee_inexact 0
		.amdhsa_exception_int_div_zero 0
	.end_amdhsa_kernel
	.section	.text._ZN7rocprim17ROCPRIM_400000_NS6detail17trampoline_kernelINS0_14default_configENS1_25partition_config_selectorILNS1_17partition_subalgoE8EN3c104HalfENS0_10empty_typeEbEEZZNS1_14partition_implILS5_8ELb0ES3_jPKS7_PS8_PKS8_NS0_5tupleIJPS7_S8_EEENSG_IJSD_SD_EEENS0_18inequality_wrapperIN6hipcub16HIPCUB_304000_NS8EqualityEEEPlJS8_EEE10hipError_tPvRmT3_T4_T5_T6_T7_T9_mT8_P12ihipStream_tbDpT10_ENKUlT_T0_E_clISt17integral_constantIbLb1EES19_EEDaS14_S15_EUlS14_E_NS1_11comp_targetILNS1_3genE3ELNS1_11target_archE908ELNS1_3gpuE7ELNS1_3repE0EEENS1_30default_config_static_selectorELNS0_4arch9wavefront6targetE0EEEvT1_,"axG",@progbits,_ZN7rocprim17ROCPRIM_400000_NS6detail17trampoline_kernelINS0_14default_configENS1_25partition_config_selectorILNS1_17partition_subalgoE8EN3c104HalfENS0_10empty_typeEbEEZZNS1_14partition_implILS5_8ELb0ES3_jPKS7_PS8_PKS8_NS0_5tupleIJPS7_S8_EEENSG_IJSD_SD_EEENS0_18inequality_wrapperIN6hipcub16HIPCUB_304000_NS8EqualityEEEPlJS8_EEE10hipError_tPvRmT3_T4_T5_T6_T7_T9_mT8_P12ihipStream_tbDpT10_ENKUlT_T0_E_clISt17integral_constantIbLb1EES19_EEDaS14_S15_EUlS14_E_NS1_11comp_targetILNS1_3genE3ELNS1_11target_archE908ELNS1_3gpuE7ELNS1_3repE0EEENS1_30default_config_static_selectorELNS0_4arch9wavefront6targetE0EEEvT1_,comdat
.Lfunc_end904:
	.size	_ZN7rocprim17ROCPRIM_400000_NS6detail17trampoline_kernelINS0_14default_configENS1_25partition_config_selectorILNS1_17partition_subalgoE8EN3c104HalfENS0_10empty_typeEbEEZZNS1_14partition_implILS5_8ELb0ES3_jPKS7_PS8_PKS8_NS0_5tupleIJPS7_S8_EEENSG_IJSD_SD_EEENS0_18inequality_wrapperIN6hipcub16HIPCUB_304000_NS8EqualityEEEPlJS8_EEE10hipError_tPvRmT3_T4_T5_T6_T7_T9_mT8_P12ihipStream_tbDpT10_ENKUlT_T0_E_clISt17integral_constantIbLb1EES19_EEDaS14_S15_EUlS14_E_NS1_11comp_targetILNS1_3genE3ELNS1_11target_archE908ELNS1_3gpuE7ELNS1_3repE0EEENS1_30default_config_static_selectorELNS0_4arch9wavefront6targetE0EEEvT1_, .Lfunc_end904-_ZN7rocprim17ROCPRIM_400000_NS6detail17trampoline_kernelINS0_14default_configENS1_25partition_config_selectorILNS1_17partition_subalgoE8EN3c104HalfENS0_10empty_typeEbEEZZNS1_14partition_implILS5_8ELb0ES3_jPKS7_PS8_PKS8_NS0_5tupleIJPS7_S8_EEENSG_IJSD_SD_EEENS0_18inequality_wrapperIN6hipcub16HIPCUB_304000_NS8EqualityEEEPlJS8_EEE10hipError_tPvRmT3_T4_T5_T6_T7_T9_mT8_P12ihipStream_tbDpT10_ENKUlT_T0_E_clISt17integral_constantIbLb1EES19_EEDaS14_S15_EUlS14_E_NS1_11comp_targetILNS1_3genE3ELNS1_11target_archE908ELNS1_3gpuE7ELNS1_3repE0EEENS1_30default_config_static_selectorELNS0_4arch9wavefront6targetE0EEEvT1_
                                        ; -- End function
	.set _ZN7rocprim17ROCPRIM_400000_NS6detail17trampoline_kernelINS0_14default_configENS1_25partition_config_selectorILNS1_17partition_subalgoE8EN3c104HalfENS0_10empty_typeEbEEZZNS1_14partition_implILS5_8ELb0ES3_jPKS7_PS8_PKS8_NS0_5tupleIJPS7_S8_EEENSG_IJSD_SD_EEENS0_18inequality_wrapperIN6hipcub16HIPCUB_304000_NS8EqualityEEEPlJS8_EEE10hipError_tPvRmT3_T4_T5_T6_T7_T9_mT8_P12ihipStream_tbDpT10_ENKUlT_T0_E_clISt17integral_constantIbLb1EES19_EEDaS14_S15_EUlS14_E_NS1_11comp_targetILNS1_3genE3ELNS1_11target_archE908ELNS1_3gpuE7ELNS1_3repE0EEENS1_30default_config_static_selectorELNS0_4arch9wavefront6targetE0EEEvT1_.num_vgpr, 0
	.set _ZN7rocprim17ROCPRIM_400000_NS6detail17trampoline_kernelINS0_14default_configENS1_25partition_config_selectorILNS1_17partition_subalgoE8EN3c104HalfENS0_10empty_typeEbEEZZNS1_14partition_implILS5_8ELb0ES3_jPKS7_PS8_PKS8_NS0_5tupleIJPS7_S8_EEENSG_IJSD_SD_EEENS0_18inequality_wrapperIN6hipcub16HIPCUB_304000_NS8EqualityEEEPlJS8_EEE10hipError_tPvRmT3_T4_T5_T6_T7_T9_mT8_P12ihipStream_tbDpT10_ENKUlT_T0_E_clISt17integral_constantIbLb1EES19_EEDaS14_S15_EUlS14_E_NS1_11comp_targetILNS1_3genE3ELNS1_11target_archE908ELNS1_3gpuE7ELNS1_3repE0EEENS1_30default_config_static_selectorELNS0_4arch9wavefront6targetE0EEEvT1_.num_agpr, 0
	.set _ZN7rocprim17ROCPRIM_400000_NS6detail17trampoline_kernelINS0_14default_configENS1_25partition_config_selectorILNS1_17partition_subalgoE8EN3c104HalfENS0_10empty_typeEbEEZZNS1_14partition_implILS5_8ELb0ES3_jPKS7_PS8_PKS8_NS0_5tupleIJPS7_S8_EEENSG_IJSD_SD_EEENS0_18inequality_wrapperIN6hipcub16HIPCUB_304000_NS8EqualityEEEPlJS8_EEE10hipError_tPvRmT3_T4_T5_T6_T7_T9_mT8_P12ihipStream_tbDpT10_ENKUlT_T0_E_clISt17integral_constantIbLb1EES19_EEDaS14_S15_EUlS14_E_NS1_11comp_targetILNS1_3genE3ELNS1_11target_archE908ELNS1_3gpuE7ELNS1_3repE0EEENS1_30default_config_static_selectorELNS0_4arch9wavefront6targetE0EEEvT1_.numbered_sgpr, 0
	.set _ZN7rocprim17ROCPRIM_400000_NS6detail17trampoline_kernelINS0_14default_configENS1_25partition_config_selectorILNS1_17partition_subalgoE8EN3c104HalfENS0_10empty_typeEbEEZZNS1_14partition_implILS5_8ELb0ES3_jPKS7_PS8_PKS8_NS0_5tupleIJPS7_S8_EEENSG_IJSD_SD_EEENS0_18inequality_wrapperIN6hipcub16HIPCUB_304000_NS8EqualityEEEPlJS8_EEE10hipError_tPvRmT3_T4_T5_T6_T7_T9_mT8_P12ihipStream_tbDpT10_ENKUlT_T0_E_clISt17integral_constantIbLb1EES19_EEDaS14_S15_EUlS14_E_NS1_11comp_targetILNS1_3genE3ELNS1_11target_archE908ELNS1_3gpuE7ELNS1_3repE0EEENS1_30default_config_static_selectorELNS0_4arch9wavefront6targetE0EEEvT1_.num_named_barrier, 0
	.set _ZN7rocprim17ROCPRIM_400000_NS6detail17trampoline_kernelINS0_14default_configENS1_25partition_config_selectorILNS1_17partition_subalgoE8EN3c104HalfENS0_10empty_typeEbEEZZNS1_14partition_implILS5_8ELb0ES3_jPKS7_PS8_PKS8_NS0_5tupleIJPS7_S8_EEENSG_IJSD_SD_EEENS0_18inequality_wrapperIN6hipcub16HIPCUB_304000_NS8EqualityEEEPlJS8_EEE10hipError_tPvRmT3_T4_T5_T6_T7_T9_mT8_P12ihipStream_tbDpT10_ENKUlT_T0_E_clISt17integral_constantIbLb1EES19_EEDaS14_S15_EUlS14_E_NS1_11comp_targetILNS1_3genE3ELNS1_11target_archE908ELNS1_3gpuE7ELNS1_3repE0EEENS1_30default_config_static_selectorELNS0_4arch9wavefront6targetE0EEEvT1_.private_seg_size, 0
	.set _ZN7rocprim17ROCPRIM_400000_NS6detail17trampoline_kernelINS0_14default_configENS1_25partition_config_selectorILNS1_17partition_subalgoE8EN3c104HalfENS0_10empty_typeEbEEZZNS1_14partition_implILS5_8ELb0ES3_jPKS7_PS8_PKS8_NS0_5tupleIJPS7_S8_EEENSG_IJSD_SD_EEENS0_18inequality_wrapperIN6hipcub16HIPCUB_304000_NS8EqualityEEEPlJS8_EEE10hipError_tPvRmT3_T4_T5_T6_T7_T9_mT8_P12ihipStream_tbDpT10_ENKUlT_T0_E_clISt17integral_constantIbLb1EES19_EEDaS14_S15_EUlS14_E_NS1_11comp_targetILNS1_3genE3ELNS1_11target_archE908ELNS1_3gpuE7ELNS1_3repE0EEENS1_30default_config_static_selectorELNS0_4arch9wavefront6targetE0EEEvT1_.uses_vcc, 0
	.set _ZN7rocprim17ROCPRIM_400000_NS6detail17trampoline_kernelINS0_14default_configENS1_25partition_config_selectorILNS1_17partition_subalgoE8EN3c104HalfENS0_10empty_typeEbEEZZNS1_14partition_implILS5_8ELb0ES3_jPKS7_PS8_PKS8_NS0_5tupleIJPS7_S8_EEENSG_IJSD_SD_EEENS0_18inequality_wrapperIN6hipcub16HIPCUB_304000_NS8EqualityEEEPlJS8_EEE10hipError_tPvRmT3_T4_T5_T6_T7_T9_mT8_P12ihipStream_tbDpT10_ENKUlT_T0_E_clISt17integral_constantIbLb1EES19_EEDaS14_S15_EUlS14_E_NS1_11comp_targetILNS1_3genE3ELNS1_11target_archE908ELNS1_3gpuE7ELNS1_3repE0EEENS1_30default_config_static_selectorELNS0_4arch9wavefront6targetE0EEEvT1_.uses_flat_scratch, 0
	.set _ZN7rocprim17ROCPRIM_400000_NS6detail17trampoline_kernelINS0_14default_configENS1_25partition_config_selectorILNS1_17partition_subalgoE8EN3c104HalfENS0_10empty_typeEbEEZZNS1_14partition_implILS5_8ELb0ES3_jPKS7_PS8_PKS8_NS0_5tupleIJPS7_S8_EEENSG_IJSD_SD_EEENS0_18inequality_wrapperIN6hipcub16HIPCUB_304000_NS8EqualityEEEPlJS8_EEE10hipError_tPvRmT3_T4_T5_T6_T7_T9_mT8_P12ihipStream_tbDpT10_ENKUlT_T0_E_clISt17integral_constantIbLb1EES19_EEDaS14_S15_EUlS14_E_NS1_11comp_targetILNS1_3genE3ELNS1_11target_archE908ELNS1_3gpuE7ELNS1_3repE0EEENS1_30default_config_static_selectorELNS0_4arch9wavefront6targetE0EEEvT1_.has_dyn_sized_stack, 0
	.set _ZN7rocprim17ROCPRIM_400000_NS6detail17trampoline_kernelINS0_14default_configENS1_25partition_config_selectorILNS1_17partition_subalgoE8EN3c104HalfENS0_10empty_typeEbEEZZNS1_14partition_implILS5_8ELb0ES3_jPKS7_PS8_PKS8_NS0_5tupleIJPS7_S8_EEENSG_IJSD_SD_EEENS0_18inequality_wrapperIN6hipcub16HIPCUB_304000_NS8EqualityEEEPlJS8_EEE10hipError_tPvRmT3_T4_T5_T6_T7_T9_mT8_P12ihipStream_tbDpT10_ENKUlT_T0_E_clISt17integral_constantIbLb1EES19_EEDaS14_S15_EUlS14_E_NS1_11comp_targetILNS1_3genE3ELNS1_11target_archE908ELNS1_3gpuE7ELNS1_3repE0EEENS1_30default_config_static_selectorELNS0_4arch9wavefront6targetE0EEEvT1_.has_recursion, 0
	.set _ZN7rocprim17ROCPRIM_400000_NS6detail17trampoline_kernelINS0_14default_configENS1_25partition_config_selectorILNS1_17partition_subalgoE8EN3c104HalfENS0_10empty_typeEbEEZZNS1_14partition_implILS5_8ELb0ES3_jPKS7_PS8_PKS8_NS0_5tupleIJPS7_S8_EEENSG_IJSD_SD_EEENS0_18inequality_wrapperIN6hipcub16HIPCUB_304000_NS8EqualityEEEPlJS8_EEE10hipError_tPvRmT3_T4_T5_T6_T7_T9_mT8_P12ihipStream_tbDpT10_ENKUlT_T0_E_clISt17integral_constantIbLb1EES19_EEDaS14_S15_EUlS14_E_NS1_11comp_targetILNS1_3genE3ELNS1_11target_archE908ELNS1_3gpuE7ELNS1_3repE0EEENS1_30default_config_static_selectorELNS0_4arch9wavefront6targetE0EEEvT1_.has_indirect_call, 0
	.section	.AMDGPU.csdata,"",@progbits
; Kernel info:
; codeLenInByte = 0
; TotalNumSgprs: 0
; NumVgprs: 0
; ScratchSize: 0
; MemoryBound: 0
; FloatMode: 240
; IeeeMode: 1
; LDSByteSize: 0 bytes/workgroup (compile time only)
; SGPRBlocks: 0
; VGPRBlocks: 0
; NumSGPRsForWavesPerEU: 1
; NumVGPRsForWavesPerEU: 1
; NamedBarCnt: 0
; Occupancy: 16
; WaveLimiterHint : 0
; COMPUTE_PGM_RSRC2:SCRATCH_EN: 0
; COMPUTE_PGM_RSRC2:USER_SGPR: 2
; COMPUTE_PGM_RSRC2:TRAP_HANDLER: 0
; COMPUTE_PGM_RSRC2:TGID_X_EN: 1
; COMPUTE_PGM_RSRC2:TGID_Y_EN: 0
; COMPUTE_PGM_RSRC2:TGID_Z_EN: 0
; COMPUTE_PGM_RSRC2:TIDIG_COMP_CNT: 0
	.section	.text._ZN7rocprim17ROCPRIM_400000_NS6detail17trampoline_kernelINS0_14default_configENS1_25partition_config_selectorILNS1_17partition_subalgoE8EN3c104HalfENS0_10empty_typeEbEEZZNS1_14partition_implILS5_8ELb0ES3_jPKS7_PS8_PKS8_NS0_5tupleIJPS7_S8_EEENSG_IJSD_SD_EEENS0_18inequality_wrapperIN6hipcub16HIPCUB_304000_NS8EqualityEEEPlJS8_EEE10hipError_tPvRmT3_T4_T5_T6_T7_T9_mT8_P12ihipStream_tbDpT10_ENKUlT_T0_E_clISt17integral_constantIbLb1EES19_EEDaS14_S15_EUlS14_E_NS1_11comp_targetILNS1_3genE2ELNS1_11target_archE906ELNS1_3gpuE6ELNS1_3repE0EEENS1_30default_config_static_selectorELNS0_4arch9wavefront6targetE0EEEvT1_,"axG",@progbits,_ZN7rocprim17ROCPRIM_400000_NS6detail17trampoline_kernelINS0_14default_configENS1_25partition_config_selectorILNS1_17partition_subalgoE8EN3c104HalfENS0_10empty_typeEbEEZZNS1_14partition_implILS5_8ELb0ES3_jPKS7_PS8_PKS8_NS0_5tupleIJPS7_S8_EEENSG_IJSD_SD_EEENS0_18inequality_wrapperIN6hipcub16HIPCUB_304000_NS8EqualityEEEPlJS8_EEE10hipError_tPvRmT3_T4_T5_T6_T7_T9_mT8_P12ihipStream_tbDpT10_ENKUlT_T0_E_clISt17integral_constantIbLb1EES19_EEDaS14_S15_EUlS14_E_NS1_11comp_targetILNS1_3genE2ELNS1_11target_archE906ELNS1_3gpuE6ELNS1_3repE0EEENS1_30default_config_static_selectorELNS0_4arch9wavefront6targetE0EEEvT1_,comdat
	.protected	_ZN7rocprim17ROCPRIM_400000_NS6detail17trampoline_kernelINS0_14default_configENS1_25partition_config_selectorILNS1_17partition_subalgoE8EN3c104HalfENS0_10empty_typeEbEEZZNS1_14partition_implILS5_8ELb0ES3_jPKS7_PS8_PKS8_NS0_5tupleIJPS7_S8_EEENSG_IJSD_SD_EEENS0_18inequality_wrapperIN6hipcub16HIPCUB_304000_NS8EqualityEEEPlJS8_EEE10hipError_tPvRmT3_T4_T5_T6_T7_T9_mT8_P12ihipStream_tbDpT10_ENKUlT_T0_E_clISt17integral_constantIbLb1EES19_EEDaS14_S15_EUlS14_E_NS1_11comp_targetILNS1_3genE2ELNS1_11target_archE906ELNS1_3gpuE6ELNS1_3repE0EEENS1_30default_config_static_selectorELNS0_4arch9wavefront6targetE0EEEvT1_ ; -- Begin function _ZN7rocprim17ROCPRIM_400000_NS6detail17trampoline_kernelINS0_14default_configENS1_25partition_config_selectorILNS1_17partition_subalgoE8EN3c104HalfENS0_10empty_typeEbEEZZNS1_14partition_implILS5_8ELb0ES3_jPKS7_PS8_PKS8_NS0_5tupleIJPS7_S8_EEENSG_IJSD_SD_EEENS0_18inequality_wrapperIN6hipcub16HIPCUB_304000_NS8EqualityEEEPlJS8_EEE10hipError_tPvRmT3_T4_T5_T6_T7_T9_mT8_P12ihipStream_tbDpT10_ENKUlT_T0_E_clISt17integral_constantIbLb1EES19_EEDaS14_S15_EUlS14_E_NS1_11comp_targetILNS1_3genE2ELNS1_11target_archE906ELNS1_3gpuE6ELNS1_3repE0EEENS1_30default_config_static_selectorELNS0_4arch9wavefront6targetE0EEEvT1_
	.globl	_ZN7rocprim17ROCPRIM_400000_NS6detail17trampoline_kernelINS0_14default_configENS1_25partition_config_selectorILNS1_17partition_subalgoE8EN3c104HalfENS0_10empty_typeEbEEZZNS1_14partition_implILS5_8ELb0ES3_jPKS7_PS8_PKS8_NS0_5tupleIJPS7_S8_EEENSG_IJSD_SD_EEENS0_18inequality_wrapperIN6hipcub16HIPCUB_304000_NS8EqualityEEEPlJS8_EEE10hipError_tPvRmT3_T4_T5_T6_T7_T9_mT8_P12ihipStream_tbDpT10_ENKUlT_T0_E_clISt17integral_constantIbLb1EES19_EEDaS14_S15_EUlS14_E_NS1_11comp_targetILNS1_3genE2ELNS1_11target_archE906ELNS1_3gpuE6ELNS1_3repE0EEENS1_30default_config_static_selectorELNS0_4arch9wavefront6targetE0EEEvT1_
	.p2align	8
	.type	_ZN7rocprim17ROCPRIM_400000_NS6detail17trampoline_kernelINS0_14default_configENS1_25partition_config_selectorILNS1_17partition_subalgoE8EN3c104HalfENS0_10empty_typeEbEEZZNS1_14partition_implILS5_8ELb0ES3_jPKS7_PS8_PKS8_NS0_5tupleIJPS7_S8_EEENSG_IJSD_SD_EEENS0_18inequality_wrapperIN6hipcub16HIPCUB_304000_NS8EqualityEEEPlJS8_EEE10hipError_tPvRmT3_T4_T5_T6_T7_T9_mT8_P12ihipStream_tbDpT10_ENKUlT_T0_E_clISt17integral_constantIbLb1EES19_EEDaS14_S15_EUlS14_E_NS1_11comp_targetILNS1_3genE2ELNS1_11target_archE906ELNS1_3gpuE6ELNS1_3repE0EEENS1_30default_config_static_selectorELNS0_4arch9wavefront6targetE0EEEvT1_,@function
_ZN7rocprim17ROCPRIM_400000_NS6detail17trampoline_kernelINS0_14default_configENS1_25partition_config_selectorILNS1_17partition_subalgoE8EN3c104HalfENS0_10empty_typeEbEEZZNS1_14partition_implILS5_8ELb0ES3_jPKS7_PS8_PKS8_NS0_5tupleIJPS7_S8_EEENSG_IJSD_SD_EEENS0_18inequality_wrapperIN6hipcub16HIPCUB_304000_NS8EqualityEEEPlJS8_EEE10hipError_tPvRmT3_T4_T5_T6_T7_T9_mT8_P12ihipStream_tbDpT10_ENKUlT_T0_E_clISt17integral_constantIbLb1EES19_EEDaS14_S15_EUlS14_E_NS1_11comp_targetILNS1_3genE2ELNS1_11target_archE906ELNS1_3gpuE6ELNS1_3repE0EEENS1_30default_config_static_selectorELNS0_4arch9wavefront6targetE0EEEvT1_: ; @_ZN7rocprim17ROCPRIM_400000_NS6detail17trampoline_kernelINS0_14default_configENS1_25partition_config_selectorILNS1_17partition_subalgoE8EN3c104HalfENS0_10empty_typeEbEEZZNS1_14partition_implILS5_8ELb0ES3_jPKS7_PS8_PKS8_NS0_5tupleIJPS7_S8_EEENSG_IJSD_SD_EEENS0_18inequality_wrapperIN6hipcub16HIPCUB_304000_NS8EqualityEEEPlJS8_EEE10hipError_tPvRmT3_T4_T5_T6_T7_T9_mT8_P12ihipStream_tbDpT10_ENKUlT_T0_E_clISt17integral_constantIbLb1EES19_EEDaS14_S15_EUlS14_E_NS1_11comp_targetILNS1_3genE2ELNS1_11target_archE906ELNS1_3gpuE6ELNS1_3repE0EEENS1_30default_config_static_selectorELNS0_4arch9wavefront6targetE0EEEvT1_
; %bb.0:
	.section	.rodata,"a",@progbits
	.p2align	6, 0x0
	.amdhsa_kernel _ZN7rocprim17ROCPRIM_400000_NS6detail17trampoline_kernelINS0_14default_configENS1_25partition_config_selectorILNS1_17partition_subalgoE8EN3c104HalfENS0_10empty_typeEbEEZZNS1_14partition_implILS5_8ELb0ES3_jPKS7_PS8_PKS8_NS0_5tupleIJPS7_S8_EEENSG_IJSD_SD_EEENS0_18inequality_wrapperIN6hipcub16HIPCUB_304000_NS8EqualityEEEPlJS8_EEE10hipError_tPvRmT3_T4_T5_T6_T7_T9_mT8_P12ihipStream_tbDpT10_ENKUlT_T0_E_clISt17integral_constantIbLb1EES19_EEDaS14_S15_EUlS14_E_NS1_11comp_targetILNS1_3genE2ELNS1_11target_archE906ELNS1_3gpuE6ELNS1_3repE0EEENS1_30default_config_static_selectorELNS0_4arch9wavefront6targetE0EEEvT1_
		.amdhsa_group_segment_fixed_size 0
		.amdhsa_private_segment_fixed_size 0
		.amdhsa_kernarg_size 128
		.amdhsa_user_sgpr_count 2
		.amdhsa_user_sgpr_dispatch_ptr 0
		.amdhsa_user_sgpr_queue_ptr 0
		.amdhsa_user_sgpr_kernarg_segment_ptr 1
		.amdhsa_user_sgpr_dispatch_id 0
		.amdhsa_user_sgpr_kernarg_preload_length 0
		.amdhsa_user_sgpr_kernarg_preload_offset 0
		.amdhsa_user_sgpr_private_segment_size 0
		.amdhsa_wavefront_size32 1
		.amdhsa_uses_dynamic_stack 0
		.amdhsa_enable_private_segment 0
		.amdhsa_system_sgpr_workgroup_id_x 1
		.amdhsa_system_sgpr_workgroup_id_y 0
		.amdhsa_system_sgpr_workgroup_id_z 0
		.amdhsa_system_sgpr_workgroup_info 0
		.amdhsa_system_vgpr_workitem_id 0
		.amdhsa_next_free_vgpr 1
		.amdhsa_next_free_sgpr 1
		.amdhsa_named_barrier_count 0
		.amdhsa_reserve_vcc 0
		.amdhsa_float_round_mode_32 0
		.amdhsa_float_round_mode_16_64 0
		.amdhsa_float_denorm_mode_32 3
		.amdhsa_float_denorm_mode_16_64 3
		.amdhsa_fp16_overflow 0
		.amdhsa_memory_ordered 1
		.amdhsa_forward_progress 1
		.amdhsa_inst_pref_size 0
		.amdhsa_round_robin_scheduling 0
		.amdhsa_exception_fp_ieee_invalid_op 0
		.amdhsa_exception_fp_denorm_src 0
		.amdhsa_exception_fp_ieee_div_zero 0
		.amdhsa_exception_fp_ieee_overflow 0
		.amdhsa_exception_fp_ieee_underflow 0
		.amdhsa_exception_fp_ieee_inexact 0
		.amdhsa_exception_int_div_zero 0
	.end_amdhsa_kernel
	.section	.text._ZN7rocprim17ROCPRIM_400000_NS6detail17trampoline_kernelINS0_14default_configENS1_25partition_config_selectorILNS1_17partition_subalgoE8EN3c104HalfENS0_10empty_typeEbEEZZNS1_14partition_implILS5_8ELb0ES3_jPKS7_PS8_PKS8_NS0_5tupleIJPS7_S8_EEENSG_IJSD_SD_EEENS0_18inequality_wrapperIN6hipcub16HIPCUB_304000_NS8EqualityEEEPlJS8_EEE10hipError_tPvRmT3_T4_T5_T6_T7_T9_mT8_P12ihipStream_tbDpT10_ENKUlT_T0_E_clISt17integral_constantIbLb1EES19_EEDaS14_S15_EUlS14_E_NS1_11comp_targetILNS1_3genE2ELNS1_11target_archE906ELNS1_3gpuE6ELNS1_3repE0EEENS1_30default_config_static_selectorELNS0_4arch9wavefront6targetE0EEEvT1_,"axG",@progbits,_ZN7rocprim17ROCPRIM_400000_NS6detail17trampoline_kernelINS0_14default_configENS1_25partition_config_selectorILNS1_17partition_subalgoE8EN3c104HalfENS0_10empty_typeEbEEZZNS1_14partition_implILS5_8ELb0ES3_jPKS7_PS8_PKS8_NS0_5tupleIJPS7_S8_EEENSG_IJSD_SD_EEENS0_18inequality_wrapperIN6hipcub16HIPCUB_304000_NS8EqualityEEEPlJS8_EEE10hipError_tPvRmT3_T4_T5_T6_T7_T9_mT8_P12ihipStream_tbDpT10_ENKUlT_T0_E_clISt17integral_constantIbLb1EES19_EEDaS14_S15_EUlS14_E_NS1_11comp_targetILNS1_3genE2ELNS1_11target_archE906ELNS1_3gpuE6ELNS1_3repE0EEENS1_30default_config_static_selectorELNS0_4arch9wavefront6targetE0EEEvT1_,comdat
.Lfunc_end905:
	.size	_ZN7rocprim17ROCPRIM_400000_NS6detail17trampoline_kernelINS0_14default_configENS1_25partition_config_selectorILNS1_17partition_subalgoE8EN3c104HalfENS0_10empty_typeEbEEZZNS1_14partition_implILS5_8ELb0ES3_jPKS7_PS8_PKS8_NS0_5tupleIJPS7_S8_EEENSG_IJSD_SD_EEENS0_18inequality_wrapperIN6hipcub16HIPCUB_304000_NS8EqualityEEEPlJS8_EEE10hipError_tPvRmT3_T4_T5_T6_T7_T9_mT8_P12ihipStream_tbDpT10_ENKUlT_T0_E_clISt17integral_constantIbLb1EES19_EEDaS14_S15_EUlS14_E_NS1_11comp_targetILNS1_3genE2ELNS1_11target_archE906ELNS1_3gpuE6ELNS1_3repE0EEENS1_30default_config_static_selectorELNS0_4arch9wavefront6targetE0EEEvT1_, .Lfunc_end905-_ZN7rocprim17ROCPRIM_400000_NS6detail17trampoline_kernelINS0_14default_configENS1_25partition_config_selectorILNS1_17partition_subalgoE8EN3c104HalfENS0_10empty_typeEbEEZZNS1_14partition_implILS5_8ELb0ES3_jPKS7_PS8_PKS8_NS0_5tupleIJPS7_S8_EEENSG_IJSD_SD_EEENS0_18inequality_wrapperIN6hipcub16HIPCUB_304000_NS8EqualityEEEPlJS8_EEE10hipError_tPvRmT3_T4_T5_T6_T7_T9_mT8_P12ihipStream_tbDpT10_ENKUlT_T0_E_clISt17integral_constantIbLb1EES19_EEDaS14_S15_EUlS14_E_NS1_11comp_targetILNS1_3genE2ELNS1_11target_archE906ELNS1_3gpuE6ELNS1_3repE0EEENS1_30default_config_static_selectorELNS0_4arch9wavefront6targetE0EEEvT1_
                                        ; -- End function
	.set _ZN7rocprim17ROCPRIM_400000_NS6detail17trampoline_kernelINS0_14default_configENS1_25partition_config_selectorILNS1_17partition_subalgoE8EN3c104HalfENS0_10empty_typeEbEEZZNS1_14partition_implILS5_8ELb0ES3_jPKS7_PS8_PKS8_NS0_5tupleIJPS7_S8_EEENSG_IJSD_SD_EEENS0_18inequality_wrapperIN6hipcub16HIPCUB_304000_NS8EqualityEEEPlJS8_EEE10hipError_tPvRmT3_T4_T5_T6_T7_T9_mT8_P12ihipStream_tbDpT10_ENKUlT_T0_E_clISt17integral_constantIbLb1EES19_EEDaS14_S15_EUlS14_E_NS1_11comp_targetILNS1_3genE2ELNS1_11target_archE906ELNS1_3gpuE6ELNS1_3repE0EEENS1_30default_config_static_selectorELNS0_4arch9wavefront6targetE0EEEvT1_.num_vgpr, 0
	.set _ZN7rocprim17ROCPRIM_400000_NS6detail17trampoline_kernelINS0_14default_configENS1_25partition_config_selectorILNS1_17partition_subalgoE8EN3c104HalfENS0_10empty_typeEbEEZZNS1_14partition_implILS5_8ELb0ES3_jPKS7_PS8_PKS8_NS0_5tupleIJPS7_S8_EEENSG_IJSD_SD_EEENS0_18inequality_wrapperIN6hipcub16HIPCUB_304000_NS8EqualityEEEPlJS8_EEE10hipError_tPvRmT3_T4_T5_T6_T7_T9_mT8_P12ihipStream_tbDpT10_ENKUlT_T0_E_clISt17integral_constantIbLb1EES19_EEDaS14_S15_EUlS14_E_NS1_11comp_targetILNS1_3genE2ELNS1_11target_archE906ELNS1_3gpuE6ELNS1_3repE0EEENS1_30default_config_static_selectorELNS0_4arch9wavefront6targetE0EEEvT1_.num_agpr, 0
	.set _ZN7rocprim17ROCPRIM_400000_NS6detail17trampoline_kernelINS0_14default_configENS1_25partition_config_selectorILNS1_17partition_subalgoE8EN3c104HalfENS0_10empty_typeEbEEZZNS1_14partition_implILS5_8ELb0ES3_jPKS7_PS8_PKS8_NS0_5tupleIJPS7_S8_EEENSG_IJSD_SD_EEENS0_18inequality_wrapperIN6hipcub16HIPCUB_304000_NS8EqualityEEEPlJS8_EEE10hipError_tPvRmT3_T4_T5_T6_T7_T9_mT8_P12ihipStream_tbDpT10_ENKUlT_T0_E_clISt17integral_constantIbLb1EES19_EEDaS14_S15_EUlS14_E_NS1_11comp_targetILNS1_3genE2ELNS1_11target_archE906ELNS1_3gpuE6ELNS1_3repE0EEENS1_30default_config_static_selectorELNS0_4arch9wavefront6targetE0EEEvT1_.numbered_sgpr, 0
	.set _ZN7rocprim17ROCPRIM_400000_NS6detail17trampoline_kernelINS0_14default_configENS1_25partition_config_selectorILNS1_17partition_subalgoE8EN3c104HalfENS0_10empty_typeEbEEZZNS1_14partition_implILS5_8ELb0ES3_jPKS7_PS8_PKS8_NS0_5tupleIJPS7_S8_EEENSG_IJSD_SD_EEENS0_18inequality_wrapperIN6hipcub16HIPCUB_304000_NS8EqualityEEEPlJS8_EEE10hipError_tPvRmT3_T4_T5_T6_T7_T9_mT8_P12ihipStream_tbDpT10_ENKUlT_T0_E_clISt17integral_constantIbLb1EES19_EEDaS14_S15_EUlS14_E_NS1_11comp_targetILNS1_3genE2ELNS1_11target_archE906ELNS1_3gpuE6ELNS1_3repE0EEENS1_30default_config_static_selectorELNS0_4arch9wavefront6targetE0EEEvT1_.num_named_barrier, 0
	.set _ZN7rocprim17ROCPRIM_400000_NS6detail17trampoline_kernelINS0_14default_configENS1_25partition_config_selectorILNS1_17partition_subalgoE8EN3c104HalfENS0_10empty_typeEbEEZZNS1_14partition_implILS5_8ELb0ES3_jPKS7_PS8_PKS8_NS0_5tupleIJPS7_S8_EEENSG_IJSD_SD_EEENS0_18inequality_wrapperIN6hipcub16HIPCUB_304000_NS8EqualityEEEPlJS8_EEE10hipError_tPvRmT3_T4_T5_T6_T7_T9_mT8_P12ihipStream_tbDpT10_ENKUlT_T0_E_clISt17integral_constantIbLb1EES19_EEDaS14_S15_EUlS14_E_NS1_11comp_targetILNS1_3genE2ELNS1_11target_archE906ELNS1_3gpuE6ELNS1_3repE0EEENS1_30default_config_static_selectorELNS0_4arch9wavefront6targetE0EEEvT1_.private_seg_size, 0
	.set _ZN7rocprim17ROCPRIM_400000_NS6detail17trampoline_kernelINS0_14default_configENS1_25partition_config_selectorILNS1_17partition_subalgoE8EN3c104HalfENS0_10empty_typeEbEEZZNS1_14partition_implILS5_8ELb0ES3_jPKS7_PS8_PKS8_NS0_5tupleIJPS7_S8_EEENSG_IJSD_SD_EEENS0_18inequality_wrapperIN6hipcub16HIPCUB_304000_NS8EqualityEEEPlJS8_EEE10hipError_tPvRmT3_T4_T5_T6_T7_T9_mT8_P12ihipStream_tbDpT10_ENKUlT_T0_E_clISt17integral_constantIbLb1EES19_EEDaS14_S15_EUlS14_E_NS1_11comp_targetILNS1_3genE2ELNS1_11target_archE906ELNS1_3gpuE6ELNS1_3repE0EEENS1_30default_config_static_selectorELNS0_4arch9wavefront6targetE0EEEvT1_.uses_vcc, 0
	.set _ZN7rocprim17ROCPRIM_400000_NS6detail17trampoline_kernelINS0_14default_configENS1_25partition_config_selectorILNS1_17partition_subalgoE8EN3c104HalfENS0_10empty_typeEbEEZZNS1_14partition_implILS5_8ELb0ES3_jPKS7_PS8_PKS8_NS0_5tupleIJPS7_S8_EEENSG_IJSD_SD_EEENS0_18inequality_wrapperIN6hipcub16HIPCUB_304000_NS8EqualityEEEPlJS8_EEE10hipError_tPvRmT3_T4_T5_T6_T7_T9_mT8_P12ihipStream_tbDpT10_ENKUlT_T0_E_clISt17integral_constantIbLb1EES19_EEDaS14_S15_EUlS14_E_NS1_11comp_targetILNS1_3genE2ELNS1_11target_archE906ELNS1_3gpuE6ELNS1_3repE0EEENS1_30default_config_static_selectorELNS0_4arch9wavefront6targetE0EEEvT1_.uses_flat_scratch, 0
	.set _ZN7rocprim17ROCPRIM_400000_NS6detail17trampoline_kernelINS0_14default_configENS1_25partition_config_selectorILNS1_17partition_subalgoE8EN3c104HalfENS0_10empty_typeEbEEZZNS1_14partition_implILS5_8ELb0ES3_jPKS7_PS8_PKS8_NS0_5tupleIJPS7_S8_EEENSG_IJSD_SD_EEENS0_18inequality_wrapperIN6hipcub16HIPCUB_304000_NS8EqualityEEEPlJS8_EEE10hipError_tPvRmT3_T4_T5_T6_T7_T9_mT8_P12ihipStream_tbDpT10_ENKUlT_T0_E_clISt17integral_constantIbLb1EES19_EEDaS14_S15_EUlS14_E_NS1_11comp_targetILNS1_3genE2ELNS1_11target_archE906ELNS1_3gpuE6ELNS1_3repE0EEENS1_30default_config_static_selectorELNS0_4arch9wavefront6targetE0EEEvT1_.has_dyn_sized_stack, 0
	.set _ZN7rocprim17ROCPRIM_400000_NS6detail17trampoline_kernelINS0_14default_configENS1_25partition_config_selectorILNS1_17partition_subalgoE8EN3c104HalfENS0_10empty_typeEbEEZZNS1_14partition_implILS5_8ELb0ES3_jPKS7_PS8_PKS8_NS0_5tupleIJPS7_S8_EEENSG_IJSD_SD_EEENS0_18inequality_wrapperIN6hipcub16HIPCUB_304000_NS8EqualityEEEPlJS8_EEE10hipError_tPvRmT3_T4_T5_T6_T7_T9_mT8_P12ihipStream_tbDpT10_ENKUlT_T0_E_clISt17integral_constantIbLb1EES19_EEDaS14_S15_EUlS14_E_NS1_11comp_targetILNS1_3genE2ELNS1_11target_archE906ELNS1_3gpuE6ELNS1_3repE0EEENS1_30default_config_static_selectorELNS0_4arch9wavefront6targetE0EEEvT1_.has_recursion, 0
	.set _ZN7rocprim17ROCPRIM_400000_NS6detail17trampoline_kernelINS0_14default_configENS1_25partition_config_selectorILNS1_17partition_subalgoE8EN3c104HalfENS0_10empty_typeEbEEZZNS1_14partition_implILS5_8ELb0ES3_jPKS7_PS8_PKS8_NS0_5tupleIJPS7_S8_EEENSG_IJSD_SD_EEENS0_18inequality_wrapperIN6hipcub16HIPCUB_304000_NS8EqualityEEEPlJS8_EEE10hipError_tPvRmT3_T4_T5_T6_T7_T9_mT8_P12ihipStream_tbDpT10_ENKUlT_T0_E_clISt17integral_constantIbLb1EES19_EEDaS14_S15_EUlS14_E_NS1_11comp_targetILNS1_3genE2ELNS1_11target_archE906ELNS1_3gpuE6ELNS1_3repE0EEENS1_30default_config_static_selectorELNS0_4arch9wavefront6targetE0EEEvT1_.has_indirect_call, 0
	.section	.AMDGPU.csdata,"",@progbits
; Kernel info:
; codeLenInByte = 0
; TotalNumSgprs: 0
; NumVgprs: 0
; ScratchSize: 0
; MemoryBound: 0
; FloatMode: 240
; IeeeMode: 1
; LDSByteSize: 0 bytes/workgroup (compile time only)
; SGPRBlocks: 0
; VGPRBlocks: 0
; NumSGPRsForWavesPerEU: 1
; NumVGPRsForWavesPerEU: 1
; NamedBarCnt: 0
; Occupancy: 16
; WaveLimiterHint : 0
; COMPUTE_PGM_RSRC2:SCRATCH_EN: 0
; COMPUTE_PGM_RSRC2:USER_SGPR: 2
; COMPUTE_PGM_RSRC2:TRAP_HANDLER: 0
; COMPUTE_PGM_RSRC2:TGID_X_EN: 1
; COMPUTE_PGM_RSRC2:TGID_Y_EN: 0
; COMPUTE_PGM_RSRC2:TGID_Z_EN: 0
; COMPUTE_PGM_RSRC2:TIDIG_COMP_CNT: 0
	.section	.text._ZN7rocprim17ROCPRIM_400000_NS6detail17trampoline_kernelINS0_14default_configENS1_25partition_config_selectorILNS1_17partition_subalgoE8EN3c104HalfENS0_10empty_typeEbEEZZNS1_14partition_implILS5_8ELb0ES3_jPKS7_PS8_PKS8_NS0_5tupleIJPS7_S8_EEENSG_IJSD_SD_EEENS0_18inequality_wrapperIN6hipcub16HIPCUB_304000_NS8EqualityEEEPlJS8_EEE10hipError_tPvRmT3_T4_T5_T6_T7_T9_mT8_P12ihipStream_tbDpT10_ENKUlT_T0_E_clISt17integral_constantIbLb1EES19_EEDaS14_S15_EUlS14_E_NS1_11comp_targetILNS1_3genE10ELNS1_11target_archE1200ELNS1_3gpuE4ELNS1_3repE0EEENS1_30default_config_static_selectorELNS0_4arch9wavefront6targetE0EEEvT1_,"axG",@progbits,_ZN7rocprim17ROCPRIM_400000_NS6detail17trampoline_kernelINS0_14default_configENS1_25partition_config_selectorILNS1_17partition_subalgoE8EN3c104HalfENS0_10empty_typeEbEEZZNS1_14partition_implILS5_8ELb0ES3_jPKS7_PS8_PKS8_NS0_5tupleIJPS7_S8_EEENSG_IJSD_SD_EEENS0_18inequality_wrapperIN6hipcub16HIPCUB_304000_NS8EqualityEEEPlJS8_EEE10hipError_tPvRmT3_T4_T5_T6_T7_T9_mT8_P12ihipStream_tbDpT10_ENKUlT_T0_E_clISt17integral_constantIbLb1EES19_EEDaS14_S15_EUlS14_E_NS1_11comp_targetILNS1_3genE10ELNS1_11target_archE1200ELNS1_3gpuE4ELNS1_3repE0EEENS1_30default_config_static_selectorELNS0_4arch9wavefront6targetE0EEEvT1_,comdat
	.protected	_ZN7rocprim17ROCPRIM_400000_NS6detail17trampoline_kernelINS0_14default_configENS1_25partition_config_selectorILNS1_17partition_subalgoE8EN3c104HalfENS0_10empty_typeEbEEZZNS1_14partition_implILS5_8ELb0ES3_jPKS7_PS8_PKS8_NS0_5tupleIJPS7_S8_EEENSG_IJSD_SD_EEENS0_18inequality_wrapperIN6hipcub16HIPCUB_304000_NS8EqualityEEEPlJS8_EEE10hipError_tPvRmT3_T4_T5_T6_T7_T9_mT8_P12ihipStream_tbDpT10_ENKUlT_T0_E_clISt17integral_constantIbLb1EES19_EEDaS14_S15_EUlS14_E_NS1_11comp_targetILNS1_3genE10ELNS1_11target_archE1200ELNS1_3gpuE4ELNS1_3repE0EEENS1_30default_config_static_selectorELNS0_4arch9wavefront6targetE0EEEvT1_ ; -- Begin function _ZN7rocprim17ROCPRIM_400000_NS6detail17trampoline_kernelINS0_14default_configENS1_25partition_config_selectorILNS1_17partition_subalgoE8EN3c104HalfENS0_10empty_typeEbEEZZNS1_14partition_implILS5_8ELb0ES3_jPKS7_PS8_PKS8_NS0_5tupleIJPS7_S8_EEENSG_IJSD_SD_EEENS0_18inequality_wrapperIN6hipcub16HIPCUB_304000_NS8EqualityEEEPlJS8_EEE10hipError_tPvRmT3_T4_T5_T6_T7_T9_mT8_P12ihipStream_tbDpT10_ENKUlT_T0_E_clISt17integral_constantIbLb1EES19_EEDaS14_S15_EUlS14_E_NS1_11comp_targetILNS1_3genE10ELNS1_11target_archE1200ELNS1_3gpuE4ELNS1_3repE0EEENS1_30default_config_static_selectorELNS0_4arch9wavefront6targetE0EEEvT1_
	.globl	_ZN7rocprim17ROCPRIM_400000_NS6detail17trampoline_kernelINS0_14default_configENS1_25partition_config_selectorILNS1_17partition_subalgoE8EN3c104HalfENS0_10empty_typeEbEEZZNS1_14partition_implILS5_8ELb0ES3_jPKS7_PS8_PKS8_NS0_5tupleIJPS7_S8_EEENSG_IJSD_SD_EEENS0_18inequality_wrapperIN6hipcub16HIPCUB_304000_NS8EqualityEEEPlJS8_EEE10hipError_tPvRmT3_T4_T5_T6_T7_T9_mT8_P12ihipStream_tbDpT10_ENKUlT_T0_E_clISt17integral_constantIbLb1EES19_EEDaS14_S15_EUlS14_E_NS1_11comp_targetILNS1_3genE10ELNS1_11target_archE1200ELNS1_3gpuE4ELNS1_3repE0EEENS1_30default_config_static_selectorELNS0_4arch9wavefront6targetE0EEEvT1_
	.p2align	8
	.type	_ZN7rocprim17ROCPRIM_400000_NS6detail17trampoline_kernelINS0_14default_configENS1_25partition_config_selectorILNS1_17partition_subalgoE8EN3c104HalfENS0_10empty_typeEbEEZZNS1_14partition_implILS5_8ELb0ES3_jPKS7_PS8_PKS8_NS0_5tupleIJPS7_S8_EEENSG_IJSD_SD_EEENS0_18inequality_wrapperIN6hipcub16HIPCUB_304000_NS8EqualityEEEPlJS8_EEE10hipError_tPvRmT3_T4_T5_T6_T7_T9_mT8_P12ihipStream_tbDpT10_ENKUlT_T0_E_clISt17integral_constantIbLb1EES19_EEDaS14_S15_EUlS14_E_NS1_11comp_targetILNS1_3genE10ELNS1_11target_archE1200ELNS1_3gpuE4ELNS1_3repE0EEENS1_30default_config_static_selectorELNS0_4arch9wavefront6targetE0EEEvT1_,@function
_ZN7rocprim17ROCPRIM_400000_NS6detail17trampoline_kernelINS0_14default_configENS1_25partition_config_selectorILNS1_17partition_subalgoE8EN3c104HalfENS0_10empty_typeEbEEZZNS1_14partition_implILS5_8ELb0ES3_jPKS7_PS8_PKS8_NS0_5tupleIJPS7_S8_EEENSG_IJSD_SD_EEENS0_18inequality_wrapperIN6hipcub16HIPCUB_304000_NS8EqualityEEEPlJS8_EEE10hipError_tPvRmT3_T4_T5_T6_T7_T9_mT8_P12ihipStream_tbDpT10_ENKUlT_T0_E_clISt17integral_constantIbLb1EES19_EEDaS14_S15_EUlS14_E_NS1_11comp_targetILNS1_3genE10ELNS1_11target_archE1200ELNS1_3gpuE4ELNS1_3repE0EEENS1_30default_config_static_selectorELNS0_4arch9wavefront6targetE0EEEvT1_: ; @_ZN7rocprim17ROCPRIM_400000_NS6detail17trampoline_kernelINS0_14default_configENS1_25partition_config_selectorILNS1_17partition_subalgoE8EN3c104HalfENS0_10empty_typeEbEEZZNS1_14partition_implILS5_8ELb0ES3_jPKS7_PS8_PKS8_NS0_5tupleIJPS7_S8_EEENSG_IJSD_SD_EEENS0_18inequality_wrapperIN6hipcub16HIPCUB_304000_NS8EqualityEEEPlJS8_EEE10hipError_tPvRmT3_T4_T5_T6_T7_T9_mT8_P12ihipStream_tbDpT10_ENKUlT_T0_E_clISt17integral_constantIbLb1EES19_EEDaS14_S15_EUlS14_E_NS1_11comp_targetILNS1_3genE10ELNS1_11target_archE1200ELNS1_3gpuE4ELNS1_3repE0EEENS1_30default_config_static_selectorELNS0_4arch9wavefront6targetE0EEEvT1_
; %bb.0:
	.section	.rodata,"a",@progbits
	.p2align	6, 0x0
	.amdhsa_kernel _ZN7rocprim17ROCPRIM_400000_NS6detail17trampoline_kernelINS0_14default_configENS1_25partition_config_selectorILNS1_17partition_subalgoE8EN3c104HalfENS0_10empty_typeEbEEZZNS1_14partition_implILS5_8ELb0ES3_jPKS7_PS8_PKS8_NS0_5tupleIJPS7_S8_EEENSG_IJSD_SD_EEENS0_18inequality_wrapperIN6hipcub16HIPCUB_304000_NS8EqualityEEEPlJS8_EEE10hipError_tPvRmT3_T4_T5_T6_T7_T9_mT8_P12ihipStream_tbDpT10_ENKUlT_T0_E_clISt17integral_constantIbLb1EES19_EEDaS14_S15_EUlS14_E_NS1_11comp_targetILNS1_3genE10ELNS1_11target_archE1200ELNS1_3gpuE4ELNS1_3repE0EEENS1_30default_config_static_selectorELNS0_4arch9wavefront6targetE0EEEvT1_
		.amdhsa_group_segment_fixed_size 0
		.amdhsa_private_segment_fixed_size 0
		.amdhsa_kernarg_size 128
		.amdhsa_user_sgpr_count 2
		.amdhsa_user_sgpr_dispatch_ptr 0
		.amdhsa_user_sgpr_queue_ptr 0
		.amdhsa_user_sgpr_kernarg_segment_ptr 1
		.amdhsa_user_sgpr_dispatch_id 0
		.amdhsa_user_sgpr_kernarg_preload_length 0
		.amdhsa_user_sgpr_kernarg_preload_offset 0
		.amdhsa_user_sgpr_private_segment_size 0
		.amdhsa_wavefront_size32 1
		.amdhsa_uses_dynamic_stack 0
		.amdhsa_enable_private_segment 0
		.amdhsa_system_sgpr_workgroup_id_x 1
		.amdhsa_system_sgpr_workgroup_id_y 0
		.amdhsa_system_sgpr_workgroup_id_z 0
		.amdhsa_system_sgpr_workgroup_info 0
		.amdhsa_system_vgpr_workitem_id 0
		.amdhsa_next_free_vgpr 1
		.amdhsa_next_free_sgpr 1
		.amdhsa_named_barrier_count 0
		.amdhsa_reserve_vcc 0
		.amdhsa_float_round_mode_32 0
		.amdhsa_float_round_mode_16_64 0
		.amdhsa_float_denorm_mode_32 3
		.amdhsa_float_denorm_mode_16_64 3
		.amdhsa_fp16_overflow 0
		.amdhsa_memory_ordered 1
		.amdhsa_forward_progress 1
		.amdhsa_inst_pref_size 0
		.amdhsa_round_robin_scheduling 0
		.amdhsa_exception_fp_ieee_invalid_op 0
		.amdhsa_exception_fp_denorm_src 0
		.amdhsa_exception_fp_ieee_div_zero 0
		.amdhsa_exception_fp_ieee_overflow 0
		.amdhsa_exception_fp_ieee_underflow 0
		.amdhsa_exception_fp_ieee_inexact 0
		.amdhsa_exception_int_div_zero 0
	.end_amdhsa_kernel
	.section	.text._ZN7rocprim17ROCPRIM_400000_NS6detail17trampoline_kernelINS0_14default_configENS1_25partition_config_selectorILNS1_17partition_subalgoE8EN3c104HalfENS0_10empty_typeEbEEZZNS1_14partition_implILS5_8ELb0ES3_jPKS7_PS8_PKS8_NS0_5tupleIJPS7_S8_EEENSG_IJSD_SD_EEENS0_18inequality_wrapperIN6hipcub16HIPCUB_304000_NS8EqualityEEEPlJS8_EEE10hipError_tPvRmT3_T4_T5_T6_T7_T9_mT8_P12ihipStream_tbDpT10_ENKUlT_T0_E_clISt17integral_constantIbLb1EES19_EEDaS14_S15_EUlS14_E_NS1_11comp_targetILNS1_3genE10ELNS1_11target_archE1200ELNS1_3gpuE4ELNS1_3repE0EEENS1_30default_config_static_selectorELNS0_4arch9wavefront6targetE0EEEvT1_,"axG",@progbits,_ZN7rocprim17ROCPRIM_400000_NS6detail17trampoline_kernelINS0_14default_configENS1_25partition_config_selectorILNS1_17partition_subalgoE8EN3c104HalfENS0_10empty_typeEbEEZZNS1_14partition_implILS5_8ELb0ES3_jPKS7_PS8_PKS8_NS0_5tupleIJPS7_S8_EEENSG_IJSD_SD_EEENS0_18inequality_wrapperIN6hipcub16HIPCUB_304000_NS8EqualityEEEPlJS8_EEE10hipError_tPvRmT3_T4_T5_T6_T7_T9_mT8_P12ihipStream_tbDpT10_ENKUlT_T0_E_clISt17integral_constantIbLb1EES19_EEDaS14_S15_EUlS14_E_NS1_11comp_targetILNS1_3genE10ELNS1_11target_archE1200ELNS1_3gpuE4ELNS1_3repE0EEENS1_30default_config_static_selectorELNS0_4arch9wavefront6targetE0EEEvT1_,comdat
.Lfunc_end906:
	.size	_ZN7rocprim17ROCPRIM_400000_NS6detail17trampoline_kernelINS0_14default_configENS1_25partition_config_selectorILNS1_17partition_subalgoE8EN3c104HalfENS0_10empty_typeEbEEZZNS1_14partition_implILS5_8ELb0ES3_jPKS7_PS8_PKS8_NS0_5tupleIJPS7_S8_EEENSG_IJSD_SD_EEENS0_18inequality_wrapperIN6hipcub16HIPCUB_304000_NS8EqualityEEEPlJS8_EEE10hipError_tPvRmT3_T4_T5_T6_T7_T9_mT8_P12ihipStream_tbDpT10_ENKUlT_T0_E_clISt17integral_constantIbLb1EES19_EEDaS14_S15_EUlS14_E_NS1_11comp_targetILNS1_3genE10ELNS1_11target_archE1200ELNS1_3gpuE4ELNS1_3repE0EEENS1_30default_config_static_selectorELNS0_4arch9wavefront6targetE0EEEvT1_, .Lfunc_end906-_ZN7rocprim17ROCPRIM_400000_NS6detail17trampoline_kernelINS0_14default_configENS1_25partition_config_selectorILNS1_17partition_subalgoE8EN3c104HalfENS0_10empty_typeEbEEZZNS1_14partition_implILS5_8ELb0ES3_jPKS7_PS8_PKS8_NS0_5tupleIJPS7_S8_EEENSG_IJSD_SD_EEENS0_18inequality_wrapperIN6hipcub16HIPCUB_304000_NS8EqualityEEEPlJS8_EEE10hipError_tPvRmT3_T4_T5_T6_T7_T9_mT8_P12ihipStream_tbDpT10_ENKUlT_T0_E_clISt17integral_constantIbLb1EES19_EEDaS14_S15_EUlS14_E_NS1_11comp_targetILNS1_3genE10ELNS1_11target_archE1200ELNS1_3gpuE4ELNS1_3repE0EEENS1_30default_config_static_selectorELNS0_4arch9wavefront6targetE0EEEvT1_
                                        ; -- End function
	.set _ZN7rocprim17ROCPRIM_400000_NS6detail17trampoline_kernelINS0_14default_configENS1_25partition_config_selectorILNS1_17partition_subalgoE8EN3c104HalfENS0_10empty_typeEbEEZZNS1_14partition_implILS5_8ELb0ES3_jPKS7_PS8_PKS8_NS0_5tupleIJPS7_S8_EEENSG_IJSD_SD_EEENS0_18inequality_wrapperIN6hipcub16HIPCUB_304000_NS8EqualityEEEPlJS8_EEE10hipError_tPvRmT3_T4_T5_T6_T7_T9_mT8_P12ihipStream_tbDpT10_ENKUlT_T0_E_clISt17integral_constantIbLb1EES19_EEDaS14_S15_EUlS14_E_NS1_11comp_targetILNS1_3genE10ELNS1_11target_archE1200ELNS1_3gpuE4ELNS1_3repE0EEENS1_30default_config_static_selectorELNS0_4arch9wavefront6targetE0EEEvT1_.num_vgpr, 0
	.set _ZN7rocprim17ROCPRIM_400000_NS6detail17trampoline_kernelINS0_14default_configENS1_25partition_config_selectorILNS1_17partition_subalgoE8EN3c104HalfENS0_10empty_typeEbEEZZNS1_14partition_implILS5_8ELb0ES3_jPKS7_PS8_PKS8_NS0_5tupleIJPS7_S8_EEENSG_IJSD_SD_EEENS0_18inequality_wrapperIN6hipcub16HIPCUB_304000_NS8EqualityEEEPlJS8_EEE10hipError_tPvRmT3_T4_T5_T6_T7_T9_mT8_P12ihipStream_tbDpT10_ENKUlT_T0_E_clISt17integral_constantIbLb1EES19_EEDaS14_S15_EUlS14_E_NS1_11comp_targetILNS1_3genE10ELNS1_11target_archE1200ELNS1_3gpuE4ELNS1_3repE0EEENS1_30default_config_static_selectorELNS0_4arch9wavefront6targetE0EEEvT1_.num_agpr, 0
	.set _ZN7rocprim17ROCPRIM_400000_NS6detail17trampoline_kernelINS0_14default_configENS1_25partition_config_selectorILNS1_17partition_subalgoE8EN3c104HalfENS0_10empty_typeEbEEZZNS1_14partition_implILS5_8ELb0ES3_jPKS7_PS8_PKS8_NS0_5tupleIJPS7_S8_EEENSG_IJSD_SD_EEENS0_18inequality_wrapperIN6hipcub16HIPCUB_304000_NS8EqualityEEEPlJS8_EEE10hipError_tPvRmT3_T4_T5_T6_T7_T9_mT8_P12ihipStream_tbDpT10_ENKUlT_T0_E_clISt17integral_constantIbLb1EES19_EEDaS14_S15_EUlS14_E_NS1_11comp_targetILNS1_3genE10ELNS1_11target_archE1200ELNS1_3gpuE4ELNS1_3repE0EEENS1_30default_config_static_selectorELNS0_4arch9wavefront6targetE0EEEvT1_.numbered_sgpr, 0
	.set _ZN7rocprim17ROCPRIM_400000_NS6detail17trampoline_kernelINS0_14default_configENS1_25partition_config_selectorILNS1_17partition_subalgoE8EN3c104HalfENS0_10empty_typeEbEEZZNS1_14partition_implILS5_8ELb0ES3_jPKS7_PS8_PKS8_NS0_5tupleIJPS7_S8_EEENSG_IJSD_SD_EEENS0_18inequality_wrapperIN6hipcub16HIPCUB_304000_NS8EqualityEEEPlJS8_EEE10hipError_tPvRmT3_T4_T5_T6_T7_T9_mT8_P12ihipStream_tbDpT10_ENKUlT_T0_E_clISt17integral_constantIbLb1EES19_EEDaS14_S15_EUlS14_E_NS1_11comp_targetILNS1_3genE10ELNS1_11target_archE1200ELNS1_3gpuE4ELNS1_3repE0EEENS1_30default_config_static_selectorELNS0_4arch9wavefront6targetE0EEEvT1_.num_named_barrier, 0
	.set _ZN7rocprim17ROCPRIM_400000_NS6detail17trampoline_kernelINS0_14default_configENS1_25partition_config_selectorILNS1_17partition_subalgoE8EN3c104HalfENS0_10empty_typeEbEEZZNS1_14partition_implILS5_8ELb0ES3_jPKS7_PS8_PKS8_NS0_5tupleIJPS7_S8_EEENSG_IJSD_SD_EEENS0_18inequality_wrapperIN6hipcub16HIPCUB_304000_NS8EqualityEEEPlJS8_EEE10hipError_tPvRmT3_T4_T5_T6_T7_T9_mT8_P12ihipStream_tbDpT10_ENKUlT_T0_E_clISt17integral_constantIbLb1EES19_EEDaS14_S15_EUlS14_E_NS1_11comp_targetILNS1_3genE10ELNS1_11target_archE1200ELNS1_3gpuE4ELNS1_3repE0EEENS1_30default_config_static_selectorELNS0_4arch9wavefront6targetE0EEEvT1_.private_seg_size, 0
	.set _ZN7rocprim17ROCPRIM_400000_NS6detail17trampoline_kernelINS0_14default_configENS1_25partition_config_selectorILNS1_17partition_subalgoE8EN3c104HalfENS0_10empty_typeEbEEZZNS1_14partition_implILS5_8ELb0ES3_jPKS7_PS8_PKS8_NS0_5tupleIJPS7_S8_EEENSG_IJSD_SD_EEENS0_18inequality_wrapperIN6hipcub16HIPCUB_304000_NS8EqualityEEEPlJS8_EEE10hipError_tPvRmT3_T4_T5_T6_T7_T9_mT8_P12ihipStream_tbDpT10_ENKUlT_T0_E_clISt17integral_constantIbLb1EES19_EEDaS14_S15_EUlS14_E_NS1_11comp_targetILNS1_3genE10ELNS1_11target_archE1200ELNS1_3gpuE4ELNS1_3repE0EEENS1_30default_config_static_selectorELNS0_4arch9wavefront6targetE0EEEvT1_.uses_vcc, 0
	.set _ZN7rocprim17ROCPRIM_400000_NS6detail17trampoline_kernelINS0_14default_configENS1_25partition_config_selectorILNS1_17partition_subalgoE8EN3c104HalfENS0_10empty_typeEbEEZZNS1_14partition_implILS5_8ELb0ES3_jPKS7_PS8_PKS8_NS0_5tupleIJPS7_S8_EEENSG_IJSD_SD_EEENS0_18inequality_wrapperIN6hipcub16HIPCUB_304000_NS8EqualityEEEPlJS8_EEE10hipError_tPvRmT3_T4_T5_T6_T7_T9_mT8_P12ihipStream_tbDpT10_ENKUlT_T0_E_clISt17integral_constantIbLb1EES19_EEDaS14_S15_EUlS14_E_NS1_11comp_targetILNS1_3genE10ELNS1_11target_archE1200ELNS1_3gpuE4ELNS1_3repE0EEENS1_30default_config_static_selectorELNS0_4arch9wavefront6targetE0EEEvT1_.uses_flat_scratch, 0
	.set _ZN7rocprim17ROCPRIM_400000_NS6detail17trampoline_kernelINS0_14default_configENS1_25partition_config_selectorILNS1_17partition_subalgoE8EN3c104HalfENS0_10empty_typeEbEEZZNS1_14partition_implILS5_8ELb0ES3_jPKS7_PS8_PKS8_NS0_5tupleIJPS7_S8_EEENSG_IJSD_SD_EEENS0_18inequality_wrapperIN6hipcub16HIPCUB_304000_NS8EqualityEEEPlJS8_EEE10hipError_tPvRmT3_T4_T5_T6_T7_T9_mT8_P12ihipStream_tbDpT10_ENKUlT_T0_E_clISt17integral_constantIbLb1EES19_EEDaS14_S15_EUlS14_E_NS1_11comp_targetILNS1_3genE10ELNS1_11target_archE1200ELNS1_3gpuE4ELNS1_3repE0EEENS1_30default_config_static_selectorELNS0_4arch9wavefront6targetE0EEEvT1_.has_dyn_sized_stack, 0
	.set _ZN7rocprim17ROCPRIM_400000_NS6detail17trampoline_kernelINS0_14default_configENS1_25partition_config_selectorILNS1_17partition_subalgoE8EN3c104HalfENS0_10empty_typeEbEEZZNS1_14partition_implILS5_8ELb0ES3_jPKS7_PS8_PKS8_NS0_5tupleIJPS7_S8_EEENSG_IJSD_SD_EEENS0_18inequality_wrapperIN6hipcub16HIPCUB_304000_NS8EqualityEEEPlJS8_EEE10hipError_tPvRmT3_T4_T5_T6_T7_T9_mT8_P12ihipStream_tbDpT10_ENKUlT_T0_E_clISt17integral_constantIbLb1EES19_EEDaS14_S15_EUlS14_E_NS1_11comp_targetILNS1_3genE10ELNS1_11target_archE1200ELNS1_3gpuE4ELNS1_3repE0EEENS1_30default_config_static_selectorELNS0_4arch9wavefront6targetE0EEEvT1_.has_recursion, 0
	.set _ZN7rocprim17ROCPRIM_400000_NS6detail17trampoline_kernelINS0_14default_configENS1_25partition_config_selectorILNS1_17partition_subalgoE8EN3c104HalfENS0_10empty_typeEbEEZZNS1_14partition_implILS5_8ELb0ES3_jPKS7_PS8_PKS8_NS0_5tupleIJPS7_S8_EEENSG_IJSD_SD_EEENS0_18inequality_wrapperIN6hipcub16HIPCUB_304000_NS8EqualityEEEPlJS8_EEE10hipError_tPvRmT3_T4_T5_T6_T7_T9_mT8_P12ihipStream_tbDpT10_ENKUlT_T0_E_clISt17integral_constantIbLb1EES19_EEDaS14_S15_EUlS14_E_NS1_11comp_targetILNS1_3genE10ELNS1_11target_archE1200ELNS1_3gpuE4ELNS1_3repE0EEENS1_30default_config_static_selectorELNS0_4arch9wavefront6targetE0EEEvT1_.has_indirect_call, 0
	.section	.AMDGPU.csdata,"",@progbits
; Kernel info:
; codeLenInByte = 0
; TotalNumSgprs: 0
; NumVgprs: 0
; ScratchSize: 0
; MemoryBound: 0
; FloatMode: 240
; IeeeMode: 1
; LDSByteSize: 0 bytes/workgroup (compile time only)
; SGPRBlocks: 0
; VGPRBlocks: 0
; NumSGPRsForWavesPerEU: 1
; NumVGPRsForWavesPerEU: 1
; NamedBarCnt: 0
; Occupancy: 16
; WaveLimiterHint : 0
; COMPUTE_PGM_RSRC2:SCRATCH_EN: 0
; COMPUTE_PGM_RSRC2:USER_SGPR: 2
; COMPUTE_PGM_RSRC2:TRAP_HANDLER: 0
; COMPUTE_PGM_RSRC2:TGID_X_EN: 1
; COMPUTE_PGM_RSRC2:TGID_Y_EN: 0
; COMPUTE_PGM_RSRC2:TGID_Z_EN: 0
; COMPUTE_PGM_RSRC2:TIDIG_COMP_CNT: 0
	.section	.text._ZN7rocprim17ROCPRIM_400000_NS6detail17trampoline_kernelINS0_14default_configENS1_25partition_config_selectorILNS1_17partition_subalgoE8EN3c104HalfENS0_10empty_typeEbEEZZNS1_14partition_implILS5_8ELb0ES3_jPKS7_PS8_PKS8_NS0_5tupleIJPS7_S8_EEENSG_IJSD_SD_EEENS0_18inequality_wrapperIN6hipcub16HIPCUB_304000_NS8EqualityEEEPlJS8_EEE10hipError_tPvRmT3_T4_T5_T6_T7_T9_mT8_P12ihipStream_tbDpT10_ENKUlT_T0_E_clISt17integral_constantIbLb1EES19_EEDaS14_S15_EUlS14_E_NS1_11comp_targetILNS1_3genE9ELNS1_11target_archE1100ELNS1_3gpuE3ELNS1_3repE0EEENS1_30default_config_static_selectorELNS0_4arch9wavefront6targetE0EEEvT1_,"axG",@progbits,_ZN7rocprim17ROCPRIM_400000_NS6detail17trampoline_kernelINS0_14default_configENS1_25partition_config_selectorILNS1_17partition_subalgoE8EN3c104HalfENS0_10empty_typeEbEEZZNS1_14partition_implILS5_8ELb0ES3_jPKS7_PS8_PKS8_NS0_5tupleIJPS7_S8_EEENSG_IJSD_SD_EEENS0_18inequality_wrapperIN6hipcub16HIPCUB_304000_NS8EqualityEEEPlJS8_EEE10hipError_tPvRmT3_T4_T5_T6_T7_T9_mT8_P12ihipStream_tbDpT10_ENKUlT_T0_E_clISt17integral_constantIbLb1EES19_EEDaS14_S15_EUlS14_E_NS1_11comp_targetILNS1_3genE9ELNS1_11target_archE1100ELNS1_3gpuE3ELNS1_3repE0EEENS1_30default_config_static_selectorELNS0_4arch9wavefront6targetE0EEEvT1_,comdat
	.protected	_ZN7rocprim17ROCPRIM_400000_NS6detail17trampoline_kernelINS0_14default_configENS1_25partition_config_selectorILNS1_17partition_subalgoE8EN3c104HalfENS0_10empty_typeEbEEZZNS1_14partition_implILS5_8ELb0ES3_jPKS7_PS8_PKS8_NS0_5tupleIJPS7_S8_EEENSG_IJSD_SD_EEENS0_18inequality_wrapperIN6hipcub16HIPCUB_304000_NS8EqualityEEEPlJS8_EEE10hipError_tPvRmT3_T4_T5_T6_T7_T9_mT8_P12ihipStream_tbDpT10_ENKUlT_T0_E_clISt17integral_constantIbLb1EES19_EEDaS14_S15_EUlS14_E_NS1_11comp_targetILNS1_3genE9ELNS1_11target_archE1100ELNS1_3gpuE3ELNS1_3repE0EEENS1_30default_config_static_selectorELNS0_4arch9wavefront6targetE0EEEvT1_ ; -- Begin function _ZN7rocprim17ROCPRIM_400000_NS6detail17trampoline_kernelINS0_14default_configENS1_25partition_config_selectorILNS1_17partition_subalgoE8EN3c104HalfENS0_10empty_typeEbEEZZNS1_14partition_implILS5_8ELb0ES3_jPKS7_PS8_PKS8_NS0_5tupleIJPS7_S8_EEENSG_IJSD_SD_EEENS0_18inequality_wrapperIN6hipcub16HIPCUB_304000_NS8EqualityEEEPlJS8_EEE10hipError_tPvRmT3_T4_T5_T6_T7_T9_mT8_P12ihipStream_tbDpT10_ENKUlT_T0_E_clISt17integral_constantIbLb1EES19_EEDaS14_S15_EUlS14_E_NS1_11comp_targetILNS1_3genE9ELNS1_11target_archE1100ELNS1_3gpuE3ELNS1_3repE0EEENS1_30default_config_static_selectorELNS0_4arch9wavefront6targetE0EEEvT1_
	.globl	_ZN7rocprim17ROCPRIM_400000_NS6detail17trampoline_kernelINS0_14default_configENS1_25partition_config_selectorILNS1_17partition_subalgoE8EN3c104HalfENS0_10empty_typeEbEEZZNS1_14partition_implILS5_8ELb0ES3_jPKS7_PS8_PKS8_NS0_5tupleIJPS7_S8_EEENSG_IJSD_SD_EEENS0_18inequality_wrapperIN6hipcub16HIPCUB_304000_NS8EqualityEEEPlJS8_EEE10hipError_tPvRmT3_T4_T5_T6_T7_T9_mT8_P12ihipStream_tbDpT10_ENKUlT_T0_E_clISt17integral_constantIbLb1EES19_EEDaS14_S15_EUlS14_E_NS1_11comp_targetILNS1_3genE9ELNS1_11target_archE1100ELNS1_3gpuE3ELNS1_3repE0EEENS1_30default_config_static_selectorELNS0_4arch9wavefront6targetE0EEEvT1_
	.p2align	8
	.type	_ZN7rocprim17ROCPRIM_400000_NS6detail17trampoline_kernelINS0_14default_configENS1_25partition_config_selectorILNS1_17partition_subalgoE8EN3c104HalfENS0_10empty_typeEbEEZZNS1_14partition_implILS5_8ELb0ES3_jPKS7_PS8_PKS8_NS0_5tupleIJPS7_S8_EEENSG_IJSD_SD_EEENS0_18inequality_wrapperIN6hipcub16HIPCUB_304000_NS8EqualityEEEPlJS8_EEE10hipError_tPvRmT3_T4_T5_T6_T7_T9_mT8_P12ihipStream_tbDpT10_ENKUlT_T0_E_clISt17integral_constantIbLb1EES19_EEDaS14_S15_EUlS14_E_NS1_11comp_targetILNS1_3genE9ELNS1_11target_archE1100ELNS1_3gpuE3ELNS1_3repE0EEENS1_30default_config_static_selectorELNS0_4arch9wavefront6targetE0EEEvT1_,@function
_ZN7rocprim17ROCPRIM_400000_NS6detail17trampoline_kernelINS0_14default_configENS1_25partition_config_selectorILNS1_17partition_subalgoE8EN3c104HalfENS0_10empty_typeEbEEZZNS1_14partition_implILS5_8ELb0ES3_jPKS7_PS8_PKS8_NS0_5tupleIJPS7_S8_EEENSG_IJSD_SD_EEENS0_18inequality_wrapperIN6hipcub16HIPCUB_304000_NS8EqualityEEEPlJS8_EEE10hipError_tPvRmT3_T4_T5_T6_T7_T9_mT8_P12ihipStream_tbDpT10_ENKUlT_T0_E_clISt17integral_constantIbLb1EES19_EEDaS14_S15_EUlS14_E_NS1_11comp_targetILNS1_3genE9ELNS1_11target_archE1100ELNS1_3gpuE3ELNS1_3repE0EEENS1_30default_config_static_selectorELNS0_4arch9wavefront6targetE0EEEvT1_: ; @_ZN7rocprim17ROCPRIM_400000_NS6detail17trampoline_kernelINS0_14default_configENS1_25partition_config_selectorILNS1_17partition_subalgoE8EN3c104HalfENS0_10empty_typeEbEEZZNS1_14partition_implILS5_8ELb0ES3_jPKS7_PS8_PKS8_NS0_5tupleIJPS7_S8_EEENSG_IJSD_SD_EEENS0_18inequality_wrapperIN6hipcub16HIPCUB_304000_NS8EqualityEEEPlJS8_EEE10hipError_tPvRmT3_T4_T5_T6_T7_T9_mT8_P12ihipStream_tbDpT10_ENKUlT_T0_E_clISt17integral_constantIbLb1EES19_EEDaS14_S15_EUlS14_E_NS1_11comp_targetILNS1_3genE9ELNS1_11target_archE1100ELNS1_3gpuE3ELNS1_3repE0EEENS1_30default_config_static_selectorELNS0_4arch9wavefront6targetE0EEEvT1_
; %bb.0:
	.section	.rodata,"a",@progbits
	.p2align	6, 0x0
	.amdhsa_kernel _ZN7rocprim17ROCPRIM_400000_NS6detail17trampoline_kernelINS0_14default_configENS1_25partition_config_selectorILNS1_17partition_subalgoE8EN3c104HalfENS0_10empty_typeEbEEZZNS1_14partition_implILS5_8ELb0ES3_jPKS7_PS8_PKS8_NS0_5tupleIJPS7_S8_EEENSG_IJSD_SD_EEENS0_18inequality_wrapperIN6hipcub16HIPCUB_304000_NS8EqualityEEEPlJS8_EEE10hipError_tPvRmT3_T4_T5_T6_T7_T9_mT8_P12ihipStream_tbDpT10_ENKUlT_T0_E_clISt17integral_constantIbLb1EES19_EEDaS14_S15_EUlS14_E_NS1_11comp_targetILNS1_3genE9ELNS1_11target_archE1100ELNS1_3gpuE3ELNS1_3repE0EEENS1_30default_config_static_selectorELNS0_4arch9wavefront6targetE0EEEvT1_
		.amdhsa_group_segment_fixed_size 0
		.amdhsa_private_segment_fixed_size 0
		.amdhsa_kernarg_size 128
		.amdhsa_user_sgpr_count 2
		.amdhsa_user_sgpr_dispatch_ptr 0
		.amdhsa_user_sgpr_queue_ptr 0
		.amdhsa_user_sgpr_kernarg_segment_ptr 1
		.amdhsa_user_sgpr_dispatch_id 0
		.amdhsa_user_sgpr_kernarg_preload_length 0
		.amdhsa_user_sgpr_kernarg_preload_offset 0
		.amdhsa_user_sgpr_private_segment_size 0
		.amdhsa_wavefront_size32 1
		.amdhsa_uses_dynamic_stack 0
		.amdhsa_enable_private_segment 0
		.amdhsa_system_sgpr_workgroup_id_x 1
		.amdhsa_system_sgpr_workgroup_id_y 0
		.amdhsa_system_sgpr_workgroup_id_z 0
		.amdhsa_system_sgpr_workgroup_info 0
		.amdhsa_system_vgpr_workitem_id 0
		.amdhsa_next_free_vgpr 1
		.amdhsa_next_free_sgpr 1
		.amdhsa_named_barrier_count 0
		.amdhsa_reserve_vcc 0
		.amdhsa_float_round_mode_32 0
		.amdhsa_float_round_mode_16_64 0
		.amdhsa_float_denorm_mode_32 3
		.amdhsa_float_denorm_mode_16_64 3
		.amdhsa_fp16_overflow 0
		.amdhsa_memory_ordered 1
		.amdhsa_forward_progress 1
		.amdhsa_inst_pref_size 0
		.amdhsa_round_robin_scheduling 0
		.amdhsa_exception_fp_ieee_invalid_op 0
		.amdhsa_exception_fp_denorm_src 0
		.amdhsa_exception_fp_ieee_div_zero 0
		.amdhsa_exception_fp_ieee_overflow 0
		.amdhsa_exception_fp_ieee_underflow 0
		.amdhsa_exception_fp_ieee_inexact 0
		.amdhsa_exception_int_div_zero 0
	.end_amdhsa_kernel
	.section	.text._ZN7rocprim17ROCPRIM_400000_NS6detail17trampoline_kernelINS0_14default_configENS1_25partition_config_selectorILNS1_17partition_subalgoE8EN3c104HalfENS0_10empty_typeEbEEZZNS1_14partition_implILS5_8ELb0ES3_jPKS7_PS8_PKS8_NS0_5tupleIJPS7_S8_EEENSG_IJSD_SD_EEENS0_18inequality_wrapperIN6hipcub16HIPCUB_304000_NS8EqualityEEEPlJS8_EEE10hipError_tPvRmT3_T4_T5_T6_T7_T9_mT8_P12ihipStream_tbDpT10_ENKUlT_T0_E_clISt17integral_constantIbLb1EES19_EEDaS14_S15_EUlS14_E_NS1_11comp_targetILNS1_3genE9ELNS1_11target_archE1100ELNS1_3gpuE3ELNS1_3repE0EEENS1_30default_config_static_selectorELNS0_4arch9wavefront6targetE0EEEvT1_,"axG",@progbits,_ZN7rocprim17ROCPRIM_400000_NS6detail17trampoline_kernelINS0_14default_configENS1_25partition_config_selectorILNS1_17partition_subalgoE8EN3c104HalfENS0_10empty_typeEbEEZZNS1_14partition_implILS5_8ELb0ES3_jPKS7_PS8_PKS8_NS0_5tupleIJPS7_S8_EEENSG_IJSD_SD_EEENS0_18inequality_wrapperIN6hipcub16HIPCUB_304000_NS8EqualityEEEPlJS8_EEE10hipError_tPvRmT3_T4_T5_T6_T7_T9_mT8_P12ihipStream_tbDpT10_ENKUlT_T0_E_clISt17integral_constantIbLb1EES19_EEDaS14_S15_EUlS14_E_NS1_11comp_targetILNS1_3genE9ELNS1_11target_archE1100ELNS1_3gpuE3ELNS1_3repE0EEENS1_30default_config_static_selectorELNS0_4arch9wavefront6targetE0EEEvT1_,comdat
.Lfunc_end907:
	.size	_ZN7rocprim17ROCPRIM_400000_NS6detail17trampoline_kernelINS0_14default_configENS1_25partition_config_selectorILNS1_17partition_subalgoE8EN3c104HalfENS0_10empty_typeEbEEZZNS1_14partition_implILS5_8ELb0ES3_jPKS7_PS8_PKS8_NS0_5tupleIJPS7_S8_EEENSG_IJSD_SD_EEENS0_18inequality_wrapperIN6hipcub16HIPCUB_304000_NS8EqualityEEEPlJS8_EEE10hipError_tPvRmT3_T4_T5_T6_T7_T9_mT8_P12ihipStream_tbDpT10_ENKUlT_T0_E_clISt17integral_constantIbLb1EES19_EEDaS14_S15_EUlS14_E_NS1_11comp_targetILNS1_3genE9ELNS1_11target_archE1100ELNS1_3gpuE3ELNS1_3repE0EEENS1_30default_config_static_selectorELNS0_4arch9wavefront6targetE0EEEvT1_, .Lfunc_end907-_ZN7rocprim17ROCPRIM_400000_NS6detail17trampoline_kernelINS0_14default_configENS1_25partition_config_selectorILNS1_17partition_subalgoE8EN3c104HalfENS0_10empty_typeEbEEZZNS1_14partition_implILS5_8ELb0ES3_jPKS7_PS8_PKS8_NS0_5tupleIJPS7_S8_EEENSG_IJSD_SD_EEENS0_18inequality_wrapperIN6hipcub16HIPCUB_304000_NS8EqualityEEEPlJS8_EEE10hipError_tPvRmT3_T4_T5_T6_T7_T9_mT8_P12ihipStream_tbDpT10_ENKUlT_T0_E_clISt17integral_constantIbLb1EES19_EEDaS14_S15_EUlS14_E_NS1_11comp_targetILNS1_3genE9ELNS1_11target_archE1100ELNS1_3gpuE3ELNS1_3repE0EEENS1_30default_config_static_selectorELNS0_4arch9wavefront6targetE0EEEvT1_
                                        ; -- End function
	.set _ZN7rocprim17ROCPRIM_400000_NS6detail17trampoline_kernelINS0_14default_configENS1_25partition_config_selectorILNS1_17partition_subalgoE8EN3c104HalfENS0_10empty_typeEbEEZZNS1_14partition_implILS5_8ELb0ES3_jPKS7_PS8_PKS8_NS0_5tupleIJPS7_S8_EEENSG_IJSD_SD_EEENS0_18inequality_wrapperIN6hipcub16HIPCUB_304000_NS8EqualityEEEPlJS8_EEE10hipError_tPvRmT3_T4_T5_T6_T7_T9_mT8_P12ihipStream_tbDpT10_ENKUlT_T0_E_clISt17integral_constantIbLb1EES19_EEDaS14_S15_EUlS14_E_NS1_11comp_targetILNS1_3genE9ELNS1_11target_archE1100ELNS1_3gpuE3ELNS1_3repE0EEENS1_30default_config_static_selectorELNS0_4arch9wavefront6targetE0EEEvT1_.num_vgpr, 0
	.set _ZN7rocprim17ROCPRIM_400000_NS6detail17trampoline_kernelINS0_14default_configENS1_25partition_config_selectorILNS1_17partition_subalgoE8EN3c104HalfENS0_10empty_typeEbEEZZNS1_14partition_implILS5_8ELb0ES3_jPKS7_PS8_PKS8_NS0_5tupleIJPS7_S8_EEENSG_IJSD_SD_EEENS0_18inequality_wrapperIN6hipcub16HIPCUB_304000_NS8EqualityEEEPlJS8_EEE10hipError_tPvRmT3_T4_T5_T6_T7_T9_mT8_P12ihipStream_tbDpT10_ENKUlT_T0_E_clISt17integral_constantIbLb1EES19_EEDaS14_S15_EUlS14_E_NS1_11comp_targetILNS1_3genE9ELNS1_11target_archE1100ELNS1_3gpuE3ELNS1_3repE0EEENS1_30default_config_static_selectorELNS0_4arch9wavefront6targetE0EEEvT1_.num_agpr, 0
	.set _ZN7rocprim17ROCPRIM_400000_NS6detail17trampoline_kernelINS0_14default_configENS1_25partition_config_selectorILNS1_17partition_subalgoE8EN3c104HalfENS0_10empty_typeEbEEZZNS1_14partition_implILS5_8ELb0ES3_jPKS7_PS8_PKS8_NS0_5tupleIJPS7_S8_EEENSG_IJSD_SD_EEENS0_18inequality_wrapperIN6hipcub16HIPCUB_304000_NS8EqualityEEEPlJS8_EEE10hipError_tPvRmT3_T4_T5_T6_T7_T9_mT8_P12ihipStream_tbDpT10_ENKUlT_T0_E_clISt17integral_constantIbLb1EES19_EEDaS14_S15_EUlS14_E_NS1_11comp_targetILNS1_3genE9ELNS1_11target_archE1100ELNS1_3gpuE3ELNS1_3repE0EEENS1_30default_config_static_selectorELNS0_4arch9wavefront6targetE0EEEvT1_.numbered_sgpr, 0
	.set _ZN7rocprim17ROCPRIM_400000_NS6detail17trampoline_kernelINS0_14default_configENS1_25partition_config_selectorILNS1_17partition_subalgoE8EN3c104HalfENS0_10empty_typeEbEEZZNS1_14partition_implILS5_8ELb0ES3_jPKS7_PS8_PKS8_NS0_5tupleIJPS7_S8_EEENSG_IJSD_SD_EEENS0_18inequality_wrapperIN6hipcub16HIPCUB_304000_NS8EqualityEEEPlJS8_EEE10hipError_tPvRmT3_T4_T5_T6_T7_T9_mT8_P12ihipStream_tbDpT10_ENKUlT_T0_E_clISt17integral_constantIbLb1EES19_EEDaS14_S15_EUlS14_E_NS1_11comp_targetILNS1_3genE9ELNS1_11target_archE1100ELNS1_3gpuE3ELNS1_3repE0EEENS1_30default_config_static_selectorELNS0_4arch9wavefront6targetE0EEEvT1_.num_named_barrier, 0
	.set _ZN7rocprim17ROCPRIM_400000_NS6detail17trampoline_kernelINS0_14default_configENS1_25partition_config_selectorILNS1_17partition_subalgoE8EN3c104HalfENS0_10empty_typeEbEEZZNS1_14partition_implILS5_8ELb0ES3_jPKS7_PS8_PKS8_NS0_5tupleIJPS7_S8_EEENSG_IJSD_SD_EEENS0_18inequality_wrapperIN6hipcub16HIPCUB_304000_NS8EqualityEEEPlJS8_EEE10hipError_tPvRmT3_T4_T5_T6_T7_T9_mT8_P12ihipStream_tbDpT10_ENKUlT_T0_E_clISt17integral_constantIbLb1EES19_EEDaS14_S15_EUlS14_E_NS1_11comp_targetILNS1_3genE9ELNS1_11target_archE1100ELNS1_3gpuE3ELNS1_3repE0EEENS1_30default_config_static_selectorELNS0_4arch9wavefront6targetE0EEEvT1_.private_seg_size, 0
	.set _ZN7rocprim17ROCPRIM_400000_NS6detail17trampoline_kernelINS0_14default_configENS1_25partition_config_selectorILNS1_17partition_subalgoE8EN3c104HalfENS0_10empty_typeEbEEZZNS1_14partition_implILS5_8ELb0ES3_jPKS7_PS8_PKS8_NS0_5tupleIJPS7_S8_EEENSG_IJSD_SD_EEENS0_18inequality_wrapperIN6hipcub16HIPCUB_304000_NS8EqualityEEEPlJS8_EEE10hipError_tPvRmT3_T4_T5_T6_T7_T9_mT8_P12ihipStream_tbDpT10_ENKUlT_T0_E_clISt17integral_constantIbLb1EES19_EEDaS14_S15_EUlS14_E_NS1_11comp_targetILNS1_3genE9ELNS1_11target_archE1100ELNS1_3gpuE3ELNS1_3repE0EEENS1_30default_config_static_selectorELNS0_4arch9wavefront6targetE0EEEvT1_.uses_vcc, 0
	.set _ZN7rocprim17ROCPRIM_400000_NS6detail17trampoline_kernelINS0_14default_configENS1_25partition_config_selectorILNS1_17partition_subalgoE8EN3c104HalfENS0_10empty_typeEbEEZZNS1_14partition_implILS5_8ELb0ES3_jPKS7_PS8_PKS8_NS0_5tupleIJPS7_S8_EEENSG_IJSD_SD_EEENS0_18inequality_wrapperIN6hipcub16HIPCUB_304000_NS8EqualityEEEPlJS8_EEE10hipError_tPvRmT3_T4_T5_T6_T7_T9_mT8_P12ihipStream_tbDpT10_ENKUlT_T0_E_clISt17integral_constantIbLb1EES19_EEDaS14_S15_EUlS14_E_NS1_11comp_targetILNS1_3genE9ELNS1_11target_archE1100ELNS1_3gpuE3ELNS1_3repE0EEENS1_30default_config_static_selectorELNS0_4arch9wavefront6targetE0EEEvT1_.uses_flat_scratch, 0
	.set _ZN7rocprim17ROCPRIM_400000_NS6detail17trampoline_kernelINS0_14default_configENS1_25partition_config_selectorILNS1_17partition_subalgoE8EN3c104HalfENS0_10empty_typeEbEEZZNS1_14partition_implILS5_8ELb0ES3_jPKS7_PS8_PKS8_NS0_5tupleIJPS7_S8_EEENSG_IJSD_SD_EEENS0_18inequality_wrapperIN6hipcub16HIPCUB_304000_NS8EqualityEEEPlJS8_EEE10hipError_tPvRmT3_T4_T5_T6_T7_T9_mT8_P12ihipStream_tbDpT10_ENKUlT_T0_E_clISt17integral_constantIbLb1EES19_EEDaS14_S15_EUlS14_E_NS1_11comp_targetILNS1_3genE9ELNS1_11target_archE1100ELNS1_3gpuE3ELNS1_3repE0EEENS1_30default_config_static_selectorELNS0_4arch9wavefront6targetE0EEEvT1_.has_dyn_sized_stack, 0
	.set _ZN7rocprim17ROCPRIM_400000_NS6detail17trampoline_kernelINS0_14default_configENS1_25partition_config_selectorILNS1_17partition_subalgoE8EN3c104HalfENS0_10empty_typeEbEEZZNS1_14partition_implILS5_8ELb0ES3_jPKS7_PS8_PKS8_NS0_5tupleIJPS7_S8_EEENSG_IJSD_SD_EEENS0_18inequality_wrapperIN6hipcub16HIPCUB_304000_NS8EqualityEEEPlJS8_EEE10hipError_tPvRmT3_T4_T5_T6_T7_T9_mT8_P12ihipStream_tbDpT10_ENKUlT_T0_E_clISt17integral_constantIbLb1EES19_EEDaS14_S15_EUlS14_E_NS1_11comp_targetILNS1_3genE9ELNS1_11target_archE1100ELNS1_3gpuE3ELNS1_3repE0EEENS1_30default_config_static_selectorELNS0_4arch9wavefront6targetE0EEEvT1_.has_recursion, 0
	.set _ZN7rocprim17ROCPRIM_400000_NS6detail17trampoline_kernelINS0_14default_configENS1_25partition_config_selectorILNS1_17partition_subalgoE8EN3c104HalfENS0_10empty_typeEbEEZZNS1_14partition_implILS5_8ELb0ES3_jPKS7_PS8_PKS8_NS0_5tupleIJPS7_S8_EEENSG_IJSD_SD_EEENS0_18inequality_wrapperIN6hipcub16HIPCUB_304000_NS8EqualityEEEPlJS8_EEE10hipError_tPvRmT3_T4_T5_T6_T7_T9_mT8_P12ihipStream_tbDpT10_ENKUlT_T0_E_clISt17integral_constantIbLb1EES19_EEDaS14_S15_EUlS14_E_NS1_11comp_targetILNS1_3genE9ELNS1_11target_archE1100ELNS1_3gpuE3ELNS1_3repE0EEENS1_30default_config_static_selectorELNS0_4arch9wavefront6targetE0EEEvT1_.has_indirect_call, 0
	.section	.AMDGPU.csdata,"",@progbits
; Kernel info:
; codeLenInByte = 0
; TotalNumSgprs: 0
; NumVgprs: 0
; ScratchSize: 0
; MemoryBound: 0
; FloatMode: 240
; IeeeMode: 1
; LDSByteSize: 0 bytes/workgroup (compile time only)
; SGPRBlocks: 0
; VGPRBlocks: 0
; NumSGPRsForWavesPerEU: 1
; NumVGPRsForWavesPerEU: 1
; NamedBarCnt: 0
; Occupancy: 16
; WaveLimiterHint : 0
; COMPUTE_PGM_RSRC2:SCRATCH_EN: 0
; COMPUTE_PGM_RSRC2:USER_SGPR: 2
; COMPUTE_PGM_RSRC2:TRAP_HANDLER: 0
; COMPUTE_PGM_RSRC2:TGID_X_EN: 1
; COMPUTE_PGM_RSRC2:TGID_Y_EN: 0
; COMPUTE_PGM_RSRC2:TGID_Z_EN: 0
; COMPUTE_PGM_RSRC2:TIDIG_COMP_CNT: 0
	.section	.text._ZN7rocprim17ROCPRIM_400000_NS6detail17trampoline_kernelINS0_14default_configENS1_25partition_config_selectorILNS1_17partition_subalgoE8EN3c104HalfENS0_10empty_typeEbEEZZNS1_14partition_implILS5_8ELb0ES3_jPKS7_PS8_PKS8_NS0_5tupleIJPS7_S8_EEENSG_IJSD_SD_EEENS0_18inequality_wrapperIN6hipcub16HIPCUB_304000_NS8EqualityEEEPlJS8_EEE10hipError_tPvRmT3_T4_T5_T6_T7_T9_mT8_P12ihipStream_tbDpT10_ENKUlT_T0_E_clISt17integral_constantIbLb1EES19_EEDaS14_S15_EUlS14_E_NS1_11comp_targetILNS1_3genE8ELNS1_11target_archE1030ELNS1_3gpuE2ELNS1_3repE0EEENS1_30default_config_static_selectorELNS0_4arch9wavefront6targetE0EEEvT1_,"axG",@progbits,_ZN7rocprim17ROCPRIM_400000_NS6detail17trampoline_kernelINS0_14default_configENS1_25partition_config_selectorILNS1_17partition_subalgoE8EN3c104HalfENS0_10empty_typeEbEEZZNS1_14partition_implILS5_8ELb0ES3_jPKS7_PS8_PKS8_NS0_5tupleIJPS7_S8_EEENSG_IJSD_SD_EEENS0_18inequality_wrapperIN6hipcub16HIPCUB_304000_NS8EqualityEEEPlJS8_EEE10hipError_tPvRmT3_T4_T5_T6_T7_T9_mT8_P12ihipStream_tbDpT10_ENKUlT_T0_E_clISt17integral_constantIbLb1EES19_EEDaS14_S15_EUlS14_E_NS1_11comp_targetILNS1_3genE8ELNS1_11target_archE1030ELNS1_3gpuE2ELNS1_3repE0EEENS1_30default_config_static_selectorELNS0_4arch9wavefront6targetE0EEEvT1_,comdat
	.protected	_ZN7rocprim17ROCPRIM_400000_NS6detail17trampoline_kernelINS0_14default_configENS1_25partition_config_selectorILNS1_17partition_subalgoE8EN3c104HalfENS0_10empty_typeEbEEZZNS1_14partition_implILS5_8ELb0ES3_jPKS7_PS8_PKS8_NS0_5tupleIJPS7_S8_EEENSG_IJSD_SD_EEENS0_18inequality_wrapperIN6hipcub16HIPCUB_304000_NS8EqualityEEEPlJS8_EEE10hipError_tPvRmT3_T4_T5_T6_T7_T9_mT8_P12ihipStream_tbDpT10_ENKUlT_T0_E_clISt17integral_constantIbLb1EES19_EEDaS14_S15_EUlS14_E_NS1_11comp_targetILNS1_3genE8ELNS1_11target_archE1030ELNS1_3gpuE2ELNS1_3repE0EEENS1_30default_config_static_selectorELNS0_4arch9wavefront6targetE0EEEvT1_ ; -- Begin function _ZN7rocprim17ROCPRIM_400000_NS6detail17trampoline_kernelINS0_14default_configENS1_25partition_config_selectorILNS1_17partition_subalgoE8EN3c104HalfENS0_10empty_typeEbEEZZNS1_14partition_implILS5_8ELb0ES3_jPKS7_PS8_PKS8_NS0_5tupleIJPS7_S8_EEENSG_IJSD_SD_EEENS0_18inequality_wrapperIN6hipcub16HIPCUB_304000_NS8EqualityEEEPlJS8_EEE10hipError_tPvRmT3_T4_T5_T6_T7_T9_mT8_P12ihipStream_tbDpT10_ENKUlT_T0_E_clISt17integral_constantIbLb1EES19_EEDaS14_S15_EUlS14_E_NS1_11comp_targetILNS1_3genE8ELNS1_11target_archE1030ELNS1_3gpuE2ELNS1_3repE0EEENS1_30default_config_static_selectorELNS0_4arch9wavefront6targetE0EEEvT1_
	.globl	_ZN7rocprim17ROCPRIM_400000_NS6detail17trampoline_kernelINS0_14default_configENS1_25partition_config_selectorILNS1_17partition_subalgoE8EN3c104HalfENS0_10empty_typeEbEEZZNS1_14partition_implILS5_8ELb0ES3_jPKS7_PS8_PKS8_NS0_5tupleIJPS7_S8_EEENSG_IJSD_SD_EEENS0_18inequality_wrapperIN6hipcub16HIPCUB_304000_NS8EqualityEEEPlJS8_EEE10hipError_tPvRmT3_T4_T5_T6_T7_T9_mT8_P12ihipStream_tbDpT10_ENKUlT_T0_E_clISt17integral_constantIbLb1EES19_EEDaS14_S15_EUlS14_E_NS1_11comp_targetILNS1_3genE8ELNS1_11target_archE1030ELNS1_3gpuE2ELNS1_3repE0EEENS1_30default_config_static_selectorELNS0_4arch9wavefront6targetE0EEEvT1_
	.p2align	8
	.type	_ZN7rocprim17ROCPRIM_400000_NS6detail17trampoline_kernelINS0_14default_configENS1_25partition_config_selectorILNS1_17partition_subalgoE8EN3c104HalfENS0_10empty_typeEbEEZZNS1_14partition_implILS5_8ELb0ES3_jPKS7_PS8_PKS8_NS0_5tupleIJPS7_S8_EEENSG_IJSD_SD_EEENS0_18inequality_wrapperIN6hipcub16HIPCUB_304000_NS8EqualityEEEPlJS8_EEE10hipError_tPvRmT3_T4_T5_T6_T7_T9_mT8_P12ihipStream_tbDpT10_ENKUlT_T0_E_clISt17integral_constantIbLb1EES19_EEDaS14_S15_EUlS14_E_NS1_11comp_targetILNS1_3genE8ELNS1_11target_archE1030ELNS1_3gpuE2ELNS1_3repE0EEENS1_30default_config_static_selectorELNS0_4arch9wavefront6targetE0EEEvT1_,@function
_ZN7rocprim17ROCPRIM_400000_NS6detail17trampoline_kernelINS0_14default_configENS1_25partition_config_selectorILNS1_17partition_subalgoE8EN3c104HalfENS0_10empty_typeEbEEZZNS1_14partition_implILS5_8ELb0ES3_jPKS7_PS8_PKS8_NS0_5tupleIJPS7_S8_EEENSG_IJSD_SD_EEENS0_18inequality_wrapperIN6hipcub16HIPCUB_304000_NS8EqualityEEEPlJS8_EEE10hipError_tPvRmT3_T4_T5_T6_T7_T9_mT8_P12ihipStream_tbDpT10_ENKUlT_T0_E_clISt17integral_constantIbLb1EES19_EEDaS14_S15_EUlS14_E_NS1_11comp_targetILNS1_3genE8ELNS1_11target_archE1030ELNS1_3gpuE2ELNS1_3repE0EEENS1_30default_config_static_selectorELNS0_4arch9wavefront6targetE0EEEvT1_: ; @_ZN7rocprim17ROCPRIM_400000_NS6detail17trampoline_kernelINS0_14default_configENS1_25partition_config_selectorILNS1_17partition_subalgoE8EN3c104HalfENS0_10empty_typeEbEEZZNS1_14partition_implILS5_8ELb0ES3_jPKS7_PS8_PKS8_NS0_5tupleIJPS7_S8_EEENSG_IJSD_SD_EEENS0_18inequality_wrapperIN6hipcub16HIPCUB_304000_NS8EqualityEEEPlJS8_EEE10hipError_tPvRmT3_T4_T5_T6_T7_T9_mT8_P12ihipStream_tbDpT10_ENKUlT_T0_E_clISt17integral_constantIbLb1EES19_EEDaS14_S15_EUlS14_E_NS1_11comp_targetILNS1_3genE8ELNS1_11target_archE1030ELNS1_3gpuE2ELNS1_3repE0EEENS1_30default_config_static_selectorELNS0_4arch9wavefront6targetE0EEEvT1_
; %bb.0:
	.section	.rodata,"a",@progbits
	.p2align	6, 0x0
	.amdhsa_kernel _ZN7rocprim17ROCPRIM_400000_NS6detail17trampoline_kernelINS0_14default_configENS1_25partition_config_selectorILNS1_17partition_subalgoE8EN3c104HalfENS0_10empty_typeEbEEZZNS1_14partition_implILS5_8ELb0ES3_jPKS7_PS8_PKS8_NS0_5tupleIJPS7_S8_EEENSG_IJSD_SD_EEENS0_18inequality_wrapperIN6hipcub16HIPCUB_304000_NS8EqualityEEEPlJS8_EEE10hipError_tPvRmT3_T4_T5_T6_T7_T9_mT8_P12ihipStream_tbDpT10_ENKUlT_T0_E_clISt17integral_constantIbLb1EES19_EEDaS14_S15_EUlS14_E_NS1_11comp_targetILNS1_3genE8ELNS1_11target_archE1030ELNS1_3gpuE2ELNS1_3repE0EEENS1_30default_config_static_selectorELNS0_4arch9wavefront6targetE0EEEvT1_
		.amdhsa_group_segment_fixed_size 0
		.amdhsa_private_segment_fixed_size 0
		.amdhsa_kernarg_size 128
		.amdhsa_user_sgpr_count 2
		.amdhsa_user_sgpr_dispatch_ptr 0
		.amdhsa_user_sgpr_queue_ptr 0
		.amdhsa_user_sgpr_kernarg_segment_ptr 1
		.amdhsa_user_sgpr_dispatch_id 0
		.amdhsa_user_sgpr_kernarg_preload_length 0
		.amdhsa_user_sgpr_kernarg_preload_offset 0
		.amdhsa_user_sgpr_private_segment_size 0
		.amdhsa_wavefront_size32 1
		.amdhsa_uses_dynamic_stack 0
		.amdhsa_enable_private_segment 0
		.amdhsa_system_sgpr_workgroup_id_x 1
		.amdhsa_system_sgpr_workgroup_id_y 0
		.amdhsa_system_sgpr_workgroup_id_z 0
		.amdhsa_system_sgpr_workgroup_info 0
		.amdhsa_system_vgpr_workitem_id 0
		.amdhsa_next_free_vgpr 1
		.amdhsa_next_free_sgpr 1
		.amdhsa_named_barrier_count 0
		.amdhsa_reserve_vcc 0
		.amdhsa_float_round_mode_32 0
		.amdhsa_float_round_mode_16_64 0
		.amdhsa_float_denorm_mode_32 3
		.amdhsa_float_denorm_mode_16_64 3
		.amdhsa_fp16_overflow 0
		.amdhsa_memory_ordered 1
		.amdhsa_forward_progress 1
		.amdhsa_inst_pref_size 0
		.amdhsa_round_robin_scheduling 0
		.amdhsa_exception_fp_ieee_invalid_op 0
		.amdhsa_exception_fp_denorm_src 0
		.amdhsa_exception_fp_ieee_div_zero 0
		.amdhsa_exception_fp_ieee_overflow 0
		.amdhsa_exception_fp_ieee_underflow 0
		.amdhsa_exception_fp_ieee_inexact 0
		.amdhsa_exception_int_div_zero 0
	.end_amdhsa_kernel
	.section	.text._ZN7rocprim17ROCPRIM_400000_NS6detail17trampoline_kernelINS0_14default_configENS1_25partition_config_selectorILNS1_17partition_subalgoE8EN3c104HalfENS0_10empty_typeEbEEZZNS1_14partition_implILS5_8ELb0ES3_jPKS7_PS8_PKS8_NS0_5tupleIJPS7_S8_EEENSG_IJSD_SD_EEENS0_18inequality_wrapperIN6hipcub16HIPCUB_304000_NS8EqualityEEEPlJS8_EEE10hipError_tPvRmT3_T4_T5_T6_T7_T9_mT8_P12ihipStream_tbDpT10_ENKUlT_T0_E_clISt17integral_constantIbLb1EES19_EEDaS14_S15_EUlS14_E_NS1_11comp_targetILNS1_3genE8ELNS1_11target_archE1030ELNS1_3gpuE2ELNS1_3repE0EEENS1_30default_config_static_selectorELNS0_4arch9wavefront6targetE0EEEvT1_,"axG",@progbits,_ZN7rocprim17ROCPRIM_400000_NS6detail17trampoline_kernelINS0_14default_configENS1_25partition_config_selectorILNS1_17partition_subalgoE8EN3c104HalfENS0_10empty_typeEbEEZZNS1_14partition_implILS5_8ELb0ES3_jPKS7_PS8_PKS8_NS0_5tupleIJPS7_S8_EEENSG_IJSD_SD_EEENS0_18inequality_wrapperIN6hipcub16HIPCUB_304000_NS8EqualityEEEPlJS8_EEE10hipError_tPvRmT3_T4_T5_T6_T7_T9_mT8_P12ihipStream_tbDpT10_ENKUlT_T0_E_clISt17integral_constantIbLb1EES19_EEDaS14_S15_EUlS14_E_NS1_11comp_targetILNS1_3genE8ELNS1_11target_archE1030ELNS1_3gpuE2ELNS1_3repE0EEENS1_30default_config_static_selectorELNS0_4arch9wavefront6targetE0EEEvT1_,comdat
.Lfunc_end908:
	.size	_ZN7rocprim17ROCPRIM_400000_NS6detail17trampoline_kernelINS0_14default_configENS1_25partition_config_selectorILNS1_17partition_subalgoE8EN3c104HalfENS0_10empty_typeEbEEZZNS1_14partition_implILS5_8ELb0ES3_jPKS7_PS8_PKS8_NS0_5tupleIJPS7_S8_EEENSG_IJSD_SD_EEENS0_18inequality_wrapperIN6hipcub16HIPCUB_304000_NS8EqualityEEEPlJS8_EEE10hipError_tPvRmT3_T4_T5_T6_T7_T9_mT8_P12ihipStream_tbDpT10_ENKUlT_T0_E_clISt17integral_constantIbLb1EES19_EEDaS14_S15_EUlS14_E_NS1_11comp_targetILNS1_3genE8ELNS1_11target_archE1030ELNS1_3gpuE2ELNS1_3repE0EEENS1_30default_config_static_selectorELNS0_4arch9wavefront6targetE0EEEvT1_, .Lfunc_end908-_ZN7rocprim17ROCPRIM_400000_NS6detail17trampoline_kernelINS0_14default_configENS1_25partition_config_selectorILNS1_17partition_subalgoE8EN3c104HalfENS0_10empty_typeEbEEZZNS1_14partition_implILS5_8ELb0ES3_jPKS7_PS8_PKS8_NS0_5tupleIJPS7_S8_EEENSG_IJSD_SD_EEENS0_18inequality_wrapperIN6hipcub16HIPCUB_304000_NS8EqualityEEEPlJS8_EEE10hipError_tPvRmT3_T4_T5_T6_T7_T9_mT8_P12ihipStream_tbDpT10_ENKUlT_T0_E_clISt17integral_constantIbLb1EES19_EEDaS14_S15_EUlS14_E_NS1_11comp_targetILNS1_3genE8ELNS1_11target_archE1030ELNS1_3gpuE2ELNS1_3repE0EEENS1_30default_config_static_selectorELNS0_4arch9wavefront6targetE0EEEvT1_
                                        ; -- End function
	.set _ZN7rocprim17ROCPRIM_400000_NS6detail17trampoline_kernelINS0_14default_configENS1_25partition_config_selectorILNS1_17partition_subalgoE8EN3c104HalfENS0_10empty_typeEbEEZZNS1_14partition_implILS5_8ELb0ES3_jPKS7_PS8_PKS8_NS0_5tupleIJPS7_S8_EEENSG_IJSD_SD_EEENS0_18inequality_wrapperIN6hipcub16HIPCUB_304000_NS8EqualityEEEPlJS8_EEE10hipError_tPvRmT3_T4_T5_T6_T7_T9_mT8_P12ihipStream_tbDpT10_ENKUlT_T0_E_clISt17integral_constantIbLb1EES19_EEDaS14_S15_EUlS14_E_NS1_11comp_targetILNS1_3genE8ELNS1_11target_archE1030ELNS1_3gpuE2ELNS1_3repE0EEENS1_30default_config_static_selectorELNS0_4arch9wavefront6targetE0EEEvT1_.num_vgpr, 0
	.set _ZN7rocprim17ROCPRIM_400000_NS6detail17trampoline_kernelINS0_14default_configENS1_25partition_config_selectorILNS1_17partition_subalgoE8EN3c104HalfENS0_10empty_typeEbEEZZNS1_14partition_implILS5_8ELb0ES3_jPKS7_PS8_PKS8_NS0_5tupleIJPS7_S8_EEENSG_IJSD_SD_EEENS0_18inequality_wrapperIN6hipcub16HIPCUB_304000_NS8EqualityEEEPlJS8_EEE10hipError_tPvRmT3_T4_T5_T6_T7_T9_mT8_P12ihipStream_tbDpT10_ENKUlT_T0_E_clISt17integral_constantIbLb1EES19_EEDaS14_S15_EUlS14_E_NS1_11comp_targetILNS1_3genE8ELNS1_11target_archE1030ELNS1_3gpuE2ELNS1_3repE0EEENS1_30default_config_static_selectorELNS0_4arch9wavefront6targetE0EEEvT1_.num_agpr, 0
	.set _ZN7rocprim17ROCPRIM_400000_NS6detail17trampoline_kernelINS0_14default_configENS1_25partition_config_selectorILNS1_17partition_subalgoE8EN3c104HalfENS0_10empty_typeEbEEZZNS1_14partition_implILS5_8ELb0ES3_jPKS7_PS8_PKS8_NS0_5tupleIJPS7_S8_EEENSG_IJSD_SD_EEENS0_18inequality_wrapperIN6hipcub16HIPCUB_304000_NS8EqualityEEEPlJS8_EEE10hipError_tPvRmT3_T4_T5_T6_T7_T9_mT8_P12ihipStream_tbDpT10_ENKUlT_T0_E_clISt17integral_constantIbLb1EES19_EEDaS14_S15_EUlS14_E_NS1_11comp_targetILNS1_3genE8ELNS1_11target_archE1030ELNS1_3gpuE2ELNS1_3repE0EEENS1_30default_config_static_selectorELNS0_4arch9wavefront6targetE0EEEvT1_.numbered_sgpr, 0
	.set _ZN7rocprim17ROCPRIM_400000_NS6detail17trampoline_kernelINS0_14default_configENS1_25partition_config_selectorILNS1_17partition_subalgoE8EN3c104HalfENS0_10empty_typeEbEEZZNS1_14partition_implILS5_8ELb0ES3_jPKS7_PS8_PKS8_NS0_5tupleIJPS7_S8_EEENSG_IJSD_SD_EEENS0_18inequality_wrapperIN6hipcub16HIPCUB_304000_NS8EqualityEEEPlJS8_EEE10hipError_tPvRmT3_T4_T5_T6_T7_T9_mT8_P12ihipStream_tbDpT10_ENKUlT_T0_E_clISt17integral_constantIbLb1EES19_EEDaS14_S15_EUlS14_E_NS1_11comp_targetILNS1_3genE8ELNS1_11target_archE1030ELNS1_3gpuE2ELNS1_3repE0EEENS1_30default_config_static_selectorELNS0_4arch9wavefront6targetE0EEEvT1_.num_named_barrier, 0
	.set _ZN7rocprim17ROCPRIM_400000_NS6detail17trampoline_kernelINS0_14default_configENS1_25partition_config_selectorILNS1_17partition_subalgoE8EN3c104HalfENS0_10empty_typeEbEEZZNS1_14partition_implILS5_8ELb0ES3_jPKS7_PS8_PKS8_NS0_5tupleIJPS7_S8_EEENSG_IJSD_SD_EEENS0_18inequality_wrapperIN6hipcub16HIPCUB_304000_NS8EqualityEEEPlJS8_EEE10hipError_tPvRmT3_T4_T5_T6_T7_T9_mT8_P12ihipStream_tbDpT10_ENKUlT_T0_E_clISt17integral_constantIbLb1EES19_EEDaS14_S15_EUlS14_E_NS1_11comp_targetILNS1_3genE8ELNS1_11target_archE1030ELNS1_3gpuE2ELNS1_3repE0EEENS1_30default_config_static_selectorELNS0_4arch9wavefront6targetE0EEEvT1_.private_seg_size, 0
	.set _ZN7rocprim17ROCPRIM_400000_NS6detail17trampoline_kernelINS0_14default_configENS1_25partition_config_selectorILNS1_17partition_subalgoE8EN3c104HalfENS0_10empty_typeEbEEZZNS1_14partition_implILS5_8ELb0ES3_jPKS7_PS8_PKS8_NS0_5tupleIJPS7_S8_EEENSG_IJSD_SD_EEENS0_18inequality_wrapperIN6hipcub16HIPCUB_304000_NS8EqualityEEEPlJS8_EEE10hipError_tPvRmT3_T4_T5_T6_T7_T9_mT8_P12ihipStream_tbDpT10_ENKUlT_T0_E_clISt17integral_constantIbLb1EES19_EEDaS14_S15_EUlS14_E_NS1_11comp_targetILNS1_3genE8ELNS1_11target_archE1030ELNS1_3gpuE2ELNS1_3repE0EEENS1_30default_config_static_selectorELNS0_4arch9wavefront6targetE0EEEvT1_.uses_vcc, 0
	.set _ZN7rocprim17ROCPRIM_400000_NS6detail17trampoline_kernelINS0_14default_configENS1_25partition_config_selectorILNS1_17partition_subalgoE8EN3c104HalfENS0_10empty_typeEbEEZZNS1_14partition_implILS5_8ELb0ES3_jPKS7_PS8_PKS8_NS0_5tupleIJPS7_S8_EEENSG_IJSD_SD_EEENS0_18inequality_wrapperIN6hipcub16HIPCUB_304000_NS8EqualityEEEPlJS8_EEE10hipError_tPvRmT3_T4_T5_T6_T7_T9_mT8_P12ihipStream_tbDpT10_ENKUlT_T0_E_clISt17integral_constantIbLb1EES19_EEDaS14_S15_EUlS14_E_NS1_11comp_targetILNS1_3genE8ELNS1_11target_archE1030ELNS1_3gpuE2ELNS1_3repE0EEENS1_30default_config_static_selectorELNS0_4arch9wavefront6targetE0EEEvT1_.uses_flat_scratch, 0
	.set _ZN7rocprim17ROCPRIM_400000_NS6detail17trampoline_kernelINS0_14default_configENS1_25partition_config_selectorILNS1_17partition_subalgoE8EN3c104HalfENS0_10empty_typeEbEEZZNS1_14partition_implILS5_8ELb0ES3_jPKS7_PS8_PKS8_NS0_5tupleIJPS7_S8_EEENSG_IJSD_SD_EEENS0_18inequality_wrapperIN6hipcub16HIPCUB_304000_NS8EqualityEEEPlJS8_EEE10hipError_tPvRmT3_T4_T5_T6_T7_T9_mT8_P12ihipStream_tbDpT10_ENKUlT_T0_E_clISt17integral_constantIbLb1EES19_EEDaS14_S15_EUlS14_E_NS1_11comp_targetILNS1_3genE8ELNS1_11target_archE1030ELNS1_3gpuE2ELNS1_3repE0EEENS1_30default_config_static_selectorELNS0_4arch9wavefront6targetE0EEEvT1_.has_dyn_sized_stack, 0
	.set _ZN7rocprim17ROCPRIM_400000_NS6detail17trampoline_kernelINS0_14default_configENS1_25partition_config_selectorILNS1_17partition_subalgoE8EN3c104HalfENS0_10empty_typeEbEEZZNS1_14partition_implILS5_8ELb0ES3_jPKS7_PS8_PKS8_NS0_5tupleIJPS7_S8_EEENSG_IJSD_SD_EEENS0_18inequality_wrapperIN6hipcub16HIPCUB_304000_NS8EqualityEEEPlJS8_EEE10hipError_tPvRmT3_T4_T5_T6_T7_T9_mT8_P12ihipStream_tbDpT10_ENKUlT_T0_E_clISt17integral_constantIbLb1EES19_EEDaS14_S15_EUlS14_E_NS1_11comp_targetILNS1_3genE8ELNS1_11target_archE1030ELNS1_3gpuE2ELNS1_3repE0EEENS1_30default_config_static_selectorELNS0_4arch9wavefront6targetE0EEEvT1_.has_recursion, 0
	.set _ZN7rocprim17ROCPRIM_400000_NS6detail17trampoline_kernelINS0_14default_configENS1_25partition_config_selectorILNS1_17partition_subalgoE8EN3c104HalfENS0_10empty_typeEbEEZZNS1_14partition_implILS5_8ELb0ES3_jPKS7_PS8_PKS8_NS0_5tupleIJPS7_S8_EEENSG_IJSD_SD_EEENS0_18inequality_wrapperIN6hipcub16HIPCUB_304000_NS8EqualityEEEPlJS8_EEE10hipError_tPvRmT3_T4_T5_T6_T7_T9_mT8_P12ihipStream_tbDpT10_ENKUlT_T0_E_clISt17integral_constantIbLb1EES19_EEDaS14_S15_EUlS14_E_NS1_11comp_targetILNS1_3genE8ELNS1_11target_archE1030ELNS1_3gpuE2ELNS1_3repE0EEENS1_30default_config_static_selectorELNS0_4arch9wavefront6targetE0EEEvT1_.has_indirect_call, 0
	.section	.AMDGPU.csdata,"",@progbits
; Kernel info:
; codeLenInByte = 0
; TotalNumSgprs: 0
; NumVgprs: 0
; ScratchSize: 0
; MemoryBound: 0
; FloatMode: 240
; IeeeMode: 1
; LDSByteSize: 0 bytes/workgroup (compile time only)
; SGPRBlocks: 0
; VGPRBlocks: 0
; NumSGPRsForWavesPerEU: 1
; NumVGPRsForWavesPerEU: 1
; NamedBarCnt: 0
; Occupancy: 16
; WaveLimiterHint : 0
; COMPUTE_PGM_RSRC2:SCRATCH_EN: 0
; COMPUTE_PGM_RSRC2:USER_SGPR: 2
; COMPUTE_PGM_RSRC2:TRAP_HANDLER: 0
; COMPUTE_PGM_RSRC2:TGID_X_EN: 1
; COMPUTE_PGM_RSRC2:TGID_Y_EN: 0
; COMPUTE_PGM_RSRC2:TGID_Z_EN: 0
; COMPUTE_PGM_RSRC2:TIDIG_COMP_CNT: 0
	.section	.text._ZN7rocprim17ROCPRIM_400000_NS6detail17trampoline_kernelINS0_14default_configENS1_25partition_config_selectorILNS1_17partition_subalgoE8EN3c104HalfENS0_10empty_typeEbEEZZNS1_14partition_implILS5_8ELb0ES3_jPKS7_PS8_PKS8_NS0_5tupleIJPS7_S8_EEENSG_IJSD_SD_EEENS0_18inequality_wrapperIN6hipcub16HIPCUB_304000_NS8EqualityEEEPlJS8_EEE10hipError_tPvRmT3_T4_T5_T6_T7_T9_mT8_P12ihipStream_tbDpT10_ENKUlT_T0_E_clISt17integral_constantIbLb1EES18_IbLb0EEEEDaS14_S15_EUlS14_E_NS1_11comp_targetILNS1_3genE0ELNS1_11target_archE4294967295ELNS1_3gpuE0ELNS1_3repE0EEENS1_30default_config_static_selectorELNS0_4arch9wavefront6targetE0EEEvT1_,"axG",@progbits,_ZN7rocprim17ROCPRIM_400000_NS6detail17trampoline_kernelINS0_14default_configENS1_25partition_config_selectorILNS1_17partition_subalgoE8EN3c104HalfENS0_10empty_typeEbEEZZNS1_14partition_implILS5_8ELb0ES3_jPKS7_PS8_PKS8_NS0_5tupleIJPS7_S8_EEENSG_IJSD_SD_EEENS0_18inequality_wrapperIN6hipcub16HIPCUB_304000_NS8EqualityEEEPlJS8_EEE10hipError_tPvRmT3_T4_T5_T6_T7_T9_mT8_P12ihipStream_tbDpT10_ENKUlT_T0_E_clISt17integral_constantIbLb1EES18_IbLb0EEEEDaS14_S15_EUlS14_E_NS1_11comp_targetILNS1_3genE0ELNS1_11target_archE4294967295ELNS1_3gpuE0ELNS1_3repE0EEENS1_30default_config_static_selectorELNS0_4arch9wavefront6targetE0EEEvT1_,comdat
	.protected	_ZN7rocprim17ROCPRIM_400000_NS6detail17trampoline_kernelINS0_14default_configENS1_25partition_config_selectorILNS1_17partition_subalgoE8EN3c104HalfENS0_10empty_typeEbEEZZNS1_14partition_implILS5_8ELb0ES3_jPKS7_PS8_PKS8_NS0_5tupleIJPS7_S8_EEENSG_IJSD_SD_EEENS0_18inequality_wrapperIN6hipcub16HIPCUB_304000_NS8EqualityEEEPlJS8_EEE10hipError_tPvRmT3_T4_T5_T6_T7_T9_mT8_P12ihipStream_tbDpT10_ENKUlT_T0_E_clISt17integral_constantIbLb1EES18_IbLb0EEEEDaS14_S15_EUlS14_E_NS1_11comp_targetILNS1_3genE0ELNS1_11target_archE4294967295ELNS1_3gpuE0ELNS1_3repE0EEENS1_30default_config_static_selectorELNS0_4arch9wavefront6targetE0EEEvT1_ ; -- Begin function _ZN7rocprim17ROCPRIM_400000_NS6detail17trampoline_kernelINS0_14default_configENS1_25partition_config_selectorILNS1_17partition_subalgoE8EN3c104HalfENS0_10empty_typeEbEEZZNS1_14partition_implILS5_8ELb0ES3_jPKS7_PS8_PKS8_NS0_5tupleIJPS7_S8_EEENSG_IJSD_SD_EEENS0_18inequality_wrapperIN6hipcub16HIPCUB_304000_NS8EqualityEEEPlJS8_EEE10hipError_tPvRmT3_T4_T5_T6_T7_T9_mT8_P12ihipStream_tbDpT10_ENKUlT_T0_E_clISt17integral_constantIbLb1EES18_IbLb0EEEEDaS14_S15_EUlS14_E_NS1_11comp_targetILNS1_3genE0ELNS1_11target_archE4294967295ELNS1_3gpuE0ELNS1_3repE0EEENS1_30default_config_static_selectorELNS0_4arch9wavefront6targetE0EEEvT1_
	.globl	_ZN7rocprim17ROCPRIM_400000_NS6detail17trampoline_kernelINS0_14default_configENS1_25partition_config_selectorILNS1_17partition_subalgoE8EN3c104HalfENS0_10empty_typeEbEEZZNS1_14partition_implILS5_8ELb0ES3_jPKS7_PS8_PKS8_NS0_5tupleIJPS7_S8_EEENSG_IJSD_SD_EEENS0_18inequality_wrapperIN6hipcub16HIPCUB_304000_NS8EqualityEEEPlJS8_EEE10hipError_tPvRmT3_T4_T5_T6_T7_T9_mT8_P12ihipStream_tbDpT10_ENKUlT_T0_E_clISt17integral_constantIbLb1EES18_IbLb0EEEEDaS14_S15_EUlS14_E_NS1_11comp_targetILNS1_3genE0ELNS1_11target_archE4294967295ELNS1_3gpuE0ELNS1_3repE0EEENS1_30default_config_static_selectorELNS0_4arch9wavefront6targetE0EEEvT1_
	.p2align	8
	.type	_ZN7rocprim17ROCPRIM_400000_NS6detail17trampoline_kernelINS0_14default_configENS1_25partition_config_selectorILNS1_17partition_subalgoE8EN3c104HalfENS0_10empty_typeEbEEZZNS1_14partition_implILS5_8ELb0ES3_jPKS7_PS8_PKS8_NS0_5tupleIJPS7_S8_EEENSG_IJSD_SD_EEENS0_18inequality_wrapperIN6hipcub16HIPCUB_304000_NS8EqualityEEEPlJS8_EEE10hipError_tPvRmT3_T4_T5_T6_T7_T9_mT8_P12ihipStream_tbDpT10_ENKUlT_T0_E_clISt17integral_constantIbLb1EES18_IbLb0EEEEDaS14_S15_EUlS14_E_NS1_11comp_targetILNS1_3genE0ELNS1_11target_archE4294967295ELNS1_3gpuE0ELNS1_3repE0EEENS1_30default_config_static_selectorELNS0_4arch9wavefront6targetE0EEEvT1_,@function
_ZN7rocprim17ROCPRIM_400000_NS6detail17trampoline_kernelINS0_14default_configENS1_25partition_config_selectorILNS1_17partition_subalgoE8EN3c104HalfENS0_10empty_typeEbEEZZNS1_14partition_implILS5_8ELb0ES3_jPKS7_PS8_PKS8_NS0_5tupleIJPS7_S8_EEENSG_IJSD_SD_EEENS0_18inequality_wrapperIN6hipcub16HIPCUB_304000_NS8EqualityEEEPlJS8_EEE10hipError_tPvRmT3_T4_T5_T6_T7_T9_mT8_P12ihipStream_tbDpT10_ENKUlT_T0_E_clISt17integral_constantIbLb1EES18_IbLb0EEEEDaS14_S15_EUlS14_E_NS1_11comp_targetILNS1_3genE0ELNS1_11target_archE4294967295ELNS1_3gpuE0ELNS1_3repE0EEENS1_30default_config_static_selectorELNS0_4arch9wavefront6targetE0EEEvT1_: ; @_ZN7rocprim17ROCPRIM_400000_NS6detail17trampoline_kernelINS0_14default_configENS1_25partition_config_selectorILNS1_17partition_subalgoE8EN3c104HalfENS0_10empty_typeEbEEZZNS1_14partition_implILS5_8ELb0ES3_jPKS7_PS8_PKS8_NS0_5tupleIJPS7_S8_EEENSG_IJSD_SD_EEENS0_18inequality_wrapperIN6hipcub16HIPCUB_304000_NS8EqualityEEEPlJS8_EEE10hipError_tPvRmT3_T4_T5_T6_T7_T9_mT8_P12ihipStream_tbDpT10_ENKUlT_T0_E_clISt17integral_constantIbLb1EES18_IbLb0EEEEDaS14_S15_EUlS14_E_NS1_11comp_targetILNS1_3genE0ELNS1_11target_archE4294967295ELNS1_3gpuE0ELNS1_3repE0EEENS1_30default_config_static_selectorELNS0_4arch9wavefront6targetE0EEEvT1_
; %bb.0:
	s_endpgm
	.section	.rodata,"a",@progbits
	.p2align	6, 0x0
	.amdhsa_kernel _ZN7rocprim17ROCPRIM_400000_NS6detail17trampoline_kernelINS0_14default_configENS1_25partition_config_selectorILNS1_17partition_subalgoE8EN3c104HalfENS0_10empty_typeEbEEZZNS1_14partition_implILS5_8ELb0ES3_jPKS7_PS8_PKS8_NS0_5tupleIJPS7_S8_EEENSG_IJSD_SD_EEENS0_18inequality_wrapperIN6hipcub16HIPCUB_304000_NS8EqualityEEEPlJS8_EEE10hipError_tPvRmT3_T4_T5_T6_T7_T9_mT8_P12ihipStream_tbDpT10_ENKUlT_T0_E_clISt17integral_constantIbLb1EES18_IbLb0EEEEDaS14_S15_EUlS14_E_NS1_11comp_targetILNS1_3genE0ELNS1_11target_archE4294967295ELNS1_3gpuE0ELNS1_3repE0EEENS1_30default_config_static_selectorELNS0_4arch9wavefront6targetE0EEEvT1_
		.amdhsa_group_segment_fixed_size 0
		.amdhsa_private_segment_fixed_size 0
		.amdhsa_kernarg_size 112
		.amdhsa_user_sgpr_count 2
		.amdhsa_user_sgpr_dispatch_ptr 0
		.amdhsa_user_sgpr_queue_ptr 0
		.amdhsa_user_sgpr_kernarg_segment_ptr 1
		.amdhsa_user_sgpr_dispatch_id 0
		.amdhsa_user_sgpr_kernarg_preload_length 0
		.amdhsa_user_sgpr_kernarg_preload_offset 0
		.amdhsa_user_sgpr_private_segment_size 0
		.amdhsa_wavefront_size32 1
		.amdhsa_uses_dynamic_stack 0
		.amdhsa_enable_private_segment 0
		.amdhsa_system_sgpr_workgroup_id_x 1
		.amdhsa_system_sgpr_workgroup_id_y 0
		.amdhsa_system_sgpr_workgroup_id_z 0
		.amdhsa_system_sgpr_workgroup_info 0
		.amdhsa_system_vgpr_workitem_id 0
		.amdhsa_next_free_vgpr 1
		.amdhsa_next_free_sgpr 1
		.amdhsa_named_barrier_count 0
		.amdhsa_reserve_vcc 0
		.amdhsa_float_round_mode_32 0
		.amdhsa_float_round_mode_16_64 0
		.amdhsa_float_denorm_mode_32 3
		.amdhsa_float_denorm_mode_16_64 3
		.amdhsa_fp16_overflow 0
		.amdhsa_memory_ordered 1
		.amdhsa_forward_progress 1
		.amdhsa_inst_pref_size 1
		.amdhsa_round_robin_scheduling 0
		.amdhsa_exception_fp_ieee_invalid_op 0
		.amdhsa_exception_fp_denorm_src 0
		.amdhsa_exception_fp_ieee_div_zero 0
		.amdhsa_exception_fp_ieee_overflow 0
		.amdhsa_exception_fp_ieee_underflow 0
		.amdhsa_exception_fp_ieee_inexact 0
		.amdhsa_exception_int_div_zero 0
	.end_amdhsa_kernel
	.section	.text._ZN7rocprim17ROCPRIM_400000_NS6detail17trampoline_kernelINS0_14default_configENS1_25partition_config_selectorILNS1_17partition_subalgoE8EN3c104HalfENS0_10empty_typeEbEEZZNS1_14partition_implILS5_8ELb0ES3_jPKS7_PS8_PKS8_NS0_5tupleIJPS7_S8_EEENSG_IJSD_SD_EEENS0_18inequality_wrapperIN6hipcub16HIPCUB_304000_NS8EqualityEEEPlJS8_EEE10hipError_tPvRmT3_T4_T5_T6_T7_T9_mT8_P12ihipStream_tbDpT10_ENKUlT_T0_E_clISt17integral_constantIbLb1EES18_IbLb0EEEEDaS14_S15_EUlS14_E_NS1_11comp_targetILNS1_3genE0ELNS1_11target_archE4294967295ELNS1_3gpuE0ELNS1_3repE0EEENS1_30default_config_static_selectorELNS0_4arch9wavefront6targetE0EEEvT1_,"axG",@progbits,_ZN7rocprim17ROCPRIM_400000_NS6detail17trampoline_kernelINS0_14default_configENS1_25partition_config_selectorILNS1_17partition_subalgoE8EN3c104HalfENS0_10empty_typeEbEEZZNS1_14partition_implILS5_8ELb0ES3_jPKS7_PS8_PKS8_NS0_5tupleIJPS7_S8_EEENSG_IJSD_SD_EEENS0_18inequality_wrapperIN6hipcub16HIPCUB_304000_NS8EqualityEEEPlJS8_EEE10hipError_tPvRmT3_T4_T5_T6_T7_T9_mT8_P12ihipStream_tbDpT10_ENKUlT_T0_E_clISt17integral_constantIbLb1EES18_IbLb0EEEEDaS14_S15_EUlS14_E_NS1_11comp_targetILNS1_3genE0ELNS1_11target_archE4294967295ELNS1_3gpuE0ELNS1_3repE0EEENS1_30default_config_static_selectorELNS0_4arch9wavefront6targetE0EEEvT1_,comdat
.Lfunc_end909:
	.size	_ZN7rocprim17ROCPRIM_400000_NS6detail17trampoline_kernelINS0_14default_configENS1_25partition_config_selectorILNS1_17partition_subalgoE8EN3c104HalfENS0_10empty_typeEbEEZZNS1_14partition_implILS5_8ELb0ES3_jPKS7_PS8_PKS8_NS0_5tupleIJPS7_S8_EEENSG_IJSD_SD_EEENS0_18inequality_wrapperIN6hipcub16HIPCUB_304000_NS8EqualityEEEPlJS8_EEE10hipError_tPvRmT3_T4_T5_T6_T7_T9_mT8_P12ihipStream_tbDpT10_ENKUlT_T0_E_clISt17integral_constantIbLb1EES18_IbLb0EEEEDaS14_S15_EUlS14_E_NS1_11comp_targetILNS1_3genE0ELNS1_11target_archE4294967295ELNS1_3gpuE0ELNS1_3repE0EEENS1_30default_config_static_selectorELNS0_4arch9wavefront6targetE0EEEvT1_, .Lfunc_end909-_ZN7rocprim17ROCPRIM_400000_NS6detail17trampoline_kernelINS0_14default_configENS1_25partition_config_selectorILNS1_17partition_subalgoE8EN3c104HalfENS0_10empty_typeEbEEZZNS1_14partition_implILS5_8ELb0ES3_jPKS7_PS8_PKS8_NS0_5tupleIJPS7_S8_EEENSG_IJSD_SD_EEENS0_18inequality_wrapperIN6hipcub16HIPCUB_304000_NS8EqualityEEEPlJS8_EEE10hipError_tPvRmT3_T4_T5_T6_T7_T9_mT8_P12ihipStream_tbDpT10_ENKUlT_T0_E_clISt17integral_constantIbLb1EES18_IbLb0EEEEDaS14_S15_EUlS14_E_NS1_11comp_targetILNS1_3genE0ELNS1_11target_archE4294967295ELNS1_3gpuE0ELNS1_3repE0EEENS1_30default_config_static_selectorELNS0_4arch9wavefront6targetE0EEEvT1_
                                        ; -- End function
	.set _ZN7rocprim17ROCPRIM_400000_NS6detail17trampoline_kernelINS0_14default_configENS1_25partition_config_selectorILNS1_17partition_subalgoE8EN3c104HalfENS0_10empty_typeEbEEZZNS1_14partition_implILS5_8ELb0ES3_jPKS7_PS8_PKS8_NS0_5tupleIJPS7_S8_EEENSG_IJSD_SD_EEENS0_18inequality_wrapperIN6hipcub16HIPCUB_304000_NS8EqualityEEEPlJS8_EEE10hipError_tPvRmT3_T4_T5_T6_T7_T9_mT8_P12ihipStream_tbDpT10_ENKUlT_T0_E_clISt17integral_constantIbLb1EES18_IbLb0EEEEDaS14_S15_EUlS14_E_NS1_11comp_targetILNS1_3genE0ELNS1_11target_archE4294967295ELNS1_3gpuE0ELNS1_3repE0EEENS1_30default_config_static_selectorELNS0_4arch9wavefront6targetE0EEEvT1_.num_vgpr, 0
	.set _ZN7rocprim17ROCPRIM_400000_NS6detail17trampoline_kernelINS0_14default_configENS1_25partition_config_selectorILNS1_17partition_subalgoE8EN3c104HalfENS0_10empty_typeEbEEZZNS1_14partition_implILS5_8ELb0ES3_jPKS7_PS8_PKS8_NS0_5tupleIJPS7_S8_EEENSG_IJSD_SD_EEENS0_18inequality_wrapperIN6hipcub16HIPCUB_304000_NS8EqualityEEEPlJS8_EEE10hipError_tPvRmT3_T4_T5_T6_T7_T9_mT8_P12ihipStream_tbDpT10_ENKUlT_T0_E_clISt17integral_constantIbLb1EES18_IbLb0EEEEDaS14_S15_EUlS14_E_NS1_11comp_targetILNS1_3genE0ELNS1_11target_archE4294967295ELNS1_3gpuE0ELNS1_3repE0EEENS1_30default_config_static_selectorELNS0_4arch9wavefront6targetE0EEEvT1_.num_agpr, 0
	.set _ZN7rocprim17ROCPRIM_400000_NS6detail17trampoline_kernelINS0_14default_configENS1_25partition_config_selectorILNS1_17partition_subalgoE8EN3c104HalfENS0_10empty_typeEbEEZZNS1_14partition_implILS5_8ELb0ES3_jPKS7_PS8_PKS8_NS0_5tupleIJPS7_S8_EEENSG_IJSD_SD_EEENS0_18inequality_wrapperIN6hipcub16HIPCUB_304000_NS8EqualityEEEPlJS8_EEE10hipError_tPvRmT3_T4_T5_T6_T7_T9_mT8_P12ihipStream_tbDpT10_ENKUlT_T0_E_clISt17integral_constantIbLb1EES18_IbLb0EEEEDaS14_S15_EUlS14_E_NS1_11comp_targetILNS1_3genE0ELNS1_11target_archE4294967295ELNS1_3gpuE0ELNS1_3repE0EEENS1_30default_config_static_selectorELNS0_4arch9wavefront6targetE0EEEvT1_.numbered_sgpr, 0
	.set _ZN7rocprim17ROCPRIM_400000_NS6detail17trampoline_kernelINS0_14default_configENS1_25partition_config_selectorILNS1_17partition_subalgoE8EN3c104HalfENS0_10empty_typeEbEEZZNS1_14partition_implILS5_8ELb0ES3_jPKS7_PS8_PKS8_NS0_5tupleIJPS7_S8_EEENSG_IJSD_SD_EEENS0_18inequality_wrapperIN6hipcub16HIPCUB_304000_NS8EqualityEEEPlJS8_EEE10hipError_tPvRmT3_T4_T5_T6_T7_T9_mT8_P12ihipStream_tbDpT10_ENKUlT_T0_E_clISt17integral_constantIbLb1EES18_IbLb0EEEEDaS14_S15_EUlS14_E_NS1_11comp_targetILNS1_3genE0ELNS1_11target_archE4294967295ELNS1_3gpuE0ELNS1_3repE0EEENS1_30default_config_static_selectorELNS0_4arch9wavefront6targetE0EEEvT1_.num_named_barrier, 0
	.set _ZN7rocprim17ROCPRIM_400000_NS6detail17trampoline_kernelINS0_14default_configENS1_25partition_config_selectorILNS1_17partition_subalgoE8EN3c104HalfENS0_10empty_typeEbEEZZNS1_14partition_implILS5_8ELb0ES3_jPKS7_PS8_PKS8_NS0_5tupleIJPS7_S8_EEENSG_IJSD_SD_EEENS0_18inequality_wrapperIN6hipcub16HIPCUB_304000_NS8EqualityEEEPlJS8_EEE10hipError_tPvRmT3_T4_T5_T6_T7_T9_mT8_P12ihipStream_tbDpT10_ENKUlT_T0_E_clISt17integral_constantIbLb1EES18_IbLb0EEEEDaS14_S15_EUlS14_E_NS1_11comp_targetILNS1_3genE0ELNS1_11target_archE4294967295ELNS1_3gpuE0ELNS1_3repE0EEENS1_30default_config_static_selectorELNS0_4arch9wavefront6targetE0EEEvT1_.private_seg_size, 0
	.set _ZN7rocprim17ROCPRIM_400000_NS6detail17trampoline_kernelINS0_14default_configENS1_25partition_config_selectorILNS1_17partition_subalgoE8EN3c104HalfENS0_10empty_typeEbEEZZNS1_14partition_implILS5_8ELb0ES3_jPKS7_PS8_PKS8_NS0_5tupleIJPS7_S8_EEENSG_IJSD_SD_EEENS0_18inequality_wrapperIN6hipcub16HIPCUB_304000_NS8EqualityEEEPlJS8_EEE10hipError_tPvRmT3_T4_T5_T6_T7_T9_mT8_P12ihipStream_tbDpT10_ENKUlT_T0_E_clISt17integral_constantIbLb1EES18_IbLb0EEEEDaS14_S15_EUlS14_E_NS1_11comp_targetILNS1_3genE0ELNS1_11target_archE4294967295ELNS1_3gpuE0ELNS1_3repE0EEENS1_30default_config_static_selectorELNS0_4arch9wavefront6targetE0EEEvT1_.uses_vcc, 0
	.set _ZN7rocprim17ROCPRIM_400000_NS6detail17trampoline_kernelINS0_14default_configENS1_25partition_config_selectorILNS1_17partition_subalgoE8EN3c104HalfENS0_10empty_typeEbEEZZNS1_14partition_implILS5_8ELb0ES3_jPKS7_PS8_PKS8_NS0_5tupleIJPS7_S8_EEENSG_IJSD_SD_EEENS0_18inequality_wrapperIN6hipcub16HIPCUB_304000_NS8EqualityEEEPlJS8_EEE10hipError_tPvRmT3_T4_T5_T6_T7_T9_mT8_P12ihipStream_tbDpT10_ENKUlT_T0_E_clISt17integral_constantIbLb1EES18_IbLb0EEEEDaS14_S15_EUlS14_E_NS1_11comp_targetILNS1_3genE0ELNS1_11target_archE4294967295ELNS1_3gpuE0ELNS1_3repE0EEENS1_30default_config_static_selectorELNS0_4arch9wavefront6targetE0EEEvT1_.uses_flat_scratch, 0
	.set _ZN7rocprim17ROCPRIM_400000_NS6detail17trampoline_kernelINS0_14default_configENS1_25partition_config_selectorILNS1_17partition_subalgoE8EN3c104HalfENS0_10empty_typeEbEEZZNS1_14partition_implILS5_8ELb0ES3_jPKS7_PS8_PKS8_NS0_5tupleIJPS7_S8_EEENSG_IJSD_SD_EEENS0_18inequality_wrapperIN6hipcub16HIPCUB_304000_NS8EqualityEEEPlJS8_EEE10hipError_tPvRmT3_T4_T5_T6_T7_T9_mT8_P12ihipStream_tbDpT10_ENKUlT_T0_E_clISt17integral_constantIbLb1EES18_IbLb0EEEEDaS14_S15_EUlS14_E_NS1_11comp_targetILNS1_3genE0ELNS1_11target_archE4294967295ELNS1_3gpuE0ELNS1_3repE0EEENS1_30default_config_static_selectorELNS0_4arch9wavefront6targetE0EEEvT1_.has_dyn_sized_stack, 0
	.set _ZN7rocprim17ROCPRIM_400000_NS6detail17trampoline_kernelINS0_14default_configENS1_25partition_config_selectorILNS1_17partition_subalgoE8EN3c104HalfENS0_10empty_typeEbEEZZNS1_14partition_implILS5_8ELb0ES3_jPKS7_PS8_PKS8_NS0_5tupleIJPS7_S8_EEENSG_IJSD_SD_EEENS0_18inequality_wrapperIN6hipcub16HIPCUB_304000_NS8EqualityEEEPlJS8_EEE10hipError_tPvRmT3_T4_T5_T6_T7_T9_mT8_P12ihipStream_tbDpT10_ENKUlT_T0_E_clISt17integral_constantIbLb1EES18_IbLb0EEEEDaS14_S15_EUlS14_E_NS1_11comp_targetILNS1_3genE0ELNS1_11target_archE4294967295ELNS1_3gpuE0ELNS1_3repE0EEENS1_30default_config_static_selectorELNS0_4arch9wavefront6targetE0EEEvT1_.has_recursion, 0
	.set _ZN7rocprim17ROCPRIM_400000_NS6detail17trampoline_kernelINS0_14default_configENS1_25partition_config_selectorILNS1_17partition_subalgoE8EN3c104HalfENS0_10empty_typeEbEEZZNS1_14partition_implILS5_8ELb0ES3_jPKS7_PS8_PKS8_NS0_5tupleIJPS7_S8_EEENSG_IJSD_SD_EEENS0_18inequality_wrapperIN6hipcub16HIPCUB_304000_NS8EqualityEEEPlJS8_EEE10hipError_tPvRmT3_T4_T5_T6_T7_T9_mT8_P12ihipStream_tbDpT10_ENKUlT_T0_E_clISt17integral_constantIbLb1EES18_IbLb0EEEEDaS14_S15_EUlS14_E_NS1_11comp_targetILNS1_3genE0ELNS1_11target_archE4294967295ELNS1_3gpuE0ELNS1_3repE0EEENS1_30default_config_static_selectorELNS0_4arch9wavefront6targetE0EEEvT1_.has_indirect_call, 0
	.section	.AMDGPU.csdata,"",@progbits
; Kernel info:
; codeLenInByte = 4
; TotalNumSgprs: 0
; NumVgprs: 0
; ScratchSize: 0
; MemoryBound: 0
; FloatMode: 240
; IeeeMode: 1
; LDSByteSize: 0 bytes/workgroup (compile time only)
; SGPRBlocks: 0
; VGPRBlocks: 0
; NumSGPRsForWavesPerEU: 1
; NumVGPRsForWavesPerEU: 1
; NamedBarCnt: 0
; Occupancy: 16
; WaveLimiterHint : 0
; COMPUTE_PGM_RSRC2:SCRATCH_EN: 0
; COMPUTE_PGM_RSRC2:USER_SGPR: 2
; COMPUTE_PGM_RSRC2:TRAP_HANDLER: 0
; COMPUTE_PGM_RSRC2:TGID_X_EN: 1
; COMPUTE_PGM_RSRC2:TGID_Y_EN: 0
; COMPUTE_PGM_RSRC2:TGID_Z_EN: 0
; COMPUTE_PGM_RSRC2:TIDIG_COMP_CNT: 0
	.section	.text._ZN7rocprim17ROCPRIM_400000_NS6detail17trampoline_kernelINS0_14default_configENS1_25partition_config_selectorILNS1_17partition_subalgoE8EN3c104HalfENS0_10empty_typeEbEEZZNS1_14partition_implILS5_8ELb0ES3_jPKS7_PS8_PKS8_NS0_5tupleIJPS7_S8_EEENSG_IJSD_SD_EEENS0_18inequality_wrapperIN6hipcub16HIPCUB_304000_NS8EqualityEEEPlJS8_EEE10hipError_tPvRmT3_T4_T5_T6_T7_T9_mT8_P12ihipStream_tbDpT10_ENKUlT_T0_E_clISt17integral_constantIbLb1EES18_IbLb0EEEEDaS14_S15_EUlS14_E_NS1_11comp_targetILNS1_3genE5ELNS1_11target_archE942ELNS1_3gpuE9ELNS1_3repE0EEENS1_30default_config_static_selectorELNS0_4arch9wavefront6targetE0EEEvT1_,"axG",@progbits,_ZN7rocprim17ROCPRIM_400000_NS6detail17trampoline_kernelINS0_14default_configENS1_25partition_config_selectorILNS1_17partition_subalgoE8EN3c104HalfENS0_10empty_typeEbEEZZNS1_14partition_implILS5_8ELb0ES3_jPKS7_PS8_PKS8_NS0_5tupleIJPS7_S8_EEENSG_IJSD_SD_EEENS0_18inequality_wrapperIN6hipcub16HIPCUB_304000_NS8EqualityEEEPlJS8_EEE10hipError_tPvRmT3_T4_T5_T6_T7_T9_mT8_P12ihipStream_tbDpT10_ENKUlT_T0_E_clISt17integral_constantIbLb1EES18_IbLb0EEEEDaS14_S15_EUlS14_E_NS1_11comp_targetILNS1_3genE5ELNS1_11target_archE942ELNS1_3gpuE9ELNS1_3repE0EEENS1_30default_config_static_selectorELNS0_4arch9wavefront6targetE0EEEvT1_,comdat
	.protected	_ZN7rocprim17ROCPRIM_400000_NS6detail17trampoline_kernelINS0_14default_configENS1_25partition_config_selectorILNS1_17partition_subalgoE8EN3c104HalfENS0_10empty_typeEbEEZZNS1_14partition_implILS5_8ELb0ES3_jPKS7_PS8_PKS8_NS0_5tupleIJPS7_S8_EEENSG_IJSD_SD_EEENS0_18inequality_wrapperIN6hipcub16HIPCUB_304000_NS8EqualityEEEPlJS8_EEE10hipError_tPvRmT3_T4_T5_T6_T7_T9_mT8_P12ihipStream_tbDpT10_ENKUlT_T0_E_clISt17integral_constantIbLb1EES18_IbLb0EEEEDaS14_S15_EUlS14_E_NS1_11comp_targetILNS1_3genE5ELNS1_11target_archE942ELNS1_3gpuE9ELNS1_3repE0EEENS1_30default_config_static_selectorELNS0_4arch9wavefront6targetE0EEEvT1_ ; -- Begin function _ZN7rocprim17ROCPRIM_400000_NS6detail17trampoline_kernelINS0_14default_configENS1_25partition_config_selectorILNS1_17partition_subalgoE8EN3c104HalfENS0_10empty_typeEbEEZZNS1_14partition_implILS5_8ELb0ES3_jPKS7_PS8_PKS8_NS0_5tupleIJPS7_S8_EEENSG_IJSD_SD_EEENS0_18inequality_wrapperIN6hipcub16HIPCUB_304000_NS8EqualityEEEPlJS8_EEE10hipError_tPvRmT3_T4_T5_T6_T7_T9_mT8_P12ihipStream_tbDpT10_ENKUlT_T0_E_clISt17integral_constantIbLb1EES18_IbLb0EEEEDaS14_S15_EUlS14_E_NS1_11comp_targetILNS1_3genE5ELNS1_11target_archE942ELNS1_3gpuE9ELNS1_3repE0EEENS1_30default_config_static_selectorELNS0_4arch9wavefront6targetE0EEEvT1_
	.globl	_ZN7rocprim17ROCPRIM_400000_NS6detail17trampoline_kernelINS0_14default_configENS1_25partition_config_selectorILNS1_17partition_subalgoE8EN3c104HalfENS0_10empty_typeEbEEZZNS1_14partition_implILS5_8ELb0ES3_jPKS7_PS8_PKS8_NS0_5tupleIJPS7_S8_EEENSG_IJSD_SD_EEENS0_18inequality_wrapperIN6hipcub16HIPCUB_304000_NS8EqualityEEEPlJS8_EEE10hipError_tPvRmT3_T4_T5_T6_T7_T9_mT8_P12ihipStream_tbDpT10_ENKUlT_T0_E_clISt17integral_constantIbLb1EES18_IbLb0EEEEDaS14_S15_EUlS14_E_NS1_11comp_targetILNS1_3genE5ELNS1_11target_archE942ELNS1_3gpuE9ELNS1_3repE0EEENS1_30default_config_static_selectorELNS0_4arch9wavefront6targetE0EEEvT1_
	.p2align	8
	.type	_ZN7rocprim17ROCPRIM_400000_NS6detail17trampoline_kernelINS0_14default_configENS1_25partition_config_selectorILNS1_17partition_subalgoE8EN3c104HalfENS0_10empty_typeEbEEZZNS1_14partition_implILS5_8ELb0ES3_jPKS7_PS8_PKS8_NS0_5tupleIJPS7_S8_EEENSG_IJSD_SD_EEENS0_18inequality_wrapperIN6hipcub16HIPCUB_304000_NS8EqualityEEEPlJS8_EEE10hipError_tPvRmT3_T4_T5_T6_T7_T9_mT8_P12ihipStream_tbDpT10_ENKUlT_T0_E_clISt17integral_constantIbLb1EES18_IbLb0EEEEDaS14_S15_EUlS14_E_NS1_11comp_targetILNS1_3genE5ELNS1_11target_archE942ELNS1_3gpuE9ELNS1_3repE0EEENS1_30default_config_static_selectorELNS0_4arch9wavefront6targetE0EEEvT1_,@function
_ZN7rocprim17ROCPRIM_400000_NS6detail17trampoline_kernelINS0_14default_configENS1_25partition_config_selectorILNS1_17partition_subalgoE8EN3c104HalfENS0_10empty_typeEbEEZZNS1_14partition_implILS5_8ELb0ES3_jPKS7_PS8_PKS8_NS0_5tupleIJPS7_S8_EEENSG_IJSD_SD_EEENS0_18inequality_wrapperIN6hipcub16HIPCUB_304000_NS8EqualityEEEPlJS8_EEE10hipError_tPvRmT3_T4_T5_T6_T7_T9_mT8_P12ihipStream_tbDpT10_ENKUlT_T0_E_clISt17integral_constantIbLb1EES18_IbLb0EEEEDaS14_S15_EUlS14_E_NS1_11comp_targetILNS1_3genE5ELNS1_11target_archE942ELNS1_3gpuE9ELNS1_3repE0EEENS1_30default_config_static_selectorELNS0_4arch9wavefront6targetE0EEEvT1_: ; @_ZN7rocprim17ROCPRIM_400000_NS6detail17trampoline_kernelINS0_14default_configENS1_25partition_config_selectorILNS1_17partition_subalgoE8EN3c104HalfENS0_10empty_typeEbEEZZNS1_14partition_implILS5_8ELb0ES3_jPKS7_PS8_PKS8_NS0_5tupleIJPS7_S8_EEENSG_IJSD_SD_EEENS0_18inequality_wrapperIN6hipcub16HIPCUB_304000_NS8EqualityEEEPlJS8_EEE10hipError_tPvRmT3_T4_T5_T6_T7_T9_mT8_P12ihipStream_tbDpT10_ENKUlT_T0_E_clISt17integral_constantIbLb1EES18_IbLb0EEEEDaS14_S15_EUlS14_E_NS1_11comp_targetILNS1_3genE5ELNS1_11target_archE942ELNS1_3gpuE9ELNS1_3repE0EEENS1_30default_config_static_selectorELNS0_4arch9wavefront6targetE0EEEvT1_
; %bb.0:
	.section	.rodata,"a",@progbits
	.p2align	6, 0x0
	.amdhsa_kernel _ZN7rocprim17ROCPRIM_400000_NS6detail17trampoline_kernelINS0_14default_configENS1_25partition_config_selectorILNS1_17partition_subalgoE8EN3c104HalfENS0_10empty_typeEbEEZZNS1_14partition_implILS5_8ELb0ES3_jPKS7_PS8_PKS8_NS0_5tupleIJPS7_S8_EEENSG_IJSD_SD_EEENS0_18inequality_wrapperIN6hipcub16HIPCUB_304000_NS8EqualityEEEPlJS8_EEE10hipError_tPvRmT3_T4_T5_T6_T7_T9_mT8_P12ihipStream_tbDpT10_ENKUlT_T0_E_clISt17integral_constantIbLb1EES18_IbLb0EEEEDaS14_S15_EUlS14_E_NS1_11comp_targetILNS1_3genE5ELNS1_11target_archE942ELNS1_3gpuE9ELNS1_3repE0EEENS1_30default_config_static_selectorELNS0_4arch9wavefront6targetE0EEEvT1_
		.amdhsa_group_segment_fixed_size 0
		.amdhsa_private_segment_fixed_size 0
		.amdhsa_kernarg_size 112
		.amdhsa_user_sgpr_count 2
		.amdhsa_user_sgpr_dispatch_ptr 0
		.amdhsa_user_sgpr_queue_ptr 0
		.amdhsa_user_sgpr_kernarg_segment_ptr 1
		.amdhsa_user_sgpr_dispatch_id 0
		.amdhsa_user_sgpr_kernarg_preload_length 0
		.amdhsa_user_sgpr_kernarg_preload_offset 0
		.amdhsa_user_sgpr_private_segment_size 0
		.amdhsa_wavefront_size32 1
		.amdhsa_uses_dynamic_stack 0
		.amdhsa_enable_private_segment 0
		.amdhsa_system_sgpr_workgroup_id_x 1
		.amdhsa_system_sgpr_workgroup_id_y 0
		.amdhsa_system_sgpr_workgroup_id_z 0
		.amdhsa_system_sgpr_workgroup_info 0
		.amdhsa_system_vgpr_workitem_id 0
		.amdhsa_next_free_vgpr 1
		.amdhsa_next_free_sgpr 1
		.amdhsa_named_barrier_count 0
		.amdhsa_reserve_vcc 0
		.amdhsa_float_round_mode_32 0
		.amdhsa_float_round_mode_16_64 0
		.amdhsa_float_denorm_mode_32 3
		.amdhsa_float_denorm_mode_16_64 3
		.amdhsa_fp16_overflow 0
		.amdhsa_memory_ordered 1
		.amdhsa_forward_progress 1
		.amdhsa_inst_pref_size 0
		.amdhsa_round_robin_scheduling 0
		.amdhsa_exception_fp_ieee_invalid_op 0
		.amdhsa_exception_fp_denorm_src 0
		.amdhsa_exception_fp_ieee_div_zero 0
		.amdhsa_exception_fp_ieee_overflow 0
		.amdhsa_exception_fp_ieee_underflow 0
		.amdhsa_exception_fp_ieee_inexact 0
		.amdhsa_exception_int_div_zero 0
	.end_amdhsa_kernel
	.section	.text._ZN7rocprim17ROCPRIM_400000_NS6detail17trampoline_kernelINS0_14default_configENS1_25partition_config_selectorILNS1_17partition_subalgoE8EN3c104HalfENS0_10empty_typeEbEEZZNS1_14partition_implILS5_8ELb0ES3_jPKS7_PS8_PKS8_NS0_5tupleIJPS7_S8_EEENSG_IJSD_SD_EEENS0_18inequality_wrapperIN6hipcub16HIPCUB_304000_NS8EqualityEEEPlJS8_EEE10hipError_tPvRmT3_T4_T5_T6_T7_T9_mT8_P12ihipStream_tbDpT10_ENKUlT_T0_E_clISt17integral_constantIbLb1EES18_IbLb0EEEEDaS14_S15_EUlS14_E_NS1_11comp_targetILNS1_3genE5ELNS1_11target_archE942ELNS1_3gpuE9ELNS1_3repE0EEENS1_30default_config_static_selectorELNS0_4arch9wavefront6targetE0EEEvT1_,"axG",@progbits,_ZN7rocprim17ROCPRIM_400000_NS6detail17trampoline_kernelINS0_14default_configENS1_25partition_config_selectorILNS1_17partition_subalgoE8EN3c104HalfENS0_10empty_typeEbEEZZNS1_14partition_implILS5_8ELb0ES3_jPKS7_PS8_PKS8_NS0_5tupleIJPS7_S8_EEENSG_IJSD_SD_EEENS0_18inequality_wrapperIN6hipcub16HIPCUB_304000_NS8EqualityEEEPlJS8_EEE10hipError_tPvRmT3_T4_T5_T6_T7_T9_mT8_P12ihipStream_tbDpT10_ENKUlT_T0_E_clISt17integral_constantIbLb1EES18_IbLb0EEEEDaS14_S15_EUlS14_E_NS1_11comp_targetILNS1_3genE5ELNS1_11target_archE942ELNS1_3gpuE9ELNS1_3repE0EEENS1_30default_config_static_selectorELNS0_4arch9wavefront6targetE0EEEvT1_,comdat
.Lfunc_end910:
	.size	_ZN7rocprim17ROCPRIM_400000_NS6detail17trampoline_kernelINS0_14default_configENS1_25partition_config_selectorILNS1_17partition_subalgoE8EN3c104HalfENS0_10empty_typeEbEEZZNS1_14partition_implILS5_8ELb0ES3_jPKS7_PS8_PKS8_NS0_5tupleIJPS7_S8_EEENSG_IJSD_SD_EEENS0_18inequality_wrapperIN6hipcub16HIPCUB_304000_NS8EqualityEEEPlJS8_EEE10hipError_tPvRmT3_T4_T5_T6_T7_T9_mT8_P12ihipStream_tbDpT10_ENKUlT_T0_E_clISt17integral_constantIbLb1EES18_IbLb0EEEEDaS14_S15_EUlS14_E_NS1_11comp_targetILNS1_3genE5ELNS1_11target_archE942ELNS1_3gpuE9ELNS1_3repE0EEENS1_30default_config_static_selectorELNS0_4arch9wavefront6targetE0EEEvT1_, .Lfunc_end910-_ZN7rocprim17ROCPRIM_400000_NS6detail17trampoline_kernelINS0_14default_configENS1_25partition_config_selectorILNS1_17partition_subalgoE8EN3c104HalfENS0_10empty_typeEbEEZZNS1_14partition_implILS5_8ELb0ES3_jPKS7_PS8_PKS8_NS0_5tupleIJPS7_S8_EEENSG_IJSD_SD_EEENS0_18inequality_wrapperIN6hipcub16HIPCUB_304000_NS8EqualityEEEPlJS8_EEE10hipError_tPvRmT3_T4_T5_T6_T7_T9_mT8_P12ihipStream_tbDpT10_ENKUlT_T0_E_clISt17integral_constantIbLb1EES18_IbLb0EEEEDaS14_S15_EUlS14_E_NS1_11comp_targetILNS1_3genE5ELNS1_11target_archE942ELNS1_3gpuE9ELNS1_3repE0EEENS1_30default_config_static_selectorELNS0_4arch9wavefront6targetE0EEEvT1_
                                        ; -- End function
	.set _ZN7rocprim17ROCPRIM_400000_NS6detail17trampoline_kernelINS0_14default_configENS1_25partition_config_selectorILNS1_17partition_subalgoE8EN3c104HalfENS0_10empty_typeEbEEZZNS1_14partition_implILS5_8ELb0ES3_jPKS7_PS8_PKS8_NS0_5tupleIJPS7_S8_EEENSG_IJSD_SD_EEENS0_18inequality_wrapperIN6hipcub16HIPCUB_304000_NS8EqualityEEEPlJS8_EEE10hipError_tPvRmT3_T4_T5_T6_T7_T9_mT8_P12ihipStream_tbDpT10_ENKUlT_T0_E_clISt17integral_constantIbLb1EES18_IbLb0EEEEDaS14_S15_EUlS14_E_NS1_11comp_targetILNS1_3genE5ELNS1_11target_archE942ELNS1_3gpuE9ELNS1_3repE0EEENS1_30default_config_static_selectorELNS0_4arch9wavefront6targetE0EEEvT1_.num_vgpr, 0
	.set _ZN7rocprim17ROCPRIM_400000_NS6detail17trampoline_kernelINS0_14default_configENS1_25partition_config_selectorILNS1_17partition_subalgoE8EN3c104HalfENS0_10empty_typeEbEEZZNS1_14partition_implILS5_8ELb0ES3_jPKS7_PS8_PKS8_NS0_5tupleIJPS7_S8_EEENSG_IJSD_SD_EEENS0_18inequality_wrapperIN6hipcub16HIPCUB_304000_NS8EqualityEEEPlJS8_EEE10hipError_tPvRmT3_T4_T5_T6_T7_T9_mT8_P12ihipStream_tbDpT10_ENKUlT_T0_E_clISt17integral_constantIbLb1EES18_IbLb0EEEEDaS14_S15_EUlS14_E_NS1_11comp_targetILNS1_3genE5ELNS1_11target_archE942ELNS1_3gpuE9ELNS1_3repE0EEENS1_30default_config_static_selectorELNS0_4arch9wavefront6targetE0EEEvT1_.num_agpr, 0
	.set _ZN7rocprim17ROCPRIM_400000_NS6detail17trampoline_kernelINS0_14default_configENS1_25partition_config_selectorILNS1_17partition_subalgoE8EN3c104HalfENS0_10empty_typeEbEEZZNS1_14partition_implILS5_8ELb0ES3_jPKS7_PS8_PKS8_NS0_5tupleIJPS7_S8_EEENSG_IJSD_SD_EEENS0_18inequality_wrapperIN6hipcub16HIPCUB_304000_NS8EqualityEEEPlJS8_EEE10hipError_tPvRmT3_T4_T5_T6_T7_T9_mT8_P12ihipStream_tbDpT10_ENKUlT_T0_E_clISt17integral_constantIbLb1EES18_IbLb0EEEEDaS14_S15_EUlS14_E_NS1_11comp_targetILNS1_3genE5ELNS1_11target_archE942ELNS1_3gpuE9ELNS1_3repE0EEENS1_30default_config_static_selectorELNS0_4arch9wavefront6targetE0EEEvT1_.numbered_sgpr, 0
	.set _ZN7rocprim17ROCPRIM_400000_NS6detail17trampoline_kernelINS0_14default_configENS1_25partition_config_selectorILNS1_17partition_subalgoE8EN3c104HalfENS0_10empty_typeEbEEZZNS1_14partition_implILS5_8ELb0ES3_jPKS7_PS8_PKS8_NS0_5tupleIJPS7_S8_EEENSG_IJSD_SD_EEENS0_18inequality_wrapperIN6hipcub16HIPCUB_304000_NS8EqualityEEEPlJS8_EEE10hipError_tPvRmT3_T4_T5_T6_T7_T9_mT8_P12ihipStream_tbDpT10_ENKUlT_T0_E_clISt17integral_constantIbLb1EES18_IbLb0EEEEDaS14_S15_EUlS14_E_NS1_11comp_targetILNS1_3genE5ELNS1_11target_archE942ELNS1_3gpuE9ELNS1_3repE0EEENS1_30default_config_static_selectorELNS0_4arch9wavefront6targetE0EEEvT1_.num_named_barrier, 0
	.set _ZN7rocprim17ROCPRIM_400000_NS6detail17trampoline_kernelINS0_14default_configENS1_25partition_config_selectorILNS1_17partition_subalgoE8EN3c104HalfENS0_10empty_typeEbEEZZNS1_14partition_implILS5_8ELb0ES3_jPKS7_PS8_PKS8_NS0_5tupleIJPS7_S8_EEENSG_IJSD_SD_EEENS0_18inequality_wrapperIN6hipcub16HIPCUB_304000_NS8EqualityEEEPlJS8_EEE10hipError_tPvRmT3_T4_T5_T6_T7_T9_mT8_P12ihipStream_tbDpT10_ENKUlT_T0_E_clISt17integral_constantIbLb1EES18_IbLb0EEEEDaS14_S15_EUlS14_E_NS1_11comp_targetILNS1_3genE5ELNS1_11target_archE942ELNS1_3gpuE9ELNS1_3repE0EEENS1_30default_config_static_selectorELNS0_4arch9wavefront6targetE0EEEvT1_.private_seg_size, 0
	.set _ZN7rocprim17ROCPRIM_400000_NS6detail17trampoline_kernelINS0_14default_configENS1_25partition_config_selectorILNS1_17partition_subalgoE8EN3c104HalfENS0_10empty_typeEbEEZZNS1_14partition_implILS5_8ELb0ES3_jPKS7_PS8_PKS8_NS0_5tupleIJPS7_S8_EEENSG_IJSD_SD_EEENS0_18inequality_wrapperIN6hipcub16HIPCUB_304000_NS8EqualityEEEPlJS8_EEE10hipError_tPvRmT3_T4_T5_T6_T7_T9_mT8_P12ihipStream_tbDpT10_ENKUlT_T0_E_clISt17integral_constantIbLb1EES18_IbLb0EEEEDaS14_S15_EUlS14_E_NS1_11comp_targetILNS1_3genE5ELNS1_11target_archE942ELNS1_3gpuE9ELNS1_3repE0EEENS1_30default_config_static_selectorELNS0_4arch9wavefront6targetE0EEEvT1_.uses_vcc, 0
	.set _ZN7rocprim17ROCPRIM_400000_NS6detail17trampoline_kernelINS0_14default_configENS1_25partition_config_selectorILNS1_17partition_subalgoE8EN3c104HalfENS0_10empty_typeEbEEZZNS1_14partition_implILS5_8ELb0ES3_jPKS7_PS8_PKS8_NS0_5tupleIJPS7_S8_EEENSG_IJSD_SD_EEENS0_18inequality_wrapperIN6hipcub16HIPCUB_304000_NS8EqualityEEEPlJS8_EEE10hipError_tPvRmT3_T4_T5_T6_T7_T9_mT8_P12ihipStream_tbDpT10_ENKUlT_T0_E_clISt17integral_constantIbLb1EES18_IbLb0EEEEDaS14_S15_EUlS14_E_NS1_11comp_targetILNS1_3genE5ELNS1_11target_archE942ELNS1_3gpuE9ELNS1_3repE0EEENS1_30default_config_static_selectorELNS0_4arch9wavefront6targetE0EEEvT1_.uses_flat_scratch, 0
	.set _ZN7rocprim17ROCPRIM_400000_NS6detail17trampoline_kernelINS0_14default_configENS1_25partition_config_selectorILNS1_17partition_subalgoE8EN3c104HalfENS0_10empty_typeEbEEZZNS1_14partition_implILS5_8ELb0ES3_jPKS7_PS8_PKS8_NS0_5tupleIJPS7_S8_EEENSG_IJSD_SD_EEENS0_18inequality_wrapperIN6hipcub16HIPCUB_304000_NS8EqualityEEEPlJS8_EEE10hipError_tPvRmT3_T4_T5_T6_T7_T9_mT8_P12ihipStream_tbDpT10_ENKUlT_T0_E_clISt17integral_constantIbLb1EES18_IbLb0EEEEDaS14_S15_EUlS14_E_NS1_11comp_targetILNS1_3genE5ELNS1_11target_archE942ELNS1_3gpuE9ELNS1_3repE0EEENS1_30default_config_static_selectorELNS0_4arch9wavefront6targetE0EEEvT1_.has_dyn_sized_stack, 0
	.set _ZN7rocprim17ROCPRIM_400000_NS6detail17trampoline_kernelINS0_14default_configENS1_25partition_config_selectorILNS1_17partition_subalgoE8EN3c104HalfENS0_10empty_typeEbEEZZNS1_14partition_implILS5_8ELb0ES3_jPKS7_PS8_PKS8_NS0_5tupleIJPS7_S8_EEENSG_IJSD_SD_EEENS0_18inequality_wrapperIN6hipcub16HIPCUB_304000_NS8EqualityEEEPlJS8_EEE10hipError_tPvRmT3_T4_T5_T6_T7_T9_mT8_P12ihipStream_tbDpT10_ENKUlT_T0_E_clISt17integral_constantIbLb1EES18_IbLb0EEEEDaS14_S15_EUlS14_E_NS1_11comp_targetILNS1_3genE5ELNS1_11target_archE942ELNS1_3gpuE9ELNS1_3repE0EEENS1_30default_config_static_selectorELNS0_4arch9wavefront6targetE0EEEvT1_.has_recursion, 0
	.set _ZN7rocprim17ROCPRIM_400000_NS6detail17trampoline_kernelINS0_14default_configENS1_25partition_config_selectorILNS1_17partition_subalgoE8EN3c104HalfENS0_10empty_typeEbEEZZNS1_14partition_implILS5_8ELb0ES3_jPKS7_PS8_PKS8_NS0_5tupleIJPS7_S8_EEENSG_IJSD_SD_EEENS0_18inequality_wrapperIN6hipcub16HIPCUB_304000_NS8EqualityEEEPlJS8_EEE10hipError_tPvRmT3_T4_T5_T6_T7_T9_mT8_P12ihipStream_tbDpT10_ENKUlT_T0_E_clISt17integral_constantIbLb1EES18_IbLb0EEEEDaS14_S15_EUlS14_E_NS1_11comp_targetILNS1_3genE5ELNS1_11target_archE942ELNS1_3gpuE9ELNS1_3repE0EEENS1_30default_config_static_selectorELNS0_4arch9wavefront6targetE0EEEvT1_.has_indirect_call, 0
	.section	.AMDGPU.csdata,"",@progbits
; Kernel info:
; codeLenInByte = 0
; TotalNumSgprs: 0
; NumVgprs: 0
; ScratchSize: 0
; MemoryBound: 0
; FloatMode: 240
; IeeeMode: 1
; LDSByteSize: 0 bytes/workgroup (compile time only)
; SGPRBlocks: 0
; VGPRBlocks: 0
; NumSGPRsForWavesPerEU: 1
; NumVGPRsForWavesPerEU: 1
; NamedBarCnt: 0
; Occupancy: 16
; WaveLimiterHint : 0
; COMPUTE_PGM_RSRC2:SCRATCH_EN: 0
; COMPUTE_PGM_RSRC2:USER_SGPR: 2
; COMPUTE_PGM_RSRC2:TRAP_HANDLER: 0
; COMPUTE_PGM_RSRC2:TGID_X_EN: 1
; COMPUTE_PGM_RSRC2:TGID_Y_EN: 0
; COMPUTE_PGM_RSRC2:TGID_Z_EN: 0
; COMPUTE_PGM_RSRC2:TIDIG_COMP_CNT: 0
	.section	.text._ZN7rocprim17ROCPRIM_400000_NS6detail17trampoline_kernelINS0_14default_configENS1_25partition_config_selectorILNS1_17partition_subalgoE8EN3c104HalfENS0_10empty_typeEbEEZZNS1_14partition_implILS5_8ELb0ES3_jPKS7_PS8_PKS8_NS0_5tupleIJPS7_S8_EEENSG_IJSD_SD_EEENS0_18inequality_wrapperIN6hipcub16HIPCUB_304000_NS8EqualityEEEPlJS8_EEE10hipError_tPvRmT3_T4_T5_T6_T7_T9_mT8_P12ihipStream_tbDpT10_ENKUlT_T0_E_clISt17integral_constantIbLb1EES18_IbLb0EEEEDaS14_S15_EUlS14_E_NS1_11comp_targetILNS1_3genE4ELNS1_11target_archE910ELNS1_3gpuE8ELNS1_3repE0EEENS1_30default_config_static_selectorELNS0_4arch9wavefront6targetE0EEEvT1_,"axG",@progbits,_ZN7rocprim17ROCPRIM_400000_NS6detail17trampoline_kernelINS0_14default_configENS1_25partition_config_selectorILNS1_17partition_subalgoE8EN3c104HalfENS0_10empty_typeEbEEZZNS1_14partition_implILS5_8ELb0ES3_jPKS7_PS8_PKS8_NS0_5tupleIJPS7_S8_EEENSG_IJSD_SD_EEENS0_18inequality_wrapperIN6hipcub16HIPCUB_304000_NS8EqualityEEEPlJS8_EEE10hipError_tPvRmT3_T4_T5_T6_T7_T9_mT8_P12ihipStream_tbDpT10_ENKUlT_T0_E_clISt17integral_constantIbLb1EES18_IbLb0EEEEDaS14_S15_EUlS14_E_NS1_11comp_targetILNS1_3genE4ELNS1_11target_archE910ELNS1_3gpuE8ELNS1_3repE0EEENS1_30default_config_static_selectorELNS0_4arch9wavefront6targetE0EEEvT1_,comdat
	.protected	_ZN7rocprim17ROCPRIM_400000_NS6detail17trampoline_kernelINS0_14default_configENS1_25partition_config_selectorILNS1_17partition_subalgoE8EN3c104HalfENS0_10empty_typeEbEEZZNS1_14partition_implILS5_8ELb0ES3_jPKS7_PS8_PKS8_NS0_5tupleIJPS7_S8_EEENSG_IJSD_SD_EEENS0_18inequality_wrapperIN6hipcub16HIPCUB_304000_NS8EqualityEEEPlJS8_EEE10hipError_tPvRmT3_T4_T5_T6_T7_T9_mT8_P12ihipStream_tbDpT10_ENKUlT_T0_E_clISt17integral_constantIbLb1EES18_IbLb0EEEEDaS14_S15_EUlS14_E_NS1_11comp_targetILNS1_3genE4ELNS1_11target_archE910ELNS1_3gpuE8ELNS1_3repE0EEENS1_30default_config_static_selectorELNS0_4arch9wavefront6targetE0EEEvT1_ ; -- Begin function _ZN7rocprim17ROCPRIM_400000_NS6detail17trampoline_kernelINS0_14default_configENS1_25partition_config_selectorILNS1_17partition_subalgoE8EN3c104HalfENS0_10empty_typeEbEEZZNS1_14partition_implILS5_8ELb0ES3_jPKS7_PS8_PKS8_NS0_5tupleIJPS7_S8_EEENSG_IJSD_SD_EEENS0_18inequality_wrapperIN6hipcub16HIPCUB_304000_NS8EqualityEEEPlJS8_EEE10hipError_tPvRmT3_T4_T5_T6_T7_T9_mT8_P12ihipStream_tbDpT10_ENKUlT_T0_E_clISt17integral_constantIbLb1EES18_IbLb0EEEEDaS14_S15_EUlS14_E_NS1_11comp_targetILNS1_3genE4ELNS1_11target_archE910ELNS1_3gpuE8ELNS1_3repE0EEENS1_30default_config_static_selectorELNS0_4arch9wavefront6targetE0EEEvT1_
	.globl	_ZN7rocprim17ROCPRIM_400000_NS6detail17trampoline_kernelINS0_14default_configENS1_25partition_config_selectorILNS1_17partition_subalgoE8EN3c104HalfENS0_10empty_typeEbEEZZNS1_14partition_implILS5_8ELb0ES3_jPKS7_PS8_PKS8_NS0_5tupleIJPS7_S8_EEENSG_IJSD_SD_EEENS0_18inequality_wrapperIN6hipcub16HIPCUB_304000_NS8EqualityEEEPlJS8_EEE10hipError_tPvRmT3_T4_T5_T6_T7_T9_mT8_P12ihipStream_tbDpT10_ENKUlT_T0_E_clISt17integral_constantIbLb1EES18_IbLb0EEEEDaS14_S15_EUlS14_E_NS1_11comp_targetILNS1_3genE4ELNS1_11target_archE910ELNS1_3gpuE8ELNS1_3repE0EEENS1_30default_config_static_selectorELNS0_4arch9wavefront6targetE0EEEvT1_
	.p2align	8
	.type	_ZN7rocprim17ROCPRIM_400000_NS6detail17trampoline_kernelINS0_14default_configENS1_25partition_config_selectorILNS1_17partition_subalgoE8EN3c104HalfENS0_10empty_typeEbEEZZNS1_14partition_implILS5_8ELb0ES3_jPKS7_PS8_PKS8_NS0_5tupleIJPS7_S8_EEENSG_IJSD_SD_EEENS0_18inequality_wrapperIN6hipcub16HIPCUB_304000_NS8EqualityEEEPlJS8_EEE10hipError_tPvRmT3_T4_T5_T6_T7_T9_mT8_P12ihipStream_tbDpT10_ENKUlT_T0_E_clISt17integral_constantIbLb1EES18_IbLb0EEEEDaS14_S15_EUlS14_E_NS1_11comp_targetILNS1_3genE4ELNS1_11target_archE910ELNS1_3gpuE8ELNS1_3repE0EEENS1_30default_config_static_selectorELNS0_4arch9wavefront6targetE0EEEvT1_,@function
_ZN7rocprim17ROCPRIM_400000_NS6detail17trampoline_kernelINS0_14default_configENS1_25partition_config_selectorILNS1_17partition_subalgoE8EN3c104HalfENS0_10empty_typeEbEEZZNS1_14partition_implILS5_8ELb0ES3_jPKS7_PS8_PKS8_NS0_5tupleIJPS7_S8_EEENSG_IJSD_SD_EEENS0_18inequality_wrapperIN6hipcub16HIPCUB_304000_NS8EqualityEEEPlJS8_EEE10hipError_tPvRmT3_T4_T5_T6_T7_T9_mT8_P12ihipStream_tbDpT10_ENKUlT_T0_E_clISt17integral_constantIbLb1EES18_IbLb0EEEEDaS14_S15_EUlS14_E_NS1_11comp_targetILNS1_3genE4ELNS1_11target_archE910ELNS1_3gpuE8ELNS1_3repE0EEENS1_30default_config_static_selectorELNS0_4arch9wavefront6targetE0EEEvT1_: ; @_ZN7rocprim17ROCPRIM_400000_NS6detail17trampoline_kernelINS0_14default_configENS1_25partition_config_selectorILNS1_17partition_subalgoE8EN3c104HalfENS0_10empty_typeEbEEZZNS1_14partition_implILS5_8ELb0ES3_jPKS7_PS8_PKS8_NS0_5tupleIJPS7_S8_EEENSG_IJSD_SD_EEENS0_18inequality_wrapperIN6hipcub16HIPCUB_304000_NS8EqualityEEEPlJS8_EEE10hipError_tPvRmT3_T4_T5_T6_T7_T9_mT8_P12ihipStream_tbDpT10_ENKUlT_T0_E_clISt17integral_constantIbLb1EES18_IbLb0EEEEDaS14_S15_EUlS14_E_NS1_11comp_targetILNS1_3genE4ELNS1_11target_archE910ELNS1_3gpuE8ELNS1_3repE0EEENS1_30default_config_static_selectorELNS0_4arch9wavefront6targetE0EEEvT1_
; %bb.0:
	.section	.rodata,"a",@progbits
	.p2align	6, 0x0
	.amdhsa_kernel _ZN7rocprim17ROCPRIM_400000_NS6detail17trampoline_kernelINS0_14default_configENS1_25partition_config_selectorILNS1_17partition_subalgoE8EN3c104HalfENS0_10empty_typeEbEEZZNS1_14partition_implILS5_8ELb0ES3_jPKS7_PS8_PKS8_NS0_5tupleIJPS7_S8_EEENSG_IJSD_SD_EEENS0_18inequality_wrapperIN6hipcub16HIPCUB_304000_NS8EqualityEEEPlJS8_EEE10hipError_tPvRmT3_T4_T5_T6_T7_T9_mT8_P12ihipStream_tbDpT10_ENKUlT_T0_E_clISt17integral_constantIbLb1EES18_IbLb0EEEEDaS14_S15_EUlS14_E_NS1_11comp_targetILNS1_3genE4ELNS1_11target_archE910ELNS1_3gpuE8ELNS1_3repE0EEENS1_30default_config_static_selectorELNS0_4arch9wavefront6targetE0EEEvT1_
		.amdhsa_group_segment_fixed_size 0
		.amdhsa_private_segment_fixed_size 0
		.amdhsa_kernarg_size 112
		.amdhsa_user_sgpr_count 2
		.amdhsa_user_sgpr_dispatch_ptr 0
		.amdhsa_user_sgpr_queue_ptr 0
		.amdhsa_user_sgpr_kernarg_segment_ptr 1
		.amdhsa_user_sgpr_dispatch_id 0
		.amdhsa_user_sgpr_kernarg_preload_length 0
		.amdhsa_user_sgpr_kernarg_preload_offset 0
		.amdhsa_user_sgpr_private_segment_size 0
		.amdhsa_wavefront_size32 1
		.amdhsa_uses_dynamic_stack 0
		.amdhsa_enable_private_segment 0
		.amdhsa_system_sgpr_workgroup_id_x 1
		.amdhsa_system_sgpr_workgroup_id_y 0
		.amdhsa_system_sgpr_workgroup_id_z 0
		.amdhsa_system_sgpr_workgroup_info 0
		.amdhsa_system_vgpr_workitem_id 0
		.amdhsa_next_free_vgpr 1
		.amdhsa_next_free_sgpr 1
		.amdhsa_named_barrier_count 0
		.amdhsa_reserve_vcc 0
		.amdhsa_float_round_mode_32 0
		.amdhsa_float_round_mode_16_64 0
		.amdhsa_float_denorm_mode_32 3
		.amdhsa_float_denorm_mode_16_64 3
		.amdhsa_fp16_overflow 0
		.amdhsa_memory_ordered 1
		.amdhsa_forward_progress 1
		.amdhsa_inst_pref_size 0
		.amdhsa_round_robin_scheduling 0
		.amdhsa_exception_fp_ieee_invalid_op 0
		.amdhsa_exception_fp_denorm_src 0
		.amdhsa_exception_fp_ieee_div_zero 0
		.amdhsa_exception_fp_ieee_overflow 0
		.amdhsa_exception_fp_ieee_underflow 0
		.amdhsa_exception_fp_ieee_inexact 0
		.amdhsa_exception_int_div_zero 0
	.end_amdhsa_kernel
	.section	.text._ZN7rocprim17ROCPRIM_400000_NS6detail17trampoline_kernelINS0_14default_configENS1_25partition_config_selectorILNS1_17partition_subalgoE8EN3c104HalfENS0_10empty_typeEbEEZZNS1_14partition_implILS5_8ELb0ES3_jPKS7_PS8_PKS8_NS0_5tupleIJPS7_S8_EEENSG_IJSD_SD_EEENS0_18inequality_wrapperIN6hipcub16HIPCUB_304000_NS8EqualityEEEPlJS8_EEE10hipError_tPvRmT3_T4_T5_T6_T7_T9_mT8_P12ihipStream_tbDpT10_ENKUlT_T0_E_clISt17integral_constantIbLb1EES18_IbLb0EEEEDaS14_S15_EUlS14_E_NS1_11comp_targetILNS1_3genE4ELNS1_11target_archE910ELNS1_3gpuE8ELNS1_3repE0EEENS1_30default_config_static_selectorELNS0_4arch9wavefront6targetE0EEEvT1_,"axG",@progbits,_ZN7rocprim17ROCPRIM_400000_NS6detail17trampoline_kernelINS0_14default_configENS1_25partition_config_selectorILNS1_17partition_subalgoE8EN3c104HalfENS0_10empty_typeEbEEZZNS1_14partition_implILS5_8ELb0ES3_jPKS7_PS8_PKS8_NS0_5tupleIJPS7_S8_EEENSG_IJSD_SD_EEENS0_18inequality_wrapperIN6hipcub16HIPCUB_304000_NS8EqualityEEEPlJS8_EEE10hipError_tPvRmT3_T4_T5_T6_T7_T9_mT8_P12ihipStream_tbDpT10_ENKUlT_T0_E_clISt17integral_constantIbLb1EES18_IbLb0EEEEDaS14_S15_EUlS14_E_NS1_11comp_targetILNS1_3genE4ELNS1_11target_archE910ELNS1_3gpuE8ELNS1_3repE0EEENS1_30default_config_static_selectorELNS0_4arch9wavefront6targetE0EEEvT1_,comdat
.Lfunc_end911:
	.size	_ZN7rocprim17ROCPRIM_400000_NS6detail17trampoline_kernelINS0_14default_configENS1_25partition_config_selectorILNS1_17partition_subalgoE8EN3c104HalfENS0_10empty_typeEbEEZZNS1_14partition_implILS5_8ELb0ES3_jPKS7_PS8_PKS8_NS0_5tupleIJPS7_S8_EEENSG_IJSD_SD_EEENS0_18inequality_wrapperIN6hipcub16HIPCUB_304000_NS8EqualityEEEPlJS8_EEE10hipError_tPvRmT3_T4_T5_T6_T7_T9_mT8_P12ihipStream_tbDpT10_ENKUlT_T0_E_clISt17integral_constantIbLb1EES18_IbLb0EEEEDaS14_S15_EUlS14_E_NS1_11comp_targetILNS1_3genE4ELNS1_11target_archE910ELNS1_3gpuE8ELNS1_3repE0EEENS1_30default_config_static_selectorELNS0_4arch9wavefront6targetE0EEEvT1_, .Lfunc_end911-_ZN7rocprim17ROCPRIM_400000_NS6detail17trampoline_kernelINS0_14default_configENS1_25partition_config_selectorILNS1_17partition_subalgoE8EN3c104HalfENS0_10empty_typeEbEEZZNS1_14partition_implILS5_8ELb0ES3_jPKS7_PS8_PKS8_NS0_5tupleIJPS7_S8_EEENSG_IJSD_SD_EEENS0_18inequality_wrapperIN6hipcub16HIPCUB_304000_NS8EqualityEEEPlJS8_EEE10hipError_tPvRmT3_T4_T5_T6_T7_T9_mT8_P12ihipStream_tbDpT10_ENKUlT_T0_E_clISt17integral_constantIbLb1EES18_IbLb0EEEEDaS14_S15_EUlS14_E_NS1_11comp_targetILNS1_3genE4ELNS1_11target_archE910ELNS1_3gpuE8ELNS1_3repE0EEENS1_30default_config_static_selectorELNS0_4arch9wavefront6targetE0EEEvT1_
                                        ; -- End function
	.set _ZN7rocprim17ROCPRIM_400000_NS6detail17trampoline_kernelINS0_14default_configENS1_25partition_config_selectorILNS1_17partition_subalgoE8EN3c104HalfENS0_10empty_typeEbEEZZNS1_14partition_implILS5_8ELb0ES3_jPKS7_PS8_PKS8_NS0_5tupleIJPS7_S8_EEENSG_IJSD_SD_EEENS0_18inequality_wrapperIN6hipcub16HIPCUB_304000_NS8EqualityEEEPlJS8_EEE10hipError_tPvRmT3_T4_T5_T6_T7_T9_mT8_P12ihipStream_tbDpT10_ENKUlT_T0_E_clISt17integral_constantIbLb1EES18_IbLb0EEEEDaS14_S15_EUlS14_E_NS1_11comp_targetILNS1_3genE4ELNS1_11target_archE910ELNS1_3gpuE8ELNS1_3repE0EEENS1_30default_config_static_selectorELNS0_4arch9wavefront6targetE0EEEvT1_.num_vgpr, 0
	.set _ZN7rocprim17ROCPRIM_400000_NS6detail17trampoline_kernelINS0_14default_configENS1_25partition_config_selectorILNS1_17partition_subalgoE8EN3c104HalfENS0_10empty_typeEbEEZZNS1_14partition_implILS5_8ELb0ES3_jPKS7_PS8_PKS8_NS0_5tupleIJPS7_S8_EEENSG_IJSD_SD_EEENS0_18inequality_wrapperIN6hipcub16HIPCUB_304000_NS8EqualityEEEPlJS8_EEE10hipError_tPvRmT3_T4_T5_T6_T7_T9_mT8_P12ihipStream_tbDpT10_ENKUlT_T0_E_clISt17integral_constantIbLb1EES18_IbLb0EEEEDaS14_S15_EUlS14_E_NS1_11comp_targetILNS1_3genE4ELNS1_11target_archE910ELNS1_3gpuE8ELNS1_3repE0EEENS1_30default_config_static_selectorELNS0_4arch9wavefront6targetE0EEEvT1_.num_agpr, 0
	.set _ZN7rocprim17ROCPRIM_400000_NS6detail17trampoline_kernelINS0_14default_configENS1_25partition_config_selectorILNS1_17partition_subalgoE8EN3c104HalfENS0_10empty_typeEbEEZZNS1_14partition_implILS5_8ELb0ES3_jPKS7_PS8_PKS8_NS0_5tupleIJPS7_S8_EEENSG_IJSD_SD_EEENS0_18inequality_wrapperIN6hipcub16HIPCUB_304000_NS8EqualityEEEPlJS8_EEE10hipError_tPvRmT3_T4_T5_T6_T7_T9_mT8_P12ihipStream_tbDpT10_ENKUlT_T0_E_clISt17integral_constantIbLb1EES18_IbLb0EEEEDaS14_S15_EUlS14_E_NS1_11comp_targetILNS1_3genE4ELNS1_11target_archE910ELNS1_3gpuE8ELNS1_3repE0EEENS1_30default_config_static_selectorELNS0_4arch9wavefront6targetE0EEEvT1_.numbered_sgpr, 0
	.set _ZN7rocprim17ROCPRIM_400000_NS6detail17trampoline_kernelINS0_14default_configENS1_25partition_config_selectorILNS1_17partition_subalgoE8EN3c104HalfENS0_10empty_typeEbEEZZNS1_14partition_implILS5_8ELb0ES3_jPKS7_PS8_PKS8_NS0_5tupleIJPS7_S8_EEENSG_IJSD_SD_EEENS0_18inequality_wrapperIN6hipcub16HIPCUB_304000_NS8EqualityEEEPlJS8_EEE10hipError_tPvRmT3_T4_T5_T6_T7_T9_mT8_P12ihipStream_tbDpT10_ENKUlT_T0_E_clISt17integral_constantIbLb1EES18_IbLb0EEEEDaS14_S15_EUlS14_E_NS1_11comp_targetILNS1_3genE4ELNS1_11target_archE910ELNS1_3gpuE8ELNS1_3repE0EEENS1_30default_config_static_selectorELNS0_4arch9wavefront6targetE0EEEvT1_.num_named_barrier, 0
	.set _ZN7rocprim17ROCPRIM_400000_NS6detail17trampoline_kernelINS0_14default_configENS1_25partition_config_selectorILNS1_17partition_subalgoE8EN3c104HalfENS0_10empty_typeEbEEZZNS1_14partition_implILS5_8ELb0ES3_jPKS7_PS8_PKS8_NS0_5tupleIJPS7_S8_EEENSG_IJSD_SD_EEENS0_18inequality_wrapperIN6hipcub16HIPCUB_304000_NS8EqualityEEEPlJS8_EEE10hipError_tPvRmT3_T4_T5_T6_T7_T9_mT8_P12ihipStream_tbDpT10_ENKUlT_T0_E_clISt17integral_constantIbLb1EES18_IbLb0EEEEDaS14_S15_EUlS14_E_NS1_11comp_targetILNS1_3genE4ELNS1_11target_archE910ELNS1_3gpuE8ELNS1_3repE0EEENS1_30default_config_static_selectorELNS0_4arch9wavefront6targetE0EEEvT1_.private_seg_size, 0
	.set _ZN7rocprim17ROCPRIM_400000_NS6detail17trampoline_kernelINS0_14default_configENS1_25partition_config_selectorILNS1_17partition_subalgoE8EN3c104HalfENS0_10empty_typeEbEEZZNS1_14partition_implILS5_8ELb0ES3_jPKS7_PS8_PKS8_NS0_5tupleIJPS7_S8_EEENSG_IJSD_SD_EEENS0_18inequality_wrapperIN6hipcub16HIPCUB_304000_NS8EqualityEEEPlJS8_EEE10hipError_tPvRmT3_T4_T5_T6_T7_T9_mT8_P12ihipStream_tbDpT10_ENKUlT_T0_E_clISt17integral_constantIbLb1EES18_IbLb0EEEEDaS14_S15_EUlS14_E_NS1_11comp_targetILNS1_3genE4ELNS1_11target_archE910ELNS1_3gpuE8ELNS1_3repE0EEENS1_30default_config_static_selectorELNS0_4arch9wavefront6targetE0EEEvT1_.uses_vcc, 0
	.set _ZN7rocprim17ROCPRIM_400000_NS6detail17trampoline_kernelINS0_14default_configENS1_25partition_config_selectorILNS1_17partition_subalgoE8EN3c104HalfENS0_10empty_typeEbEEZZNS1_14partition_implILS5_8ELb0ES3_jPKS7_PS8_PKS8_NS0_5tupleIJPS7_S8_EEENSG_IJSD_SD_EEENS0_18inequality_wrapperIN6hipcub16HIPCUB_304000_NS8EqualityEEEPlJS8_EEE10hipError_tPvRmT3_T4_T5_T6_T7_T9_mT8_P12ihipStream_tbDpT10_ENKUlT_T0_E_clISt17integral_constantIbLb1EES18_IbLb0EEEEDaS14_S15_EUlS14_E_NS1_11comp_targetILNS1_3genE4ELNS1_11target_archE910ELNS1_3gpuE8ELNS1_3repE0EEENS1_30default_config_static_selectorELNS0_4arch9wavefront6targetE0EEEvT1_.uses_flat_scratch, 0
	.set _ZN7rocprim17ROCPRIM_400000_NS6detail17trampoline_kernelINS0_14default_configENS1_25partition_config_selectorILNS1_17partition_subalgoE8EN3c104HalfENS0_10empty_typeEbEEZZNS1_14partition_implILS5_8ELb0ES3_jPKS7_PS8_PKS8_NS0_5tupleIJPS7_S8_EEENSG_IJSD_SD_EEENS0_18inequality_wrapperIN6hipcub16HIPCUB_304000_NS8EqualityEEEPlJS8_EEE10hipError_tPvRmT3_T4_T5_T6_T7_T9_mT8_P12ihipStream_tbDpT10_ENKUlT_T0_E_clISt17integral_constantIbLb1EES18_IbLb0EEEEDaS14_S15_EUlS14_E_NS1_11comp_targetILNS1_3genE4ELNS1_11target_archE910ELNS1_3gpuE8ELNS1_3repE0EEENS1_30default_config_static_selectorELNS0_4arch9wavefront6targetE0EEEvT1_.has_dyn_sized_stack, 0
	.set _ZN7rocprim17ROCPRIM_400000_NS6detail17trampoline_kernelINS0_14default_configENS1_25partition_config_selectorILNS1_17partition_subalgoE8EN3c104HalfENS0_10empty_typeEbEEZZNS1_14partition_implILS5_8ELb0ES3_jPKS7_PS8_PKS8_NS0_5tupleIJPS7_S8_EEENSG_IJSD_SD_EEENS0_18inequality_wrapperIN6hipcub16HIPCUB_304000_NS8EqualityEEEPlJS8_EEE10hipError_tPvRmT3_T4_T5_T6_T7_T9_mT8_P12ihipStream_tbDpT10_ENKUlT_T0_E_clISt17integral_constantIbLb1EES18_IbLb0EEEEDaS14_S15_EUlS14_E_NS1_11comp_targetILNS1_3genE4ELNS1_11target_archE910ELNS1_3gpuE8ELNS1_3repE0EEENS1_30default_config_static_selectorELNS0_4arch9wavefront6targetE0EEEvT1_.has_recursion, 0
	.set _ZN7rocprim17ROCPRIM_400000_NS6detail17trampoline_kernelINS0_14default_configENS1_25partition_config_selectorILNS1_17partition_subalgoE8EN3c104HalfENS0_10empty_typeEbEEZZNS1_14partition_implILS5_8ELb0ES3_jPKS7_PS8_PKS8_NS0_5tupleIJPS7_S8_EEENSG_IJSD_SD_EEENS0_18inequality_wrapperIN6hipcub16HIPCUB_304000_NS8EqualityEEEPlJS8_EEE10hipError_tPvRmT3_T4_T5_T6_T7_T9_mT8_P12ihipStream_tbDpT10_ENKUlT_T0_E_clISt17integral_constantIbLb1EES18_IbLb0EEEEDaS14_S15_EUlS14_E_NS1_11comp_targetILNS1_3genE4ELNS1_11target_archE910ELNS1_3gpuE8ELNS1_3repE0EEENS1_30default_config_static_selectorELNS0_4arch9wavefront6targetE0EEEvT1_.has_indirect_call, 0
	.section	.AMDGPU.csdata,"",@progbits
; Kernel info:
; codeLenInByte = 0
; TotalNumSgprs: 0
; NumVgprs: 0
; ScratchSize: 0
; MemoryBound: 0
; FloatMode: 240
; IeeeMode: 1
; LDSByteSize: 0 bytes/workgroup (compile time only)
; SGPRBlocks: 0
; VGPRBlocks: 0
; NumSGPRsForWavesPerEU: 1
; NumVGPRsForWavesPerEU: 1
; NamedBarCnt: 0
; Occupancy: 16
; WaveLimiterHint : 0
; COMPUTE_PGM_RSRC2:SCRATCH_EN: 0
; COMPUTE_PGM_RSRC2:USER_SGPR: 2
; COMPUTE_PGM_RSRC2:TRAP_HANDLER: 0
; COMPUTE_PGM_RSRC2:TGID_X_EN: 1
; COMPUTE_PGM_RSRC2:TGID_Y_EN: 0
; COMPUTE_PGM_RSRC2:TGID_Z_EN: 0
; COMPUTE_PGM_RSRC2:TIDIG_COMP_CNT: 0
	.section	.text._ZN7rocprim17ROCPRIM_400000_NS6detail17trampoline_kernelINS0_14default_configENS1_25partition_config_selectorILNS1_17partition_subalgoE8EN3c104HalfENS0_10empty_typeEbEEZZNS1_14partition_implILS5_8ELb0ES3_jPKS7_PS8_PKS8_NS0_5tupleIJPS7_S8_EEENSG_IJSD_SD_EEENS0_18inequality_wrapperIN6hipcub16HIPCUB_304000_NS8EqualityEEEPlJS8_EEE10hipError_tPvRmT3_T4_T5_T6_T7_T9_mT8_P12ihipStream_tbDpT10_ENKUlT_T0_E_clISt17integral_constantIbLb1EES18_IbLb0EEEEDaS14_S15_EUlS14_E_NS1_11comp_targetILNS1_3genE3ELNS1_11target_archE908ELNS1_3gpuE7ELNS1_3repE0EEENS1_30default_config_static_selectorELNS0_4arch9wavefront6targetE0EEEvT1_,"axG",@progbits,_ZN7rocprim17ROCPRIM_400000_NS6detail17trampoline_kernelINS0_14default_configENS1_25partition_config_selectorILNS1_17partition_subalgoE8EN3c104HalfENS0_10empty_typeEbEEZZNS1_14partition_implILS5_8ELb0ES3_jPKS7_PS8_PKS8_NS0_5tupleIJPS7_S8_EEENSG_IJSD_SD_EEENS0_18inequality_wrapperIN6hipcub16HIPCUB_304000_NS8EqualityEEEPlJS8_EEE10hipError_tPvRmT3_T4_T5_T6_T7_T9_mT8_P12ihipStream_tbDpT10_ENKUlT_T0_E_clISt17integral_constantIbLb1EES18_IbLb0EEEEDaS14_S15_EUlS14_E_NS1_11comp_targetILNS1_3genE3ELNS1_11target_archE908ELNS1_3gpuE7ELNS1_3repE0EEENS1_30default_config_static_selectorELNS0_4arch9wavefront6targetE0EEEvT1_,comdat
	.protected	_ZN7rocprim17ROCPRIM_400000_NS6detail17trampoline_kernelINS0_14default_configENS1_25partition_config_selectorILNS1_17partition_subalgoE8EN3c104HalfENS0_10empty_typeEbEEZZNS1_14partition_implILS5_8ELb0ES3_jPKS7_PS8_PKS8_NS0_5tupleIJPS7_S8_EEENSG_IJSD_SD_EEENS0_18inequality_wrapperIN6hipcub16HIPCUB_304000_NS8EqualityEEEPlJS8_EEE10hipError_tPvRmT3_T4_T5_T6_T7_T9_mT8_P12ihipStream_tbDpT10_ENKUlT_T0_E_clISt17integral_constantIbLb1EES18_IbLb0EEEEDaS14_S15_EUlS14_E_NS1_11comp_targetILNS1_3genE3ELNS1_11target_archE908ELNS1_3gpuE7ELNS1_3repE0EEENS1_30default_config_static_selectorELNS0_4arch9wavefront6targetE0EEEvT1_ ; -- Begin function _ZN7rocprim17ROCPRIM_400000_NS6detail17trampoline_kernelINS0_14default_configENS1_25partition_config_selectorILNS1_17partition_subalgoE8EN3c104HalfENS0_10empty_typeEbEEZZNS1_14partition_implILS5_8ELb0ES3_jPKS7_PS8_PKS8_NS0_5tupleIJPS7_S8_EEENSG_IJSD_SD_EEENS0_18inequality_wrapperIN6hipcub16HIPCUB_304000_NS8EqualityEEEPlJS8_EEE10hipError_tPvRmT3_T4_T5_T6_T7_T9_mT8_P12ihipStream_tbDpT10_ENKUlT_T0_E_clISt17integral_constantIbLb1EES18_IbLb0EEEEDaS14_S15_EUlS14_E_NS1_11comp_targetILNS1_3genE3ELNS1_11target_archE908ELNS1_3gpuE7ELNS1_3repE0EEENS1_30default_config_static_selectorELNS0_4arch9wavefront6targetE0EEEvT1_
	.globl	_ZN7rocprim17ROCPRIM_400000_NS6detail17trampoline_kernelINS0_14default_configENS1_25partition_config_selectorILNS1_17partition_subalgoE8EN3c104HalfENS0_10empty_typeEbEEZZNS1_14partition_implILS5_8ELb0ES3_jPKS7_PS8_PKS8_NS0_5tupleIJPS7_S8_EEENSG_IJSD_SD_EEENS0_18inequality_wrapperIN6hipcub16HIPCUB_304000_NS8EqualityEEEPlJS8_EEE10hipError_tPvRmT3_T4_T5_T6_T7_T9_mT8_P12ihipStream_tbDpT10_ENKUlT_T0_E_clISt17integral_constantIbLb1EES18_IbLb0EEEEDaS14_S15_EUlS14_E_NS1_11comp_targetILNS1_3genE3ELNS1_11target_archE908ELNS1_3gpuE7ELNS1_3repE0EEENS1_30default_config_static_selectorELNS0_4arch9wavefront6targetE0EEEvT1_
	.p2align	8
	.type	_ZN7rocprim17ROCPRIM_400000_NS6detail17trampoline_kernelINS0_14default_configENS1_25partition_config_selectorILNS1_17partition_subalgoE8EN3c104HalfENS0_10empty_typeEbEEZZNS1_14partition_implILS5_8ELb0ES3_jPKS7_PS8_PKS8_NS0_5tupleIJPS7_S8_EEENSG_IJSD_SD_EEENS0_18inequality_wrapperIN6hipcub16HIPCUB_304000_NS8EqualityEEEPlJS8_EEE10hipError_tPvRmT3_T4_T5_T6_T7_T9_mT8_P12ihipStream_tbDpT10_ENKUlT_T0_E_clISt17integral_constantIbLb1EES18_IbLb0EEEEDaS14_S15_EUlS14_E_NS1_11comp_targetILNS1_3genE3ELNS1_11target_archE908ELNS1_3gpuE7ELNS1_3repE0EEENS1_30default_config_static_selectorELNS0_4arch9wavefront6targetE0EEEvT1_,@function
_ZN7rocprim17ROCPRIM_400000_NS6detail17trampoline_kernelINS0_14default_configENS1_25partition_config_selectorILNS1_17partition_subalgoE8EN3c104HalfENS0_10empty_typeEbEEZZNS1_14partition_implILS5_8ELb0ES3_jPKS7_PS8_PKS8_NS0_5tupleIJPS7_S8_EEENSG_IJSD_SD_EEENS0_18inequality_wrapperIN6hipcub16HIPCUB_304000_NS8EqualityEEEPlJS8_EEE10hipError_tPvRmT3_T4_T5_T6_T7_T9_mT8_P12ihipStream_tbDpT10_ENKUlT_T0_E_clISt17integral_constantIbLb1EES18_IbLb0EEEEDaS14_S15_EUlS14_E_NS1_11comp_targetILNS1_3genE3ELNS1_11target_archE908ELNS1_3gpuE7ELNS1_3repE0EEENS1_30default_config_static_selectorELNS0_4arch9wavefront6targetE0EEEvT1_: ; @_ZN7rocprim17ROCPRIM_400000_NS6detail17trampoline_kernelINS0_14default_configENS1_25partition_config_selectorILNS1_17partition_subalgoE8EN3c104HalfENS0_10empty_typeEbEEZZNS1_14partition_implILS5_8ELb0ES3_jPKS7_PS8_PKS8_NS0_5tupleIJPS7_S8_EEENSG_IJSD_SD_EEENS0_18inequality_wrapperIN6hipcub16HIPCUB_304000_NS8EqualityEEEPlJS8_EEE10hipError_tPvRmT3_T4_T5_T6_T7_T9_mT8_P12ihipStream_tbDpT10_ENKUlT_T0_E_clISt17integral_constantIbLb1EES18_IbLb0EEEEDaS14_S15_EUlS14_E_NS1_11comp_targetILNS1_3genE3ELNS1_11target_archE908ELNS1_3gpuE7ELNS1_3repE0EEENS1_30default_config_static_selectorELNS0_4arch9wavefront6targetE0EEEvT1_
; %bb.0:
	.section	.rodata,"a",@progbits
	.p2align	6, 0x0
	.amdhsa_kernel _ZN7rocprim17ROCPRIM_400000_NS6detail17trampoline_kernelINS0_14default_configENS1_25partition_config_selectorILNS1_17partition_subalgoE8EN3c104HalfENS0_10empty_typeEbEEZZNS1_14partition_implILS5_8ELb0ES3_jPKS7_PS8_PKS8_NS0_5tupleIJPS7_S8_EEENSG_IJSD_SD_EEENS0_18inequality_wrapperIN6hipcub16HIPCUB_304000_NS8EqualityEEEPlJS8_EEE10hipError_tPvRmT3_T4_T5_T6_T7_T9_mT8_P12ihipStream_tbDpT10_ENKUlT_T0_E_clISt17integral_constantIbLb1EES18_IbLb0EEEEDaS14_S15_EUlS14_E_NS1_11comp_targetILNS1_3genE3ELNS1_11target_archE908ELNS1_3gpuE7ELNS1_3repE0EEENS1_30default_config_static_selectorELNS0_4arch9wavefront6targetE0EEEvT1_
		.amdhsa_group_segment_fixed_size 0
		.amdhsa_private_segment_fixed_size 0
		.amdhsa_kernarg_size 112
		.amdhsa_user_sgpr_count 2
		.amdhsa_user_sgpr_dispatch_ptr 0
		.amdhsa_user_sgpr_queue_ptr 0
		.amdhsa_user_sgpr_kernarg_segment_ptr 1
		.amdhsa_user_sgpr_dispatch_id 0
		.amdhsa_user_sgpr_kernarg_preload_length 0
		.amdhsa_user_sgpr_kernarg_preload_offset 0
		.amdhsa_user_sgpr_private_segment_size 0
		.amdhsa_wavefront_size32 1
		.amdhsa_uses_dynamic_stack 0
		.amdhsa_enable_private_segment 0
		.amdhsa_system_sgpr_workgroup_id_x 1
		.amdhsa_system_sgpr_workgroup_id_y 0
		.amdhsa_system_sgpr_workgroup_id_z 0
		.amdhsa_system_sgpr_workgroup_info 0
		.amdhsa_system_vgpr_workitem_id 0
		.amdhsa_next_free_vgpr 1
		.amdhsa_next_free_sgpr 1
		.amdhsa_named_barrier_count 0
		.amdhsa_reserve_vcc 0
		.amdhsa_float_round_mode_32 0
		.amdhsa_float_round_mode_16_64 0
		.amdhsa_float_denorm_mode_32 3
		.amdhsa_float_denorm_mode_16_64 3
		.amdhsa_fp16_overflow 0
		.amdhsa_memory_ordered 1
		.amdhsa_forward_progress 1
		.amdhsa_inst_pref_size 0
		.amdhsa_round_robin_scheduling 0
		.amdhsa_exception_fp_ieee_invalid_op 0
		.amdhsa_exception_fp_denorm_src 0
		.amdhsa_exception_fp_ieee_div_zero 0
		.amdhsa_exception_fp_ieee_overflow 0
		.amdhsa_exception_fp_ieee_underflow 0
		.amdhsa_exception_fp_ieee_inexact 0
		.amdhsa_exception_int_div_zero 0
	.end_amdhsa_kernel
	.section	.text._ZN7rocprim17ROCPRIM_400000_NS6detail17trampoline_kernelINS0_14default_configENS1_25partition_config_selectorILNS1_17partition_subalgoE8EN3c104HalfENS0_10empty_typeEbEEZZNS1_14partition_implILS5_8ELb0ES3_jPKS7_PS8_PKS8_NS0_5tupleIJPS7_S8_EEENSG_IJSD_SD_EEENS0_18inequality_wrapperIN6hipcub16HIPCUB_304000_NS8EqualityEEEPlJS8_EEE10hipError_tPvRmT3_T4_T5_T6_T7_T9_mT8_P12ihipStream_tbDpT10_ENKUlT_T0_E_clISt17integral_constantIbLb1EES18_IbLb0EEEEDaS14_S15_EUlS14_E_NS1_11comp_targetILNS1_3genE3ELNS1_11target_archE908ELNS1_3gpuE7ELNS1_3repE0EEENS1_30default_config_static_selectorELNS0_4arch9wavefront6targetE0EEEvT1_,"axG",@progbits,_ZN7rocprim17ROCPRIM_400000_NS6detail17trampoline_kernelINS0_14default_configENS1_25partition_config_selectorILNS1_17partition_subalgoE8EN3c104HalfENS0_10empty_typeEbEEZZNS1_14partition_implILS5_8ELb0ES3_jPKS7_PS8_PKS8_NS0_5tupleIJPS7_S8_EEENSG_IJSD_SD_EEENS0_18inequality_wrapperIN6hipcub16HIPCUB_304000_NS8EqualityEEEPlJS8_EEE10hipError_tPvRmT3_T4_T5_T6_T7_T9_mT8_P12ihipStream_tbDpT10_ENKUlT_T0_E_clISt17integral_constantIbLb1EES18_IbLb0EEEEDaS14_S15_EUlS14_E_NS1_11comp_targetILNS1_3genE3ELNS1_11target_archE908ELNS1_3gpuE7ELNS1_3repE0EEENS1_30default_config_static_selectorELNS0_4arch9wavefront6targetE0EEEvT1_,comdat
.Lfunc_end912:
	.size	_ZN7rocprim17ROCPRIM_400000_NS6detail17trampoline_kernelINS0_14default_configENS1_25partition_config_selectorILNS1_17partition_subalgoE8EN3c104HalfENS0_10empty_typeEbEEZZNS1_14partition_implILS5_8ELb0ES3_jPKS7_PS8_PKS8_NS0_5tupleIJPS7_S8_EEENSG_IJSD_SD_EEENS0_18inequality_wrapperIN6hipcub16HIPCUB_304000_NS8EqualityEEEPlJS8_EEE10hipError_tPvRmT3_T4_T5_T6_T7_T9_mT8_P12ihipStream_tbDpT10_ENKUlT_T0_E_clISt17integral_constantIbLb1EES18_IbLb0EEEEDaS14_S15_EUlS14_E_NS1_11comp_targetILNS1_3genE3ELNS1_11target_archE908ELNS1_3gpuE7ELNS1_3repE0EEENS1_30default_config_static_selectorELNS0_4arch9wavefront6targetE0EEEvT1_, .Lfunc_end912-_ZN7rocprim17ROCPRIM_400000_NS6detail17trampoline_kernelINS0_14default_configENS1_25partition_config_selectorILNS1_17partition_subalgoE8EN3c104HalfENS0_10empty_typeEbEEZZNS1_14partition_implILS5_8ELb0ES3_jPKS7_PS8_PKS8_NS0_5tupleIJPS7_S8_EEENSG_IJSD_SD_EEENS0_18inequality_wrapperIN6hipcub16HIPCUB_304000_NS8EqualityEEEPlJS8_EEE10hipError_tPvRmT3_T4_T5_T6_T7_T9_mT8_P12ihipStream_tbDpT10_ENKUlT_T0_E_clISt17integral_constantIbLb1EES18_IbLb0EEEEDaS14_S15_EUlS14_E_NS1_11comp_targetILNS1_3genE3ELNS1_11target_archE908ELNS1_3gpuE7ELNS1_3repE0EEENS1_30default_config_static_selectorELNS0_4arch9wavefront6targetE0EEEvT1_
                                        ; -- End function
	.set _ZN7rocprim17ROCPRIM_400000_NS6detail17trampoline_kernelINS0_14default_configENS1_25partition_config_selectorILNS1_17partition_subalgoE8EN3c104HalfENS0_10empty_typeEbEEZZNS1_14partition_implILS5_8ELb0ES3_jPKS7_PS8_PKS8_NS0_5tupleIJPS7_S8_EEENSG_IJSD_SD_EEENS0_18inequality_wrapperIN6hipcub16HIPCUB_304000_NS8EqualityEEEPlJS8_EEE10hipError_tPvRmT3_T4_T5_T6_T7_T9_mT8_P12ihipStream_tbDpT10_ENKUlT_T0_E_clISt17integral_constantIbLb1EES18_IbLb0EEEEDaS14_S15_EUlS14_E_NS1_11comp_targetILNS1_3genE3ELNS1_11target_archE908ELNS1_3gpuE7ELNS1_3repE0EEENS1_30default_config_static_selectorELNS0_4arch9wavefront6targetE0EEEvT1_.num_vgpr, 0
	.set _ZN7rocprim17ROCPRIM_400000_NS6detail17trampoline_kernelINS0_14default_configENS1_25partition_config_selectorILNS1_17partition_subalgoE8EN3c104HalfENS0_10empty_typeEbEEZZNS1_14partition_implILS5_8ELb0ES3_jPKS7_PS8_PKS8_NS0_5tupleIJPS7_S8_EEENSG_IJSD_SD_EEENS0_18inequality_wrapperIN6hipcub16HIPCUB_304000_NS8EqualityEEEPlJS8_EEE10hipError_tPvRmT3_T4_T5_T6_T7_T9_mT8_P12ihipStream_tbDpT10_ENKUlT_T0_E_clISt17integral_constantIbLb1EES18_IbLb0EEEEDaS14_S15_EUlS14_E_NS1_11comp_targetILNS1_3genE3ELNS1_11target_archE908ELNS1_3gpuE7ELNS1_3repE0EEENS1_30default_config_static_selectorELNS0_4arch9wavefront6targetE0EEEvT1_.num_agpr, 0
	.set _ZN7rocprim17ROCPRIM_400000_NS6detail17trampoline_kernelINS0_14default_configENS1_25partition_config_selectorILNS1_17partition_subalgoE8EN3c104HalfENS0_10empty_typeEbEEZZNS1_14partition_implILS5_8ELb0ES3_jPKS7_PS8_PKS8_NS0_5tupleIJPS7_S8_EEENSG_IJSD_SD_EEENS0_18inequality_wrapperIN6hipcub16HIPCUB_304000_NS8EqualityEEEPlJS8_EEE10hipError_tPvRmT3_T4_T5_T6_T7_T9_mT8_P12ihipStream_tbDpT10_ENKUlT_T0_E_clISt17integral_constantIbLb1EES18_IbLb0EEEEDaS14_S15_EUlS14_E_NS1_11comp_targetILNS1_3genE3ELNS1_11target_archE908ELNS1_3gpuE7ELNS1_3repE0EEENS1_30default_config_static_selectorELNS0_4arch9wavefront6targetE0EEEvT1_.numbered_sgpr, 0
	.set _ZN7rocprim17ROCPRIM_400000_NS6detail17trampoline_kernelINS0_14default_configENS1_25partition_config_selectorILNS1_17partition_subalgoE8EN3c104HalfENS0_10empty_typeEbEEZZNS1_14partition_implILS5_8ELb0ES3_jPKS7_PS8_PKS8_NS0_5tupleIJPS7_S8_EEENSG_IJSD_SD_EEENS0_18inequality_wrapperIN6hipcub16HIPCUB_304000_NS8EqualityEEEPlJS8_EEE10hipError_tPvRmT3_T4_T5_T6_T7_T9_mT8_P12ihipStream_tbDpT10_ENKUlT_T0_E_clISt17integral_constantIbLb1EES18_IbLb0EEEEDaS14_S15_EUlS14_E_NS1_11comp_targetILNS1_3genE3ELNS1_11target_archE908ELNS1_3gpuE7ELNS1_3repE0EEENS1_30default_config_static_selectorELNS0_4arch9wavefront6targetE0EEEvT1_.num_named_barrier, 0
	.set _ZN7rocprim17ROCPRIM_400000_NS6detail17trampoline_kernelINS0_14default_configENS1_25partition_config_selectorILNS1_17partition_subalgoE8EN3c104HalfENS0_10empty_typeEbEEZZNS1_14partition_implILS5_8ELb0ES3_jPKS7_PS8_PKS8_NS0_5tupleIJPS7_S8_EEENSG_IJSD_SD_EEENS0_18inequality_wrapperIN6hipcub16HIPCUB_304000_NS8EqualityEEEPlJS8_EEE10hipError_tPvRmT3_T4_T5_T6_T7_T9_mT8_P12ihipStream_tbDpT10_ENKUlT_T0_E_clISt17integral_constantIbLb1EES18_IbLb0EEEEDaS14_S15_EUlS14_E_NS1_11comp_targetILNS1_3genE3ELNS1_11target_archE908ELNS1_3gpuE7ELNS1_3repE0EEENS1_30default_config_static_selectorELNS0_4arch9wavefront6targetE0EEEvT1_.private_seg_size, 0
	.set _ZN7rocprim17ROCPRIM_400000_NS6detail17trampoline_kernelINS0_14default_configENS1_25partition_config_selectorILNS1_17partition_subalgoE8EN3c104HalfENS0_10empty_typeEbEEZZNS1_14partition_implILS5_8ELb0ES3_jPKS7_PS8_PKS8_NS0_5tupleIJPS7_S8_EEENSG_IJSD_SD_EEENS0_18inequality_wrapperIN6hipcub16HIPCUB_304000_NS8EqualityEEEPlJS8_EEE10hipError_tPvRmT3_T4_T5_T6_T7_T9_mT8_P12ihipStream_tbDpT10_ENKUlT_T0_E_clISt17integral_constantIbLb1EES18_IbLb0EEEEDaS14_S15_EUlS14_E_NS1_11comp_targetILNS1_3genE3ELNS1_11target_archE908ELNS1_3gpuE7ELNS1_3repE0EEENS1_30default_config_static_selectorELNS0_4arch9wavefront6targetE0EEEvT1_.uses_vcc, 0
	.set _ZN7rocprim17ROCPRIM_400000_NS6detail17trampoline_kernelINS0_14default_configENS1_25partition_config_selectorILNS1_17partition_subalgoE8EN3c104HalfENS0_10empty_typeEbEEZZNS1_14partition_implILS5_8ELb0ES3_jPKS7_PS8_PKS8_NS0_5tupleIJPS7_S8_EEENSG_IJSD_SD_EEENS0_18inequality_wrapperIN6hipcub16HIPCUB_304000_NS8EqualityEEEPlJS8_EEE10hipError_tPvRmT3_T4_T5_T6_T7_T9_mT8_P12ihipStream_tbDpT10_ENKUlT_T0_E_clISt17integral_constantIbLb1EES18_IbLb0EEEEDaS14_S15_EUlS14_E_NS1_11comp_targetILNS1_3genE3ELNS1_11target_archE908ELNS1_3gpuE7ELNS1_3repE0EEENS1_30default_config_static_selectorELNS0_4arch9wavefront6targetE0EEEvT1_.uses_flat_scratch, 0
	.set _ZN7rocprim17ROCPRIM_400000_NS6detail17trampoline_kernelINS0_14default_configENS1_25partition_config_selectorILNS1_17partition_subalgoE8EN3c104HalfENS0_10empty_typeEbEEZZNS1_14partition_implILS5_8ELb0ES3_jPKS7_PS8_PKS8_NS0_5tupleIJPS7_S8_EEENSG_IJSD_SD_EEENS0_18inequality_wrapperIN6hipcub16HIPCUB_304000_NS8EqualityEEEPlJS8_EEE10hipError_tPvRmT3_T4_T5_T6_T7_T9_mT8_P12ihipStream_tbDpT10_ENKUlT_T0_E_clISt17integral_constantIbLb1EES18_IbLb0EEEEDaS14_S15_EUlS14_E_NS1_11comp_targetILNS1_3genE3ELNS1_11target_archE908ELNS1_3gpuE7ELNS1_3repE0EEENS1_30default_config_static_selectorELNS0_4arch9wavefront6targetE0EEEvT1_.has_dyn_sized_stack, 0
	.set _ZN7rocprim17ROCPRIM_400000_NS6detail17trampoline_kernelINS0_14default_configENS1_25partition_config_selectorILNS1_17partition_subalgoE8EN3c104HalfENS0_10empty_typeEbEEZZNS1_14partition_implILS5_8ELb0ES3_jPKS7_PS8_PKS8_NS0_5tupleIJPS7_S8_EEENSG_IJSD_SD_EEENS0_18inequality_wrapperIN6hipcub16HIPCUB_304000_NS8EqualityEEEPlJS8_EEE10hipError_tPvRmT3_T4_T5_T6_T7_T9_mT8_P12ihipStream_tbDpT10_ENKUlT_T0_E_clISt17integral_constantIbLb1EES18_IbLb0EEEEDaS14_S15_EUlS14_E_NS1_11comp_targetILNS1_3genE3ELNS1_11target_archE908ELNS1_3gpuE7ELNS1_3repE0EEENS1_30default_config_static_selectorELNS0_4arch9wavefront6targetE0EEEvT1_.has_recursion, 0
	.set _ZN7rocprim17ROCPRIM_400000_NS6detail17trampoline_kernelINS0_14default_configENS1_25partition_config_selectorILNS1_17partition_subalgoE8EN3c104HalfENS0_10empty_typeEbEEZZNS1_14partition_implILS5_8ELb0ES3_jPKS7_PS8_PKS8_NS0_5tupleIJPS7_S8_EEENSG_IJSD_SD_EEENS0_18inequality_wrapperIN6hipcub16HIPCUB_304000_NS8EqualityEEEPlJS8_EEE10hipError_tPvRmT3_T4_T5_T6_T7_T9_mT8_P12ihipStream_tbDpT10_ENKUlT_T0_E_clISt17integral_constantIbLb1EES18_IbLb0EEEEDaS14_S15_EUlS14_E_NS1_11comp_targetILNS1_3genE3ELNS1_11target_archE908ELNS1_3gpuE7ELNS1_3repE0EEENS1_30default_config_static_selectorELNS0_4arch9wavefront6targetE0EEEvT1_.has_indirect_call, 0
	.section	.AMDGPU.csdata,"",@progbits
; Kernel info:
; codeLenInByte = 0
; TotalNumSgprs: 0
; NumVgprs: 0
; ScratchSize: 0
; MemoryBound: 0
; FloatMode: 240
; IeeeMode: 1
; LDSByteSize: 0 bytes/workgroup (compile time only)
; SGPRBlocks: 0
; VGPRBlocks: 0
; NumSGPRsForWavesPerEU: 1
; NumVGPRsForWavesPerEU: 1
; NamedBarCnt: 0
; Occupancy: 16
; WaveLimiterHint : 0
; COMPUTE_PGM_RSRC2:SCRATCH_EN: 0
; COMPUTE_PGM_RSRC2:USER_SGPR: 2
; COMPUTE_PGM_RSRC2:TRAP_HANDLER: 0
; COMPUTE_PGM_RSRC2:TGID_X_EN: 1
; COMPUTE_PGM_RSRC2:TGID_Y_EN: 0
; COMPUTE_PGM_RSRC2:TGID_Z_EN: 0
; COMPUTE_PGM_RSRC2:TIDIG_COMP_CNT: 0
	.section	.text._ZN7rocprim17ROCPRIM_400000_NS6detail17trampoline_kernelINS0_14default_configENS1_25partition_config_selectorILNS1_17partition_subalgoE8EN3c104HalfENS0_10empty_typeEbEEZZNS1_14partition_implILS5_8ELb0ES3_jPKS7_PS8_PKS8_NS0_5tupleIJPS7_S8_EEENSG_IJSD_SD_EEENS0_18inequality_wrapperIN6hipcub16HIPCUB_304000_NS8EqualityEEEPlJS8_EEE10hipError_tPvRmT3_T4_T5_T6_T7_T9_mT8_P12ihipStream_tbDpT10_ENKUlT_T0_E_clISt17integral_constantIbLb1EES18_IbLb0EEEEDaS14_S15_EUlS14_E_NS1_11comp_targetILNS1_3genE2ELNS1_11target_archE906ELNS1_3gpuE6ELNS1_3repE0EEENS1_30default_config_static_selectorELNS0_4arch9wavefront6targetE0EEEvT1_,"axG",@progbits,_ZN7rocprim17ROCPRIM_400000_NS6detail17trampoline_kernelINS0_14default_configENS1_25partition_config_selectorILNS1_17partition_subalgoE8EN3c104HalfENS0_10empty_typeEbEEZZNS1_14partition_implILS5_8ELb0ES3_jPKS7_PS8_PKS8_NS0_5tupleIJPS7_S8_EEENSG_IJSD_SD_EEENS0_18inequality_wrapperIN6hipcub16HIPCUB_304000_NS8EqualityEEEPlJS8_EEE10hipError_tPvRmT3_T4_T5_T6_T7_T9_mT8_P12ihipStream_tbDpT10_ENKUlT_T0_E_clISt17integral_constantIbLb1EES18_IbLb0EEEEDaS14_S15_EUlS14_E_NS1_11comp_targetILNS1_3genE2ELNS1_11target_archE906ELNS1_3gpuE6ELNS1_3repE0EEENS1_30default_config_static_selectorELNS0_4arch9wavefront6targetE0EEEvT1_,comdat
	.protected	_ZN7rocprim17ROCPRIM_400000_NS6detail17trampoline_kernelINS0_14default_configENS1_25partition_config_selectorILNS1_17partition_subalgoE8EN3c104HalfENS0_10empty_typeEbEEZZNS1_14partition_implILS5_8ELb0ES3_jPKS7_PS8_PKS8_NS0_5tupleIJPS7_S8_EEENSG_IJSD_SD_EEENS0_18inequality_wrapperIN6hipcub16HIPCUB_304000_NS8EqualityEEEPlJS8_EEE10hipError_tPvRmT3_T4_T5_T6_T7_T9_mT8_P12ihipStream_tbDpT10_ENKUlT_T0_E_clISt17integral_constantIbLb1EES18_IbLb0EEEEDaS14_S15_EUlS14_E_NS1_11comp_targetILNS1_3genE2ELNS1_11target_archE906ELNS1_3gpuE6ELNS1_3repE0EEENS1_30default_config_static_selectorELNS0_4arch9wavefront6targetE0EEEvT1_ ; -- Begin function _ZN7rocprim17ROCPRIM_400000_NS6detail17trampoline_kernelINS0_14default_configENS1_25partition_config_selectorILNS1_17partition_subalgoE8EN3c104HalfENS0_10empty_typeEbEEZZNS1_14partition_implILS5_8ELb0ES3_jPKS7_PS8_PKS8_NS0_5tupleIJPS7_S8_EEENSG_IJSD_SD_EEENS0_18inequality_wrapperIN6hipcub16HIPCUB_304000_NS8EqualityEEEPlJS8_EEE10hipError_tPvRmT3_T4_T5_T6_T7_T9_mT8_P12ihipStream_tbDpT10_ENKUlT_T0_E_clISt17integral_constantIbLb1EES18_IbLb0EEEEDaS14_S15_EUlS14_E_NS1_11comp_targetILNS1_3genE2ELNS1_11target_archE906ELNS1_3gpuE6ELNS1_3repE0EEENS1_30default_config_static_selectorELNS0_4arch9wavefront6targetE0EEEvT1_
	.globl	_ZN7rocprim17ROCPRIM_400000_NS6detail17trampoline_kernelINS0_14default_configENS1_25partition_config_selectorILNS1_17partition_subalgoE8EN3c104HalfENS0_10empty_typeEbEEZZNS1_14partition_implILS5_8ELb0ES3_jPKS7_PS8_PKS8_NS0_5tupleIJPS7_S8_EEENSG_IJSD_SD_EEENS0_18inequality_wrapperIN6hipcub16HIPCUB_304000_NS8EqualityEEEPlJS8_EEE10hipError_tPvRmT3_T4_T5_T6_T7_T9_mT8_P12ihipStream_tbDpT10_ENKUlT_T0_E_clISt17integral_constantIbLb1EES18_IbLb0EEEEDaS14_S15_EUlS14_E_NS1_11comp_targetILNS1_3genE2ELNS1_11target_archE906ELNS1_3gpuE6ELNS1_3repE0EEENS1_30default_config_static_selectorELNS0_4arch9wavefront6targetE0EEEvT1_
	.p2align	8
	.type	_ZN7rocprim17ROCPRIM_400000_NS6detail17trampoline_kernelINS0_14default_configENS1_25partition_config_selectorILNS1_17partition_subalgoE8EN3c104HalfENS0_10empty_typeEbEEZZNS1_14partition_implILS5_8ELb0ES3_jPKS7_PS8_PKS8_NS0_5tupleIJPS7_S8_EEENSG_IJSD_SD_EEENS0_18inequality_wrapperIN6hipcub16HIPCUB_304000_NS8EqualityEEEPlJS8_EEE10hipError_tPvRmT3_T4_T5_T6_T7_T9_mT8_P12ihipStream_tbDpT10_ENKUlT_T0_E_clISt17integral_constantIbLb1EES18_IbLb0EEEEDaS14_S15_EUlS14_E_NS1_11comp_targetILNS1_3genE2ELNS1_11target_archE906ELNS1_3gpuE6ELNS1_3repE0EEENS1_30default_config_static_selectorELNS0_4arch9wavefront6targetE0EEEvT1_,@function
_ZN7rocprim17ROCPRIM_400000_NS6detail17trampoline_kernelINS0_14default_configENS1_25partition_config_selectorILNS1_17partition_subalgoE8EN3c104HalfENS0_10empty_typeEbEEZZNS1_14partition_implILS5_8ELb0ES3_jPKS7_PS8_PKS8_NS0_5tupleIJPS7_S8_EEENSG_IJSD_SD_EEENS0_18inequality_wrapperIN6hipcub16HIPCUB_304000_NS8EqualityEEEPlJS8_EEE10hipError_tPvRmT3_T4_T5_T6_T7_T9_mT8_P12ihipStream_tbDpT10_ENKUlT_T0_E_clISt17integral_constantIbLb1EES18_IbLb0EEEEDaS14_S15_EUlS14_E_NS1_11comp_targetILNS1_3genE2ELNS1_11target_archE906ELNS1_3gpuE6ELNS1_3repE0EEENS1_30default_config_static_selectorELNS0_4arch9wavefront6targetE0EEEvT1_: ; @_ZN7rocprim17ROCPRIM_400000_NS6detail17trampoline_kernelINS0_14default_configENS1_25partition_config_selectorILNS1_17partition_subalgoE8EN3c104HalfENS0_10empty_typeEbEEZZNS1_14partition_implILS5_8ELb0ES3_jPKS7_PS8_PKS8_NS0_5tupleIJPS7_S8_EEENSG_IJSD_SD_EEENS0_18inequality_wrapperIN6hipcub16HIPCUB_304000_NS8EqualityEEEPlJS8_EEE10hipError_tPvRmT3_T4_T5_T6_T7_T9_mT8_P12ihipStream_tbDpT10_ENKUlT_T0_E_clISt17integral_constantIbLb1EES18_IbLb0EEEEDaS14_S15_EUlS14_E_NS1_11comp_targetILNS1_3genE2ELNS1_11target_archE906ELNS1_3gpuE6ELNS1_3repE0EEENS1_30default_config_static_selectorELNS0_4arch9wavefront6targetE0EEEvT1_
; %bb.0:
	.section	.rodata,"a",@progbits
	.p2align	6, 0x0
	.amdhsa_kernel _ZN7rocprim17ROCPRIM_400000_NS6detail17trampoline_kernelINS0_14default_configENS1_25partition_config_selectorILNS1_17partition_subalgoE8EN3c104HalfENS0_10empty_typeEbEEZZNS1_14partition_implILS5_8ELb0ES3_jPKS7_PS8_PKS8_NS0_5tupleIJPS7_S8_EEENSG_IJSD_SD_EEENS0_18inequality_wrapperIN6hipcub16HIPCUB_304000_NS8EqualityEEEPlJS8_EEE10hipError_tPvRmT3_T4_T5_T6_T7_T9_mT8_P12ihipStream_tbDpT10_ENKUlT_T0_E_clISt17integral_constantIbLb1EES18_IbLb0EEEEDaS14_S15_EUlS14_E_NS1_11comp_targetILNS1_3genE2ELNS1_11target_archE906ELNS1_3gpuE6ELNS1_3repE0EEENS1_30default_config_static_selectorELNS0_4arch9wavefront6targetE0EEEvT1_
		.amdhsa_group_segment_fixed_size 0
		.amdhsa_private_segment_fixed_size 0
		.amdhsa_kernarg_size 112
		.amdhsa_user_sgpr_count 2
		.amdhsa_user_sgpr_dispatch_ptr 0
		.amdhsa_user_sgpr_queue_ptr 0
		.amdhsa_user_sgpr_kernarg_segment_ptr 1
		.amdhsa_user_sgpr_dispatch_id 0
		.amdhsa_user_sgpr_kernarg_preload_length 0
		.amdhsa_user_sgpr_kernarg_preload_offset 0
		.amdhsa_user_sgpr_private_segment_size 0
		.amdhsa_wavefront_size32 1
		.amdhsa_uses_dynamic_stack 0
		.amdhsa_enable_private_segment 0
		.amdhsa_system_sgpr_workgroup_id_x 1
		.amdhsa_system_sgpr_workgroup_id_y 0
		.amdhsa_system_sgpr_workgroup_id_z 0
		.amdhsa_system_sgpr_workgroup_info 0
		.amdhsa_system_vgpr_workitem_id 0
		.amdhsa_next_free_vgpr 1
		.amdhsa_next_free_sgpr 1
		.amdhsa_named_barrier_count 0
		.amdhsa_reserve_vcc 0
		.amdhsa_float_round_mode_32 0
		.amdhsa_float_round_mode_16_64 0
		.amdhsa_float_denorm_mode_32 3
		.amdhsa_float_denorm_mode_16_64 3
		.amdhsa_fp16_overflow 0
		.amdhsa_memory_ordered 1
		.amdhsa_forward_progress 1
		.amdhsa_inst_pref_size 0
		.amdhsa_round_robin_scheduling 0
		.amdhsa_exception_fp_ieee_invalid_op 0
		.amdhsa_exception_fp_denorm_src 0
		.amdhsa_exception_fp_ieee_div_zero 0
		.amdhsa_exception_fp_ieee_overflow 0
		.amdhsa_exception_fp_ieee_underflow 0
		.amdhsa_exception_fp_ieee_inexact 0
		.amdhsa_exception_int_div_zero 0
	.end_amdhsa_kernel
	.section	.text._ZN7rocprim17ROCPRIM_400000_NS6detail17trampoline_kernelINS0_14default_configENS1_25partition_config_selectorILNS1_17partition_subalgoE8EN3c104HalfENS0_10empty_typeEbEEZZNS1_14partition_implILS5_8ELb0ES3_jPKS7_PS8_PKS8_NS0_5tupleIJPS7_S8_EEENSG_IJSD_SD_EEENS0_18inequality_wrapperIN6hipcub16HIPCUB_304000_NS8EqualityEEEPlJS8_EEE10hipError_tPvRmT3_T4_T5_T6_T7_T9_mT8_P12ihipStream_tbDpT10_ENKUlT_T0_E_clISt17integral_constantIbLb1EES18_IbLb0EEEEDaS14_S15_EUlS14_E_NS1_11comp_targetILNS1_3genE2ELNS1_11target_archE906ELNS1_3gpuE6ELNS1_3repE0EEENS1_30default_config_static_selectorELNS0_4arch9wavefront6targetE0EEEvT1_,"axG",@progbits,_ZN7rocprim17ROCPRIM_400000_NS6detail17trampoline_kernelINS0_14default_configENS1_25partition_config_selectorILNS1_17partition_subalgoE8EN3c104HalfENS0_10empty_typeEbEEZZNS1_14partition_implILS5_8ELb0ES3_jPKS7_PS8_PKS8_NS0_5tupleIJPS7_S8_EEENSG_IJSD_SD_EEENS0_18inequality_wrapperIN6hipcub16HIPCUB_304000_NS8EqualityEEEPlJS8_EEE10hipError_tPvRmT3_T4_T5_T6_T7_T9_mT8_P12ihipStream_tbDpT10_ENKUlT_T0_E_clISt17integral_constantIbLb1EES18_IbLb0EEEEDaS14_S15_EUlS14_E_NS1_11comp_targetILNS1_3genE2ELNS1_11target_archE906ELNS1_3gpuE6ELNS1_3repE0EEENS1_30default_config_static_selectorELNS0_4arch9wavefront6targetE0EEEvT1_,comdat
.Lfunc_end913:
	.size	_ZN7rocprim17ROCPRIM_400000_NS6detail17trampoline_kernelINS0_14default_configENS1_25partition_config_selectorILNS1_17partition_subalgoE8EN3c104HalfENS0_10empty_typeEbEEZZNS1_14partition_implILS5_8ELb0ES3_jPKS7_PS8_PKS8_NS0_5tupleIJPS7_S8_EEENSG_IJSD_SD_EEENS0_18inequality_wrapperIN6hipcub16HIPCUB_304000_NS8EqualityEEEPlJS8_EEE10hipError_tPvRmT3_T4_T5_T6_T7_T9_mT8_P12ihipStream_tbDpT10_ENKUlT_T0_E_clISt17integral_constantIbLb1EES18_IbLb0EEEEDaS14_S15_EUlS14_E_NS1_11comp_targetILNS1_3genE2ELNS1_11target_archE906ELNS1_3gpuE6ELNS1_3repE0EEENS1_30default_config_static_selectorELNS0_4arch9wavefront6targetE0EEEvT1_, .Lfunc_end913-_ZN7rocprim17ROCPRIM_400000_NS6detail17trampoline_kernelINS0_14default_configENS1_25partition_config_selectorILNS1_17partition_subalgoE8EN3c104HalfENS0_10empty_typeEbEEZZNS1_14partition_implILS5_8ELb0ES3_jPKS7_PS8_PKS8_NS0_5tupleIJPS7_S8_EEENSG_IJSD_SD_EEENS0_18inequality_wrapperIN6hipcub16HIPCUB_304000_NS8EqualityEEEPlJS8_EEE10hipError_tPvRmT3_T4_T5_T6_T7_T9_mT8_P12ihipStream_tbDpT10_ENKUlT_T0_E_clISt17integral_constantIbLb1EES18_IbLb0EEEEDaS14_S15_EUlS14_E_NS1_11comp_targetILNS1_3genE2ELNS1_11target_archE906ELNS1_3gpuE6ELNS1_3repE0EEENS1_30default_config_static_selectorELNS0_4arch9wavefront6targetE0EEEvT1_
                                        ; -- End function
	.set _ZN7rocprim17ROCPRIM_400000_NS6detail17trampoline_kernelINS0_14default_configENS1_25partition_config_selectorILNS1_17partition_subalgoE8EN3c104HalfENS0_10empty_typeEbEEZZNS1_14partition_implILS5_8ELb0ES3_jPKS7_PS8_PKS8_NS0_5tupleIJPS7_S8_EEENSG_IJSD_SD_EEENS0_18inequality_wrapperIN6hipcub16HIPCUB_304000_NS8EqualityEEEPlJS8_EEE10hipError_tPvRmT3_T4_T5_T6_T7_T9_mT8_P12ihipStream_tbDpT10_ENKUlT_T0_E_clISt17integral_constantIbLb1EES18_IbLb0EEEEDaS14_S15_EUlS14_E_NS1_11comp_targetILNS1_3genE2ELNS1_11target_archE906ELNS1_3gpuE6ELNS1_3repE0EEENS1_30default_config_static_selectorELNS0_4arch9wavefront6targetE0EEEvT1_.num_vgpr, 0
	.set _ZN7rocprim17ROCPRIM_400000_NS6detail17trampoline_kernelINS0_14default_configENS1_25partition_config_selectorILNS1_17partition_subalgoE8EN3c104HalfENS0_10empty_typeEbEEZZNS1_14partition_implILS5_8ELb0ES3_jPKS7_PS8_PKS8_NS0_5tupleIJPS7_S8_EEENSG_IJSD_SD_EEENS0_18inequality_wrapperIN6hipcub16HIPCUB_304000_NS8EqualityEEEPlJS8_EEE10hipError_tPvRmT3_T4_T5_T6_T7_T9_mT8_P12ihipStream_tbDpT10_ENKUlT_T0_E_clISt17integral_constantIbLb1EES18_IbLb0EEEEDaS14_S15_EUlS14_E_NS1_11comp_targetILNS1_3genE2ELNS1_11target_archE906ELNS1_3gpuE6ELNS1_3repE0EEENS1_30default_config_static_selectorELNS0_4arch9wavefront6targetE0EEEvT1_.num_agpr, 0
	.set _ZN7rocprim17ROCPRIM_400000_NS6detail17trampoline_kernelINS0_14default_configENS1_25partition_config_selectorILNS1_17partition_subalgoE8EN3c104HalfENS0_10empty_typeEbEEZZNS1_14partition_implILS5_8ELb0ES3_jPKS7_PS8_PKS8_NS0_5tupleIJPS7_S8_EEENSG_IJSD_SD_EEENS0_18inequality_wrapperIN6hipcub16HIPCUB_304000_NS8EqualityEEEPlJS8_EEE10hipError_tPvRmT3_T4_T5_T6_T7_T9_mT8_P12ihipStream_tbDpT10_ENKUlT_T0_E_clISt17integral_constantIbLb1EES18_IbLb0EEEEDaS14_S15_EUlS14_E_NS1_11comp_targetILNS1_3genE2ELNS1_11target_archE906ELNS1_3gpuE6ELNS1_3repE0EEENS1_30default_config_static_selectorELNS0_4arch9wavefront6targetE0EEEvT1_.numbered_sgpr, 0
	.set _ZN7rocprim17ROCPRIM_400000_NS6detail17trampoline_kernelINS0_14default_configENS1_25partition_config_selectorILNS1_17partition_subalgoE8EN3c104HalfENS0_10empty_typeEbEEZZNS1_14partition_implILS5_8ELb0ES3_jPKS7_PS8_PKS8_NS0_5tupleIJPS7_S8_EEENSG_IJSD_SD_EEENS0_18inequality_wrapperIN6hipcub16HIPCUB_304000_NS8EqualityEEEPlJS8_EEE10hipError_tPvRmT3_T4_T5_T6_T7_T9_mT8_P12ihipStream_tbDpT10_ENKUlT_T0_E_clISt17integral_constantIbLb1EES18_IbLb0EEEEDaS14_S15_EUlS14_E_NS1_11comp_targetILNS1_3genE2ELNS1_11target_archE906ELNS1_3gpuE6ELNS1_3repE0EEENS1_30default_config_static_selectorELNS0_4arch9wavefront6targetE0EEEvT1_.num_named_barrier, 0
	.set _ZN7rocprim17ROCPRIM_400000_NS6detail17trampoline_kernelINS0_14default_configENS1_25partition_config_selectorILNS1_17partition_subalgoE8EN3c104HalfENS0_10empty_typeEbEEZZNS1_14partition_implILS5_8ELb0ES3_jPKS7_PS8_PKS8_NS0_5tupleIJPS7_S8_EEENSG_IJSD_SD_EEENS0_18inequality_wrapperIN6hipcub16HIPCUB_304000_NS8EqualityEEEPlJS8_EEE10hipError_tPvRmT3_T4_T5_T6_T7_T9_mT8_P12ihipStream_tbDpT10_ENKUlT_T0_E_clISt17integral_constantIbLb1EES18_IbLb0EEEEDaS14_S15_EUlS14_E_NS1_11comp_targetILNS1_3genE2ELNS1_11target_archE906ELNS1_3gpuE6ELNS1_3repE0EEENS1_30default_config_static_selectorELNS0_4arch9wavefront6targetE0EEEvT1_.private_seg_size, 0
	.set _ZN7rocprim17ROCPRIM_400000_NS6detail17trampoline_kernelINS0_14default_configENS1_25partition_config_selectorILNS1_17partition_subalgoE8EN3c104HalfENS0_10empty_typeEbEEZZNS1_14partition_implILS5_8ELb0ES3_jPKS7_PS8_PKS8_NS0_5tupleIJPS7_S8_EEENSG_IJSD_SD_EEENS0_18inequality_wrapperIN6hipcub16HIPCUB_304000_NS8EqualityEEEPlJS8_EEE10hipError_tPvRmT3_T4_T5_T6_T7_T9_mT8_P12ihipStream_tbDpT10_ENKUlT_T0_E_clISt17integral_constantIbLb1EES18_IbLb0EEEEDaS14_S15_EUlS14_E_NS1_11comp_targetILNS1_3genE2ELNS1_11target_archE906ELNS1_3gpuE6ELNS1_3repE0EEENS1_30default_config_static_selectorELNS0_4arch9wavefront6targetE0EEEvT1_.uses_vcc, 0
	.set _ZN7rocprim17ROCPRIM_400000_NS6detail17trampoline_kernelINS0_14default_configENS1_25partition_config_selectorILNS1_17partition_subalgoE8EN3c104HalfENS0_10empty_typeEbEEZZNS1_14partition_implILS5_8ELb0ES3_jPKS7_PS8_PKS8_NS0_5tupleIJPS7_S8_EEENSG_IJSD_SD_EEENS0_18inequality_wrapperIN6hipcub16HIPCUB_304000_NS8EqualityEEEPlJS8_EEE10hipError_tPvRmT3_T4_T5_T6_T7_T9_mT8_P12ihipStream_tbDpT10_ENKUlT_T0_E_clISt17integral_constantIbLb1EES18_IbLb0EEEEDaS14_S15_EUlS14_E_NS1_11comp_targetILNS1_3genE2ELNS1_11target_archE906ELNS1_3gpuE6ELNS1_3repE0EEENS1_30default_config_static_selectorELNS0_4arch9wavefront6targetE0EEEvT1_.uses_flat_scratch, 0
	.set _ZN7rocprim17ROCPRIM_400000_NS6detail17trampoline_kernelINS0_14default_configENS1_25partition_config_selectorILNS1_17partition_subalgoE8EN3c104HalfENS0_10empty_typeEbEEZZNS1_14partition_implILS5_8ELb0ES3_jPKS7_PS8_PKS8_NS0_5tupleIJPS7_S8_EEENSG_IJSD_SD_EEENS0_18inequality_wrapperIN6hipcub16HIPCUB_304000_NS8EqualityEEEPlJS8_EEE10hipError_tPvRmT3_T4_T5_T6_T7_T9_mT8_P12ihipStream_tbDpT10_ENKUlT_T0_E_clISt17integral_constantIbLb1EES18_IbLb0EEEEDaS14_S15_EUlS14_E_NS1_11comp_targetILNS1_3genE2ELNS1_11target_archE906ELNS1_3gpuE6ELNS1_3repE0EEENS1_30default_config_static_selectorELNS0_4arch9wavefront6targetE0EEEvT1_.has_dyn_sized_stack, 0
	.set _ZN7rocprim17ROCPRIM_400000_NS6detail17trampoline_kernelINS0_14default_configENS1_25partition_config_selectorILNS1_17partition_subalgoE8EN3c104HalfENS0_10empty_typeEbEEZZNS1_14partition_implILS5_8ELb0ES3_jPKS7_PS8_PKS8_NS0_5tupleIJPS7_S8_EEENSG_IJSD_SD_EEENS0_18inequality_wrapperIN6hipcub16HIPCUB_304000_NS8EqualityEEEPlJS8_EEE10hipError_tPvRmT3_T4_T5_T6_T7_T9_mT8_P12ihipStream_tbDpT10_ENKUlT_T0_E_clISt17integral_constantIbLb1EES18_IbLb0EEEEDaS14_S15_EUlS14_E_NS1_11comp_targetILNS1_3genE2ELNS1_11target_archE906ELNS1_3gpuE6ELNS1_3repE0EEENS1_30default_config_static_selectorELNS0_4arch9wavefront6targetE0EEEvT1_.has_recursion, 0
	.set _ZN7rocprim17ROCPRIM_400000_NS6detail17trampoline_kernelINS0_14default_configENS1_25partition_config_selectorILNS1_17partition_subalgoE8EN3c104HalfENS0_10empty_typeEbEEZZNS1_14partition_implILS5_8ELb0ES3_jPKS7_PS8_PKS8_NS0_5tupleIJPS7_S8_EEENSG_IJSD_SD_EEENS0_18inequality_wrapperIN6hipcub16HIPCUB_304000_NS8EqualityEEEPlJS8_EEE10hipError_tPvRmT3_T4_T5_T6_T7_T9_mT8_P12ihipStream_tbDpT10_ENKUlT_T0_E_clISt17integral_constantIbLb1EES18_IbLb0EEEEDaS14_S15_EUlS14_E_NS1_11comp_targetILNS1_3genE2ELNS1_11target_archE906ELNS1_3gpuE6ELNS1_3repE0EEENS1_30default_config_static_selectorELNS0_4arch9wavefront6targetE0EEEvT1_.has_indirect_call, 0
	.section	.AMDGPU.csdata,"",@progbits
; Kernel info:
; codeLenInByte = 0
; TotalNumSgprs: 0
; NumVgprs: 0
; ScratchSize: 0
; MemoryBound: 0
; FloatMode: 240
; IeeeMode: 1
; LDSByteSize: 0 bytes/workgroup (compile time only)
; SGPRBlocks: 0
; VGPRBlocks: 0
; NumSGPRsForWavesPerEU: 1
; NumVGPRsForWavesPerEU: 1
; NamedBarCnt: 0
; Occupancy: 16
; WaveLimiterHint : 0
; COMPUTE_PGM_RSRC2:SCRATCH_EN: 0
; COMPUTE_PGM_RSRC2:USER_SGPR: 2
; COMPUTE_PGM_RSRC2:TRAP_HANDLER: 0
; COMPUTE_PGM_RSRC2:TGID_X_EN: 1
; COMPUTE_PGM_RSRC2:TGID_Y_EN: 0
; COMPUTE_PGM_RSRC2:TGID_Z_EN: 0
; COMPUTE_PGM_RSRC2:TIDIG_COMP_CNT: 0
	.section	.text._ZN7rocprim17ROCPRIM_400000_NS6detail17trampoline_kernelINS0_14default_configENS1_25partition_config_selectorILNS1_17partition_subalgoE8EN3c104HalfENS0_10empty_typeEbEEZZNS1_14partition_implILS5_8ELb0ES3_jPKS7_PS8_PKS8_NS0_5tupleIJPS7_S8_EEENSG_IJSD_SD_EEENS0_18inequality_wrapperIN6hipcub16HIPCUB_304000_NS8EqualityEEEPlJS8_EEE10hipError_tPvRmT3_T4_T5_T6_T7_T9_mT8_P12ihipStream_tbDpT10_ENKUlT_T0_E_clISt17integral_constantIbLb1EES18_IbLb0EEEEDaS14_S15_EUlS14_E_NS1_11comp_targetILNS1_3genE10ELNS1_11target_archE1200ELNS1_3gpuE4ELNS1_3repE0EEENS1_30default_config_static_selectorELNS0_4arch9wavefront6targetE0EEEvT1_,"axG",@progbits,_ZN7rocprim17ROCPRIM_400000_NS6detail17trampoline_kernelINS0_14default_configENS1_25partition_config_selectorILNS1_17partition_subalgoE8EN3c104HalfENS0_10empty_typeEbEEZZNS1_14partition_implILS5_8ELb0ES3_jPKS7_PS8_PKS8_NS0_5tupleIJPS7_S8_EEENSG_IJSD_SD_EEENS0_18inequality_wrapperIN6hipcub16HIPCUB_304000_NS8EqualityEEEPlJS8_EEE10hipError_tPvRmT3_T4_T5_T6_T7_T9_mT8_P12ihipStream_tbDpT10_ENKUlT_T0_E_clISt17integral_constantIbLb1EES18_IbLb0EEEEDaS14_S15_EUlS14_E_NS1_11comp_targetILNS1_3genE10ELNS1_11target_archE1200ELNS1_3gpuE4ELNS1_3repE0EEENS1_30default_config_static_selectorELNS0_4arch9wavefront6targetE0EEEvT1_,comdat
	.protected	_ZN7rocprim17ROCPRIM_400000_NS6detail17trampoline_kernelINS0_14default_configENS1_25partition_config_selectorILNS1_17partition_subalgoE8EN3c104HalfENS0_10empty_typeEbEEZZNS1_14partition_implILS5_8ELb0ES3_jPKS7_PS8_PKS8_NS0_5tupleIJPS7_S8_EEENSG_IJSD_SD_EEENS0_18inequality_wrapperIN6hipcub16HIPCUB_304000_NS8EqualityEEEPlJS8_EEE10hipError_tPvRmT3_T4_T5_T6_T7_T9_mT8_P12ihipStream_tbDpT10_ENKUlT_T0_E_clISt17integral_constantIbLb1EES18_IbLb0EEEEDaS14_S15_EUlS14_E_NS1_11comp_targetILNS1_3genE10ELNS1_11target_archE1200ELNS1_3gpuE4ELNS1_3repE0EEENS1_30default_config_static_selectorELNS0_4arch9wavefront6targetE0EEEvT1_ ; -- Begin function _ZN7rocprim17ROCPRIM_400000_NS6detail17trampoline_kernelINS0_14default_configENS1_25partition_config_selectorILNS1_17partition_subalgoE8EN3c104HalfENS0_10empty_typeEbEEZZNS1_14partition_implILS5_8ELb0ES3_jPKS7_PS8_PKS8_NS0_5tupleIJPS7_S8_EEENSG_IJSD_SD_EEENS0_18inequality_wrapperIN6hipcub16HIPCUB_304000_NS8EqualityEEEPlJS8_EEE10hipError_tPvRmT3_T4_T5_T6_T7_T9_mT8_P12ihipStream_tbDpT10_ENKUlT_T0_E_clISt17integral_constantIbLb1EES18_IbLb0EEEEDaS14_S15_EUlS14_E_NS1_11comp_targetILNS1_3genE10ELNS1_11target_archE1200ELNS1_3gpuE4ELNS1_3repE0EEENS1_30default_config_static_selectorELNS0_4arch9wavefront6targetE0EEEvT1_
	.globl	_ZN7rocprim17ROCPRIM_400000_NS6detail17trampoline_kernelINS0_14default_configENS1_25partition_config_selectorILNS1_17partition_subalgoE8EN3c104HalfENS0_10empty_typeEbEEZZNS1_14partition_implILS5_8ELb0ES3_jPKS7_PS8_PKS8_NS0_5tupleIJPS7_S8_EEENSG_IJSD_SD_EEENS0_18inequality_wrapperIN6hipcub16HIPCUB_304000_NS8EqualityEEEPlJS8_EEE10hipError_tPvRmT3_T4_T5_T6_T7_T9_mT8_P12ihipStream_tbDpT10_ENKUlT_T0_E_clISt17integral_constantIbLb1EES18_IbLb0EEEEDaS14_S15_EUlS14_E_NS1_11comp_targetILNS1_3genE10ELNS1_11target_archE1200ELNS1_3gpuE4ELNS1_3repE0EEENS1_30default_config_static_selectorELNS0_4arch9wavefront6targetE0EEEvT1_
	.p2align	8
	.type	_ZN7rocprim17ROCPRIM_400000_NS6detail17trampoline_kernelINS0_14default_configENS1_25partition_config_selectorILNS1_17partition_subalgoE8EN3c104HalfENS0_10empty_typeEbEEZZNS1_14partition_implILS5_8ELb0ES3_jPKS7_PS8_PKS8_NS0_5tupleIJPS7_S8_EEENSG_IJSD_SD_EEENS0_18inequality_wrapperIN6hipcub16HIPCUB_304000_NS8EqualityEEEPlJS8_EEE10hipError_tPvRmT3_T4_T5_T6_T7_T9_mT8_P12ihipStream_tbDpT10_ENKUlT_T0_E_clISt17integral_constantIbLb1EES18_IbLb0EEEEDaS14_S15_EUlS14_E_NS1_11comp_targetILNS1_3genE10ELNS1_11target_archE1200ELNS1_3gpuE4ELNS1_3repE0EEENS1_30default_config_static_selectorELNS0_4arch9wavefront6targetE0EEEvT1_,@function
_ZN7rocprim17ROCPRIM_400000_NS6detail17trampoline_kernelINS0_14default_configENS1_25partition_config_selectorILNS1_17partition_subalgoE8EN3c104HalfENS0_10empty_typeEbEEZZNS1_14partition_implILS5_8ELb0ES3_jPKS7_PS8_PKS8_NS0_5tupleIJPS7_S8_EEENSG_IJSD_SD_EEENS0_18inequality_wrapperIN6hipcub16HIPCUB_304000_NS8EqualityEEEPlJS8_EEE10hipError_tPvRmT3_T4_T5_T6_T7_T9_mT8_P12ihipStream_tbDpT10_ENKUlT_T0_E_clISt17integral_constantIbLb1EES18_IbLb0EEEEDaS14_S15_EUlS14_E_NS1_11comp_targetILNS1_3genE10ELNS1_11target_archE1200ELNS1_3gpuE4ELNS1_3repE0EEENS1_30default_config_static_selectorELNS0_4arch9wavefront6targetE0EEEvT1_: ; @_ZN7rocprim17ROCPRIM_400000_NS6detail17trampoline_kernelINS0_14default_configENS1_25partition_config_selectorILNS1_17partition_subalgoE8EN3c104HalfENS0_10empty_typeEbEEZZNS1_14partition_implILS5_8ELb0ES3_jPKS7_PS8_PKS8_NS0_5tupleIJPS7_S8_EEENSG_IJSD_SD_EEENS0_18inequality_wrapperIN6hipcub16HIPCUB_304000_NS8EqualityEEEPlJS8_EEE10hipError_tPvRmT3_T4_T5_T6_T7_T9_mT8_P12ihipStream_tbDpT10_ENKUlT_T0_E_clISt17integral_constantIbLb1EES18_IbLb0EEEEDaS14_S15_EUlS14_E_NS1_11comp_targetILNS1_3genE10ELNS1_11target_archE1200ELNS1_3gpuE4ELNS1_3repE0EEENS1_30default_config_static_selectorELNS0_4arch9wavefront6targetE0EEEvT1_
; %bb.0:
	.section	.rodata,"a",@progbits
	.p2align	6, 0x0
	.amdhsa_kernel _ZN7rocprim17ROCPRIM_400000_NS6detail17trampoline_kernelINS0_14default_configENS1_25partition_config_selectorILNS1_17partition_subalgoE8EN3c104HalfENS0_10empty_typeEbEEZZNS1_14partition_implILS5_8ELb0ES3_jPKS7_PS8_PKS8_NS0_5tupleIJPS7_S8_EEENSG_IJSD_SD_EEENS0_18inequality_wrapperIN6hipcub16HIPCUB_304000_NS8EqualityEEEPlJS8_EEE10hipError_tPvRmT3_T4_T5_T6_T7_T9_mT8_P12ihipStream_tbDpT10_ENKUlT_T0_E_clISt17integral_constantIbLb1EES18_IbLb0EEEEDaS14_S15_EUlS14_E_NS1_11comp_targetILNS1_3genE10ELNS1_11target_archE1200ELNS1_3gpuE4ELNS1_3repE0EEENS1_30default_config_static_selectorELNS0_4arch9wavefront6targetE0EEEvT1_
		.amdhsa_group_segment_fixed_size 0
		.amdhsa_private_segment_fixed_size 0
		.amdhsa_kernarg_size 112
		.amdhsa_user_sgpr_count 2
		.amdhsa_user_sgpr_dispatch_ptr 0
		.amdhsa_user_sgpr_queue_ptr 0
		.amdhsa_user_sgpr_kernarg_segment_ptr 1
		.amdhsa_user_sgpr_dispatch_id 0
		.amdhsa_user_sgpr_kernarg_preload_length 0
		.amdhsa_user_sgpr_kernarg_preload_offset 0
		.amdhsa_user_sgpr_private_segment_size 0
		.amdhsa_wavefront_size32 1
		.amdhsa_uses_dynamic_stack 0
		.amdhsa_enable_private_segment 0
		.amdhsa_system_sgpr_workgroup_id_x 1
		.amdhsa_system_sgpr_workgroup_id_y 0
		.amdhsa_system_sgpr_workgroup_id_z 0
		.amdhsa_system_sgpr_workgroup_info 0
		.amdhsa_system_vgpr_workitem_id 0
		.amdhsa_next_free_vgpr 1
		.amdhsa_next_free_sgpr 1
		.amdhsa_named_barrier_count 0
		.amdhsa_reserve_vcc 0
		.amdhsa_float_round_mode_32 0
		.amdhsa_float_round_mode_16_64 0
		.amdhsa_float_denorm_mode_32 3
		.amdhsa_float_denorm_mode_16_64 3
		.amdhsa_fp16_overflow 0
		.amdhsa_memory_ordered 1
		.amdhsa_forward_progress 1
		.amdhsa_inst_pref_size 0
		.amdhsa_round_robin_scheduling 0
		.amdhsa_exception_fp_ieee_invalid_op 0
		.amdhsa_exception_fp_denorm_src 0
		.amdhsa_exception_fp_ieee_div_zero 0
		.amdhsa_exception_fp_ieee_overflow 0
		.amdhsa_exception_fp_ieee_underflow 0
		.amdhsa_exception_fp_ieee_inexact 0
		.amdhsa_exception_int_div_zero 0
	.end_amdhsa_kernel
	.section	.text._ZN7rocprim17ROCPRIM_400000_NS6detail17trampoline_kernelINS0_14default_configENS1_25partition_config_selectorILNS1_17partition_subalgoE8EN3c104HalfENS0_10empty_typeEbEEZZNS1_14partition_implILS5_8ELb0ES3_jPKS7_PS8_PKS8_NS0_5tupleIJPS7_S8_EEENSG_IJSD_SD_EEENS0_18inequality_wrapperIN6hipcub16HIPCUB_304000_NS8EqualityEEEPlJS8_EEE10hipError_tPvRmT3_T4_T5_T6_T7_T9_mT8_P12ihipStream_tbDpT10_ENKUlT_T0_E_clISt17integral_constantIbLb1EES18_IbLb0EEEEDaS14_S15_EUlS14_E_NS1_11comp_targetILNS1_3genE10ELNS1_11target_archE1200ELNS1_3gpuE4ELNS1_3repE0EEENS1_30default_config_static_selectorELNS0_4arch9wavefront6targetE0EEEvT1_,"axG",@progbits,_ZN7rocprim17ROCPRIM_400000_NS6detail17trampoline_kernelINS0_14default_configENS1_25partition_config_selectorILNS1_17partition_subalgoE8EN3c104HalfENS0_10empty_typeEbEEZZNS1_14partition_implILS5_8ELb0ES3_jPKS7_PS8_PKS8_NS0_5tupleIJPS7_S8_EEENSG_IJSD_SD_EEENS0_18inequality_wrapperIN6hipcub16HIPCUB_304000_NS8EqualityEEEPlJS8_EEE10hipError_tPvRmT3_T4_T5_T6_T7_T9_mT8_P12ihipStream_tbDpT10_ENKUlT_T0_E_clISt17integral_constantIbLb1EES18_IbLb0EEEEDaS14_S15_EUlS14_E_NS1_11comp_targetILNS1_3genE10ELNS1_11target_archE1200ELNS1_3gpuE4ELNS1_3repE0EEENS1_30default_config_static_selectorELNS0_4arch9wavefront6targetE0EEEvT1_,comdat
.Lfunc_end914:
	.size	_ZN7rocprim17ROCPRIM_400000_NS6detail17trampoline_kernelINS0_14default_configENS1_25partition_config_selectorILNS1_17partition_subalgoE8EN3c104HalfENS0_10empty_typeEbEEZZNS1_14partition_implILS5_8ELb0ES3_jPKS7_PS8_PKS8_NS0_5tupleIJPS7_S8_EEENSG_IJSD_SD_EEENS0_18inequality_wrapperIN6hipcub16HIPCUB_304000_NS8EqualityEEEPlJS8_EEE10hipError_tPvRmT3_T4_T5_T6_T7_T9_mT8_P12ihipStream_tbDpT10_ENKUlT_T0_E_clISt17integral_constantIbLb1EES18_IbLb0EEEEDaS14_S15_EUlS14_E_NS1_11comp_targetILNS1_3genE10ELNS1_11target_archE1200ELNS1_3gpuE4ELNS1_3repE0EEENS1_30default_config_static_selectorELNS0_4arch9wavefront6targetE0EEEvT1_, .Lfunc_end914-_ZN7rocprim17ROCPRIM_400000_NS6detail17trampoline_kernelINS0_14default_configENS1_25partition_config_selectorILNS1_17partition_subalgoE8EN3c104HalfENS0_10empty_typeEbEEZZNS1_14partition_implILS5_8ELb0ES3_jPKS7_PS8_PKS8_NS0_5tupleIJPS7_S8_EEENSG_IJSD_SD_EEENS0_18inequality_wrapperIN6hipcub16HIPCUB_304000_NS8EqualityEEEPlJS8_EEE10hipError_tPvRmT3_T4_T5_T6_T7_T9_mT8_P12ihipStream_tbDpT10_ENKUlT_T0_E_clISt17integral_constantIbLb1EES18_IbLb0EEEEDaS14_S15_EUlS14_E_NS1_11comp_targetILNS1_3genE10ELNS1_11target_archE1200ELNS1_3gpuE4ELNS1_3repE0EEENS1_30default_config_static_selectorELNS0_4arch9wavefront6targetE0EEEvT1_
                                        ; -- End function
	.set _ZN7rocprim17ROCPRIM_400000_NS6detail17trampoline_kernelINS0_14default_configENS1_25partition_config_selectorILNS1_17partition_subalgoE8EN3c104HalfENS0_10empty_typeEbEEZZNS1_14partition_implILS5_8ELb0ES3_jPKS7_PS8_PKS8_NS0_5tupleIJPS7_S8_EEENSG_IJSD_SD_EEENS0_18inequality_wrapperIN6hipcub16HIPCUB_304000_NS8EqualityEEEPlJS8_EEE10hipError_tPvRmT3_T4_T5_T6_T7_T9_mT8_P12ihipStream_tbDpT10_ENKUlT_T0_E_clISt17integral_constantIbLb1EES18_IbLb0EEEEDaS14_S15_EUlS14_E_NS1_11comp_targetILNS1_3genE10ELNS1_11target_archE1200ELNS1_3gpuE4ELNS1_3repE0EEENS1_30default_config_static_selectorELNS0_4arch9wavefront6targetE0EEEvT1_.num_vgpr, 0
	.set _ZN7rocprim17ROCPRIM_400000_NS6detail17trampoline_kernelINS0_14default_configENS1_25partition_config_selectorILNS1_17partition_subalgoE8EN3c104HalfENS0_10empty_typeEbEEZZNS1_14partition_implILS5_8ELb0ES3_jPKS7_PS8_PKS8_NS0_5tupleIJPS7_S8_EEENSG_IJSD_SD_EEENS0_18inequality_wrapperIN6hipcub16HIPCUB_304000_NS8EqualityEEEPlJS8_EEE10hipError_tPvRmT3_T4_T5_T6_T7_T9_mT8_P12ihipStream_tbDpT10_ENKUlT_T0_E_clISt17integral_constantIbLb1EES18_IbLb0EEEEDaS14_S15_EUlS14_E_NS1_11comp_targetILNS1_3genE10ELNS1_11target_archE1200ELNS1_3gpuE4ELNS1_3repE0EEENS1_30default_config_static_selectorELNS0_4arch9wavefront6targetE0EEEvT1_.num_agpr, 0
	.set _ZN7rocprim17ROCPRIM_400000_NS6detail17trampoline_kernelINS0_14default_configENS1_25partition_config_selectorILNS1_17partition_subalgoE8EN3c104HalfENS0_10empty_typeEbEEZZNS1_14partition_implILS5_8ELb0ES3_jPKS7_PS8_PKS8_NS0_5tupleIJPS7_S8_EEENSG_IJSD_SD_EEENS0_18inequality_wrapperIN6hipcub16HIPCUB_304000_NS8EqualityEEEPlJS8_EEE10hipError_tPvRmT3_T4_T5_T6_T7_T9_mT8_P12ihipStream_tbDpT10_ENKUlT_T0_E_clISt17integral_constantIbLb1EES18_IbLb0EEEEDaS14_S15_EUlS14_E_NS1_11comp_targetILNS1_3genE10ELNS1_11target_archE1200ELNS1_3gpuE4ELNS1_3repE0EEENS1_30default_config_static_selectorELNS0_4arch9wavefront6targetE0EEEvT1_.numbered_sgpr, 0
	.set _ZN7rocprim17ROCPRIM_400000_NS6detail17trampoline_kernelINS0_14default_configENS1_25partition_config_selectorILNS1_17partition_subalgoE8EN3c104HalfENS0_10empty_typeEbEEZZNS1_14partition_implILS5_8ELb0ES3_jPKS7_PS8_PKS8_NS0_5tupleIJPS7_S8_EEENSG_IJSD_SD_EEENS0_18inequality_wrapperIN6hipcub16HIPCUB_304000_NS8EqualityEEEPlJS8_EEE10hipError_tPvRmT3_T4_T5_T6_T7_T9_mT8_P12ihipStream_tbDpT10_ENKUlT_T0_E_clISt17integral_constantIbLb1EES18_IbLb0EEEEDaS14_S15_EUlS14_E_NS1_11comp_targetILNS1_3genE10ELNS1_11target_archE1200ELNS1_3gpuE4ELNS1_3repE0EEENS1_30default_config_static_selectorELNS0_4arch9wavefront6targetE0EEEvT1_.num_named_barrier, 0
	.set _ZN7rocprim17ROCPRIM_400000_NS6detail17trampoline_kernelINS0_14default_configENS1_25partition_config_selectorILNS1_17partition_subalgoE8EN3c104HalfENS0_10empty_typeEbEEZZNS1_14partition_implILS5_8ELb0ES3_jPKS7_PS8_PKS8_NS0_5tupleIJPS7_S8_EEENSG_IJSD_SD_EEENS0_18inequality_wrapperIN6hipcub16HIPCUB_304000_NS8EqualityEEEPlJS8_EEE10hipError_tPvRmT3_T4_T5_T6_T7_T9_mT8_P12ihipStream_tbDpT10_ENKUlT_T0_E_clISt17integral_constantIbLb1EES18_IbLb0EEEEDaS14_S15_EUlS14_E_NS1_11comp_targetILNS1_3genE10ELNS1_11target_archE1200ELNS1_3gpuE4ELNS1_3repE0EEENS1_30default_config_static_selectorELNS0_4arch9wavefront6targetE0EEEvT1_.private_seg_size, 0
	.set _ZN7rocprim17ROCPRIM_400000_NS6detail17trampoline_kernelINS0_14default_configENS1_25partition_config_selectorILNS1_17partition_subalgoE8EN3c104HalfENS0_10empty_typeEbEEZZNS1_14partition_implILS5_8ELb0ES3_jPKS7_PS8_PKS8_NS0_5tupleIJPS7_S8_EEENSG_IJSD_SD_EEENS0_18inequality_wrapperIN6hipcub16HIPCUB_304000_NS8EqualityEEEPlJS8_EEE10hipError_tPvRmT3_T4_T5_T6_T7_T9_mT8_P12ihipStream_tbDpT10_ENKUlT_T0_E_clISt17integral_constantIbLb1EES18_IbLb0EEEEDaS14_S15_EUlS14_E_NS1_11comp_targetILNS1_3genE10ELNS1_11target_archE1200ELNS1_3gpuE4ELNS1_3repE0EEENS1_30default_config_static_selectorELNS0_4arch9wavefront6targetE0EEEvT1_.uses_vcc, 0
	.set _ZN7rocprim17ROCPRIM_400000_NS6detail17trampoline_kernelINS0_14default_configENS1_25partition_config_selectorILNS1_17partition_subalgoE8EN3c104HalfENS0_10empty_typeEbEEZZNS1_14partition_implILS5_8ELb0ES3_jPKS7_PS8_PKS8_NS0_5tupleIJPS7_S8_EEENSG_IJSD_SD_EEENS0_18inequality_wrapperIN6hipcub16HIPCUB_304000_NS8EqualityEEEPlJS8_EEE10hipError_tPvRmT3_T4_T5_T6_T7_T9_mT8_P12ihipStream_tbDpT10_ENKUlT_T0_E_clISt17integral_constantIbLb1EES18_IbLb0EEEEDaS14_S15_EUlS14_E_NS1_11comp_targetILNS1_3genE10ELNS1_11target_archE1200ELNS1_3gpuE4ELNS1_3repE0EEENS1_30default_config_static_selectorELNS0_4arch9wavefront6targetE0EEEvT1_.uses_flat_scratch, 0
	.set _ZN7rocprim17ROCPRIM_400000_NS6detail17trampoline_kernelINS0_14default_configENS1_25partition_config_selectorILNS1_17partition_subalgoE8EN3c104HalfENS0_10empty_typeEbEEZZNS1_14partition_implILS5_8ELb0ES3_jPKS7_PS8_PKS8_NS0_5tupleIJPS7_S8_EEENSG_IJSD_SD_EEENS0_18inequality_wrapperIN6hipcub16HIPCUB_304000_NS8EqualityEEEPlJS8_EEE10hipError_tPvRmT3_T4_T5_T6_T7_T9_mT8_P12ihipStream_tbDpT10_ENKUlT_T0_E_clISt17integral_constantIbLb1EES18_IbLb0EEEEDaS14_S15_EUlS14_E_NS1_11comp_targetILNS1_3genE10ELNS1_11target_archE1200ELNS1_3gpuE4ELNS1_3repE0EEENS1_30default_config_static_selectorELNS0_4arch9wavefront6targetE0EEEvT1_.has_dyn_sized_stack, 0
	.set _ZN7rocprim17ROCPRIM_400000_NS6detail17trampoline_kernelINS0_14default_configENS1_25partition_config_selectorILNS1_17partition_subalgoE8EN3c104HalfENS0_10empty_typeEbEEZZNS1_14partition_implILS5_8ELb0ES3_jPKS7_PS8_PKS8_NS0_5tupleIJPS7_S8_EEENSG_IJSD_SD_EEENS0_18inequality_wrapperIN6hipcub16HIPCUB_304000_NS8EqualityEEEPlJS8_EEE10hipError_tPvRmT3_T4_T5_T6_T7_T9_mT8_P12ihipStream_tbDpT10_ENKUlT_T0_E_clISt17integral_constantIbLb1EES18_IbLb0EEEEDaS14_S15_EUlS14_E_NS1_11comp_targetILNS1_3genE10ELNS1_11target_archE1200ELNS1_3gpuE4ELNS1_3repE0EEENS1_30default_config_static_selectorELNS0_4arch9wavefront6targetE0EEEvT1_.has_recursion, 0
	.set _ZN7rocprim17ROCPRIM_400000_NS6detail17trampoline_kernelINS0_14default_configENS1_25partition_config_selectorILNS1_17partition_subalgoE8EN3c104HalfENS0_10empty_typeEbEEZZNS1_14partition_implILS5_8ELb0ES3_jPKS7_PS8_PKS8_NS0_5tupleIJPS7_S8_EEENSG_IJSD_SD_EEENS0_18inequality_wrapperIN6hipcub16HIPCUB_304000_NS8EqualityEEEPlJS8_EEE10hipError_tPvRmT3_T4_T5_T6_T7_T9_mT8_P12ihipStream_tbDpT10_ENKUlT_T0_E_clISt17integral_constantIbLb1EES18_IbLb0EEEEDaS14_S15_EUlS14_E_NS1_11comp_targetILNS1_3genE10ELNS1_11target_archE1200ELNS1_3gpuE4ELNS1_3repE0EEENS1_30default_config_static_selectorELNS0_4arch9wavefront6targetE0EEEvT1_.has_indirect_call, 0
	.section	.AMDGPU.csdata,"",@progbits
; Kernel info:
; codeLenInByte = 0
; TotalNumSgprs: 0
; NumVgprs: 0
; ScratchSize: 0
; MemoryBound: 0
; FloatMode: 240
; IeeeMode: 1
; LDSByteSize: 0 bytes/workgroup (compile time only)
; SGPRBlocks: 0
; VGPRBlocks: 0
; NumSGPRsForWavesPerEU: 1
; NumVGPRsForWavesPerEU: 1
; NamedBarCnt: 0
; Occupancy: 16
; WaveLimiterHint : 0
; COMPUTE_PGM_RSRC2:SCRATCH_EN: 0
; COMPUTE_PGM_RSRC2:USER_SGPR: 2
; COMPUTE_PGM_RSRC2:TRAP_HANDLER: 0
; COMPUTE_PGM_RSRC2:TGID_X_EN: 1
; COMPUTE_PGM_RSRC2:TGID_Y_EN: 0
; COMPUTE_PGM_RSRC2:TGID_Z_EN: 0
; COMPUTE_PGM_RSRC2:TIDIG_COMP_CNT: 0
	.section	.text._ZN7rocprim17ROCPRIM_400000_NS6detail17trampoline_kernelINS0_14default_configENS1_25partition_config_selectorILNS1_17partition_subalgoE8EN3c104HalfENS0_10empty_typeEbEEZZNS1_14partition_implILS5_8ELb0ES3_jPKS7_PS8_PKS8_NS0_5tupleIJPS7_S8_EEENSG_IJSD_SD_EEENS0_18inequality_wrapperIN6hipcub16HIPCUB_304000_NS8EqualityEEEPlJS8_EEE10hipError_tPvRmT3_T4_T5_T6_T7_T9_mT8_P12ihipStream_tbDpT10_ENKUlT_T0_E_clISt17integral_constantIbLb1EES18_IbLb0EEEEDaS14_S15_EUlS14_E_NS1_11comp_targetILNS1_3genE9ELNS1_11target_archE1100ELNS1_3gpuE3ELNS1_3repE0EEENS1_30default_config_static_selectorELNS0_4arch9wavefront6targetE0EEEvT1_,"axG",@progbits,_ZN7rocprim17ROCPRIM_400000_NS6detail17trampoline_kernelINS0_14default_configENS1_25partition_config_selectorILNS1_17partition_subalgoE8EN3c104HalfENS0_10empty_typeEbEEZZNS1_14partition_implILS5_8ELb0ES3_jPKS7_PS8_PKS8_NS0_5tupleIJPS7_S8_EEENSG_IJSD_SD_EEENS0_18inequality_wrapperIN6hipcub16HIPCUB_304000_NS8EqualityEEEPlJS8_EEE10hipError_tPvRmT3_T4_T5_T6_T7_T9_mT8_P12ihipStream_tbDpT10_ENKUlT_T0_E_clISt17integral_constantIbLb1EES18_IbLb0EEEEDaS14_S15_EUlS14_E_NS1_11comp_targetILNS1_3genE9ELNS1_11target_archE1100ELNS1_3gpuE3ELNS1_3repE0EEENS1_30default_config_static_selectorELNS0_4arch9wavefront6targetE0EEEvT1_,comdat
	.protected	_ZN7rocprim17ROCPRIM_400000_NS6detail17trampoline_kernelINS0_14default_configENS1_25partition_config_selectorILNS1_17partition_subalgoE8EN3c104HalfENS0_10empty_typeEbEEZZNS1_14partition_implILS5_8ELb0ES3_jPKS7_PS8_PKS8_NS0_5tupleIJPS7_S8_EEENSG_IJSD_SD_EEENS0_18inequality_wrapperIN6hipcub16HIPCUB_304000_NS8EqualityEEEPlJS8_EEE10hipError_tPvRmT3_T4_T5_T6_T7_T9_mT8_P12ihipStream_tbDpT10_ENKUlT_T0_E_clISt17integral_constantIbLb1EES18_IbLb0EEEEDaS14_S15_EUlS14_E_NS1_11comp_targetILNS1_3genE9ELNS1_11target_archE1100ELNS1_3gpuE3ELNS1_3repE0EEENS1_30default_config_static_selectorELNS0_4arch9wavefront6targetE0EEEvT1_ ; -- Begin function _ZN7rocprim17ROCPRIM_400000_NS6detail17trampoline_kernelINS0_14default_configENS1_25partition_config_selectorILNS1_17partition_subalgoE8EN3c104HalfENS0_10empty_typeEbEEZZNS1_14partition_implILS5_8ELb0ES3_jPKS7_PS8_PKS8_NS0_5tupleIJPS7_S8_EEENSG_IJSD_SD_EEENS0_18inequality_wrapperIN6hipcub16HIPCUB_304000_NS8EqualityEEEPlJS8_EEE10hipError_tPvRmT3_T4_T5_T6_T7_T9_mT8_P12ihipStream_tbDpT10_ENKUlT_T0_E_clISt17integral_constantIbLb1EES18_IbLb0EEEEDaS14_S15_EUlS14_E_NS1_11comp_targetILNS1_3genE9ELNS1_11target_archE1100ELNS1_3gpuE3ELNS1_3repE0EEENS1_30default_config_static_selectorELNS0_4arch9wavefront6targetE0EEEvT1_
	.globl	_ZN7rocprim17ROCPRIM_400000_NS6detail17trampoline_kernelINS0_14default_configENS1_25partition_config_selectorILNS1_17partition_subalgoE8EN3c104HalfENS0_10empty_typeEbEEZZNS1_14partition_implILS5_8ELb0ES3_jPKS7_PS8_PKS8_NS0_5tupleIJPS7_S8_EEENSG_IJSD_SD_EEENS0_18inequality_wrapperIN6hipcub16HIPCUB_304000_NS8EqualityEEEPlJS8_EEE10hipError_tPvRmT3_T4_T5_T6_T7_T9_mT8_P12ihipStream_tbDpT10_ENKUlT_T0_E_clISt17integral_constantIbLb1EES18_IbLb0EEEEDaS14_S15_EUlS14_E_NS1_11comp_targetILNS1_3genE9ELNS1_11target_archE1100ELNS1_3gpuE3ELNS1_3repE0EEENS1_30default_config_static_selectorELNS0_4arch9wavefront6targetE0EEEvT1_
	.p2align	8
	.type	_ZN7rocprim17ROCPRIM_400000_NS6detail17trampoline_kernelINS0_14default_configENS1_25partition_config_selectorILNS1_17partition_subalgoE8EN3c104HalfENS0_10empty_typeEbEEZZNS1_14partition_implILS5_8ELb0ES3_jPKS7_PS8_PKS8_NS0_5tupleIJPS7_S8_EEENSG_IJSD_SD_EEENS0_18inequality_wrapperIN6hipcub16HIPCUB_304000_NS8EqualityEEEPlJS8_EEE10hipError_tPvRmT3_T4_T5_T6_T7_T9_mT8_P12ihipStream_tbDpT10_ENKUlT_T0_E_clISt17integral_constantIbLb1EES18_IbLb0EEEEDaS14_S15_EUlS14_E_NS1_11comp_targetILNS1_3genE9ELNS1_11target_archE1100ELNS1_3gpuE3ELNS1_3repE0EEENS1_30default_config_static_selectorELNS0_4arch9wavefront6targetE0EEEvT1_,@function
_ZN7rocprim17ROCPRIM_400000_NS6detail17trampoline_kernelINS0_14default_configENS1_25partition_config_selectorILNS1_17partition_subalgoE8EN3c104HalfENS0_10empty_typeEbEEZZNS1_14partition_implILS5_8ELb0ES3_jPKS7_PS8_PKS8_NS0_5tupleIJPS7_S8_EEENSG_IJSD_SD_EEENS0_18inequality_wrapperIN6hipcub16HIPCUB_304000_NS8EqualityEEEPlJS8_EEE10hipError_tPvRmT3_T4_T5_T6_T7_T9_mT8_P12ihipStream_tbDpT10_ENKUlT_T0_E_clISt17integral_constantIbLb1EES18_IbLb0EEEEDaS14_S15_EUlS14_E_NS1_11comp_targetILNS1_3genE9ELNS1_11target_archE1100ELNS1_3gpuE3ELNS1_3repE0EEENS1_30default_config_static_selectorELNS0_4arch9wavefront6targetE0EEEvT1_: ; @_ZN7rocprim17ROCPRIM_400000_NS6detail17trampoline_kernelINS0_14default_configENS1_25partition_config_selectorILNS1_17partition_subalgoE8EN3c104HalfENS0_10empty_typeEbEEZZNS1_14partition_implILS5_8ELb0ES3_jPKS7_PS8_PKS8_NS0_5tupleIJPS7_S8_EEENSG_IJSD_SD_EEENS0_18inequality_wrapperIN6hipcub16HIPCUB_304000_NS8EqualityEEEPlJS8_EEE10hipError_tPvRmT3_T4_T5_T6_T7_T9_mT8_P12ihipStream_tbDpT10_ENKUlT_T0_E_clISt17integral_constantIbLb1EES18_IbLb0EEEEDaS14_S15_EUlS14_E_NS1_11comp_targetILNS1_3genE9ELNS1_11target_archE1100ELNS1_3gpuE3ELNS1_3repE0EEENS1_30default_config_static_selectorELNS0_4arch9wavefront6targetE0EEEvT1_
; %bb.0:
	.section	.rodata,"a",@progbits
	.p2align	6, 0x0
	.amdhsa_kernel _ZN7rocprim17ROCPRIM_400000_NS6detail17trampoline_kernelINS0_14default_configENS1_25partition_config_selectorILNS1_17partition_subalgoE8EN3c104HalfENS0_10empty_typeEbEEZZNS1_14partition_implILS5_8ELb0ES3_jPKS7_PS8_PKS8_NS0_5tupleIJPS7_S8_EEENSG_IJSD_SD_EEENS0_18inequality_wrapperIN6hipcub16HIPCUB_304000_NS8EqualityEEEPlJS8_EEE10hipError_tPvRmT3_T4_T5_T6_T7_T9_mT8_P12ihipStream_tbDpT10_ENKUlT_T0_E_clISt17integral_constantIbLb1EES18_IbLb0EEEEDaS14_S15_EUlS14_E_NS1_11comp_targetILNS1_3genE9ELNS1_11target_archE1100ELNS1_3gpuE3ELNS1_3repE0EEENS1_30default_config_static_selectorELNS0_4arch9wavefront6targetE0EEEvT1_
		.amdhsa_group_segment_fixed_size 0
		.amdhsa_private_segment_fixed_size 0
		.amdhsa_kernarg_size 112
		.amdhsa_user_sgpr_count 2
		.amdhsa_user_sgpr_dispatch_ptr 0
		.amdhsa_user_sgpr_queue_ptr 0
		.amdhsa_user_sgpr_kernarg_segment_ptr 1
		.amdhsa_user_sgpr_dispatch_id 0
		.amdhsa_user_sgpr_kernarg_preload_length 0
		.amdhsa_user_sgpr_kernarg_preload_offset 0
		.amdhsa_user_sgpr_private_segment_size 0
		.amdhsa_wavefront_size32 1
		.amdhsa_uses_dynamic_stack 0
		.amdhsa_enable_private_segment 0
		.amdhsa_system_sgpr_workgroup_id_x 1
		.amdhsa_system_sgpr_workgroup_id_y 0
		.amdhsa_system_sgpr_workgroup_id_z 0
		.amdhsa_system_sgpr_workgroup_info 0
		.amdhsa_system_vgpr_workitem_id 0
		.amdhsa_next_free_vgpr 1
		.amdhsa_next_free_sgpr 1
		.amdhsa_named_barrier_count 0
		.amdhsa_reserve_vcc 0
		.amdhsa_float_round_mode_32 0
		.amdhsa_float_round_mode_16_64 0
		.amdhsa_float_denorm_mode_32 3
		.amdhsa_float_denorm_mode_16_64 3
		.amdhsa_fp16_overflow 0
		.amdhsa_memory_ordered 1
		.amdhsa_forward_progress 1
		.amdhsa_inst_pref_size 0
		.amdhsa_round_robin_scheduling 0
		.amdhsa_exception_fp_ieee_invalid_op 0
		.amdhsa_exception_fp_denorm_src 0
		.amdhsa_exception_fp_ieee_div_zero 0
		.amdhsa_exception_fp_ieee_overflow 0
		.amdhsa_exception_fp_ieee_underflow 0
		.amdhsa_exception_fp_ieee_inexact 0
		.amdhsa_exception_int_div_zero 0
	.end_amdhsa_kernel
	.section	.text._ZN7rocprim17ROCPRIM_400000_NS6detail17trampoline_kernelINS0_14default_configENS1_25partition_config_selectorILNS1_17partition_subalgoE8EN3c104HalfENS0_10empty_typeEbEEZZNS1_14partition_implILS5_8ELb0ES3_jPKS7_PS8_PKS8_NS0_5tupleIJPS7_S8_EEENSG_IJSD_SD_EEENS0_18inequality_wrapperIN6hipcub16HIPCUB_304000_NS8EqualityEEEPlJS8_EEE10hipError_tPvRmT3_T4_T5_T6_T7_T9_mT8_P12ihipStream_tbDpT10_ENKUlT_T0_E_clISt17integral_constantIbLb1EES18_IbLb0EEEEDaS14_S15_EUlS14_E_NS1_11comp_targetILNS1_3genE9ELNS1_11target_archE1100ELNS1_3gpuE3ELNS1_3repE0EEENS1_30default_config_static_selectorELNS0_4arch9wavefront6targetE0EEEvT1_,"axG",@progbits,_ZN7rocprim17ROCPRIM_400000_NS6detail17trampoline_kernelINS0_14default_configENS1_25partition_config_selectorILNS1_17partition_subalgoE8EN3c104HalfENS0_10empty_typeEbEEZZNS1_14partition_implILS5_8ELb0ES3_jPKS7_PS8_PKS8_NS0_5tupleIJPS7_S8_EEENSG_IJSD_SD_EEENS0_18inequality_wrapperIN6hipcub16HIPCUB_304000_NS8EqualityEEEPlJS8_EEE10hipError_tPvRmT3_T4_T5_T6_T7_T9_mT8_P12ihipStream_tbDpT10_ENKUlT_T0_E_clISt17integral_constantIbLb1EES18_IbLb0EEEEDaS14_S15_EUlS14_E_NS1_11comp_targetILNS1_3genE9ELNS1_11target_archE1100ELNS1_3gpuE3ELNS1_3repE0EEENS1_30default_config_static_selectorELNS0_4arch9wavefront6targetE0EEEvT1_,comdat
.Lfunc_end915:
	.size	_ZN7rocprim17ROCPRIM_400000_NS6detail17trampoline_kernelINS0_14default_configENS1_25partition_config_selectorILNS1_17partition_subalgoE8EN3c104HalfENS0_10empty_typeEbEEZZNS1_14partition_implILS5_8ELb0ES3_jPKS7_PS8_PKS8_NS0_5tupleIJPS7_S8_EEENSG_IJSD_SD_EEENS0_18inequality_wrapperIN6hipcub16HIPCUB_304000_NS8EqualityEEEPlJS8_EEE10hipError_tPvRmT3_T4_T5_T6_T7_T9_mT8_P12ihipStream_tbDpT10_ENKUlT_T0_E_clISt17integral_constantIbLb1EES18_IbLb0EEEEDaS14_S15_EUlS14_E_NS1_11comp_targetILNS1_3genE9ELNS1_11target_archE1100ELNS1_3gpuE3ELNS1_3repE0EEENS1_30default_config_static_selectorELNS0_4arch9wavefront6targetE0EEEvT1_, .Lfunc_end915-_ZN7rocprim17ROCPRIM_400000_NS6detail17trampoline_kernelINS0_14default_configENS1_25partition_config_selectorILNS1_17partition_subalgoE8EN3c104HalfENS0_10empty_typeEbEEZZNS1_14partition_implILS5_8ELb0ES3_jPKS7_PS8_PKS8_NS0_5tupleIJPS7_S8_EEENSG_IJSD_SD_EEENS0_18inequality_wrapperIN6hipcub16HIPCUB_304000_NS8EqualityEEEPlJS8_EEE10hipError_tPvRmT3_T4_T5_T6_T7_T9_mT8_P12ihipStream_tbDpT10_ENKUlT_T0_E_clISt17integral_constantIbLb1EES18_IbLb0EEEEDaS14_S15_EUlS14_E_NS1_11comp_targetILNS1_3genE9ELNS1_11target_archE1100ELNS1_3gpuE3ELNS1_3repE0EEENS1_30default_config_static_selectorELNS0_4arch9wavefront6targetE0EEEvT1_
                                        ; -- End function
	.set _ZN7rocprim17ROCPRIM_400000_NS6detail17trampoline_kernelINS0_14default_configENS1_25partition_config_selectorILNS1_17partition_subalgoE8EN3c104HalfENS0_10empty_typeEbEEZZNS1_14partition_implILS5_8ELb0ES3_jPKS7_PS8_PKS8_NS0_5tupleIJPS7_S8_EEENSG_IJSD_SD_EEENS0_18inequality_wrapperIN6hipcub16HIPCUB_304000_NS8EqualityEEEPlJS8_EEE10hipError_tPvRmT3_T4_T5_T6_T7_T9_mT8_P12ihipStream_tbDpT10_ENKUlT_T0_E_clISt17integral_constantIbLb1EES18_IbLb0EEEEDaS14_S15_EUlS14_E_NS1_11comp_targetILNS1_3genE9ELNS1_11target_archE1100ELNS1_3gpuE3ELNS1_3repE0EEENS1_30default_config_static_selectorELNS0_4arch9wavefront6targetE0EEEvT1_.num_vgpr, 0
	.set _ZN7rocprim17ROCPRIM_400000_NS6detail17trampoline_kernelINS0_14default_configENS1_25partition_config_selectorILNS1_17partition_subalgoE8EN3c104HalfENS0_10empty_typeEbEEZZNS1_14partition_implILS5_8ELb0ES3_jPKS7_PS8_PKS8_NS0_5tupleIJPS7_S8_EEENSG_IJSD_SD_EEENS0_18inequality_wrapperIN6hipcub16HIPCUB_304000_NS8EqualityEEEPlJS8_EEE10hipError_tPvRmT3_T4_T5_T6_T7_T9_mT8_P12ihipStream_tbDpT10_ENKUlT_T0_E_clISt17integral_constantIbLb1EES18_IbLb0EEEEDaS14_S15_EUlS14_E_NS1_11comp_targetILNS1_3genE9ELNS1_11target_archE1100ELNS1_3gpuE3ELNS1_3repE0EEENS1_30default_config_static_selectorELNS0_4arch9wavefront6targetE0EEEvT1_.num_agpr, 0
	.set _ZN7rocprim17ROCPRIM_400000_NS6detail17trampoline_kernelINS0_14default_configENS1_25partition_config_selectorILNS1_17partition_subalgoE8EN3c104HalfENS0_10empty_typeEbEEZZNS1_14partition_implILS5_8ELb0ES3_jPKS7_PS8_PKS8_NS0_5tupleIJPS7_S8_EEENSG_IJSD_SD_EEENS0_18inequality_wrapperIN6hipcub16HIPCUB_304000_NS8EqualityEEEPlJS8_EEE10hipError_tPvRmT3_T4_T5_T6_T7_T9_mT8_P12ihipStream_tbDpT10_ENKUlT_T0_E_clISt17integral_constantIbLb1EES18_IbLb0EEEEDaS14_S15_EUlS14_E_NS1_11comp_targetILNS1_3genE9ELNS1_11target_archE1100ELNS1_3gpuE3ELNS1_3repE0EEENS1_30default_config_static_selectorELNS0_4arch9wavefront6targetE0EEEvT1_.numbered_sgpr, 0
	.set _ZN7rocprim17ROCPRIM_400000_NS6detail17trampoline_kernelINS0_14default_configENS1_25partition_config_selectorILNS1_17partition_subalgoE8EN3c104HalfENS0_10empty_typeEbEEZZNS1_14partition_implILS5_8ELb0ES3_jPKS7_PS8_PKS8_NS0_5tupleIJPS7_S8_EEENSG_IJSD_SD_EEENS0_18inequality_wrapperIN6hipcub16HIPCUB_304000_NS8EqualityEEEPlJS8_EEE10hipError_tPvRmT3_T4_T5_T6_T7_T9_mT8_P12ihipStream_tbDpT10_ENKUlT_T0_E_clISt17integral_constantIbLb1EES18_IbLb0EEEEDaS14_S15_EUlS14_E_NS1_11comp_targetILNS1_3genE9ELNS1_11target_archE1100ELNS1_3gpuE3ELNS1_3repE0EEENS1_30default_config_static_selectorELNS0_4arch9wavefront6targetE0EEEvT1_.num_named_barrier, 0
	.set _ZN7rocprim17ROCPRIM_400000_NS6detail17trampoline_kernelINS0_14default_configENS1_25partition_config_selectorILNS1_17partition_subalgoE8EN3c104HalfENS0_10empty_typeEbEEZZNS1_14partition_implILS5_8ELb0ES3_jPKS7_PS8_PKS8_NS0_5tupleIJPS7_S8_EEENSG_IJSD_SD_EEENS0_18inequality_wrapperIN6hipcub16HIPCUB_304000_NS8EqualityEEEPlJS8_EEE10hipError_tPvRmT3_T4_T5_T6_T7_T9_mT8_P12ihipStream_tbDpT10_ENKUlT_T0_E_clISt17integral_constantIbLb1EES18_IbLb0EEEEDaS14_S15_EUlS14_E_NS1_11comp_targetILNS1_3genE9ELNS1_11target_archE1100ELNS1_3gpuE3ELNS1_3repE0EEENS1_30default_config_static_selectorELNS0_4arch9wavefront6targetE0EEEvT1_.private_seg_size, 0
	.set _ZN7rocprim17ROCPRIM_400000_NS6detail17trampoline_kernelINS0_14default_configENS1_25partition_config_selectorILNS1_17partition_subalgoE8EN3c104HalfENS0_10empty_typeEbEEZZNS1_14partition_implILS5_8ELb0ES3_jPKS7_PS8_PKS8_NS0_5tupleIJPS7_S8_EEENSG_IJSD_SD_EEENS0_18inequality_wrapperIN6hipcub16HIPCUB_304000_NS8EqualityEEEPlJS8_EEE10hipError_tPvRmT3_T4_T5_T6_T7_T9_mT8_P12ihipStream_tbDpT10_ENKUlT_T0_E_clISt17integral_constantIbLb1EES18_IbLb0EEEEDaS14_S15_EUlS14_E_NS1_11comp_targetILNS1_3genE9ELNS1_11target_archE1100ELNS1_3gpuE3ELNS1_3repE0EEENS1_30default_config_static_selectorELNS0_4arch9wavefront6targetE0EEEvT1_.uses_vcc, 0
	.set _ZN7rocprim17ROCPRIM_400000_NS6detail17trampoline_kernelINS0_14default_configENS1_25partition_config_selectorILNS1_17partition_subalgoE8EN3c104HalfENS0_10empty_typeEbEEZZNS1_14partition_implILS5_8ELb0ES3_jPKS7_PS8_PKS8_NS0_5tupleIJPS7_S8_EEENSG_IJSD_SD_EEENS0_18inequality_wrapperIN6hipcub16HIPCUB_304000_NS8EqualityEEEPlJS8_EEE10hipError_tPvRmT3_T4_T5_T6_T7_T9_mT8_P12ihipStream_tbDpT10_ENKUlT_T0_E_clISt17integral_constantIbLb1EES18_IbLb0EEEEDaS14_S15_EUlS14_E_NS1_11comp_targetILNS1_3genE9ELNS1_11target_archE1100ELNS1_3gpuE3ELNS1_3repE0EEENS1_30default_config_static_selectorELNS0_4arch9wavefront6targetE0EEEvT1_.uses_flat_scratch, 0
	.set _ZN7rocprim17ROCPRIM_400000_NS6detail17trampoline_kernelINS0_14default_configENS1_25partition_config_selectorILNS1_17partition_subalgoE8EN3c104HalfENS0_10empty_typeEbEEZZNS1_14partition_implILS5_8ELb0ES3_jPKS7_PS8_PKS8_NS0_5tupleIJPS7_S8_EEENSG_IJSD_SD_EEENS0_18inequality_wrapperIN6hipcub16HIPCUB_304000_NS8EqualityEEEPlJS8_EEE10hipError_tPvRmT3_T4_T5_T6_T7_T9_mT8_P12ihipStream_tbDpT10_ENKUlT_T0_E_clISt17integral_constantIbLb1EES18_IbLb0EEEEDaS14_S15_EUlS14_E_NS1_11comp_targetILNS1_3genE9ELNS1_11target_archE1100ELNS1_3gpuE3ELNS1_3repE0EEENS1_30default_config_static_selectorELNS0_4arch9wavefront6targetE0EEEvT1_.has_dyn_sized_stack, 0
	.set _ZN7rocprim17ROCPRIM_400000_NS6detail17trampoline_kernelINS0_14default_configENS1_25partition_config_selectorILNS1_17partition_subalgoE8EN3c104HalfENS0_10empty_typeEbEEZZNS1_14partition_implILS5_8ELb0ES3_jPKS7_PS8_PKS8_NS0_5tupleIJPS7_S8_EEENSG_IJSD_SD_EEENS0_18inequality_wrapperIN6hipcub16HIPCUB_304000_NS8EqualityEEEPlJS8_EEE10hipError_tPvRmT3_T4_T5_T6_T7_T9_mT8_P12ihipStream_tbDpT10_ENKUlT_T0_E_clISt17integral_constantIbLb1EES18_IbLb0EEEEDaS14_S15_EUlS14_E_NS1_11comp_targetILNS1_3genE9ELNS1_11target_archE1100ELNS1_3gpuE3ELNS1_3repE0EEENS1_30default_config_static_selectorELNS0_4arch9wavefront6targetE0EEEvT1_.has_recursion, 0
	.set _ZN7rocprim17ROCPRIM_400000_NS6detail17trampoline_kernelINS0_14default_configENS1_25partition_config_selectorILNS1_17partition_subalgoE8EN3c104HalfENS0_10empty_typeEbEEZZNS1_14partition_implILS5_8ELb0ES3_jPKS7_PS8_PKS8_NS0_5tupleIJPS7_S8_EEENSG_IJSD_SD_EEENS0_18inequality_wrapperIN6hipcub16HIPCUB_304000_NS8EqualityEEEPlJS8_EEE10hipError_tPvRmT3_T4_T5_T6_T7_T9_mT8_P12ihipStream_tbDpT10_ENKUlT_T0_E_clISt17integral_constantIbLb1EES18_IbLb0EEEEDaS14_S15_EUlS14_E_NS1_11comp_targetILNS1_3genE9ELNS1_11target_archE1100ELNS1_3gpuE3ELNS1_3repE0EEENS1_30default_config_static_selectorELNS0_4arch9wavefront6targetE0EEEvT1_.has_indirect_call, 0
	.section	.AMDGPU.csdata,"",@progbits
; Kernel info:
; codeLenInByte = 0
; TotalNumSgprs: 0
; NumVgprs: 0
; ScratchSize: 0
; MemoryBound: 0
; FloatMode: 240
; IeeeMode: 1
; LDSByteSize: 0 bytes/workgroup (compile time only)
; SGPRBlocks: 0
; VGPRBlocks: 0
; NumSGPRsForWavesPerEU: 1
; NumVGPRsForWavesPerEU: 1
; NamedBarCnt: 0
; Occupancy: 16
; WaveLimiterHint : 0
; COMPUTE_PGM_RSRC2:SCRATCH_EN: 0
; COMPUTE_PGM_RSRC2:USER_SGPR: 2
; COMPUTE_PGM_RSRC2:TRAP_HANDLER: 0
; COMPUTE_PGM_RSRC2:TGID_X_EN: 1
; COMPUTE_PGM_RSRC2:TGID_Y_EN: 0
; COMPUTE_PGM_RSRC2:TGID_Z_EN: 0
; COMPUTE_PGM_RSRC2:TIDIG_COMP_CNT: 0
	.section	.text._ZN7rocprim17ROCPRIM_400000_NS6detail17trampoline_kernelINS0_14default_configENS1_25partition_config_selectorILNS1_17partition_subalgoE8EN3c104HalfENS0_10empty_typeEbEEZZNS1_14partition_implILS5_8ELb0ES3_jPKS7_PS8_PKS8_NS0_5tupleIJPS7_S8_EEENSG_IJSD_SD_EEENS0_18inequality_wrapperIN6hipcub16HIPCUB_304000_NS8EqualityEEEPlJS8_EEE10hipError_tPvRmT3_T4_T5_T6_T7_T9_mT8_P12ihipStream_tbDpT10_ENKUlT_T0_E_clISt17integral_constantIbLb1EES18_IbLb0EEEEDaS14_S15_EUlS14_E_NS1_11comp_targetILNS1_3genE8ELNS1_11target_archE1030ELNS1_3gpuE2ELNS1_3repE0EEENS1_30default_config_static_selectorELNS0_4arch9wavefront6targetE0EEEvT1_,"axG",@progbits,_ZN7rocprim17ROCPRIM_400000_NS6detail17trampoline_kernelINS0_14default_configENS1_25partition_config_selectorILNS1_17partition_subalgoE8EN3c104HalfENS0_10empty_typeEbEEZZNS1_14partition_implILS5_8ELb0ES3_jPKS7_PS8_PKS8_NS0_5tupleIJPS7_S8_EEENSG_IJSD_SD_EEENS0_18inequality_wrapperIN6hipcub16HIPCUB_304000_NS8EqualityEEEPlJS8_EEE10hipError_tPvRmT3_T4_T5_T6_T7_T9_mT8_P12ihipStream_tbDpT10_ENKUlT_T0_E_clISt17integral_constantIbLb1EES18_IbLb0EEEEDaS14_S15_EUlS14_E_NS1_11comp_targetILNS1_3genE8ELNS1_11target_archE1030ELNS1_3gpuE2ELNS1_3repE0EEENS1_30default_config_static_selectorELNS0_4arch9wavefront6targetE0EEEvT1_,comdat
	.protected	_ZN7rocprim17ROCPRIM_400000_NS6detail17trampoline_kernelINS0_14default_configENS1_25partition_config_selectorILNS1_17partition_subalgoE8EN3c104HalfENS0_10empty_typeEbEEZZNS1_14partition_implILS5_8ELb0ES3_jPKS7_PS8_PKS8_NS0_5tupleIJPS7_S8_EEENSG_IJSD_SD_EEENS0_18inequality_wrapperIN6hipcub16HIPCUB_304000_NS8EqualityEEEPlJS8_EEE10hipError_tPvRmT3_T4_T5_T6_T7_T9_mT8_P12ihipStream_tbDpT10_ENKUlT_T0_E_clISt17integral_constantIbLb1EES18_IbLb0EEEEDaS14_S15_EUlS14_E_NS1_11comp_targetILNS1_3genE8ELNS1_11target_archE1030ELNS1_3gpuE2ELNS1_3repE0EEENS1_30default_config_static_selectorELNS0_4arch9wavefront6targetE0EEEvT1_ ; -- Begin function _ZN7rocprim17ROCPRIM_400000_NS6detail17trampoline_kernelINS0_14default_configENS1_25partition_config_selectorILNS1_17partition_subalgoE8EN3c104HalfENS0_10empty_typeEbEEZZNS1_14partition_implILS5_8ELb0ES3_jPKS7_PS8_PKS8_NS0_5tupleIJPS7_S8_EEENSG_IJSD_SD_EEENS0_18inequality_wrapperIN6hipcub16HIPCUB_304000_NS8EqualityEEEPlJS8_EEE10hipError_tPvRmT3_T4_T5_T6_T7_T9_mT8_P12ihipStream_tbDpT10_ENKUlT_T0_E_clISt17integral_constantIbLb1EES18_IbLb0EEEEDaS14_S15_EUlS14_E_NS1_11comp_targetILNS1_3genE8ELNS1_11target_archE1030ELNS1_3gpuE2ELNS1_3repE0EEENS1_30default_config_static_selectorELNS0_4arch9wavefront6targetE0EEEvT1_
	.globl	_ZN7rocprim17ROCPRIM_400000_NS6detail17trampoline_kernelINS0_14default_configENS1_25partition_config_selectorILNS1_17partition_subalgoE8EN3c104HalfENS0_10empty_typeEbEEZZNS1_14partition_implILS5_8ELb0ES3_jPKS7_PS8_PKS8_NS0_5tupleIJPS7_S8_EEENSG_IJSD_SD_EEENS0_18inequality_wrapperIN6hipcub16HIPCUB_304000_NS8EqualityEEEPlJS8_EEE10hipError_tPvRmT3_T4_T5_T6_T7_T9_mT8_P12ihipStream_tbDpT10_ENKUlT_T0_E_clISt17integral_constantIbLb1EES18_IbLb0EEEEDaS14_S15_EUlS14_E_NS1_11comp_targetILNS1_3genE8ELNS1_11target_archE1030ELNS1_3gpuE2ELNS1_3repE0EEENS1_30default_config_static_selectorELNS0_4arch9wavefront6targetE0EEEvT1_
	.p2align	8
	.type	_ZN7rocprim17ROCPRIM_400000_NS6detail17trampoline_kernelINS0_14default_configENS1_25partition_config_selectorILNS1_17partition_subalgoE8EN3c104HalfENS0_10empty_typeEbEEZZNS1_14partition_implILS5_8ELb0ES3_jPKS7_PS8_PKS8_NS0_5tupleIJPS7_S8_EEENSG_IJSD_SD_EEENS0_18inequality_wrapperIN6hipcub16HIPCUB_304000_NS8EqualityEEEPlJS8_EEE10hipError_tPvRmT3_T4_T5_T6_T7_T9_mT8_P12ihipStream_tbDpT10_ENKUlT_T0_E_clISt17integral_constantIbLb1EES18_IbLb0EEEEDaS14_S15_EUlS14_E_NS1_11comp_targetILNS1_3genE8ELNS1_11target_archE1030ELNS1_3gpuE2ELNS1_3repE0EEENS1_30default_config_static_selectorELNS0_4arch9wavefront6targetE0EEEvT1_,@function
_ZN7rocprim17ROCPRIM_400000_NS6detail17trampoline_kernelINS0_14default_configENS1_25partition_config_selectorILNS1_17partition_subalgoE8EN3c104HalfENS0_10empty_typeEbEEZZNS1_14partition_implILS5_8ELb0ES3_jPKS7_PS8_PKS8_NS0_5tupleIJPS7_S8_EEENSG_IJSD_SD_EEENS0_18inequality_wrapperIN6hipcub16HIPCUB_304000_NS8EqualityEEEPlJS8_EEE10hipError_tPvRmT3_T4_T5_T6_T7_T9_mT8_P12ihipStream_tbDpT10_ENKUlT_T0_E_clISt17integral_constantIbLb1EES18_IbLb0EEEEDaS14_S15_EUlS14_E_NS1_11comp_targetILNS1_3genE8ELNS1_11target_archE1030ELNS1_3gpuE2ELNS1_3repE0EEENS1_30default_config_static_selectorELNS0_4arch9wavefront6targetE0EEEvT1_: ; @_ZN7rocprim17ROCPRIM_400000_NS6detail17trampoline_kernelINS0_14default_configENS1_25partition_config_selectorILNS1_17partition_subalgoE8EN3c104HalfENS0_10empty_typeEbEEZZNS1_14partition_implILS5_8ELb0ES3_jPKS7_PS8_PKS8_NS0_5tupleIJPS7_S8_EEENSG_IJSD_SD_EEENS0_18inequality_wrapperIN6hipcub16HIPCUB_304000_NS8EqualityEEEPlJS8_EEE10hipError_tPvRmT3_T4_T5_T6_T7_T9_mT8_P12ihipStream_tbDpT10_ENKUlT_T0_E_clISt17integral_constantIbLb1EES18_IbLb0EEEEDaS14_S15_EUlS14_E_NS1_11comp_targetILNS1_3genE8ELNS1_11target_archE1030ELNS1_3gpuE2ELNS1_3repE0EEENS1_30default_config_static_selectorELNS0_4arch9wavefront6targetE0EEEvT1_
; %bb.0:
	.section	.rodata,"a",@progbits
	.p2align	6, 0x0
	.amdhsa_kernel _ZN7rocprim17ROCPRIM_400000_NS6detail17trampoline_kernelINS0_14default_configENS1_25partition_config_selectorILNS1_17partition_subalgoE8EN3c104HalfENS0_10empty_typeEbEEZZNS1_14partition_implILS5_8ELb0ES3_jPKS7_PS8_PKS8_NS0_5tupleIJPS7_S8_EEENSG_IJSD_SD_EEENS0_18inequality_wrapperIN6hipcub16HIPCUB_304000_NS8EqualityEEEPlJS8_EEE10hipError_tPvRmT3_T4_T5_T6_T7_T9_mT8_P12ihipStream_tbDpT10_ENKUlT_T0_E_clISt17integral_constantIbLb1EES18_IbLb0EEEEDaS14_S15_EUlS14_E_NS1_11comp_targetILNS1_3genE8ELNS1_11target_archE1030ELNS1_3gpuE2ELNS1_3repE0EEENS1_30default_config_static_selectorELNS0_4arch9wavefront6targetE0EEEvT1_
		.amdhsa_group_segment_fixed_size 0
		.amdhsa_private_segment_fixed_size 0
		.amdhsa_kernarg_size 112
		.amdhsa_user_sgpr_count 2
		.amdhsa_user_sgpr_dispatch_ptr 0
		.amdhsa_user_sgpr_queue_ptr 0
		.amdhsa_user_sgpr_kernarg_segment_ptr 1
		.amdhsa_user_sgpr_dispatch_id 0
		.amdhsa_user_sgpr_kernarg_preload_length 0
		.amdhsa_user_sgpr_kernarg_preload_offset 0
		.amdhsa_user_sgpr_private_segment_size 0
		.amdhsa_wavefront_size32 1
		.amdhsa_uses_dynamic_stack 0
		.amdhsa_enable_private_segment 0
		.amdhsa_system_sgpr_workgroup_id_x 1
		.amdhsa_system_sgpr_workgroup_id_y 0
		.amdhsa_system_sgpr_workgroup_id_z 0
		.amdhsa_system_sgpr_workgroup_info 0
		.amdhsa_system_vgpr_workitem_id 0
		.amdhsa_next_free_vgpr 1
		.amdhsa_next_free_sgpr 1
		.amdhsa_named_barrier_count 0
		.amdhsa_reserve_vcc 0
		.amdhsa_float_round_mode_32 0
		.amdhsa_float_round_mode_16_64 0
		.amdhsa_float_denorm_mode_32 3
		.amdhsa_float_denorm_mode_16_64 3
		.amdhsa_fp16_overflow 0
		.amdhsa_memory_ordered 1
		.amdhsa_forward_progress 1
		.amdhsa_inst_pref_size 0
		.amdhsa_round_robin_scheduling 0
		.amdhsa_exception_fp_ieee_invalid_op 0
		.amdhsa_exception_fp_denorm_src 0
		.amdhsa_exception_fp_ieee_div_zero 0
		.amdhsa_exception_fp_ieee_overflow 0
		.amdhsa_exception_fp_ieee_underflow 0
		.amdhsa_exception_fp_ieee_inexact 0
		.amdhsa_exception_int_div_zero 0
	.end_amdhsa_kernel
	.section	.text._ZN7rocprim17ROCPRIM_400000_NS6detail17trampoline_kernelINS0_14default_configENS1_25partition_config_selectorILNS1_17partition_subalgoE8EN3c104HalfENS0_10empty_typeEbEEZZNS1_14partition_implILS5_8ELb0ES3_jPKS7_PS8_PKS8_NS0_5tupleIJPS7_S8_EEENSG_IJSD_SD_EEENS0_18inequality_wrapperIN6hipcub16HIPCUB_304000_NS8EqualityEEEPlJS8_EEE10hipError_tPvRmT3_T4_T5_T6_T7_T9_mT8_P12ihipStream_tbDpT10_ENKUlT_T0_E_clISt17integral_constantIbLb1EES18_IbLb0EEEEDaS14_S15_EUlS14_E_NS1_11comp_targetILNS1_3genE8ELNS1_11target_archE1030ELNS1_3gpuE2ELNS1_3repE0EEENS1_30default_config_static_selectorELNS0_4arch9wavefront6targetE0EEEvT1_,"axG",@progbits,_ZN7rocprim17ROCPRIM_400000_NS6detail17trampoline_kernelINS0_14default_configENS1_25partition_config_selectorILNS1_17partition_subalgoE8EN3c104HalfENS0_10empty_typeEbEEZZNS1_14partition_implILS5_8ELb0ES3_jPKS7_PS8_PKS8_NS0_5tupleIJPS7_S8_EEENSG_IJSD_SD_EEENS0_18inequality_wrapperIN6hipcub16HIPCUB_304000_NS8EqualityEEEPlJS8_EEE10hipError_tPvRmT3_T4_T5_T6_T7_T9_mT8_P12ihipStream_tbDpT10_ENKUlT_T0_E_clISt17integral_constantIbLb1EES18_IbLb0EEEEDaS14_S15_EUlS14_E_NS1_11comp_targetILNS1_3genE8ELNS1_11target_archE1030ELNS1_3gpuE2ELNS1_3repE0EEENS1_30default_config_static_selectorELNS0_4arch9wavefront6targetE0EEEvT1_,comdat
.Lfunc_end916:
	.size	_ZN7rocprim17ROCPRIM_400000_NS6detail17trampoline_kernelINS0_14default_configENS1_25partition_config_selectorILNS1_17partition_subalgoE8EN3c104HalfENS0_10empty_typeEbEEZZNS1_14partition_implILS5_8ELb0ES3_jPKS7_PS8_PKS8_NS0_5tupleIJPS7_S8_EEENSG_IJSD_SD_EEENS0_18inequality_wrapperIN6hipcub16HIPCUB_304000_NS8EqualityEEEPlJS8_EEE10hipError_tPvRmT3_T4_T5_T6_T7_T9_mT8_P12ihipStream_tbDpT10_ENKUlT_T0_E_clISt17integral_constantIbLb1EES18_IbLb0EEEEDaS14_S15_EUlS14_E_NS1_11comp_targetILNS1_3genE8ELNS1_11target_archE1030ELNS1_3gpuE2ELNS1_3repE0EEENS1_30default_config_static_selectorELNS0_4arch9wavefront6targetE0EEEvT1_, .Lfunc_end916-_ZN7rocprim17ROCPRIM_400000_NS6detail17trampoline_kernelINS0_14default_configENS1_25partition_config_selectorILNS1_17partition_subalgoE8EN3c104HalfENS0_10empty_typeEbEEZZNS1_14partition_implILS5_8ELb0ES3_jPKS7_PS8_PKS8_NS0_5tupleIJPS7_S8_EEENSG_IJSD_SD_EEENS0_18inequality_wrapperIN6hipcub16HIPCUB_304000_NS8EqualityEEEPlJS8_EEE10hipError_tPvRmT3_T4_T5_T6_T7_T9_mT8_P12ihipStream_tbDpT10_ENKUlT_T0_E_clISt17integral_constantIbLb1EES18_IbLb0EEEEDaS14_S15_EUlS14_E_NS1_11comp_targetILNS1_3genE8ELNS1_11target_archE1030ELNS1_3gpuE2ELNS1_3repE0EEENS1_30default_config_static_selectorELNS0_4arch9wavefront6targetE0EEEvT1_
                                        ; -- End function
	.set _ZN7rocprim17ROCPRIM_400000_NS6detail17trampoline_kernelINS0_14default_configENS1_25partition_config_selectorILNS1_17partition_subalgoE8EN3c104HalfENS0_10empty_typeEbEEZZNS1_14partition_implILS5_8ELb0ES3_jPKS7_PS8_PKS8_NS0_5tupleIJPS7_S8_EEENSG_IJSD_SD_EEENS0_18inequality_wrapperIN6hipcub16HIPCUB_304000_NS8EqualityEEEPlJS8_EEE10hipError_tPvRmT3_T4_T5_T6_T7_T9_mT8_P12ihipStream_tbDpT10_ENKUlT_T0_E_clISt17integral_constantIbLb1EES18_IbLb0EEEEDaS14_S15_EUlS14_E_NS1_11comp_targetILNS1_3genE8ELNS1_11target_archE1030ELNS1_3gpuE2ELNS1_3repE0EEENS1_30default_config_static_selectorELNS0_4arch9wavefront6targetE0EEEvT1_.num_vgpr, 0
	.set _ZN7rocprim17ROCPRIM_400000_NS6detail17trampoline_kernelINS0_14default_configENS1_25partition_config_selectorILNS1_17partition_subalgoE8EN3c104HalfENS0_10empty_typeEbEEZZNS1_14partition_implILS5_8ELb0ES3_jPKS7_PS8_PKS8_NS0_5tupleIJPS7_S8_EEENSG_IJSD_SD_EEENS0_18inequality_wrapperIN6hipcub16HIPCUB_304000_NS8EqualityEEEPlJS8_EEE10hipError_tPvRmT3_T4_T5_T6_T7_T9_mT8_P12ihipStream_tbDpT10_ENKUlT_T0_E_clISt17integral_constantIbLb1EES18_IbLb0EEEEDaS14_S15_EUlS14_E_NS1_11comp_targetILNS1_3genE8ELNS1_11target_archE1030ELNS1_3gpuE2ELNS1_3repE0EEENS1_30default_config_static_selectorELNS0_4arch9wavefront6targetE0EEEvT1_.num_agpr, 0
	.set _ZN7rocprim17ROCPRIM_400000_NS6detail17trampoline_kernelINS0_14default_configENS1_25partition_config_selectorILNS1_17partition_subalgoE8EN3c104HalfENS0_10empty_typeEbEEZZNS1_14partition_implILS5_8ELb0ES3_jPKS7_PS8_PKS8_NS0_5tupleIJPS7_S8_EEENSG_IJSD_SD_EEENS0_18inequality_wrapperIN6hipcub16HIPCUB_304000_NS8EqualityEEEPlJS8_EEE10hipError_tPvRmT3_T4_T5_T6_T7_T9_mT8_P12ihipStream_tbDpT10_ENKUlT_T0_E_clISt17integral_constantIbLb1EES18_IbLb0EEEEDaS14_S15_EUlS14_E_NS1_11comp_targetILNS1_3genE8ELNS1_11target_archE1030ELNS1_3gpuE2ELNS1_3repE0EEENS1_30default_config_static_selectorELNS0_4arch9wavefront6targetE0EEEvT1_.numbered_sgpr, 0
	.set _ZN7rocprim17ROCPRIM_400000_NS6detail17trampoline_kernelINS0_14default_configENS1_25partition_config_selectorILNS1_17partition_subalgoE8EN3c104HalfENS0_10empty_typeEbEEZZNS1_14partition_implILS5_8ELb0ES3_jPKS7_PS8_PKS8_NS0_5tupleIJPS7_S8_EEENSG_IJSD_SD_EEENS0_18inequality_wrapperIN6hipcub16HIPCUB_304000_NS8EqualityEEEPlJS8_EEE10hipError_tPvRmT3_T4_T5_T6_T7_T9_mT8_P12ihipStream_tbDpT10_ENKUlT_T0_E_clISt17integral_constantIbLb1EES18_IbLb0EEEEDaS14_S15_EUlS14_E_NS1_11comp_targetILNS1_3genE8ELNS1_11target_archE1030ELNS1_3gpuE2ELNS1_3repE0EEENS1_30default_config_static_selectorELNS0_4arch9wavefront6targetE0EEEvT1_.num_named_barrier, 0
	.set _ZN7rocprim17ROCPRIM_400000_NS6detail17trampoline_kernelINS0_14default_configENS1_25partition_config_selectorILNS1_17partition_subalgoE8EN3c104HalfENS0_10empty_typeEbEEZZNS1_14partition_implILS5_8ELb0ES3_jPKS7_PS8_PKS8_NS0_5tupleIJPS7_S8_EEENSG_IJSD_SD_EEENS0_18inequality_wrapperIN6hipcub16HIPCUB_304000_NS8EqualityEEEPlJS8_EEE10hipError_tPvRmT3_T4_T5_T6_T7_T9_mT8_P12ihipStream_tbDpT10_ENKUlT_T0_E_clISt17integral_constantIbLb1EES18_IbLb0EEEEDaS14_S15_EUlS14_E_NS1_11comp_targetILNS1_3genE8ELNS1_11target_archE1030ELNS1_3gpuE2ELNS1_3repE0EEENS1_30default_config_static_selectorELNS0_4arch9wavefront6targetE0EEEvT1_.private_seg_size, 0
	.set _ZN7rocprim17ROCPRIM_400000_NS6detail17trampoline_kernelINS0_14default_configENS1_25partition_config_selectorILNS1_17partition_subalgoE8EN3c104HalfENS0_10empty_typeEbEEZZNS1_14partition_implILS5_8ELb0ES3_jPKS7_PS8_PKS8_NS0_5tupleIJPS7_S8_EEENSG_IJSD_SD_EEENS0_18inequality_wrapperIN6hipcub16HIPCUB_304000_NS8EqualityEEEPlJS8_EEE10hipError_tPvRmT3_T4_T5_T6_T7_T9_mT8_P12ihipStream_tbDpT10_ENKUlT_T0_E_clISt17integral_constantIbLb1EES18_IbLb0EEEEDaS14_S15_EUlS14_E_NS1_11comp_targetILNS1_3genE8ELNS1_11target_archE1030ELNS1_3gpuE2ELNS1_3repE0EEENS1_30default_config_static_selectorELNS0_4arch9wavefront6targetE0EEEvT1_.uses_vcc, 0
	.set _ZN7rocprim17ROCPRIM_400000_NS6detail17trampoline_kernelINS0_14default_configENS1_25partition_config_selectorILNS1_17partition_subalgoE8EN3c104HalfENS0_10empty_typeEbEEZZNS1_14partition_implILS5_8ELb0ES3_jPKS7_PS8_PKS8_NS0_5tupleIJPS7_S8_EEENSG_IJSD_SD_EEENS0_18inequality_wrapperIN6hipcub16HIPCUB_304000_NS8EqualityEEEPlJS8_EEE10hipError_tPvRmT3_T4_T5_T6_T7_T9_mT8_P12ihipStream_tbDpT10_ENKUlT_T0_E_clISt17integral_constantIbLb1EES18_IbLb0EEEEDaS14_S15_EUlS14_E_NS1_11comp_targetILNS1_3genE8ELNS1_11target_archE1030ELNS1_3gpuE2ELNS1_3repE0EEENS1_30default_config_static_selectorELNS0_4arch9wavefront6targetE0EEEvT1_.uses_flat_scratch, 0
	.set _ZN7rocprim17ROCPRIM_400000_NS6detail17trampoline_kernelINS0_14default_configENS1_25partition_config_selectorILNS1_17partition_subalgoE8EN3c104HalfENS0_10empty_typeEbEEZZNS1_14partition_implILS5_8ELb0ES3_jPKS7_PS8_PKS8_NS0_5tupleIJPS7_S8_EEENSG_IJSD_SD_EEENS0_18inequality_wrapperIN6hipcub16HIPCUB_304000_NS8EqualityEEEPlJS8_EEE10hipError_tPvRmT3_T4_T5_T6_T7_T9_mT8_P12ihipStream_tbDpT10_ENKUlT_T0_E_clISt17integral_constantIbLb1EES18_IbLb0EEEEDaS14_S15_EUlS14_E_NS1_11comp_targetILNS1_3genE8ELNS1_11target_archE1030ELNS1_3gpuE2ELNS1_3repE0EEENS1_30default_config_static_selectorELNS0_4arch9wavefront6targetE0EEEvT1_.has_dyn_sized_stack, 0
	.set _ZN7rocprim17ROCPRIM_400000_NS6detail17trampoline_kernelINS0_14default_configENS1_25partition_config_selectorILNS1_17partition_subalgoE8EN3c104HalfENS0_10empty_typeEbEEZZNS1_14partition_implILS5_8ELb0ES3_jPKS7_PS8_PKS8_NS0_5tupleIJPS7_S8_EEENSG_IJSD_SD_EEENS0_18inequality_wrapperIN6hipcub16HIPCUB_304000_NS8EqualityEEEPlJS8_EEE10hipError_tPvRmT3_T4_T5_T6_T7_T9_mT8_P12ihipStream_tbDpT10_ENKUlT_T0_E_clISt17integral_constantIbLb1EES18_IbLb0EEEEDaS14_S15_EUlS14_E_NS1_11comp_targetILNS1_3genE8ELNS1_11target_archE1030ELNS1_3gpuE2ELNS1_3repE0EEENS1_30default_config_static_selectorELNS0_4arch9wavefront6targetE0EEEvT1_.has_recursion, 0
	.set _ZN7rocprim17ROCPRIM_400000_NS6detail17trampoline_kernelINS0_14default_configENS1_25partition_config_selectorILNS1_17partition_subalgoE8EN3c104HalfENS0_10empty_typeEbEEZZNS1_14partition_implILS5_8ELb0ES3_jPKS7_PS8_PKS8_NS0_5tupleIJPS7_S8_EEENSG_IJSD_SD_EEENS0_18inequality_wrapperIN6hipcub16HIPCUB_304000_NS8EqualityEEEPlJS8_EEE10hipError_tPvRmT3_T4_T5_T6_T7_T9_mT8_P12ihipStream_tbDpT10_ENKUlT_T0_E_clISt17integral_constantIbLb1EES18_IbLb0EEEEDaS14_S15_EUlS14_E_NS1_11comp_targetILNS1_3genE8ELNS1_11target_archE1030ELNS1_3gpuE2ELNS1_3repE0EEENS1_30default_config_static_selectorELNS0_4arch9wavefront6targetE0EEEvT1_.has_indirect_call, 0
	.section	.AMDGPU.csdata,"",@progbits
; Kernel info:
; codeLenInByte = 0
; TotalNumSgprs: 0
; NumVgprs: 0
; ScratchSize: 0
; MemoryBound: 0
; FloatMode: 240
; IeeeMode: 1
; LDSByteSize: 0 bytes/workgroup (compile time only)
; SGPRBlocks: 0
; VGPRBlocks: 0
; NumSGPRsForWavesPerEU: 1
; NumVGPRsForWavesPerEU: 1
; NamedBarCnt: 0
; Occupancy: 16
; WaveLimiterHint : 0
; COMPUTE_PGM_RSRC2:SCRATCH_EN: 0
; COMPUTE_PGM_RSRC2:USER_SGPR: 2
; COMPUTE_PGM_RSRC2:TRAP_HANDLER: 0
; COMPUTE_PGM_RSRC2:TGID_X_EN: 1
; COMPUTE_PGM_RSRC2:TGID_Y_EN: 0
; COMPUTE_PGM_RSRC2:TGID_Z_EN: 0
; COMPUTE_PGM_RSRC2:TIDIG_COMP_CNT: 0
	.section	.text._ZN7rocprim17ROCPRIM_400000_NS6detail17trampoline_kernelINS0_14default_configENS1_25partition_config_selectorILNS1_17partition_subalgoE8EN3c104HalfENS0_10empty_typeEbEEZZNS1_14partition_implILS5_8ELb0ES3_jPKS7_PS8_PKS8_NS0_5tupleIJPS7_S8_EEENSG_IJSD_SD_EEENS0_18inequality_wrapperIN6hipcub16HIPCUB_304000_NS8EqualityEEEPlJS8_EEE10hipError_tPvRmT3_T4_T5_T6_T7_T9_mT8_P12ihipStream_tbDpT10_ENKUlT_T0_E_clISt17integral_constantIbLb0EES18_IbLb1EEEEDaS14_S15_EUlS14_E_NS1_11comp_targetILNS1_3genE0ELNS1_11target_archE4294967295ELNS1_3gpuE0ELNS1_3repE0EEENS1_30default_config_static_selectorELNS0_4arch9wavefront6targetE0EEEvT1_,"axG",@progbits,_ZN7rocprim17ROCPRIM_400000_NS6detail17trampoline_kernelINS0_14default_configENS1_25partition_config_selectorILNS1_17partition_subalgoE8EN3c104HalfENS0_10empty_typeEbEEZZNS1_14partition_implILS5_8ELb0ES3_jPKS7_PS8_PKS8_NS0_5tupleIJPS7_S8_EEENSG_IJSD_SD_EEENS0_18inequality_wrapperIN6hipcub16HIPCUB_304000_NS8EqualityEEEPlJS8_EEE10hipError_tPvRmT3_T4_T5_T6_T7_T9_mT8_P12ihipStream_tbDpT10_ENKUlT_T0_E_clISt17integral_constantIbLb0EES18_IbLb1EEEEDaS14_S15_EUlS14_E_NS1_11comp_targetILNS1_3genE0ELNS1_11target_archE4294967295ELNS1_3gpuE0ELNS1_3repE0EEENS1_30default_config_static_selectorELNS0_4arch9wavefront6targetE0EEEvT1_,comdat
	.protected	_ZN7rocprim17ROCPRIM_400000_NS6detail17trampoline_kernelINS0_14default_configENS1_25partition_config_selectorILNS1_17partition_subalgoE8EN3c104HalfENS0_10empty_typeEbEEZZNS1_14partition_implILS5_8ELb0ES3_jPKS7_PS8_PKS8_NS0_5tupleIJPS7_S8_EEENSG_IJSD_SD_EEENS0_18inequality_wrapperIN6hipcub16HIPCUB_304000_NS8EqualityEEEPlJS8_EEE10hipError_tPvRmT3_T4_T5_T6_T7_T9_mT8_P12ihipStream_tbDpT10_ENKUlT_T0_E_clISt17integral_constantIbLb0EES18_IbLb1EEEEDaS14_S15_EUlS14_E_NS1_11comp_targetILNS1_3genE0ELNS1_11target_archE4294967295ELNS1_3gpuE0ELNS1_3repE0EEENS1_30default_config_static_selectorELNS0_4arch9wavefront6targetE0EEEvT1_ ; -- Begin function _ZN7rocprim17ROCPRIM_400000_NS6detail17trampoline_kernelINS0_14default_configENS1_25partition_config_selectorILNS1_17partition_subalgoE8EN3c104HalfENS0_10empty_typeEbEEZZNS1_14partition_implILS5_8ELb0ES3_jPKS7_PS8_PKS8_NS0_5tupleIJPS7_S8_EEENSG_IJSD_SD_EEENS0_18inequality_wrapperIN6hipcub16HIPCUB_304000_NS8EqualityEEEPlJS8_EEE10hipError_tPvRmT3_T4_T5_T6_T7_T9_mT8_P12ihipStream_tbDpT10_ENKUlT_T0_E_clISt17integral_constantIbLb0EES18_IbLb1EEEEDaS14_S15_EUlS14_E_NS1_11comp_targetILNS1_3genE0ELNS1_11target_archE4294967295ELNS1_3gpuE0ELNS1_3repE0EEENS1_30default_config_static_selectorELNS0_4arch9wavefront6targetE0EEEvT1_
	.globl	_ZN7rocprim17ROCPRIM_400000_NS6detail17trampoline_kernelINS0_14default_configENS1_25partition_config_selectorILNS1_17partition_subalgoE8EN3c104HalfENS0_10empty_typeEbEEZZNS1_14partition_implILS5_8ELb0ES3_jPKS7_PS8_PKS8_NS0_5tupleIJPS7_S8_EEENSG_IJSD_SD_EEENS0_18inequality_wrapperIN6hipcub16HIPCUB_304000_NS8EqualityEEEPlJS8_EEE10hipError_tPvRmT3_T4_T5_T6_T7_T9_mT8_P12ihipStream_tbDpT10_ENKUlT_T0_E_clISt17integral_constantIbLb0EES18_IbLb1EEEEDaS14_S15_EUlS14_E_NS1_11comp_targetILNS1_3genE0ELNS1_11target_archE4294967295ELNS1_3gpuE0ELNS1_3repE0EEENS1_30default_config_static_selectorELNS0_4arch9wavefront6targetE0EEEvT1_
	.p2align	8
	.type	_ZN7rocprim17ROCPRIM_400000_NS6detail17trampoline_kernelINS0_14default_configENS1_25partition_config_selectorILNS1_17partition_subalgoE8EN3c104HalfENS0_10empty_typeEbEEZZNS1_14partition_implILS5_8ELb0ES3_jPKS7_PS8_PKS8_NS0_5tupleIJPS7_S8_EEENSG_IJSD_SD_EEENS0_18inequality_wrapperIN6hipcub16HIPCUB_304000_NS8EqualityEEEPlJS8_EEE10hipError_tPvRmT3_T4_T5_T6_T7_T9_mT8_P12ihipStream_tbDpT10_ENKUlT_T0_E_clISt17integral_constantIbLb0EES18_IbLb1EEEEDaS14_S15_EUlS14_E_NS1_11comp_targetILNS1_3genE0ELNS1_11target_archE4294967295ELNS1_3gpuE0ELNS1_3repE0EEENS1_30default_config_static_selectorELNS0_4arch9wavefront6targetE0EEEvT1_,@function
_ZN7rocprim17ROCPRIM_400000_NS6detail17trampoline_kernelINS0_14default_configENS1_25partition_config_selectorILNS1_17partition_subalgoE8EN3c104HalfENS0_10empty_typeEbEEZZNS1_14partition_implILS5_8ELb0ES3_jPKS7_PS8_PKS8_NS0_5tupleIJPS7_S8_EEENSG_IJSD_SD_EEENS0_18inequality_wrapperIN6hipcub16HIPCUB_304000_NS8EqualityEEEPlJS8_EEE10hipError_tPvRmT3_T4_T5_T6_T7_T9_mT8_P12ihipStream_tbDpT10_ENKUlT_T0_E_clISt17integral_constantIbLb0EES18_IbLb1EEEEDaS14_S15_EUlS14_E_NS1_11comp_targetILNS1_3genE0ELNS1_11target_archE4294967295ELNS1_3gpuE0ELNS1_3repE0EEENS1_30default_config_static_selectorELNS0_4arch9wavefront6targetE0EEEvT1_: ; @_ZN7rocprim17ROCPRIM_400000_NS6detail17trampoline_kernelINS0_14default_configENS1_25partition_config_selectorILNS1_17partition_subalgoE8EN3c104HalfENS0_10empty_typeEbEEZZNS1_14partition_implILS5_8ELb0ES3_jPKS7_PS8_PKS8_NS0_5tupleIJPS7_S8_EEENSG_IJSD_SD_EEENS0_18inequality_wrapperIN6hipcub16HIPCUB_304000_NS8EqualityEEEPlJS8_EEE10hipError_tPvRmT3_T4_T5_T6_T7_T9_mT8_P12ihipStream_tbDpT10_ENKUlT_T0_E_clISt17integral_constantIbLb0EES18_IbLb1EEEEDaS14_S15_EUlS14_E_NS1_11comp_targetILNS1_3genE0ELNS1_11target_archE4294967295ELNS1_3gpuE0ELNS1_3repE0EEENS1_30default_config_static_selectorELNS0_4arch9wavefront6targetE0EEEvT1_
; %bb.0:
	s_clause 0x2
	s_load_b128 s[36:39], s[0:1], 0x40
	s_load_b64 s[8:9], s[0:1], 0x50
	s_load_b64 s[34:35], s[0:1], 0x60
	v_cmp_ne_u32_e64 s3, 0, v0
	v_cmp_eq_u32_e64 s2, 0, v0
	s_and_saveexec_b32 s4, s2
	s_cbranch_execz .LBB917_4
; %bb.1:
	s_mov_b32 s6, exec_lo
	s_mov_b32 s5, exec_lo
	v_mbcnt_lo_u32_b32 v1, s6, 0
                                        ; implicit-def: $vgpr2
	s_delay_alu instid0(VALU_DEP_1)
	v_cmpx_eq_u32_e32 0, v1
	s_cbranch_execz .LBB917_3
; %bb.2:
	s_load_b64 s[10:11], s[0:1], 0x70
	s_bcnt1_i32_b32 s6, s6
	s_delay_alu instid0(SALU_CYCLE_1)
	v_dual_mov_b32 v2, 0 :: v_dual_mov_b32 v3, s6
	s_wait_xcnt 0x0
	s_wait_kmcnt 0x0
	global_atomic_add_u32 v2, v2, v3, s[10:11] th:TH_ATOMIC_RETURN scope:SCOPE_DEV
.LBB917_3:
	s_wait_xcnt 0x0
	s_or_b32 exec_lo, exec_lo, s5
	s_wait_loadcnt 0x0
	v_readfirstlane_b32 s5, v2
	s_delay_alu instid0(VALU_DEP_1)
	v_dual_mov_b32 v2, 0 :: v_dual_add_nc_u32 v1, s5, v1
	ds_store_b32 v2, v1
.LBB917_4:
	s_or_b32 exec_lo, exec_lo, s4
	v_mov_b32_e32 v3, 0
	s_clause 0x2
	s_load_b128 s[4:7], s[0:1], 0x8
	s_load_b64 s[30:31], s[0:1], 0x28
	s_load_b32 s10, s[0:1], 0x68
	s_wait_dscnt 0x0
	s_barrier_signal -1
	s_barrier_wait -1
	ds_load_b32 v1, v3
	s_wait_dscnt 0x0
	s_barrier_signal -1
	s_barrier_wait -1
	s_wait_kmcnt 0x0
	global_load_b64 v[34:35], v3, s[38:39]
	s_mov_b32 s13, 0
	s_lshl_b64 s[0:1], s[6:7], 1
	s_mul_i32 s12, s10, 0x1e00
	s_add_co_i32 s14, s10, -1
	s_add_nc_u64 s[10:11], s[6:7], s[12:13]
	s_add_co_i32 s12, s12, s6
	v_cmp_le_u64_e64 s9, s[8:9], s[10:11]
	v_mul_lo_u32 v2, 0x1e00, v1
	s_wait_xcnt 0x0
	v_readfirstlane_b32 s39, v1
	s_sub_co_i32 s40, s8, s12
	s_add_nc_u64 s[0:1], s[4:5], s[0:1]
	s_cmp_eq_u32 s39, s14
	s_cselect_b32 s33, -1, 0
	s_delay_alu instid0(SALU_CYCLE_1) | instskip(SKIP_2) | instid1(SALU_CYCLE_1)
	s_and_b32 s41, s9, s33
	v_lshlrev_b64_e32 v[2:3], 1, v[2:3]
	s_xor_b32 s38, s41, -1
	s_and_b32 vcc_lo, exec_lo, s38
	s_delay_alu instid0(VALU_DEP_1)
	v_add_nc_u64_e32 v[2:3], s[0:1], v[2:3]
	s_mov_b32 s0, -1
	s_cbranch_vccz .LBB917_6
; %bb.5:
	s_delay_alu instid0(VALU_DEP_1) | instskip(NEXT) | instid1(VALU_DEP_2)
	v_readfirstlane_b32 s0, v2
	v_readfirstlane_b32 s1, v3
	v_lshlrev_b32_e32 v33, 1, v0
	s_clause 0x1d
	global_load_u16 v1, v0, s[0:1] scale_offset
	global_load_u16 v4, v0, s[0:1] offset:512 scale_offset
	global_load_u16 v5, v0, s[0:1] offset:1024 scale_offset
	;; [unrolled: 1-line block ×29, first 2 shown]
	s_wait_xcnt 0x0
	s_mov_b32 s0, 0
	s_wait_loadcnt 0x1d
	ds_store_b16 v33, v1
	s_wait_loadcnt 0x1c
	ds_store_b16 v33, v4 offset:512
	s_wait_loadcnt 0x1b
	ds_store_b16 v33, v5 offset:1024
	;; [unrolled: 2-line block ×29, first 2 shown]
	s_wait_dscnt 0x0
	s_barrier_signal -1
	s_barrier_wait -1
.LBB917_6:
	s_and_not1_b32 vcc_lo, exec_lo, s0
	s_addk_co_i32 s40, 0x1e00
	s_cbranch_vccnz .LBB917_68
; %bb.7:
	s_mov_b32 s0, exec_lo
                                        ; implicit-def: $vgpr1
	v_cmpx_gt_u32_e64 s40, v0
	s_cbranch_execz .LBB917_9
; %bb.8:
	v_readfirstlane_b32 s4, v2
	v_readfirstlane_b32 s5, v3
	global_load_u16 v1, v0, s[4:5] scale_offset
.LBB917_9:
	s_wait_xcnt 0x0
	s_or_b32 exec_lo, exec_lo, s0
	v_or_b32_e32 v4, 0x100, v0
	s_delay_alu instid0(VALU_DEP_1)
	v_cmp_gt_u32_e32 vcc_lo, s40, v4
                                        ; implicit-def: $vgpr4
	s_and_saveexec_b32 s0, vcc_lo
	s_cbranch_execz .LBB917_11
; %bb.10:
	v_readfirstlane_b32 s4, v2
	v_readfirstlane_b32 s5, v3
	global_load_u16 v4, v0, s[4:5] offset:512 scale_offset
.LBB917_11:
	s_wait_xcnt 0x0
	s_or_b32 exec_lo, exec_lo, s0
	v_or_b32_e32 v5, 0x200, v0
	s_delay_alu instid0(VALU_DEP_1)
	v_cmp_gt_u32_e32 vcc_lo, s40, v5
                                        ; implicit-def: $vgpr5
	s_and_saveexec_b32 s0, vcc_lo
	s_cbranch_execz .LBB917_13
; %bb.12:
	v_readfirstlane_b32 s4, v2
	v_readfirstlane_b32 s5, v3
	global_load_u16 v5, v0, s[4:5] offset:1024 scale_offset
.LBB917_13:
	s_wait_xcnt 0x0
	s_or_b32 exec_lo, exec_lo, s0
	v_or_b32_e32 v6, 0x300, v0
	s_delay_alu instid0(VALU_DEP_1)
	v_cmp_gt_u32_e32 vcc_lo, s40, v6
                                        ; implicit-def: $vgpr6
	s_and_saveexec_b32 s0, vcc_lo
	s_cbranch_execz .LBB917_15
; %bb.14:
	v_readfirstlane_b32 s4, v2
	v_readfirstlane_b32 s5, v3
	global_load_u16 v6, v0, s[4:5] offset:1536 scale_offset
.LBB917_15:
	s_wait_xcnt 0x0
	s_or_b32 exec_lo, exec_lo, s0
	v_or_b32_e32 v7, 0x400, v0
	s_delay_alu instid0(VALU_DEP_1)
	v_cmp_gt_u32_e32 vcc_lo, s40, v7
                                        ; implicit-def: $vgpr7
	s_and_saveexec_b32 s0, vcc_lo
	s_cbranch_execz .LBB917_17
; %bb.16:
	v_readfirstlane_b32 s4, v2
	v_readfirstlane_b32 s5, v3
	global_load_u16 v7, v0, s[4:5] offset:2048 scale_offset
.LBB917_17:
	s_wait_xcnt 0x0
	s_or_b32 exec_lo, exec_lo, s0
	v_or_b32_e32 v8, 0x500, v0
	s_delay_alu instid0(VALU_DEP_1)
	v_cmp_gt_u32_e32 vcc_lo, s40, v8
                                        ; implicit-def: $vgpr8
	s_and_saveexec_b32 s0, vcc_lo
	s_cbranch_execz .LBB917_19
; %bb.18:
	v_readfirstlane_b32 s4, v2
	v_readfirstlane_b32 s5, v3
	global_load_u16 v8, v0, s[4:5] offset:2560 scale_offset
.LBB917_19:
	s_wait_xcnt 0x0
	s_or_b32 exec_lo, exec_lo, s0
	v_or_b32_e32 v9, 0x600, v0
	s_delay_alu instid0(VALU_DEP_1)
	v_cmp_gt_u32_e32 vcc_lo, s40, v9
                                        ; implicit-def: $vgpr9
	s_and_saveexec_b32 s0, vcc_lo
	s_cbranch_execz .LBB917_21
; %bb.20:
	v_readfirstlane_b32 s4, v2
	v_readfirstlane_b32 s5, v3
	global_load_u16 v9, v0, s[4:5] offset:3072 scale_offset
.LBB917_21:
	s_wait_xcnt 0x0
	s_or_b32 exec_lo, exec_lo, s0
	v_or_b32_e32 v10, 0x700, v0
	s_delay_alu instid0(VALU_DEP_1)
	v_cmp_gt_u32_e32 vcc_lo, s40, v10
                                        ; implicit-def: $vgpr10
	s_and_saveexec_b32 s0, vcc_lo
	s_cbranch_execz .LBB917_23
; %bb.22:
	v_readfirstlane_b32 s4, v2
	v_readfirstlane_b32 s5, v3
	global_load_u16 v10, v0, s[4:5] offset:3584 scale_offset
.LBB917_23:
	s_wait_xcnt 0x0
	s_or_b32 exec_lo, exec_lo, s0
	v_or_b32_e32 v11, 0x800, v0
	s_delay_alu instid0(VALU_DEP_1)
	v_cmp_gt_u32_e32 vcc_lo, s40, v11
                                        ; implicit-def: $vgpr11
	s_and_saveexec_b32 s0, vcc_lo
	s_cbranch_execz .LBB917_25
; %bb.24:
	v_readfirstlane_b32 s4, v2
	v_readfirstlane_b32 s5, v3
	global_load_u16 v11, v0, s[4:5] offset:4096 scale_offset
.LBB917_25:
	s_wait_xcnt 0x0
	s_or_b32 exec_lo, exec_lo, s0
	v_or_b32_e32 v12, 0x900, v0
	s_delay_alu instid0(VALU_DEP_1)
	v_cmp_gt_u32_e32 vcc_lo, s40, v12
                                        ; implicit-def: $vgpr12
	s_and_saveexec_b32 s0, vcc_lo
	s_cbranch_execz .LBB917_27
; %bb.26:
	v_readfirstlane_b32 s4, v2
	v_readfirstlane_b32 s5, v3
	global_load_u16 v12, v0, s[4:5] offset:4608 scale_offset
.LBB917_27:
	s_wait_xcnt 0x0
	s_or_b32 exec_lo, exec_lo, s0
	v_or_b32_e32 v13, 0xa00, v0
	s_delay_alu instid0(VALU_DEP_1)
	v_cmp_gt_u32_e32 vcc_lo, s40, v13
                                        ; implicit-def: $vgpr13
	s_and_saveexec_b32 s0, vcc_lo
	s_cbranch_execz .LBB917_29
; %bb.28:
	v_readfirstlane_b32 s4, v2
	v_readfirstlane_b32 s5, v3
	global_load_u16 v13, v0, s[4:5] offset:5120 scale_offset
.LBB917_29:
	s_wait_xcnt 0x0
	s_or_b32 exec_lo, exec_lo, s0
	v_or_b32_e32 v14, 0xb00, v0
	s_delay_alu instid0(VALU_DEP_1)
	v_cmp_gt_u32_e32 vcc_lo, s40, v14
                                        ; implicit-def: $vgpr14
	s_and_saveexec_b32 s0, vcc_lo
	s_cbranch_execz .LBB917_31
; %bb.30:
	v_readfirstlane_b32 s4, v2
	v_readfirstlane_b32 s5, v3
	global_load_u16 v14, v0, s[4:5] offset:5632 scale_offset
.LBB917_31:
	s_wait_xcnt 0x0
	s_or_b32 exec_lo, exec_lo, s0
	v_or_b32_e32 v15, 0xc00, v0
	s_delay_alu instid0(VALU_DEP_1)
	v_cmp_gt_u32_e32 vcc_lo, s40, v15
                                        ; implicit-def: $vgpr15
	s_and_saveexec_b32 s0, vcc_lo
	s_cbranch_execz .LBB917_33
; %bb.32:
	v_readfirstlane_b32 s4, v2
	v_readfirstlane_b32 s5, v3
	global_load_u16 v15, v0, s[4:5] offset:6144 scale_offset
.LBB917_33:
	s_wait_xcnt 0x0
	s_or_b32 exec_lo, exec_lo, s0
	v_or_b32_e32 v16, 0xd00, v0
	s_delay_alu instid0(VALU_DEP_1)
	v_cmp_gt_u32_e32 vcc_lo, s40, v16
                                        ; implicit-def: $vgpr16
	s_and_saveexec_b32 s0, vcc_lo
	s_cbranch_execz .LBB917_35
; %bb.34:
	v_readfirstlane_b32 s4, v2
	v_readfirstlane_b32 s5, v3
	global_load_u16 v16, v0, s[4:5] offset:6656 scale_offset
.LBB917_35:
	s_wait_xcnt 0x0
	s_or_b32 exec_lo, exec_lo, s0
	v_or_b32_e32 v17, 0xe00, v0
	s_delay_alu instid0(VALU_DEP_1)
	v_cmp_gt_u32_e32 vcc_lo, s40, v17
                                        ; implicit-def: $vgpr17
	s_and_saveexec_b32 s0, vcc_lo
	s_cbranch_execz .LBB917_37
; %bb.36:
	v_readfirstlane_b32 s4, v2
	v_readfirstlane_b32 s5, v3
	global_load_u16 v17, v0, s[4:5] offset:7168 scale_offset
.LBB917_37:
	s_wait_xcnt 0x0
	s_or_b32 exec_lo, exec_lo, s0
	v_or_b32_e32 v18, 0xf00, v0
	s_delay_alu instid0(VALU_DEP_1)
	v_cmp_gt_u32_e32 vcc_lo, s40, v18
                                        ; implicit-def: $vgpr18
	s_and_saveexec_b32 s0, vcc_lo
	s_cbranch_execz .LBB917_39
; %bb.38:
	v_readfirstlane_b32 s4, v2
	v_readfirstlane_b32 s5, v3
	global_load_u16 v18, v0, s[4:5] offset:7680 scale_offset
.LBB917_39:
	s_wait_xcnt 0x0
	s_or_b32 exec_lo, exec_lo, s0
	v_or_b32_e32 v19, 0x1000, v0
	s_delay_alu instid0(VALU_DEP_1)
	v_cmp_gt_u32_e32 vcc_lo, s40, v19
                                        ; implicit-def: $vgpr19
	s_and_saveexec_b32 s0, vcc_lo
	s_cbranch_execz .LBB917_41
; %bb.40:
	v_readfirstlane_b32 s4, v2
	v_readfirstlane_b32 s5, v3
	global_load_u16 v19, v0, s[4:5] offset:8192 scale_offset
.LBB917_41:
	s_wait_xcnt 0x0
	s_or_b32 exec_lo, exec_lo, s0
	v_or_b32_e32 v20, 0x1100, v0
	s_delay_alu instid0(VALU_DEP_1)
	v_cmp_gt_u32_e32 vcc_lo, s40, v20
                                        ; implicit-def: $vgpr20
	s_and_saveexec_b32 s0, vcc_lo
	s_cbranch_execz .LBB917_43
; %bb.42:
	v_readfirstlane_b32 s4, v2
	v_readfirstlane_b32 s5, v3
	global_load_u16 v20, v0, s[4:5] offset:8704 scale_offset
.LBB917_43:
	s_wait_xcnt 0x0
	s_or_b32 exec_lo, exec_lo, s0
	v_or_b32_e32 v21, 0x1200, v0
	s_delay_alu instid0(VALU_DEP_1)
	v_cmp_gt_u32_e32 vcc_lo, s40, v21
                                        ; implicit-def: $vgpr21
	s_and_saveexec_b32 s0, vcc_lo
	s_cbranch_execz .LBB917_45
; %bb.44:
	v_readfirstlane_b32 s4, v2
	v_readfirstlane_b32 s5, v3
	global_load_u16 v21, v0, s[4:5] offset:9216 scale_offset
.LBB917_45:
	s_wait_xcnt 0x0
	s_or_b32 exec_lo, exec_lo, s0
	v_or_b32_e32 v22, 0x1300, v0
	s_delay_alu instid0(VALU_DEP_1)
	v_cmp_gt_u32_e32 vcc_lo, s40, v22
                                        ; implicit-def: $vgpr22
	s_and_saveexec_b32 s0, vcc_lo
	s_cbranch_execz .LBB917_47
; %bb.46:
	v_readfirstlane_b32 s4, v2
	v_readfirstlane_b32 s5, v3
	global_load_u16 v22, v0, s[4:5] offset:9728 scale_offset
.LBB917_47:
	s_wait_xcnt 0x0
	s_or_b32 exec_lo, exec_lo, s0
	v_or_b32_e32 v23, 0x1400, v0
	s_delay_alu instid0(VALU_DEP_1)
	v_cmp_gt_u32_e32 vcc_lo, s40, v23
                                        ; implicit-def: $vgpr23
	s_and_saveexec_b32 s0, vcc_lo
	s_cbranch_execz .LBB917_49
; %bb.48:
	v_readfirstlane_b32 s4, v2
	v_readfirstlane_b32 s5, v3
	global_load_u16 v23, v0, s[4:5] offset:10240 scale_offset
.LBB917_49:
	s_wait_xcnt 0x0
	s_or_b32 exec_lo, exec_lo, s0
	v_or_b32_e32 v24, 0x1500, v0
	s_delay_alu instid0(VALU_DEP_1)
	v_cmp_gt_u32_e32 vcc_lo, s40, v24
                                        ; implicit-def: $vgpr24
	s_and_saveexec_b32 s0, vcc_lo
	s_cbranch_execz .LBB917_51
; %bb.50:
	v_readfirstlane_b32 s4, v2
	v_readfirstlane_b32 s5, v3
	global_load_u16 v24, v0, s[4:5] offset:10752 scale_offset
.LBB917_51:
	s_wait_xcnt 0x0
	s_or_b32 exec_lo, exec_lo, s0
	v_or_b32_e32 v25, 0x1600, v0
	s_delay_alu instid0(VALU_DEP_1)
	v_cmp_gt_u32_e32 vcc_lo, s40, v25
                                        ; implicit-def: $vgpr25
	s_and_saveexec_b32 s0, vcc_lo
	s_cbranch_execz .LBB917_53
; %bb.52:
	v_readfirstlane_b32 s4, v2
	v_readfirstlane_b32 s5, v3
	global_load_u16 v25, v0, s[4:5] offset:11264 scale_offset
.LBB917_53:
	s_wait_xcnt 0x0
	s_or_b32 exec_lo, exec_lo, s0
	v_or_b32_e32 v26, 0x1700, v0
	s_delay_alu instid0(VALU_DEP_1)
	v_cmp_gt_u32_e32 vcc_lo, s40, v26
                                        ; implicit-def: $vgpr26
	s_and_saveexec_b32 s0, vcc_lo
	s_cbranch_execz .LBB917_55
; %bb.54:
	v_readfirstlane_b32 s4, v2
	v_readfirstlane_b32 s5, v3
	global_load_u16 v26, v0, s[4:5] offset:11776 scale_offset
.LBB917_55:
	s_wait_xcnt 0x0
	s_or_b32 exec_lo, exec_lo, s0
	v_or_b32_e32 v27, 0x1800, v0
	s_delay_alu instid0(VALU_DEP_1)
	v_cmp_gt_u32_e32 vcc_lo, s40, v27
                                        ; implicit-def: $vgpr27
	s_and_saveexec_b32 s0, vcc_lo
	s_cbranch_execz .LBB917_57
; %bb.56:
	v_readfirstlane_b32 s4, v2
	v_readfirstlane_b32 s5, v3
	global_load_u16 v27, v0, s[4:5] offset:12288 scale_offset
.LBB917_57:
	s_wait_xcnt 0x0
	s_or_b32 exec_lo, exec_lo, s0
	v_or_b32_e32 v28, 0x1900, v0
	s_delay_alu instid0(VALU_DEP_1)
	v_cmp_gt_u32_e32 vcc_lo, s40, v28
                                        ; implicit-def: $vgpr28
	s_and_saveexec_b32 s0, vcc_lo
	s_cbranch_execz .LBB917_59
; %bb.58:
	v_readfirstlane_b32 s4, v2
	v_readfirstlane_b32 s5, v3
	global_load_u16 v28, v0, s[4:5] offset:12800 scale_offset
.LBB917_59:
	s_wait_xcnt 0x0
	s_or_b32 exec_lo, exec_lo, s0
	v_or_b32_e32 v29, 0x1a00, v0
	s_delay_alu instid0(VALU_DEP_1)
	v_cmp_gt_u32_e32 vcc_lo, s40, v29
                                        ; implicit-def: $vgpr29
	s_and_saveexec_b32 s0, vcc_lo
	s_cbranch_execz .LBB917_61
; %bb.60:
	v_readfirstlane_b32 s4, v2
	v_readfirstlane_b32 s5, v3
	global_load_u16 v29, v0, s[4:5] offset:13312 scale_offset
.LBB917_61:
	s_wait_xcnt 0x0
	s_or_b32 exec_lo, exec_lo, s0
	v_or_b32_e32 v30, 0x1b00, v0
	s_delay_alu instid0(VALU_DEP_1)
	v_cmp_gt_u32_e32 vcc_lo, s40, v30
                                        ; implicit-def: $vgpr30
	s_and_saveexec_b32 s0, vcc_lo
	s_cbranch_execz .LBB917_63
; %bb.62:
	v_readfirstlane_b32 s4, v2
	v_readfirstlane_b32 s5, v3
	global_load_u16 v30, v0, s[4:5] offset:13824 scale_offset
.LBB917_63:
	s_wait_xcnt 0x0
	s_or_b32 exec_lo, exec_lo, s0
	v_or_b32_e32 v31, 0x1c00, v0
	s_delay_alu instid0(VALU_DEP_1)
	v_cmp_gt_u32_e32 vcc_lo, s40, v31
                                        ; implicit-def: $vgpr31
	s_and_saveexec_b32 s0, vcc_lo
	s_cbranch_execz .LBB917_65
; %bb.64:
	v_readfirstlane_b32 s4, v2
	v_readfirstlane_b32 s5, v3
	global_load_u16 v31, v0, s[4:5] offset:14336 scale_offset
.LBB917_65:
	s_wait_xcnt 0x0
	s_or_b32 exec_lo, exec_lo, s0
	v_or_b32_e32 v32, 0x1d00, v0
	s_delay_alu instid0(VALU_DEP_1)
	v_cmp_gt_u32_e32 vcc_lo, s40, v32
                                        ; implicit-def: $vgpr32
	s_and_saveexec_b32 s0, vcc_lo
	s_cbranch_execz .LBB917_67
; %bb.66:
	v_readfirstlane_b32 s4, v2
	v_readfirstlane_b32 s5, v3
	global_load_u16 v32, v0, s[4:5] offset:14848 scale_offset
.LBB917_67:
	s_wait_xcnt 0x0
	s_or_b32 exec_lo, exec_lo, s0
	v_lshlrev_b32_e32 v33, 1, v0
	s_wait_loadcnt 0x0
	ds_store_b16 v33, v1
	ds_store_b16 v33, v4 offset:512
	ds_store_b16 v33, v5 offset:1024
	;; [unrolled: 1-line block ×29, first 2 shown]
	s_wait_dscnt 0x0
	s_barrier_signal -1
	s_barrier_wait -1
.LBB917_68:
	v_mul_u32_u24_e32 v4, 30, v0
	s_wait_loadcnt 0x0
	s_cmp_lg_u32 s39, 0
	s_mov_b32 s43, 0
	s_cselect_b32 s42, -1, 0
	v_lshlrev_b32_e32 v5, 1, v4
	s_cmp_lg_u64 s[6:7], 0
	ds_load_b32 v1, v5 offset:56
	ds_load_2addr_b32 v[48:49], v5 offset1:1
	ds_load_2addr_b32 v[46:47], v5 offset0:2 offset1:3
	ds_load_2addr_b32 v[44:45], v5 offset0:4 offset1:5
	;; [unrolled: 1-line block ×6, first 2 shown]
	s_cselect_b32 s0, -1, 0
	s_wait_dscnt 0x0
	s_or_b32 s0, s0, s42
	s_barrier_signal -1
	s_and_b32 vcc_lo, exec_lo, s0
	s_barrier_wait -1
	v_lshrrev_b32_e32 v53, 16, v1
	s_cbranch_vccz .LBB917_73
; %bb.69:
	global_load_u16 v2, v[2:3], off offset:-2
	s_wait_xcnt 0x0
	v_lshlrev_b32_e32 v3, 1, v0
	s_and_b32 vcc_lo, exec_lo, s38
	ds_store_b16 v3, v53
	s_cbranch_vccz .LBB917_74
; %bb.70:
	s_wait_loadcnt 0x0
	v_mov_b32_e32 v6, v2
	s_wait_dscnt 0x0
	s_barrier_signal -1
	s_barrier_wait -1
	s_and_saveexec_b32 s0, s3
; %bb.71:
	v_add_nc_u32_e32 v6, -2, v3
	ds_load_u16 v6, v6
; %bb.72:
	s_or_b32 exec_lo, exec_lo, s0
	v_dual_lshrrev_b32 v7, 16, v37 :: v_dual_lshrrev_b32 v8, 16, v36
	v_cmp_neq_f16_e32 vcc_lo, v1, v53
	s_wait_dscnt 0x0
	v_cmp_neq_f16_e64 s44, v48, v6
	v_cndmask_b32_e64 v56, 0, 1, vcc_lo
	v_cmp_neq_f16_e32 vcc_lo, v7, v1
	v_cndmask_b32_e64 v57, 0, 1, vcc_lo
	v_cmp_neq_f16_e32 vcc_lo, v37, v7
	v_lshrrev_b32_e32 v7, 16, v39
	v_cndmask_b32_e64 v58, 0, 1, vcc_lo
	v_cmp_neq_f16_e32 vcc_lo, v8, v37
	v_cndmask_b32_e64 v59, 0, 1, vcc_lo
	v_cmp_neq_f16_e32 vcc_lo, v36, v8
	v_lshrrev_b32_e32 v8, 16, v38
	;; [unrolled: 5-line block ×12, first 2 shown]
	v_cndmask_b32_e64 v80, 0, 1, vcc_lo
	v_cmp_neq_f16_e32 vcc_lo, v7, v46
	v_cndmask_b32_e64 v81, 0, 1, vcc_lo
	v_cmp_neq_f16_e32 vcc_lo, v49, v7
	;; [unrolled: 2-line block ×4, first 2 shown]
	v_cndmask_b32_e64 v84, 0, 1, vcc_lo
	s_branch .LBB917_78
.LBB917_73:
                                        ; implicit-def: $sgpr44
                                        ; implicit-def: $vgpr84
                                        ; implicit-def: $vgpr83
                                        ; implicit-def: $vgpr82
                                        ; implicit-def: $vgpr81
                                        ; implicit-def: $vgpr80
                                        ; implicit-def: $vgpr79
                                        ; implicit-def: $vgpr78
                                        ; implicit-def: $vgpr77
                                        ; implicit-def: $vgpr76
                                        ; implicit-def: $vgpr75
                                        ; implicit-def: $vgpr74
                                        ; implicit-def: $vgpr73
                                        ; implicit-def: $vgpr72
                                        ; implicit-def: $vgpr71
                                        ; implicit-def: $vgpr70
                                        ; implicit-def: $vgpr69
                                        ; implicit-def: $vgpr68
                                        ; implicit-def: $vgpr67
                                        ; implicit-def: $vgpr66
                                        ; implicit-def: $vgpr65
                                        ; implicit-def: $vgpr64
                                        ; implicit-def: $vgpr63
                                        ; implicit-def: $vgpr62
                                        ; implicit-def: $vgpr61
                                        ; implicit-def: $vgpr60
                                        ; implicit-def: $vgpr59
                                        ; implicit-def: $vgpr58
                                        ; implicit-def: $vgpr57
                                        ; implicit-def: $vgpr56
	s_branch .LBB917_79
.LBB917_74:
                                        ; implicit-def: $sgpr44
                                        ; implicit-def: $vgpr84
                                        ; implicit-def: $vgpr83
                                        ; implicit-def: $vgpr82
                                        ; implicit-def: $vgpr81
                                        ; implicit-def: $vgpr80
                                        ; implicit-def: $vgpr79
                                        ; implicit-def: $vgpr78
                                        ; implicit-def: $vgpr77
                                        ; implicit-def: $vgpr76
                                        ; implicit-def: $vgpr75
                                        ; implicit-def: $vgpr74
                                        ; implicit-def: $vgpr73
                                        ; implicit-def: $vgpr72
                                        ; implicit-def: $vgpr71
                                        ; implicit-def: $vgpr70
                                        ; implicit-def: $vgpr69
                                        ; implicit-def: $vgpr68
                                        ; implicit-def: $vgpr67
                                        ; implicit-def: $vgpr66
                                        ; implicit-def: $vgpr65
                                        ; implicit-def: $vgpr64
                                        ; implicit-def: $vgpr63
                                        ; implicit-def: $vgpr62
                                        ; implicit-def: $vgpr61
                                        ; implicit-def: $vgpr60
                                        ; implicit-def: $vgpr59
                                        ; implicit-def: $vgpr58
                                        ; implicit-def: $vgpr57
                                        ; implicit-def: $vgpr56
	s_cbranch_execz .LBB917_78
; %bb.75:
	s_wait_loadcnt_dscnt 0x0
	s_barrier_signal -1
	s_barrier_wait -1
	s_and_saveexec_b32 s0, s3
; %bb.76:
	v_add_nc_u32_e32 v2, -2, v3
	ds_load_u16 v2, v2
; %bb.77:
	s_or_b32 exec_lo, exec_lo, s0
	v_dual_add_nc_u32 v3, 29, v4 :: v_dual_add_nc_u32 v6, 28, v4
	v_dual_lshrrev_b32 v7, 16, v37 :: v_dual_add_nc_u32 v8, 27, v4
	v_cmp_neq_f16_e32 vcc_lo, v1, v53
	s_delay_alu instid0(VALU_DEP_3) | instskip(NEXT) | instid1(VALU_DEP_4)
	v_cmp_gt_u32_e64 s0, s40, v3
	v_cmp_gt_u32_e64 s1, s40, v6
	s_delay_alu instid0(VALU_DEP_4)
	v_cmp_neq_f16_e64 s4, v7, v1
	v_cmp_gt_u32_e64 s5, s40, v8
	v_add_nc_u32_e32 v3, 26, v4
	s_and_b32 s0, s0, vcc_lo
	v_cmp_neq_f16_e32 vcc_lo, v37, v7
	v_lshrrev_b32_e32 v6, 16, v36
	v_add_nc_u32_e32 v7, 25, v4
	v_cndmask_b32_e64 v56, 0, 1, s0
	s_and_b32 s0, s1, s4
	s_and_b32 s4, s5, vcc_lo
	v_cndmask_b32_e64 v57, 0, 1, s0
	v_cmp_gt_u32_e64 s0, s40, v3
	v_cmp_neq_f16_e64 s1, v6, v37
	v_cndmask_b32_e64 v58, 0, 1, s4
	v_cmp_gt_u32_e32 vcc_lo, s40, v7
	v_cmp_neq_f16_e64 s4, v36, v6
	v_dual_add_nc_u32 v3, 24, v4 :: v_dual_lshrrev_b32 v6, 16, v39
	s_and_b32 s0, s0, s1
	v_add_nc_u32_e32 v7, 23, v4
	v_cndmask_b32_e64 v59, 0, 1, s0
	s_and_b32 s0, vcc_lo, s4
	v_cmp_gt_u32_e32 vcc_lo, s40, v3
	v_cndmask_b32_e64 v60, 0, 1, s0
	v_cmp_neq_f16_e64 s0, v6, v36
	v_cmp_neq_f16_e64 s4, v39, v6
	v_add_nc_u32_e32 v3, 22, v4
	v_cmp_gt_u32_e64 s1, s40, v7
	v_dual_lshrrev_b32 v6, 16, v38 :: v_dual_add_nc_u32 v7, 21, v4
	s_and_b32 s0, vcc_lo, s0
	v_cmp_gt_u32_e32 vcc_lo, s40, v3
	v_cndmask_b32_e64 v61, 0, 1, s0
	s_delay_alu instid0(VALU_DEP_3)
	v_cmp_neq_f16_e64 s0, v6, v39
	s_and_b32 s1, s1, s4
	v_cmp_neq_f16_e64 s4, v38, v6
	v_cndmask_b32_e64 v62, 0, 1, s1
	v_cmp_gt_u32_e64 s1, s40, v7
	v_dual_add_nc_u32 v3, 20, v4 :: v_dual_lshrrev_b32 v6, 16, v41
	s_and_b32 s0, vcc_lo, s0
	v_add_nc_u32_e32 v7, 19, v4
	v_cndmask_b32_e64 v63, 0, 1, s0
	s_and_b32 s0, s1, s4
	v_cmp_gt_u32_e32 vcc_lo, s40, v3
	v_cndmask_b32_e64 v64, 0, 1, s0
	v_cmp_neq_f16_e64 s0, v6, v38
	v_cmp_neq_f16_e64 s4, v41, v6
	v_add_nc_u32_e32 v3, 18, v4
	v_cmp_gt_u32_e64 s1, s40, v7
	v_lshrrev_b32_e32 v6, 16, v40
	v_add_nc_u32_e32 v7, 17, v4
	s_and_b32 s0, vcc_lo, s0
	v_cmp_gt_u32_e32 vcc_lo, s40, v3
	v_cndmask_b32_e64 v65, 0, 1, s0
	v_cmp_neq_f16_e64 s0, v6, v41
	s_and_b32 s1, s1, s4
	v_cmp_neq_f16_e64 s4, v40, v6
	v_cndmask_b32_e64 v66, 0, 1, s1
	v_add_nc_u32_e32 v3, 16, v4
	v_cmp_gt_u32_e64 s1, s40, v7
	v_dual_lshrrev_b32 v6, 16, v43 :: v_dual_add_nc_u32 v7, 15, v4
	s_and_b32 s0, vcc_lo, s0
	v_cmp_gt_u32_e32 vcc_lo, s40, v3
	v_cndmask_b32_e64 v67, 0, 1, s0
	s_and_b32 s0, s1, s4
	v_cmp_gt_u32_e64 s1, s40, v7
	v_cndmask_b32_e64 v68, 0, 1, s0
	v_cmp_neq_f16_e64 s0, v6, v40
	v_cmp_neq_f16_e64 s4, v43, v6
	v_dual_add_nc_u32 v3, 14, v4 :: v_dual_lshrrev_b32 v6, 16, v42
	v_add_nc_u32_e32 v7, 13, v4
	s_and_b32 s0, vcc_lo, s0
	s_and_b32 s1, s1, s4
	v_cndmask_b32_e64 v69, 0, 1, s0
	v_cmp_gt_u32_e32 vcc_lo, s40, v3
	v_cmp_neq_f16_e64 s0, v6, v43
	v_cndmask_b32_e64 v70, 0, 1, s1
	v_cmp_neq_f16_e64 s4, v42, v6
	v_add_nc_u32_e32 v3, 12, v4
	v_cmp_gt_u32_e64 s1, s40, v7
	v_dual_lshrrev_b32 v6, 16, v45 :: v_dual_add_nc_u32 v7, 11, v4
	s_and_b32 s0, vcc_lo, s0
	v_cmp_gt_u32_e32 vcc_lo, s40, v3
	v_cndmask_b32_e64 v71, 0, 1, s0
	s_and_b32 s0, s1, s4
	v_cmp_gt_u32_e64 s1, s40, v7
	v_cndmask_b32_e64 v72, 0, 1, s0
	v_cmp_neq_f16_e64 s0, v6, v42
	v_cmp_neq_f16_e64 s4, v45, v6
	v_dual_add_nc_u32 v3, 10, v4 :: v_dual_add_nc_u32 v7, 9, v4
	v_lshrrev_b32_e32 v6, 16, v44
	s_and_b32 s0, vcc_lo, s0
	s_and_b32 s1, s1, s4
	v_cndmask_b32_e64 v73, 0, 1, s0
	v_cmp_gt_u32_e32 vcc_lo, s40, v3
	v_cmp_neq_f16_e64 s0, v6, v45
	v_cndmask_b32_e64 v74, 0, 1, s1
	v_cmp_gt_u32_e64 s1, s40, v7
	v_cmp_neq_f16_e64 s4, v44, v6
	v_dual_add_nc_u32 v3, 8, v4 :: v_dual_lshrrev_b32 v6, 16, v47
	s_and_b32 s0, vcc_lo, s0
	v_add_nc_u32_e32 v7, 7, v4
	v_cndmask_b32_e64 v75, 0, 1, s0
	s_and_b32 s0, s1, s4
	v_cmp_gt_u32_e32 vcc_lo, s40, v3
	v_cndmask_b32_e64 v76, 0, 1, s0
	v_cmp_neq_f16_e64 s0, v6, v44
	v_cmp_neq_f16_e64 s4, v47, v6
	v_add_nc_u32_e32 v3, 6, v4
	v_cmp_gt_u32_e64 s1, s40, v7
	v_dual_lshrrev_b32 v6, 16, v46 :: v_dual_add_nc_u32 v7, 5, v4
	s_and_b32 s0, vcc_lo, s0
	v_cmp_gt_u32_e32 vcc_lo, s40, v3
	v_cndmask_b32_e64 v77, 0, 1, s0
	s_delay_alu instid0(VALU_DEP_3)
	v_cmp_neq_f16_e64 s0, v6, v47
	s_and_b32 s1, s1, s4
	v_cmp_neq_f16_e64 s4, v46, v6
	v_cndmask_b32_e64 v78, 0, 1, s1
	v_cmp_gt_u32_e64 s1, s40, v7
	v_dual_add_nc_u32 v3, 4, v4 :: v_dual_lshrrev_b32 v6, 16, v49
	s_and_b32 s0, vcc_lo, s0
	v_add_nc_u32_e32 v7, 3, v4
	v_cndmask_b32_e64 v79, 0, 1, s0
	s_and_b32 s0, s1, s4
	v_cmp_gt_u32_e32 vcc_lo, s40, v3
	v_cndmask_b32_e64 v80, 0, 1, s0
	v_cmp_neq_f16_e64 s0, v6, v46
	v_cmp_neq_f16_e64 s4, v49, v6
	v_add_nc_u32_e32 v3, 2, v4
	v_cmp_gt_u32_e64 s1, s40, v7
	v_lshrrev_b32_e32 v6, 16, v48
	v_or_b32_e32 v7, 1, v4
	s_and_b32 s0, vcc_lo, s0
	v_cmp_gt_u32_e32 vcc_lo, s40, v3
	v_cndmask_b32_e64 v81, 0, 1, s0
	v_cmp_neq_f16_e64 s0, v6, v49
	s_and_b32 s1, s1, s4
	v_cmp_neq_f16_e64 s4, v48, v6
	v_cndmask_b32_e64 v82, 0, 1, s1
	v_cmp_gt_u32_e64 s1, s40, v7
	s_and_b32 s0, vcc_lo, s0
	v_cmp_gt_u32_e32 vcc_lo, s40, v4
	v_cndmask_b32_e64 v83, 0, 1, s0
	s_wait_dscnt 0x0
	v_cmp_neq_f16_e64 s0, v48, v2
	s_and_b32 s1, s1, s4
	s_delay_alu instid0(SALU_CYCLE_1)
	v_cndmask_b32_e64 v84, 0, 1, s1
	s_and_b32 s44, vcc_lo, s0
.LBB917_78:
	s_mov_b32 s43, -1
	s_cbranch_execnz .LBB917_87
.LBB917_79:
	s_wait_loadcnt 0x0
	v_mad_i32_i24 v2, 0xffffffc6, v0, v5
	s_and_b32 vcc_lo, exec_lo, s38
	ds_store_b16 v2, v53
	s_cbranch_vccz .LBB917_83
; %bb.80:
	v_dual_lshrrev_b32 v3, 16, v37 :: v_dual_lshrrev_b32 v5, 16, v36
	v_lshrrev_b32_e32 v6, 16, v39
	v_cmp_neq_f16_e32 vcc_lo, v1, v53
	s_wait_dscnt 0x0
	s_delay_alu instid0(VALU_DEP_3)
	v_cmp_neq_f16_e64 s0, v3, v1
	v_cmp_neq_f16_e64 s1, v37, v3
	;; [unrolled: 1-line block ×3, first 2 shown]
	v_lshrrev_b32_e32 v3, 16, v38
	v_cmp_neq_f16_e64 s5, v36, v5
	v_lshrrev_b32_e32 v5, 16, v41
	v_cmp_neq_f16_e64 s6, v6, v36
	v_cmp_neq_f16_e64 s7, v39, v6
	v_cmp_neq_f16_e64 s8, v3, v39
	v_lshrrev_b32_e32 v6, 16, v40
	v_cmp_neq_f16_e64 s9, v38, v3
	v_cmp_neq_f16_e64 s10, v5, v38
	v_lshrrev_b32_e32 v3, 16, v43
	v_cmp_neq_f16_e64 s11, v41, v5
	v_lshrrev_b32_e32 v5, 16, v42
	v_cmp_neq_f16_e64 s12, v6, v41
	v_cmp_neq_f16_e64 s13, v40, v6
	;; [unrolled: 1-line block ×3, first 2 shown]
	v_lshrrev_b32_e32 v6, 16, v45
	v_cmp_neq_f16_e64 s15, v43, v3
	v_cmp_neq_f16_e64 s16, v5, v43
	v_lshrrev_b32_e32 v3, 16, v44
	v_cmp_neq_f16_e64 s17, v42, v5
	v_lshrrev_b32_e32 v5, 16, v47
	v_cmp_neq_f16_e64 s18, v6, v42
	v_cmp_neq_f16_e64 s19, v45, v6
	;; [unrolled: 1-line block ×4, first 2 shown]
	v_lshrrev_b32_e32 v3, 16, v46
	v_cmp_neq_f16_e64 s22, v5, v44
	v_lshrrev_b32_e32 v6, 16, v49
	v_cmp_neq_f16_e64 s23, v47, v5
	;; [unrolled: 2-line block ×3, first 2 shown]
	v_cmp_neq_f16_e64 s25, v46, v3
	v_cmp_neq_f16_e64 s26, v6, v46
	;; [unrolled: 1-line block ×5, first 2 shown]
	s_barrier_signal -1
	s_barrier_wait -1
                                        ; implicit-def: $sgpr44
	s_and_saveexec_b32 s45, s3
	s_delay_alu instid0(SALU_CYCLE_1)
	s_xor_b32 s45, exec_lo, s45
	s_cbranch_execz .LBB917_82
; %bb.81:
	v_add_nc_u32_e32 v3, -2, v2
	s_or_b32 s43, s43, exec_lo
	ds_load_u16 v3, v3
	s_wait_dscnt 0x0
	v_cmp_neq_f16_e64 s44, v3, v48
.LBB917_82:
	s_or_b32 exec_lo, exec_lo, s45
	v_cndmask_b32_e64 v56, 0, 1, vcc_lo
	v_cndmask_b32_e64 v57, 0, 1, s0
	v_cndmask_b32_e64 v58, 0, 1, s1
	;; [unrolled: 1-line block ×28, first 2 shown]
	s_branch .LBB917_87
.LBB917_83:
                                        ; implicit-def: $sgpr44
                                        ; implicit-def: $vgpr84
                                        ; implicit-def: $vgpr83
                                        ; implicit-def: $vgpr82
                                        ; implicit-def: $vgpr81
                                        ; implicit-def: $vgpr80
                                        ; implicit-def: $vgpr79
                                        ; implicit-def: $vgpr78
                                        ; implicit-def: $vgpr77
                                        ; implicit-def: $vgpr76
                                        ; implicit-def: $vgpr75
                                        ; implicit-def: $vgpr74
                                        ; implicit-def: $vgpr73
                                        ; implicit-def: $vgpr72
                                        ; implicit-def: $vgpr71
                                        ; implicit-def: $vgpr70
                                        ; implicit-def: $vgpr69
                                        ; implicit-def: $vgpr68
                                        ; implicit-def: $vgpr67
                                        ; implicit-def: $vgpr66
                                        ; implicit-def: $vgpr65
                                        ; implicit-def: $vgpr64
                                        ; implicit-def: $vgpr63
                                        ; implicit-def: $vgpr62
                                        ; implicit-def: $vgpr61
                                        ; implicit-def: $vgpr60
                                        ; implicit-def: $vgpr59
                                        ; implicit-def: $vgpr58
                                        ; implicit-def: $vgpr57
                                        ; implicit-def: $vgpr56
	s_cbranch_execz .LBB917_87
; %bb.84:
	v_dual_add_nc_u32 v3, 29, v4 :: v_dual_add_nc_u32 v5, 28, v4
	v_lshrrev_b32_e32 v6, 16, v37
	v_cmp_neq_f16_e32 vcc_lo, v1, v53
	v_add_nc_u32_e32 v8, 13, v4
	s_delay_alu instid0(VALU_DEP_4)
	v_cmp_gt_u32_e64 s0, s40, v3
	v_add_nc_u32_e32 v3, 27, v4
	v_cmp_gt_u32_e64 s1, s40, v5
	v_cmp_neq_f16_e64 s4, v6, v1
	v_add_nc_u32_e32 v5, 26, v4
	s_and_b32 s11, s0, vcc_lo
	v_cmp_gt_u32_e32 vcc_lo, s40, v3
	v_dual_lshrrev_b32 v3, 16, v36 :: v_dual_lshrrev_b32 v7, 16, v39
	s_and_b32 s12, s1, s4
	v_cmp_neq_f16_e64 s0, v37, v6
	v_add_nc_u32_e32 v6, 25, v4
	v_cmp_gt_u32_e64 s1, s40, v5
	v_add_nc_u32_e32 v5, 24, v4
	v_cmp_neq_f16_e64 s4, v3, v37
	v_cmp_neq_f16_e64 s6, v36, v3
	v_add_nc_u32_e32 v3, 23, v4
	v_cmp_gt_u32_e64 s5, s40, v6
	v_cmp_gt_u32_e64 s7, s40, v5
	s_and_b32 s13, vcc_lo, s0
	v_add_nc_u32_e32 v5, 22, v4
	v_cmp_gt_u32_e32 vcc_lo, s40, v3
	v_lshrrev_b32_e32 v3, 16, v38
	v_cmp_neq_f16_e64 s8, v7, v36
	s_and_b32 s14, s1, s4
	s_and_b32 s15, s5, s6
	v_cmp_neq_f16_e64 s0, v39, v7
	v_add_nc_u32_e32 v6, 21, v4
	v_cmp_gt_u32_e64 s1, s40, v5
	v_dual_add_nc_u32 v5, 20, v4 :: v_dual_lshrrev_b32 v7, 16, v41
	v_cmp_neq_f16_e64 s4, v3, v39
	v_cmp_neq_f16_e64 s6, v38, v3
	v_add_nc_u32_e32 v3, 19, v4
	s_and_b32 s16, s7, s8
	v_cmp_gt_u32_e64 s5, s40, v6
	v_cmp_gt_u32_e64 s7, s40, v5
	s_and_b32 s17, vcc_lo, s0
	v_dual_add_nc_u32 v5, 18, v4 :: v_dual_add_nc_u32 v6, 17, v4
	v_cmp_gt_u32_e32 vcc_lo, s40, v3
	v_lshrrev_b32_e32 v3, 16, v40
	v_cmp_neq_f16_e64 s8, v7, v38
	s_and_b32 s18, s1, s4
	s_and_b32 s19, s5, s6
	v_cmp_neq_f16_e64 s0, v41, v7
	v_cmp_gt_u32_e64 s1, s40, v5
	v_dual_add_nc_u32 v5, 16, v4 :: v_dual_lshrrev_b32 v7, 16, v43
	v_cmp_neq_f16_e64 s4, v3, v41
	v_cmp_neq_f16_e64 s6, v40, v3
	v_add_nc_u32_e32 v3, 15, v4
	s_and_b32 s20, s7, s8
	v_cmp_gt_u32_e64 s5, s40, v6
	v_cmp_gt_u32_e64 s7, s40, v5
	s_and_b32 s21, vcc_lo, s0
	v_dual_add_nc_u32 v5, 14, v4 :: v_dual_lshrrev_b32 v6, 16, v42
	v_cmp_gt_u32_e32 vcc_lo, s40, v3
	v_cmp_neq_f16_e64 s0, v43, v7
	v_add_nc_u32_e32 v3, 12, v4
	s_and_b32 s22, s1, s4
	v_cmp_gt_u32_e64 s1, s40, v5
	v_cmp_neq_f16_e64 s4, v6, v43
	s_and_b32 s25, vcc_lo, s0
	v_lshrrev_b32_e32 v5, 16, v45
	v_cmp_gt_u32_e32 vcc_lo, s40, v3
	v_add_nc_u32_e32 v3, 11, v4
	v_cmp_neq_f16_e64 s8, v7, v40
	s_and_b32 s23, s5, s6
	v_cmp_gt_u32_e64 s5, s40, v8
	v_cmp_neq_f16_e64 s6, v42, v6
	s_and_b32 s26, s1, s4
	v_cmp_neq_f16_e64 s0, v5, v42
	v_dual_add_nc_u32 v6, 10, v4 :: v_dual_add_nc_u32 v8, 9, v4
	v_lshrrev_b32_e32 v7, 16, v44
	v_cmp_gt_u32_e64 s1, s40, v3
	v_add_nc_u32_e32 v3, 8, v4
	s_and_b32 s27, s5, s6
	v_cmp_neq_f16_e64 s4, v45, v5
	v_cmp_gt_u32_e64 s5, s40, v6
	s_and_b32 s28, vcc_lo, s0
	v_lshrrev_b32_e32 v5, 16, v47
	v_cmp_neq_f16_e64 s6, v7, v45
	v_add_nc_u32_e32 v6, 7, v4
	v_cmp_gt_u32_e32 vcc_lo, s40, v3
	v_add_nc_u32_e32 v3, 6, v4
	s_and_b32 s24, s7, s8
	v_cmp_neq_f16_e64 s8, v44, v7
	s_and_b32 s29, s1, s4
	s_and_b32 s45, s5, s6
	v_lshrrev_b32_e32 v7, 16, v46
	v_cmp_neq_f16_e64 s0, v5, v44
	v_cmp_gt_u32_e64 s1, s40, v6
	v_cmp_neq_f16_e64 s4, v47, v5
	v_cmp_gt_u32_e64 s5, s40, v3
	v_dual_add_nc_u32 v3, 5, v4 :: v_dual_add_nc_u32 v5, 4, v4
	v_cmp_gt_u32_e64 s7, s40, v8
	v_cmp_neq_f16_e64 s6, v7, v47
	s_and_b32 s47, vcc_lo, s0
	s_and_b32 s48, s1, s4
	v_lshrrev_b32_e32 v6, 16, v49
	v_cmp_gt_u32_e32 vcc_lo, s40, v3
	v_cmp_neq_f16_e64 s0, v46, v7
	v_cmp_gt_u32_e64 s1, s40, v5
	v_dual_add_nc_u32 v3, 3, v4 :: v_dual_add_nc_u32 v5, 2, v4
	v_or_b32_e32 v8, 1, v4
	v_lshrrev_b32_e32 v7, 16, v48
	s_and_b32 s46, s7, s8
	s_and_b32 s49, s5, s6
	v_cmp_neq_f16_e64 s4, v6, v46
	v_cmp_gt_u32_e64 s5, s40, v3
	v_cmp_neq_f16_e64 s6, v49, v6
	v_cmp_gt_u32_e64 s7, s40, v5
	;; [unrolled: 2-line block ×3, first 2 shown]
	v_cmp_neq_f16_e64 s10, v48, v7
	s_and_b32 s50, vcc_lo, s0
	s_and_b32 s1, s1, s4
	s_and_b32 s4, s5, s6
	;; [unrolled: 1-line block ×4, first 2 shown]
	s_wait_dscnt 0x0
	s_barrier_signal -1
	s_barrier_wait -1
                                        ; implicit-def: $sgpr44
	s_and_saveexec_b32 s7, s3
	s_cbranch_execz .LBB917_86
; %bb.85:
	v_add_nc_u32_e32 v2, -2, v2
	v_cmp_gt_u32_e32 vcc_lo, s40, v4
	s_or_b32 s43, s43, exec_lo
	ds_load_u16 v2, v2
	s_wait_dscnt 0x0
	v_cmp_neq_f16_e64 s0, v2, v48
	s_and_b32 s44, vcc_lo, s0
.LBB917_86:
	s_or_b32 exec_lo, exec_lo, s7
	v_cndmask_b32_e64 v56, 0, 1, s11
	v_cndmask_b32_e64 v57, 0, 1, s12
	;; [unrolled: 1-line block ×29, first 2 shown]
.LBB917_87:
	v_mov_b32_e32 v54, 1
	s_and_saveexec_b32 s0, s43
; %bb.88:
	v_cndmask_b32_e64 v54, 0, 1, s44
; %bb.89:
	s_or_b32 exec_lo, exec_lo, s0
	s_delay_alu instid0(SALU_CYCLE_1)
	s_and_not1_b32 vcc_lo, exec_lo, s41
	s_cbranch_vccnz .LBB917_91
; %bb.90:
	v_cmp_gt_u32_e32 vcc_lo, s40, v4
	s_wait_loadcnt 0x0
	v_dual_add_nc_u32 v3, 2, v4 :: v_dual_bitop2_b32 v2, 1, v4 bitop3:0x54
	v_dual_cndmask_b32 v54, 0, v54 :: v_dual_add_nc_u32 v5, 4, v4
	s_delay_alu instid0(VALU_DEP_2) | instskip(SKIP_4) | instid1(VALU_DEP_4)
	v_cmp_gt_u32_e32 vcc_lo, s40, v2
	v_add_nc_u32_e32 v2, 3, v4
	v_cndmask_b32_e32 v84, 0, v84, vcc_lo
	v_cmp_gt_u32_e32 vcc_lo, s40, v3
	v_dual_add_nc_u32 v3, 5, v4 :: v_dual_cndmask_b32 v83, 0, v83, vcc_lo
	v_cmp_gt_u32_e32 vcc_lo, s40, v2
	v_dual_add_nc_u32 v2, 6, v4 :: v_dual_cndmask_b32 v82, 0, v82, vcc_lo
	;; [unrolled: 2-line block ×3, first 2 shown]
	v_cmp_gt_u32_e32 vcc_lo, s40, v3
	v_add_nc_u32_e32 v3, 7, v4
	v_cndmask_b32_e32 v80, 0, v80, vcc_lo
	v_cmp_gt_u32_e32 vcc_lo, s40, v2
	v_dual_cndmask_b32 v79, 0, v79 :: v_dual_add_nc_u32 v2, 9, v4
	s_delay_alu instid0(VALU_DEP_4)
	v_cmp_gt_u32_e32 vcc_lo, s40, v3
	v_dual_cndmask_b32 v78, 0, v78 :: v_dual_add_nc_u32 v3, 10, v4
	v_cmp_gt_u32_e32 vcc_lo, s40, v5
	v_dual_add_nc_u32 v5, 12, v4 :: v_dual_cndmask_b32 v77, 0, v77, vcc_lo
	v_cmp_gt_u32_e32 vcc_lo, s40, v2
	v_add_nc_u32_e32 v2, 11, v4
	v_cndmask_b32_e32 v76, 0, v76, vcc_lo
	v_cmp_gt_u32_e32 vcc_lo, s40, v3
	v_dual_add_nc_u32 v3, 13, v4 :: v_dual_cndmask_b32 v75, 0, v75, vcc_lo
	s_delay_alu instid0(VALU_DEP_4)
	v_cmp_gt_u32_e32 vcc_lo, s40, v2
	v_dual_add_nc_u32 v2, 14, v4 :: v_dual_cndmask_b32 v74, 0, v74, vcc_lo
	v_cmp_gt_u32_e32 vcc_lo, s40, v5
	v_dual_add_nc_u32 v5, 16, v4 :: v_dual_cndmask_b32 v73, 0, v73, vcc_lo
	v_cmp_gt_u32_e32 vcc_lo, s40, v3
	v_add_nc_u32_e32 v3, 15, v4
	v_cndmask_b32_e32 v72, 0, v72, vcc_lo
	v_cmp_gt_u32_e32 vcc_lo, s40, v2
	v_dual_cndmask_b32 v71, 0, v71 :: v_dual_add_nc_u32 v2, 17, v4
	s_delay_alu instid0(VALU_DEP_4)
	v_cmp_gt_u32_e32 vcc_lo, s40, v3
	v_dual_cndmask_b32 v70, 0, v70 :: v_dual_add_nc_u32 v3, 18, v4
	v_cmp_gt_u32_e32 vcc_lo, s40, v5
	v_dual_add_nc_u32 v5, 20, v4 :: v_dual_cndmask_b32 v69, 0, v69, vcc_lo
	v_cmp_gt_u32_e32 vcc_lo, s40, v2
	v_add_nc_u32_e32 v2, 19, v4
	v_cndmask_b32_e32 v68, 0, v68, vcc_lo
	v_cmp_gt_u32_e32 vcc_lo, s40, v3
	v_dual_add_nc_u32 v3, 21, v4 :: v_dual_cndmask_b32 v67, 0, v67, vcc_lo
	s_delay_alu instid0(VALU_DEP_4)
	v_cmp_gt_u32_e32 vcc_lo, s40, v2
	v_dual_add_nc_u32 v2, 22, v4 :: v_dual_cndmask_b32 v66, 0, v66, vcc_lo
	v_cmp_gt_u32_e32 vcc_lo, s40, v5
	v_dual_add_nc_u32 v5, 24, v4 :: v_dual_cndmask_b32 v65, 0, v65, vcc_lo
	v_cmp_gt_u32_e32 vcc_lo, s40, v3
	v_add_nc_u32_e32 v3, 23, v4
	v_cndmask_b32_e32 v64, 0, v64, vcc_lo
	v_cmp_gt_u32_e32 vcc_lo, s40, v2
	v_dual_cndmask_b32 v63, 0, v63 :: v_dual_add_nc_u32 v2, 25, v4
	s_delay_alu instid0(VALU_DEP_4)
	v_cmp_gt_u32_e32 vcc_lo, s40, v3
	v_dual_cndmask_b32 v62, 0, v62 :: v_dual_add_nc_u32 v3, 26, v4
	v_cmp_gt_u32_e32 vcc_lo, s40, v5
	v_dual_add_nc_u32 v5, 28, v4 :: v_dual_cndmask_b32 v61, 0, v61, vcc_lo
	v_cmp_gt_u32_e32 vcc_lo, s40, v2
	v_add_nc_u32_e32 v2, 27, v4
	v_cndmask_b32_e32 v60, 0, v60, vcc_lo
	v_cmp_gt_u32_e32 vcc_lo, s40, v3
	v_dual_add_nc_u32 v3, 29, v4 :: v_dual_cndmask_b32 v59, 0, v59, vcc_lo
	s_delay_alu instid0(VALU_DEP_4)
	v_cmp_gt_u32_e32 vcc_lo, s40, v2
	v_cndmask_b32_e32 v58, 0, v58, vcc_lo
	v_cmp_gt_u32_e32 vcc_lo, s40, v5
	v_cndmask_b32_e32 v57, 0, v57, vcc_lo
	;; [unrolled: 2-line block ×3, first 2 shown]
.LBB917_91:
	s_delay_alu instid0(VALU_DEP_3) | instskip(SKIP_1) | instid1(VALU_DEP_2)
	v_and_b32_e32 v55, 0xff, v57
	s_wait_loadcnt 0x0
	v_and_b32_e32 v2, 0xff, v56
	v_and_b32_e32 v85, 0xff, v59
	;; [unrolled: 1-line block ×5, first 2 shown]
	v_dual_add_nc_u32 v2, v55, v2 :: v_dual_bitop2_b32 v3, 31, v0 bitop3:0x54
	v_and_b32_e32 v89, 0xff, v63
	v_and_b32_e32 v90, 0xff, v62
	;; [unrolled: 1-line block ×3, first 2 shown]
	s_delay_alu instid0(VALU_DEP_4)
	v_add3_u32 v2, v2, v86, v85
	v_and_b32_e32 v92, 0xff, v64
	v_and_b32_e32 v93, 0xff, v67
	v_and_b32_e32 v94, 0xff, v66
	v_and_b32_e32 v95, 0xff, v69
	v_add3_u32 v2, v2, v88, v87
	v_and_b32_e32 v96, 0xff, v68
	v_and_b32_e32 v97, 0xff, v71
	v_and_b32_e32 v98, 0xff, v70
	v_and_b32_e32 v99, 0xff, v73
	;; [unrolled: 5-line block ×4, first 2 shown]
	v_add3_u32 v2, v2, v94, v93
	v_and_b32_e32 v108, 0xff, v80
	v_mbcnt_lo_u32_b32 v113, -1, 0
	v_and_b32_e32 v109, 0xff, v83
	v_and_b32_e32 v110, 0xff, v82
	v_add3_u32 v2, v2, v96, v95
	v_and_b32_e32 v111, 0xffff, v54
	v_dual_lshrrev_b32 v114, 5, v0 :: v_dual_bitop2_b32 v4, 15, v113 bitop3:0x40
	v_and_b32_e32 v112, 0xff, v84
	s_delay_alu instid0(VALU_DEP_4)
	v_add3_u32 v2, v2, v98, v97
	v_cmp_eq_u32_e64 s0, v0, v3
	v_and_b32_e32 v3, 16, v113
	v_cmp_eq_u32_e64 s6, 0, v4
	v_cmp_lt_u32_e64 s5, 1, v4
	v_add3_u32 v2, v2, v100, v99
	v_cmp_lt_u32_e64 s4, 3, v4
	v_cmp_lt_u32_e64 s3, 7, v4
	v_cmp_eq_u32_e64 s1, 0, v3
	s_and_b32 vcc_lo, exec_lo, s42
	v_add3_u32 v2, v2, v102, v101
	s_mov_b32 s7, -1
	s_wait_dscnt 0x0
	s_barrier_signal -1
	s_barrier_wait -1
	v_add3_u32 v2, v2, v104, v103
	s_delay_alu instid0(VALU_DEP_1) | instskip(NEXT) | instid1(VALU_DEP_1)
	v_add3_u32 v2, v2, v106, v105
	v_add3_u32 v2, v2, v108, v107
	s_delay_alu instid0(VALU_DEP_1) | instskip(NEXT) | instid1(VALU_DEP_1)
	v_add3_u32 v2, v2, v110, v109
	v_add3_u32 v115, v2, v112, v111
	s_cbranch_vccz .LBB917_113
; %bb.92:
	s_delay_alu instid0(VALU_DEP_1) | instskip(NEXT) | instid1(VALU_DEP_1)
	v_mov_b32_dpp v2, v115 row_shr:1 row_mask:0xf bank_mask:0xf
	v_cndmask_b32_e64 v2, v2, 0, s6
	s_delay_alu instid0(VALU_DEP_1) | instskip(NEXT) | instid1(VALU_DEP_1)
	v_add_nc_u32_e32 v2, v2, v115
	v_mov_b32_dpp v3, v2 row_shr:2 row_mask:0xf bank_mask:0xf
	s_delay_alu instid0(VALU_DEP_1) | instskip(NEXT) | instid1(VALU_DEP_1)
	v_cndmask_b32_e64 v3, 0, v3, s5
	v_add_nc_u32_e32 v2, v2, v3
	s_delay_alu instid0(VALU_DEP_1) | instskip(NEXT) | instid1(VALU_DEP_1)
	v_mov_b32_dpp v3, v2 row_shr:4 row_mask:0xf bank_mask:0xf
	v_cndmask_b32_e64 v3, 0, v3, s4
	s_delay_alu instid0(VALU_DEP_1) | instskip(NEXT) | instid1(VALU_DEP_1)
	v_add_nc_u32_e32 v2, v2, v3
	v_mov_b32_dpp v3, v2 row_shr:8 row_mask:0xf bank_mask:0xf
	s_delay_alu instid0(VALU_DEP_1) | instskip(NEXT) | instid1(VALU_DEP_1)
	v_cndmask_b32_e64 v3, 0, v3, s3
	v_add_nc_u32_e32 v2, v2, v3
	ds_swizzle_b32 v3, v2 offset:swizzle(BROADCAST,32,15)
	s_wait_dscnt 0x0
	v_cndmask_b32_e64 v3, v3, 0, s1
	s_delay_alu instid0(VALU_DEP_1)
	v_add_nc_u32_e32 v2, v2, v3
	s_and_saveexec_b32 s7, s0
; %bb.93:
	v_lshlrev_b32_e32 v3, 2, v114
	ds_store_b32 v3, v2
; %bb.94:
	s_or_b32 exec_lo, exec_lo, s7
	s_delay_alu instid0(SALU_CYCLE_1)
	s_mov_b32 s7, exec_lo
	s_wait_dscnt 0x0
	s_barrier_signal -1
	s_barrier_wait -1
	v_cmpx_gt_u32_e32 8, v0
	s_cbranch_execz .LBB917_96
; %bb.95:
	v_dual_lshlrev_b32 v3, 2, v0 :: v_dual_bitop2_b32 v5, 7, v113 bitop3:0x40
	ds_load_b32 v4, v3
	v_cmp_ne_u32_e32 vcc_lo, 0, v5
	s_wait_dscnt 0x0
	v_mov_b32_dpp v6, v4 row_shr:1 row_mask:0xf bank_mask:0xf
	s_delay_alu instid0(VALU_DEP_1) | instskip(SKIP_1) | instid1(VALU_DEP_2)
	v_cndmask_b32_e32 v6, 0, v6, vcc_lo
	v_cmp_lt_u32_e32 vcc_lo, 1, v5
	v_add_nc_u32_e32 v4, v6, v4
	s_delay_alu instid0(VALU_DEP_1) | instskip(NEXT) | instid1(VALU_DEP_1)
	v_mov_b32_dpp v6, v4 row_shr:2 row_mask:0xf bank_mask:0xf
	v_cndmask_b32_e32 v6, 0, v6, vcc_lo
	v_cmp_lt_u32_e32 vcc_lo, 3, v5
	s_delay_alu instid0(VALU_DEP_2) | instskip(NEXT) | instid1(VALU_DEP_1)
	v_add_nc_u32_e32 v4, v4, v6
	v_mov_b32_dpp v6, v4 row_shr:4 row_mask:0xf bank_mask:0xf
	s_delay_alu instid0(VALU_DEP_1) | instskip(NEXT) | instid1(VALU_DEP_1)
	v_cndmask_b32_e32 v5, 0, v6, vcc_lo
	v_add_nc_u32_e32 v4, v4, v5
	ds_store_b32 v3, v4
.LBB917_96:
	s_or_b32 exec_lo, exec_lo, s7
	s_delay_alu instid0(SALU_CYCLE_1)
	s_mov_b32 s8, exec_lo
	v_cmp_gt_u32_e32 vcc_lo, 32, v0
	s_wait_dscnt 0x0
	s_barrier_signal -1
	s_barrier_wait -1
                                        ; implicit-def: $vgpr10
	v_cmpx_lt_u32_e32 31, v0
	s_cbranch_execz .LBB917_98
; %bb.97:
	v_lshl_add_u32 v3, v114, 2, -4
	ds_load_b32 v10, v3
	s_wait_dscnt 0x0
	v_add_nc_u32_e32 v2, v10, v2
.LBB917_98:
	s_or_b32 exec_lo, exec_lo, s8
	v_sub_co_u32 v3, s7, v113, 1
	s_delay_alu instid0(VALU_DEP_1) | instskip(NEXT) | instid1(VALU_DEP_1)
	v_cmp_gt_i32_e64 s8, 0, v3
	v_cndmask_b32_e64 v3, v3, v113, s8
	s_delay_alu instid0(VALU_DEP_1)
	v_lshlrev_b32_e32 v3, 2, v3
	ds_bpermute_b32 v11, v3, v2
	s_and_saveexec_b32 s8, vcc_lo
	s_cbranch_execz .LBB917_118
; %bb.99:
	v_mov_b32_e32 v9, 0
	ds_load_b32 v2, v9 offset:28
	s_and_saveexec_b32 s9, s7
	s_cbranch_execz .LBB917_101
; %bb.100:
	s_add_co_i32 s10, s39, 32
	s_delay_alu instid0(SALU_CYCLE_1)
	v_dual_mov_b32 v3, 1 :: v_dual_mov_b32 v4, s10
	s_wait_dscnt 0x0
	global_store_b64 v4, v[2:3], s[34:35] scale_offset scope:SCOPE_DEV
.LBB917_101:
	s_wait_xcnt 0x0
	s_or_b32 exec_lo, exec_lo, s9
	v_xad_u32 v4, v113, -1, s39
	s_mov_b32 s10, 0
	s_mov_b32 s9, exec_lo
	s_delay_alu instid0(VALU_DEP_1) | instskip(SKIP_4) | instid1(VALU_DEP_1)
	v_add_nc_u32_e32 v8, 32, v4
	global_load_b64 v[6:7], v8, s[34:35] scale_offset scope:SCOPE_DEV
	s_wait_loadcnt 0x0
	v_and_b32_e32 v3, 0xff, v7
	s_wait_xcnt 0x0
	v_cmpx_eq_u16_e32 0, v3
	s_cbranch_execz .LBB917_105
; %bb.102:
	v_lshl_add_u64 v[8:9], v[8:9], 3, s[34:35]
.LBB917_103:                            ; =>This Inner Loop Header: Depth=1
	global_load_b64 v[6:7], v[8:9], off scope:SCOPE_DEV
	s_wait_loadcnt 0x0
	v_and_b32_e32 v3, 0xff, v7
	s_delay_alu instid0(VALU_DEP_1)
	v_cmp_ne_u16_e32 vcc_lo, 0, v3
	s_or_b32 s10, vcc_lo, s10
	s_wait_xcnt 0x0
	s_and_not1_b32 exec_lo, exec_lo, s10
	s_cbranch_execnz .LBB917_103
; %bb.104:
	s_or_b32 exec_lo, exec_lo, s10
.LBB917_105:
	s_delay_alu instid0(SALU_CYCLE_1)
	s_or_b32 exec_lo, exec_lo, s9
	v_cmp_ne_u32_e32 vcc_lo, 31, v113
	v_lshlrev_b32_e64 v13, v113, -1
	v_lshl_or_b32 v20, v113, 2, 64
	v_dual_add_nc_u32 v15, 2, v113 :: v_dual_add_nc_u32 v17, 4, v113
	v_add_co_ci_u32_e64 v3, null, 0, v113, vcc_lo
	v_dual_add_nc_u32 v19, 8, v113 :: v_dual_add_nc_u32 v21, 16, v113
	s_delay_alu instid0(VALU_DEP_2)
	v_lshlrev_b32_e32 v12, 2, v3
	v_and_b32_e32 v3, 0xff, v7
	ds_bpermute_b32 v5, v12, v6
	v_cmp_eq_u16_e32 vcc_lo, 2, v3
	v_and_or_b32 v3, vcc_lo, v13, 0x80000000
	v_cmp_gt_u32_e32 vcc_lo, 30, v113
	s_delay_alu instid0(VALU_DEP_2) | instskip(SKIP_1) | instid1(VALU_DEP_2)
	v_ctz_i32_b32_e32 v3, v3
	v_cndmask_b32_e64 v8, 0, 2, vcc_lo
	v_cmp_lt_u32_e32 vcc_lo, v113, v3
	s_delay_alu instid0(VALU_DEP_2) | instskip(SKIP_3) | instid1(VALU_DEP_2)
	v_add_lshl_u32 v14, v8, v113, 2
	s_wait_dscnt 0x0
	v_cndmask_b32_e32 v5, 0, v5, vcc_lo
	v_cmp_gt_u32_e32 vcc_lo, 28, v113
	v_add_nc_u32_e32 v5, v5, v6
	v_cndmask_b32_e64 v8, 0, 4, vcc_lo
	v_cmp_le_u32_e32 vcc_lo, v15, v3
	ds_bpermute_b32 v6, v14, v5
	v_add_lshl_u32 v16, v8, v113, 2
	s_wait_dscnt 0x0
	v_cndmask_b32_e32 v6, 0, v6, vcc_lo
	v_cmp_gt_u32_e32 vcc_lo, 24, v113
	v_cndmask_b32_e64 v8, 0, 8, vcc_lo
	v_cmp_le_u32_e32 vcc_lo, v17, v3
	s_delay_alu instid0(VALU_DEP_4) | instskip(NEXT) | instid1(VALU_DEP_3)
	v_add_nc_u32_e32 v5, v5, v6
	v_add_lshl_u32 v18, v8, v113, 2
	ds_bpermute_b32 v6, v16, v5
	s_wait_dscnt 0x0
	v_cndmask_b32_e32 v6, 0, v6, vcc_lo
	v_cmp_le_u32_e32 vcc_lo, v19, v3
	s_delay_alu instid0(VALU_DEP_2) | instskip(SKIP_4) | instid1(VALU_DEP_2)
	v_add_nc_u32_e32 v5, v5, v6
	ds_bpermute_b32 v6, v18, v5
	s_wait_dscnt 0x0
	v_cndmask_b32_e32 v6, 0, v6, vcc_lo
	v_cmp_le_u32_e32 vcc_lo, v21, v3
	v_add_nc_u32_e32 v5, v5, v6
	ds_bpermute_b32 v6, v20, v5
	s_wait_dscnt 0x0
	v_cndmask_b32_e32 v3, 0, v6, vcc_lo
	s_delay_alu instid0(VALU_DEP_1)
	v_dual_mov_b32 v5, 0 :: v_dual_add_nc_u32 v6, v5, v3
	s_branch .LBB917_108
.LBB917_106:                            ;   in Loop: Header=BB917_108 Depth=1
	s_or_b32 exec_lo, exec_lo, s9
	v_and_b32_e32 v8, 0xff, v7
	ds_bpermute_b32 v9, v12, v6
	v_subrev_nc_u32_e32 v4, 32, v4
	s_mov_b32 s9, 0
	v_cmp_eq_u16_e32 vcc_lo, 2, v8
	v_and_or_b32 v8, vcc_lo, v13, 0x80000000
	s_delay_alu instid0(VALU_DEP_1) | instskip(NEXT) | instid1(VALU_DEP_1)
	v_ctz_i32_b32_e32 v8, v8
	v_cmp_lt_u32_e32 vcc_lo, v113, v8
	s_wait_dscnt 0x0
	v_cndmask_b32_e32 v9, 0, v9, vcc_lo
	v_cmp_le_u32_e32 vcc_lo, v15, v8
	s_delay_alu instid0(VALU_DEP_2) | instskip(SKIP_4) | instid1(VALU_DEP_2)
	v_add_nc_u32_e32 v6, v9, v6
	ds_bpermute_b32 v9, v14, v6
	s_wait_dscnt 0x0
	v_cndmask_b32_e32 v9, 0, v9, vcc_lo
	v_cmp_le_u32_e32 vcc_lo, v17, v8
	v_add_nc_u32_e32 v6, v6, v9
	ds_bpermute_b32 v9, v16, v6
	s_wait_dscnt 0x0
	v_cndmask_b32_e32 v9, 0, v9, vcc_lo
	v_cmp_le_u32_e32 vcc_lo, v19, v8
	s_delay_alu instid0(VALU_DEP_2) | instskip(SKIP_4) | instid1(VALU_DEP_2)
	v_add_nc_u32_e32 v6, v6, v9
	ds_bpermute_b32 v9, v18, v6
	s_wait_dscnt 0x0
	v_cndmask_b32_e32 v9, 0, v9, vcc_lo
	v_cmp_le_u32_e32 vcc_lo, v21, v8
	v_add_nc_u32_e32 v6, v6, v9
	ds_bpermute_b32 v9, v20, v6
	s_wait_dscnt 0x0
	v_cndmask_b32_e32 v8, 0, v9, vcc_lo
	s_delay_alu instid0(VALU_DEP_1)
	v_add3_u32 v6, v8, v3, v6
.LBB917_107:                            ;   in Loop: Header=BB917_108 Depth=1
	s_and_b32 vcc_lo, exec_lo, s9
	s_cbranch_vccnz .LBB917_114
.LBB917_108:                            ; =>This Loop Header: Depth=1
                                        ;     Child Loop BB917_111 Depth 2
	v_and_b32_e32 v3, 0xff, v7
	s_mov_b32 s9, -1
                                        ; implicit-def: $vgpr7
	s_delay_alu instid0(VALU_DEP_1)
	v_cmp_ne_u16_e32 vcc_lo, 2, v3
	v_mov_b32_e32 v3, v6
                                        ; implicit-def: $vgpr6
	s_cmp_lg_u32 vcc_lo, exec_lo
	s_cbranch_scc1 .LBB917_107
; %bb.109:                              ;   in Loop: Header=BB917_108 Depth=1
	global_load_b64 v[6:7], v4, s[34:35] scale_offset scope:SCOPE_DEV
	s_mov_b32 s9, exec_lo
	s_wait_loadcnt 0x0
	v_and_b32_e32 v8, 0xff, v7
	s_wait_xcnt 0x0
	s_delay_alu instid0(VALU_DEP_1)
	v_cmpx_eq_u16_e32 0, v8
	s_cbranch_execz .LBB917_106
; %bb.110:                              ;   in Loop: Header=BB917_108 Depth=1
	v_lshl_add_u64 v[8:9], v[4:5], 3, s[34:35]
	s_mov_b32 s10, 0
.LBB917_111:                            ;   Parent Loop BB917_108 Depth=1
                                        ; =>  This Inner Loop Header: Depth=2
	global_load_b64 v[6:7], v[8:9], off scope:SCOPE_DEV
	s_wait_loadcnt 0x0
	v_and_b32_e32 v22, 0xff, v7
	s_delay_alu instid0(VALU_DEP_1)
	v_cmp_ne_u16_e32 vcc_lo, 0, v22
	s_or_b32 s10, vcc_lo, s10
	s_wait_xcnt 0x0
	s_and_not1_b32 exec_lo, exec_lo, s10
	s_cbranch_execnz .LBB917_111
; %bb.112:                              ;   in Loop: Header=BB917_108 Depth=1
	s_or_b32 exec_lo, exec_lo, s10
	s_branch .LBB917_106
.LBB917_113:
                                        ; implicit-def: $vgpr52
                                        ; implicit-def: $vgpr50
                                        ; implicit-def: $vgpr2_vgpr3_vgpr4_vgpr5_vgpr6_vgpr7_vgpr8_vgpr9_vgpr10_vgpr11_vgpr12_vgpr13_vgpr14_vgpr15_vgpr16_vgpr17_vgpr18_vgpr19_vgpr20_vgpr21_vgpr22_vgpr23_vgpr24_vgpr25_vgpr26_vgpr27_vgpr28_vgpr29_vgpr30_vgpr31_vgpr32_vgpr33
	s_and_b32 vcc_lo, exec_lo, s7
	s_cbranch_vccnz .LBB917_119
	s_branch .LBB917_128
.LBB917_114:
	s_and_saveexec_b32 s9, s7
	s_cbranch_execz .LBB917_116
; %bb.115:
	s_add_co_i32 s10, s39, 32
	v_dual_mov_b32 v5, 2 :: v_dual_add_nc_u32 v4, v3, v2
	v_dual_mov_b32 v6, s10 :: v_dual_mov_b32 v7, 0
	global_store_b64 v6, v[4:5], s[34:35] scale_offset scope:SCOPE_DEV
	ds_store_b64 v7, v[2:3] offset:15360
.LBB917_116:
	s_wait_xcnt 0x0
	s_or_b32 exec_lo, exec_lo, s9
	s_delay_alu instid0(SALU_CYCLE_1)
	s_and_b32 exec_lo, exec_lo, s2
; %bb.117:
	v_mov_b32_e32 v2, 0
	ds_store_b32 v2, v3 offset:28
.LBB917_118:
	s_or_b32 exec_lo, exec_lo, s8
	s_wait_dscnt 0x0
	v_dual_mov_b32 v28, 0 :: v_dual_cndmask_b32 v3, v11, v10, s7
	s_wait_storecnt 0x0
	s_barrier_signal -1
	s_barrier_wait -1
	ds_load_b32 v2, v28 offset:28
	v_cndmask_b32_e64 v3, v3, 0, s2
	s_wait_dscnt 0x0
	s_barrier_signal -1
	s_barrier_wait -1
	ds_load_b64 v[50:51], v28 offset:15360
	v_add_nc_u32_e32 v2, v2, v3
	s_wait_dscnt 0x0
	s_delay_alu instid0(VALU_DEP_1) | instskip(NEXT) | instid1(VALU_DEP_1)
	v_dual_mov_b32 v52, v51 :: v_dual_add_nc_u32 v3, v2, v111
	v_add_nc_u32_e32 v4, v3, v112
	s_delay_alu instid0(VALU_DEP_1) | instskip(NEXT) | instid1(VALU_DEP_1)
	v_add_nc_u32_e32 v5, v4, v109
	v_add_nc_u32_e32 v6, v5, v110
	s_delay_alu instid0(VALU_DEP_1) | instskip(NEXT) | instid1(VALU_DEP_1)
	v_add_nc_u32_e32 v7, v6, v107
	;; [unrolled: 3-line block ×13, first 2 shown]
	v_add_nc_u32_e32 v30, v29, v86
	s_delay_alu instid0(VALU_DEP_1)
	v_add_nc_u32_e32 v31, v30, v55
	s_branch .LBB917_128
.LBB917_119:
	v_mov_b32_dpp v2, v115 row_shr:1 row_mask:0xf bank_mask:0xf
	s_delay_alu instid0(VALU_DEP_1) | instskip(NEXT) | instid1(VALU_DEP_1)
	v_cndmask_b32_e64 v2, v2, 0, s6
	v_add_nc_u32_e32 v2, v2, v115
	s_delay_alu instid0(VALU_DEP_1) | instskip(NEXT) | instid1(VALU_DEP_1)
	v_mov_b32_dpp v3, v2 row_shr:2 row_mask:0xf bank_mask:0xf
	v_cndmask_b32_e64 v3, 0, v3, s5
	s_delay_alu instid0(VALU_DEP_1) | instskip(NEXT) | instid1(VALU_DEP_1)
	v_add_nc_u32_e32 v2, v2, v3
	v_mov_b32_dpp v3, v2 row_shr:4 row_mask:0xf bank_mask:0xf
	s_delay_alu instid0(VALU_DEP_1) | instskip(NEXT) | instid1(VALU_DEP_1)
	v_cndmask_b32_e64 v3, 0, v3, s4
	v_add_nc_u32_e32 v2, v2, v3
	s_delay_alu instid0(VALU_DEP_1) | instskip(NEXT) | instid1(VALU_DEP_1)
	v_mov_b32_dpp v3, v2 row_shr:8 row_mask:0xf bank_mask:0xf
	v_cndmask_b32_e64 v3, 0, v3, s3
	s_delay_alu instid0(VALU_DEP_1) | instskip(SKIP_3) | instid1(VALU_DEP_1)
	v_add_nc_u32_e32 v2, v2, v3
	ds_swizzle_b32 v3, v2 offset:swizzle(BROADCAST,32,15)
	s_wait_dscnt 0x0
	v_cndmask_b32_e64 v3, v3, 0, s1
	v_add_nc_u32_e32 v2, v2, v3
	s_and_saveexec_b32 s1, s0
; %bb.120:
	v_lshlrev_b32_e32 v3, 2, v114
	ds_store_b32 v3, v2
; %bb.121:
	s_or_b32 exec_lo, exec_lo, s1
	s_delay_alu instid0(SALU_CYCLE_1)
	s_mov_b32 s0, exec_lo
	s_wait_dscnt 0x0
	s_barrier_signal -1
	s_barrier_wait -1
	v_cmpx_gt_u32_e32 8, v0
	s_cbranch_execz .LBB917_123
; %bb.122:
	v_dual_lshlrev_b32 v3, 2, v0 :: v_dual_bitop2_b32 v5, 7, v113 bitop3:0x40
	ds_load_b32 v4, v3
	v_cmp_ne_u32_e32 vcc_lo, 0, v5
	s_wait_dscnt 0x0
	v_mov_b32_dpp v6, v4 row_shr:1 row_mask:0xf bank_mask:0xf
	s_delay_alu instid0(VALU_DEP_1) | instskip(SKIP_1) | instid1(VALU_DEP_2)
	v_cndmask_b32_e32 v6, 0, v6, vcc_lo
	v_cmp_lt_u32_e32 vcc_lo, 1, v5
	v_add_nc_u32_e32 v4, v6, v4
	s_delay_alu instid0(VALU_DEP_1) | instskip(NEXT) | instid1(VALU_DEP_1)
	v_mov_b32_dpp v6, v4 row_shr:2 row_mask:0xf bank_mask:0xf
	v_cndmask_b32_e32 v6, 0, v6, vcc_lo
	v_cmp_lt_u32_e32 vcc_lo, 3, v5
	s_delay_alu instid0(VALU_DEP_2) | instskip(NEXT) | instid1(VALU_DEP_1)
	v_add_nc_u32_e32 v4, v4, v6
	v_mov_b32_dpp v6, v4 row_shr:4 row_mask:0xf bank_mask:0xf
	s_delay_alu instid0(VALU_DEP_1) | instskip(NEXT) | instid1(VALU_DEP_1)
	v_cndmask_b32_e32 v5, 0, v6, vcc_lo
	v_add_nc_u32_e32 v4, v4, v5
	ds_store_b32 v3, v4
.LBB917_123:
	s_or_b32 exec_lo, exec_lo, s0
	v_dual_mov_b32 v4, 0 :: v_dual_mov_b32 v3, 0
	s_mov_b32 s0, exec_lo
	s_wait_dscnt 0x0
	s_barrier_signal -1
	s_barrier_wait -1
	v_cmpx_lt_u32_e32 31, v0
; %bb.124:
	v_lshl_add_u32 v3, v114, 2, -4
	ds_load_b32 v3, v3
; %bb.125:
	s_or_b32 exec_lo, exec_lo, s0
	v_sub_co_u32 v5, vcc_lo, v113, 1
	ds_load_b32 v50, v4 offset:28
	s_wait_dscnt 0x1
	v_add_nc_u32_e32 v2, v3, v2
	v_cmp_gt_i32_e64 s0, 0, v5
	s_delay_alu instid0(VALU_DEP_1) | instskip(NEXT) | instid1(VALU_DEP_1)
	v_cndmask_b32_e64 v5, v5, v113, s0
	v_lshlrev_b32_e32 v5, 2, v5
	ds_bpermute_b32 v2, v5, v2
	s_and_saveexec_b32 s0, s2
	s_cbranch_execz .LBB917_127
; %bb.126:
	v_dual_mov_b32 v4, 0 :: v_dual_mov_b32 v51, 2
	s_wait_dscnt 0x1
	global_store_b64 v4, v[50:51], s[34:35] offset:256 scope:SCOPE_DEV
.LBB917_127:
	s_wait_xcnt 0x0
	s_or_b32 exec_lo, exec_lo, s0
	s_wait_dscnt 0x0
	v_cndmask_b32_e32 v2, v2, v3, vcc_lo
	s_wait_storecnt 0x0
	s_barrier_signal -1
	s_barrier_wait -1
	s_delay_alu instid0(VALU_DEP_1) | instskip(NEXT) | instid1(VALU_DEP_1)
	v_cndmask_b32_e64 v2, v2, 0, s2
	v_dual_mov_b32 v52, 0 :: v_dual_add_nc_u32 v3, v2, v111
	s_delay_alu instid0(VALU_DEP_1) | instskip(NEXT) | instid1(VALU_DEP_1)
	v_add_nc_u32_e32 v4, v3, v112
	v_add_nc_u32_e32 v5, v4, v109
	s_delay_alu instid0(VALU_DEP_1) | instskip(NEXT) | instid1(VALU_DEP_1)
	v_add_nc_u32_e32 v6, v5, v110
	v_add_nc_u32_e32 v7, v6, v107
	;; [unrolled: 3-line block ×14, first 2 shown]
.LBB917_128:
	v_cmp_gt_u32_e32 vcc_lo, 0x101, v50
	v_lshlrev_b64_e32 v[32:33], 1, v[34:35]
	v_dual_lshrrev_b32 v51, 16, v37 :: v_dual_lshrrev_b32 v85, 16, v36
	v_dual_lshrrev_b32 v86, 16, v39 :: v_dual_lshrrev_b32 v97, 16, v48
	v_dual_lshrrev_b32 v96, 16, v49 :: v_dual_lshrrev_b32 v95, 16, v46
	v_dual_lshrrev_b32 v94, 16, v47 :: v_dual_lshrrev_b32 v93, 16, v44
	v_dual_lshrrev_b32 v92, 16, v45 :: v_dual_lshrrev_b32 v91, 16, v42
	v_dual_lshrrev_b32 v90, 16, v43 :: v_dual_lshrrev_b32 v89, 16, v40
	v_dual_lshrrev_b32 v88, 16, v41 :: v_dual_lshrrev_b32 v87, 16, v38
	v_and_b32_e32 v98, 1, v54
	s_mov_b32 s0, -1
	s_cbranch_vccnz .LBB917_132
; %bb.129:
	s_and_b32 vcc_lo, exec_lo, s0
	s_cbranch_vccnz .LBB917_193
.LBB917_130:
	s_and_b32 s0, s2, s33
	s_delay_alu instid0(SALU_CYCLE_1)
	s_and_saveexec_b32 s1, s0
	s_cbranch_execnz .LBB917_268
.LBB917_131:
	s_sendmsg sendmsg(MSG_DEALLOC_VGPRS)
	s_endpgm
.LBB917_132:
	v_add_nc_u32_e32 v99, v52, v50
	v_add_nc_u64_e32 v[54:55], s[30:31], v[32:33]
	v_cmp_eq_u32_e64 s0, 1, v98
	s_delay_alu instid0(VALU_DEP_3) | instskip(SKIP_1) | instid1(SALU_CYCLE_1)
	v_cmp_lt_u32_e32 vcc_lo, v2, v99
	s_or_b32 s1, s38, vcc_lo
	s_and_b32 s1, s1, s0
	s_delay_alu instid0(SALU_CYCLE_1)
	s_and_saveexec_b32 s0, s1
	s_cbranch_execz .LBB917_134
; %bb.133:
	v_readfirstlane_b32 s4, v54
	v_readfirstlane_b32 s5, v55
	global_store_b16 v2, v48, s[4:5] scale_offset
.LBB917_134:
	s_wait_xcnt 0x0
	s_or_b32 exec_lo, exec_lo, s0
	v_and_b32_e32 v100, 1, v84
	v_cmp_lt_u32_e32 vcc_lo, v3, v99
	s_delay_alu instid0(VALU_DEP_2) | instskip(SKIP_1) | instid1(SALU_CYCLE_1)
	v_cmp_eq_u32_e64 s0, 1, v100
	s_or_b32 s1, s38, vcc_lo
	s_and_b32 s1, s1, s0
	s_delay_alu instid0(SALU_CYCLE_1)
	s_and_saveexec_b32 s0, s1
	s_cbranch_execz .LBB917_136
; %bb.135:
	v_readfirstlane_b32 s4, v54
	v_readfirstlane_b32 s5, v55
	global_store_b16 v3, v97, s[4:5] scale_offset
.LBB917_136:
	s_wait_xcnt 0x0
	s_or_b32 exec_lo, exec_lo, s0
	v_and_b32_e32 v100, 1, v83
	v_cmp_lt_u32_e32 vcc_lo, v4, v99
	s_delay_alu instid0(VALU_DEP_2) | instskip(SKIP_1) | instid1(SALU_CYCLE_1)
	v_cmp_eq_u32_e64 s0, 1, v100
	;; [unrolled: 16-line block ×29, first 2 shown]
	s_or_b32 s1, s38, vcc_lo
	s_and_b32 s1, s1, s0
	s_delay_alu instid0(SALU_CYCLE_1)
	s_and_saveexec_b32 s0, s1
	s_cbranch_execz .LBB917_192
; %bb.191:
	v_readfirstlane_b32 s4, v54
	v_readfirstlane_b32 s5, v55
	global_store_b16 v31, v53, s[4:5] scale_offset
.LBB917_192:
	s_wait_xcnt 0x0
	s_or_b32 exec_lo, exec_lo, s0
	s_branch .LBB917_130
.LBB917_193:
	s_mov_b32 s0, exec_lo
	v_cmpx_eq_u32_e32 1, v98
; %bb.194:
	v_sub_nc_u32_e32 v2, v2, v52
	s_delay_alu instid0(VALU_DEP_1)
	v_lshlrev_b32_e32 v2, 1, v2
	ds_store_b16 v2, v48
; %bb.195:
	s_or_b32 exec_lo, exec_lo, s0
	v_and_b32_e32 v2, 1, v84
	s_mov_b32 s0, exec_lo
	s_delay_alu instid0(VALU_DEP_1)
	v_cmpx_eq_u32_e32 1, v2
; %bb.196:
	v_sub_nc_u32_e32 v2, v3, v52
	s_delay_alu instid0(VALU_DEP_1)
	v_lshlrev_b32_e32 v2, 1, v2
	ds_store_b16 v2, v97
; %bb.197:
	s_or_b32 exec_lo, exec_lo, s0
	v_and_b32_e32 v2, 1, v83
	s_mov_b32 s0, exec_lo
	s_delay_alu instid0(VALU_DEP_1)
	;; [unrolled: 11-line block ×29, first 2 shown]
	v_cmpx_eq_u32_e32 1, v1
; %bb.252:
	v_sub_nc_u32_e32 v1, v31, v52
	s_delay_alu instid0(VALU_DEP_1)
	v_lshlrev_b32_e32 v1, 1, v1
	ds_store_b16 v1, v53
; %bb.253:
	s_or_b32 exec_lo, exec_lo, s0
	v_or_b32_e32 v1, 0x100, v0
	v_mov_b32_e32 v53, 0
	v_add_nc_u64_e32 v[4:5], s[30:31], v[32:33]
	s_mov_b32 s4, -1
	s_mov_b32 s1, exec_lo
	v_max_u32_e32 v3, v50, v1
	v_lshlrev_b64_e32 v[6:7], 1, v[52:53]
	s_wait_storecnt_dscnt 0x0
	s_barrier_signal -1
	s_barrier_wait -1
	v_xad_u32 v2, v0, -1, v3
	s_delay_alu instid0(VALU_DEP_2) | instskip(NEXT) | instid1(VALU_DEP_2)
	v_add_nc_u64_e32 v[8:9], v[4:5], v[6:7]
	v_cmp_gt_u32_e64 s0, 0x1b00, v2
	v_cmpx_lt_u32_e32 0x1aff, v2
	s_cbranch_execz .LBB917_264
; %bb.254:
	v_sub_nc_u32_e32 v3, v0, v3
	s_mov_b32 s3, exec_lo
	s_delay_alu instid0(VALU_DEP_1) | instskip(NEXT) | instid1(VALU_DEP_1)
	v_or_b32_e32 v3, 0xff, v3
	v_cmpx_ge_u32_e64 v3, v0
	s_cbranch_execz .LBB917_263
; %bb.255:
	v_lshrrev_b32_e32 v12, 8, v2
	v_or_b32_e32 v3, 0x300, v0
	v_or_b32_e32 v2, 0x200, v0
	s_delay_alu instid0(VALU_DEP_3) | instskip(NEXT) | instid1(VALU_DEP_1)
	v_dual_mov_b32 v17, 0 :: v_dual_add_nc_u32 v4, -3, v12
	v_lshrrev_b32_e32 v5, 2, v4
	v_lshlrev_b32_e32 v13, 1, v0
	v_cmp_lt_u32_e32 vcc_lo, 11, v4
	s_delay_alu instid0(VALU_DEP_3)
	v_add_nc_u32_e32 v14, 1, v5
	v_mov_b64_e32 v[6:7], v[2:3]
	v_mov_b64_e32 v[4:5], v[0:1]
	s_and_saveexec_b32 s4, vcc_lo
	s_cbranch_execz .LBB917_259
; %bb.256:
	v_mov_b64_e32 v[6:7], v[2:3]
	v_mov_b64_e32 v[4:5], v[0:1]
	v_and_b32_e32 v15, 0x7ffffffc, v14
	v_dual_mov_b32 v11, 0 :: v_dual_mov_b32 v16, v13
	s_mov_b32 s5, 0
	s_mov_b32 s6, 0
.LBB917_257:                            ; =>This Inner Loop Header: Depth=1
	s_delay_alu instid0(VALU_DEP_1) | instskip(SKIP_2) | instid1(VALU_DEP_3)
	v_dual_mov_b32 v10, v4 :: v_dual_mov_b32 v21, v11
	v_add_nc_u32_e32 v15, -4, v15
	v_dual_mov_b32 v27, v11 :: v_dual_add_nc_u32 v20, 0x400, v5
	v_lshl_add_u64 v[36:37], v[10:11], 1, v[8:9]
	v_mov_b32_e32 v10, v5
	ds_load_u16 v1, v16
	ds_load_u16 v44, v16 offset:512
	ds_load_u16 v45, v16 offset:1024
	;; [unrolled: 1-line block ×7, first 2 shown]
	v_dual_mov_b32 v33, v11 :: v_dual_add_nc_u32 v26, 0x800, v5
	s_add_co_i32 s6, s6, 16
	s_delay_alu instid0(SALU_CYCLE_1)
	v_dual_mov_b32 v17, s6 :: v_dual_add_nc_u32 v32, 0xc00, v5
	v_add_nc_u32_e32 v5, 0x1000, v5
	v_lshl_add_u64 v[38:39], v[10:11], 1, v[8:9]
	v_mov_b32_e32 v10, v6
	ds_load_u16 v53, v16 offset:4096
	ds_load_u16 v54, v16 offset:4608
	;; [unrolled: 1-line block ×8, first 2 shown]
	v_dual_mov_b32 v19, v11 :: v_dual_add_nc_u32 v2, 0x400, v7
	v_dual_mov_b32 v25, v11 :: v_dual_add_nc_u32 v22, 0x800, v7
	v_lshl_add_u64 v[40:41], v[10:11], 1, v[8:9]
	v_mov_b32_e32 v10, v7
	v_dual_mov_b32 v31, v11 :: v_dual_add_nc_u32 v28, 0xc00, v7
	v_add_nc_u32_e32 v7, 0x1000, v7
	s_wait_dscnt 0xf
	global_store_b16 v[36:37], v1, off
	s_wait_dscnt 0xe
	global_store_b16 v[38:39], v44, off
	;; [unrolled: 2-line block ×3, first 2 shown]
	v_lshl_add_u64 v[42:43], v[10:11], 1, v[8:9]
	v_add_nc_u32_e32 v10, 0x400, v4
	v_dual_mov_b32 v3, v11 :: v_dual_add_nc_u32 v18, 0x400, v6
	v_dual_mov_b32 v23, v11 :: v_dual_add_nc_u32 v24, 0x800, v6
	s_wait_xcnt 0x2
	s_delay_alu instid0(VALU_DEP_3)
	v_lshl_add_u64 v[36:37], v[10:11], 1, v[8:9]
	v_add_nc_u32_e32 v10, 0x800, v4
	v_cmp_eq_u32_e32 vcc_lo, 0, v15
	v_lshl_add_u64 v[20:21], v[20:21], 1, v[8:9]
	s_wait_dscnt 0xc
	global_store_b16 v[42:43], v46, off
	s_wait_dscnt 0xb
	global_store_b16 v[36:37], v47, off
	v_dual_mov_b32 v29, v11 :: v_dual_add_nc_u32 v30, 0xc00, v6
	s_wait_xcnt 0x0
	v_lshl_add_u64 v[36:37], v[10:11], 1, v[8:9]
	v_add_nc_u32_e32 v10, 0xc00, v4
	v_add_nc_u32_e32 v16, 0x2000, v16
	v_lshl_add_u64 v[18:19], v[18:19], 1, v[8:9]
	v_add_nc_u32_e32 v6, 0x1000, v6
	v_add_nc_u32_e32 v4, 0x1000, v4
	v_lshl_add_u64 v[2:3], v[2:3], 1, v[8:9]
	v_lshl_add_u64 v[26:27], v[26:27], 1, v[8:9]
	;; [unrolled: 1-line block ×4, first 2 shown]
	s_or_b32 s5, vcc_lo, s5
	s_wait_dscnt 0xa
	global_store_b16 v[20:21], v48, off
	s_wait_dscnt 0x9
	global_store_b16 v[18:19], v49, off
	;; [unrolled: 2-line block ×3, first 2 shown]
	s_wait_xcnt 0x0
	v_lshl_add_u64 v[2:3], v[10:11], 1, v[8:9]
	v_lshl_add_u64 v[32:33], v[32:33], 1, v[8:9]
	;; [unrolled: 1-line block ×4, first 2 shown]
	s_wait_dscnt 0x7
	global_store_b16 v[36:37], v53, off
	s_wait_dscnt 0x6
	global_store_b16 v[26:27], v54, off
	;; [unrolled: 2-line block ×8, first 2 shown]
	s_wait_xcnt 0x0
	s_and_not1_b32 exec_lo, exec_lo, s5
	s_cbranch_execnz .LBB917_257
; %bb.258:
	s_or_b32 exec_lo, exec_lo, s5
.LBB917_259:
	s_delay_alu instid0(SALU_CYCLE_1) | instskip(SKIP_3) | instid1(VALU_DEP_1)
	s_or_b32 exec_lo, exec_lo, s4
	v_and_b32_e32 v1, 3, v14
	s_mov_b32 s5, 0
	s_mov_b32 s4, exec_lo
	v_cmpx_ne_u32_e32 0, v1
	s_cbranch_execz .LBB917_262
; %bb.260:
	v_lshl_or_b32 v10, v17, 9, v13
	v_mov_b32_e32 v3, 0
.LBB917_261:                            ; =>This Inner Loop Header: Depth=1
	v_dual_mov_b32 v2, v4 :: v_dual_add_nc_u32 v1, -1, v1
	ds_load_u16 v11, v10
	ds_load_u16 v13, v10 offset:512
	ds_load_u16 v22, v10 offset:1024
	;; [unrolled: 1-line block ×3, first 2 shown]
	v_add_nc_u32_e32 v4, 0x400, v4
	v_add_nc_u32_e32 v10, 0x800, v10
	v_lshl_add_u64 v[14:15], v[2:3], 1, v[8:9]
	v_dual_mov_b32 v2, v5 :: v_dual_add_nc_u32 v5, 0x400, v5
	v_cmp_eq_u32_e32 vcc_lo, 0, v1
	s_delay_alu instid0(VALU_DEP_2) | instskip(SKIP_3) | instid1(VALU_DEP_2)
	v_lshl_add_u64 v[16:17], v[2:3], 1, v[8:9]
	v_mov_b32_e32 v2, v6
	v_add_nc_u32_e32 v6, 0x400, v6
	s_or_b32 s5, vcc_lo, s5
	v_lshl_add_u64 v[18:19], v[2:3], 1, v[8:9]
	v_dual_mov_b32 v2, v7 :: v_dual_add_nc_u32 v7, 0x400, v7
	s_delay_alu instid0(VALU_DEP_1)
	v_lshl_add_u64 v[20:21], v[2:3], 1, v[8:9]
	s_wait_dscnt 0x3
	global_store_b16 v[14:15], v11, off
	s_wait_dscnt 0x2
	global_store_b16 v[16:17], v13, off
	;; [unrolled: 2-line block ×4, first 2 shown]
	s_wait_xcnt 0x0
	s_and_not1_b32 exec_lo, exec_lo, s5
	s_cbranch_execnz .LBB917_261
.LBB917_262:
	s_or_b32 exec_lo, exec_lo, s4
	v_add_nc_u32_e32 v1, 1, v12
	s_delay_alu instid0(VALU_DEP_1) | instskip(NEXT) | instid1(VALU_DEP_1)
	v_and_b32_e32 v2, 0x1fffffc, v1
	v_cmp_ne_u32_e32 vcc_lo, v1, v2
	v_lshl_or_b32 v0, v2, 8, v0
	s_or_not1_b32 s4, vcc_lo, exec_lo
.LBB917_263:
	s_or_b32 exec_lo, exec_lo, s3
	s_delay_alu instid0(SALU_CYCLE_1) | instskip(SKIP_1) | instid1(SALU_CYCLE_1)
	s_and_not1_b32 s0, s0, exec_lo
	s_and_b32 s3, s4, exec_lo
	s_or_b32 s0, s0, s3
.LBB917_264:
	s_or_b32 exec_lo, exec_lo, s1
	s_and_saveexec_b32 s1, s0
	s_cbranch_execz .LBB917_267
; %bb.265:
	v_lshlrev_b32_e32 v1, 1, v0
	s_mov_b32 s0, 0
.LBB917_266:                            ; =>This Inner Loop Header: Depth=1
	ds_load_u16 v2, v1
	v_readfirstlane_b32 s4, v8
	v_readfirstlane_b32 s5, v9
	v_add_nc_u32_e32 v1, 0x200, v1
	s_wait_dscnt 0x0
	global_store_b16 v0, v2, s[4:5] scale_offset
	s_wait_xcnt 0x0
	v_add_nc_u32_e32 v0, 0x100, v0
	s_delay_alu instid0(VALU_DEP_1) | instskip(SKIP_1) | instid1(SALU_CYCLE_1)
	v_cmp_ge_u32_e32 vcc_lo, v0, v50
	s_or_b32 s0, vcc_lo, s0
	s_and_not1_b32 exec_lo, exec_lo, s0
	s_cbranch_execnz .LBB917_266
.LBB917_267:
	s_or_b32 exec_lo, exec_lo, s1
	s_and_b32 s0, s2, s33
	s_delay_alu instid0(SALU_CYCLE_1)
	s_and_saveexec_b32 s1, s0
	s_cbranch_execz .LBB917_131
.LBB917_268:
	v_mov_b32_e32 v51, 0
	s_delay_alu instid0(VALU_DEP_1) | instskip(SKIP_1) | instid1(VALU_DEP_1)
	v_add_nc_u64_e32 v[0:1], v[34:35], v[50:51]
	v_mov_b32_e32 v53, v51
	v_add_nc_u64_e32 v[0:1], v[0:1], v[52:53]
	global_store_b64 v51, v[0:1], s[36:37]
	s_sendmsg sendmsg(MSG_DEALLOC_VGPRS)
	s_endpgm
	.section	.rodata,"a",@progbits
	.p2align	6, 0x0
	.amdhsa_kernel _ZN7rocprim17ROCPRIM_400000_NS6detail17trampoline_kernelINS0_14default_configENS1_25partition_config_selectorILNS1_17partition_subalgoE8EN3c104HalfENS0_10empty_typeEbEEZZNS1_14partition_implILS5_8ELb0ES3_jPKS7_PS8_PKS8_NS0_5tupleIJPS7_S8_EEENSG_IJSD_SD_EEENS0_18inequality_wrapperIN6hipcub16HIPCUB_304000_NS8EqualityEEEPlJS8_EEE10hipError_tPvRmT3_T4_T5_T6_T7_T9_mT8_P12ihipStream_tbDpT10_ENKUlT_T0_E_clISt17integral_constantIbLb0EES18_IbLb1EEEEDaS14_S15_EUlS14_E_NS1_11comp_targetILNS1_3genE0ELNS1_11target_archE4294967295ELNS1_3gpuE0ELNS1_3repE0EEENS1_30default_config_static_selectorELNS0_4arch9wavefront6targetE0EEEvT1_
		.amdhsa_group_segment_fixed_size 15368
		.amdhsa_private_segment_fixed_size 0
		.amdhsa_kernarg_size 128
		.amdhsa_user_sgpr_count 2
		.amdhsa_user_sgpr_dispatch_ptr 0
		.amdhsa_user_sgpr_queue_ptr 0
		.amdhsa_user_sgpr_kernarg_segment_ptr 1
		.amdhsa_user_sgpr_dispatch_id 0
		.amdhsa_user_sgpr_kernarg_preload_length 0
		.amdhsa_user_sgpr_kernarg_preload_offset 0
		.amdhsa_user_sgpr_private_segment_size 0
		.amdhsa_wavefront_size32 1
		.amdhsa_uses_dynamic_stack 0
		.amdhsa_enable_private_segment 0
		.amdhsa_system_sgpr_workgroup_id_x 1
		.amdhsa_system_sgpr_workgroup_id_y 0
		.amdhsa_system_sgpr_workgroup_id_z 0
		.amdhsa_system_sgpr_workgroup_info 0
		.amdhsa_system_vgpr_workitem_id 0
		.amdhsa_next_free_vgpr 116
		.amdhsa_next_free_sgpr 51
		.amdhsa_named_barrier_count 0
		.amdhsa_reserve_vcc 1
		.amdhsa_float_round_mode_32 0
		.amdhsa_float_round_mode_16_64 0
		.amdhsa_float_denorm_mode_32 3
		.amdhsa_float_denorm_mode_16_64 3
		.amdhsa_fp16_overflow 0
		.amdhsa_memory_ordered 1
		.amdhsa_forward_progress 1
		.amdhsa_inst_pref_size 112
		.amdhsa_round_robin_scheduling 0
		.amdhsa_exception_fp_ieee_invalid_op 0
		.amdhsa_exception_fp_denorm_src 0
		.amdhsa_exception_fp_ieee_div_zero 0
		.amdhsa_exception_fp_ieee_overflow 0
		.amdhsa_exception_fp_ieee_underflow 0
		.amdhsa_exception_fp_ieee_inexact 0
		.amdhsa_exception_int_div_zero 0
	.end_amdhsa_kernel
	.section	.text._ZN7rocprim17ROCPRIM_400000_NS6detail17trampoline_kernelINS0_14default_configENS1_25partition_config_selectorILNS1_17partition_subalgoE8EN3c104HalfENS0_10empty_typeEbEEZZNS1_14partition_implILS5_8ELb0ES3_jPKS7_PS8_PKS8_NS0_5tupleIJPS7_S8_EEENSG_IJSD_SD_EEENS0_18inequality_wrapperIN6hipcub16HIPCUB_304000_NS8EqualityEEEPlJS8_EEE10hipError_tPvRmT3_T4_T5_T6_T7_T9_mT8_P12ihipStream_tbDpT10_ENKUlT_T0_E_clISt17integral_constantIbLb0EES18_IbLb1EEEEDaS14_S15_EUlS14_E_NS1_11comp_targetILNS1_3genE0ELNS1_11target_archE4294967295ELNS1_3gpuE0ELNS1_3repE0EEENS1_30default_config_static_selectorELNS0_4arch9wavefront6targetE0EEEvT1_,"axG",@progbits,_ZN7rocprim17ROCPRIM_400000_NS6detail17trampoline_kernelINS0_14default_configENS1_25partition_config_selectorILNS1_17partition_subalgoE8EN3c104HalfENS0_10empty_typeEbEEZZNS1_14partition_implILS5_8ELb0ES3_jPKS7_PS8_PKS8_NS0_5tupleIJPS7_S8_EEENSG_IJSD_SD_EEENS0_18inequality_wrapperIN6hipcub16HIPCUB_304000_NS8EqualityEEEPlJS8_EEE10hipError_tPvRmT3_T4_T5_T6_T7_T9_mT8_P12ihipStream_tbDpT10_ENKUlT_T0_E_clISt17integral_constantIbLb0EES18_IbLb1EEEEDaS14_S15_EUlS14_E_NS1_11comp_targetILNS1_3genE0ELNS1_11target_archE4294967295ELNS1_3gpuE0ELNS1_3repE0EEENS1_30default_config_static_selectorELNS0_4arch9wavefront6targetE0EEEvT1_,comdat
.Lfunc_end917:
	.size	_ZN7rocprim17ROCPRIM_400000_NS6detail17trampoline_kernelINS0_14default_configENS1_25partition_config_selectorILNS1_17partition_subalgoE8EN3c104HalfENS0_10empty_typeEbEEZZNS1_14partition_implILS5_8ELb0ES3_jPKS7_PS8_PKS8_NS0_5tupleIJPS7_S8_EEENSG_IJSD_SD_EEENS0_18inequality_wrapperIN6hipcub16HIPCUB_304000_NS8EqualityEEEPlJS8_EEE10hipError_tPvRmT3_T4_T5_T6_T7_T9_mT8_P12ihipStream_tbDpT10_ENKUlT_T0_E_clISt17integral_constantIbLb0EES18_IbLb1EEEEDaS14_S15_EUlS14_E_NS1_11comp_targetILNS1_3genE0ELNS1_11target_archE4294967295ELNS1_3gpuE0ELNS1_3repE0EEENS1_30default_config_static_selectorELNS0_4arch9wavefront6targetE0EEEvT1_, .Lfunc_end917-_ZN7rocprim17ROCPRIM_400000_NS6detail17trampoline_kernelINS0_14default_configENS1_25partition_config_selectorILNS1_17partition_subalgoE8EN3c104HalfENS0_10empty_typeEbEEZZNS1_14partition_implILS5_8ELb0ES3_jPKS7_PS8_PKS8_NS0_5tupleIJPS7_S8_EEENSG_IJSD_SD_EEENS0_18inequality_wrapperIN6hipcub16HIPCUB_304000_NS8EqualityEEEPlJS8_EEE10hipError_tPvRmT3_T4_T5_T6_T7_T9_mT8_P12ihipStream_tbDpT10_ENKUlT_T0_E_clISt17integral_constantIbLb0EES18_IbLb1EEEEDaS14_S15_EUlS14_E_NS1_11comp_targetILNS1_3genE0ELNS1_11target_archE4294967295ELNS1_3gpuE0ELNS1_3repE0EEENS1_30default_config_static_selectorELNS0_4arch9wavefront6targetE0EEEvT1_
                                        ; -- End function
	.set _ZN7rocprim17ROCPRIM_400000_NS6detail17trampoline_kernelINS0_14default_configENS1_25partition_config_selectorILNS1_17partition_subalgoE8EN3c104HalfENS0_10empty_typeEbEEZZNS1_14partition_implILS5_8ELb0ES3_jPKS7_PS8_PKS8_NS0_5tupleIJPS7_S8_EEENSG_IJSD_SD_EEENS0_18inequality_wrapperIN6hipcub16HIPCUB_304000_NS8EqualityEEEPlJS8_EEE10hipError_tPvRmT3_T4_T5_T6_T7_T9_mT8_P12ihipStream_tbDpT10_ENKUlT_T0_E_clISt17integral_constantIbLb0EES18_IbLb1EEEEDaS14_S15_EUlS14_E_NS1_11comp_targetILNS1_3genE0ELNS1_11target_archE4294967295ELNS1_3gpuE0ELNS1_3repE0EEENS1_30default_config_static_selectorELNS0_4arch9wavefront6targetE0EEEvT1_.num_vgpr, 116
	.set _ZN7rocprim17ROCPRIM_400000_NS6detail17trampoline_kernelINS0_14default_configENS1_25partition_config_selectorILNS1_17partition_subalgoE8EN3c104HalfENS0_10empty_typeEbEEZZNS1_14partition_implILS5_8ELb0ES3_jPKS7_PS8_PKS8_NS0_5tupleIJPS7_S8_EEENSG_IJSD_SD_EEENS0_18inequality_wrapperIN6hipcub16HIPCUB_304000_NS8EqualityEEEPlJS8_EEE10hipError_tPvRmT3_T4_T5_T6_T7_T9_mT8_P12ihipStream_tbDpT10_ENKUlT_T0_E_clISt17integral_constantIbLb0EES18_IbLb1EEEEDaS14_S15_EUlS14_E_NS1_11comp_targetILNS1_3genE0ELNS1_11target_archE4294967295ELNS1_3gpuE0ELNS1_3repE0EEENS1_30default_config_static_selectorELNS0_4arch9wavefront6targetE0EEEvT1_.num_agpr, 0
	.set _ZN7rocprim17ROCPRIM_400000_NS6detail17trampoline_kernelINS0_14default_configENS1_25partition_config_selectorILNS1_17partition_subalgoE8EN3c104HalfENS0_10empty_typeEbEEZZNS1_14partition_implILS5_8ELb0ES3_jPKS7_PS8_PKS8_NS0_5tupleIJPS7_S8_EEENSG_IJSD_SD_EEENS0_18inequality_wrapperIN6hipcub16HIPCUB_304000_NS8EqualityEEEPlJS8_EEE10hipError_tPvRmT3_T4_T5_T6_T7_T9_mT8_P12ihipStream_tbDpT10_ENKUlT_T0_E_clISt17integral_constantIbLb0EES18_IbLb1EEEEDaS14_S15_EUlS14_E_NS1_11comp_targetILNS1_3genE0ELNS1_11target_archE4294967295ELNS1_3gpuE0ELNS1_3repE0EEENS1_30default_config_static_selectorELNS0_4arch9wavefront6targetE0EEEvT1_.numbered_sgpr, 51
	.set _ZN7rocprim17ROCPRIM_400000_NS6detail17trampoline_kernelINS0_14default_configENS1_25partition_config_selectorILNS1_17partition_subalgoE8EN3c104HalfENS0_10empty_typeEbEEZZNS1_14partition_implILS5_8ELb0ES3_jPKS7_PS8_PKS8_NS0_5tupleIJPS7_S8_EEENSG_IJSD_SD_EEENS0_18inequality_wrapperIN6hipcub16HIPCUB_304000_NS8EqualityEEEPlJS8_EEE10hipError_tPvRmT3_T4_T5_T6_T7_T9_mT8_P12ihipStream_tbDpT10_ENKUlT_T0_E_clISt17integral_constantIbLb0EES18_IbLb1EEEEDaS14_S15_EUlS14_E_NS1_11comp_targetILNS1_3genE0ELNS1_11target_archE4294967295ELNS1_3gpuE0ELNS1_3repE0EEENS1_30default_config_static_selectorELNS0_4arch9wavefront6targetE0EEEvT1_.num_named_barrier, 0
	.set _ZN7rocprim17ROCPRIM_400000_NS6detail17trampoline_kernelINS0_14default_configENS1_25partition_config_selectorILNS1_17partition_subalgoE8EN3c104HalfENS0_10empty_typeEbEEZZNS1_14partition_implILS5_8ELb0ES3_jPKS7_PS8_PKS8_NS0_5tupleIJPS7_S8_EEENSG_IJSD_SD_EEENS0_18inequality_wrapperIN6hipcub16HIPCUB_304000_NS8EqualityEEEPlJS8_EEE10hipError_tPvRmT3_T4_T5_T6_T7_T9_mT8_P12ihipStream_tbDpT10_ENKUlT_T0_E_clISt17integral_constantIbLb0EES18_IbLb1EEEEDaS14_S15_EUlS14_E_NS1_11comp_targetILNS1_3genE0ELNS1_11target_archE4294967295ELNS1_3gpuE0ELNS1_3repE0EEENS1_30default_config_static_selectorELNS0_4arch9wavefront6targetE0EEEvT1_.private_seg_size, 0
	.set _ZN7rocprim17ROCPRIM_400000_NS6detail17trampoline_kernelINS0_14default_configENS1_25partition_config_selectorILNS1_17partition_subalgoE8EN3c104HalfENS0_10empty_typeEbEEZZNS1_14partition_implILS5_8ELb0ES3_jPKS7_PS8_PKS8_NS0_5tupleIJPS7_S8_EEENSG_IJSD_SD_EEENS0_18inequality_wrapperIN6hipcub16HIPCUB_304000_NS8EqualityEEEPlJS8_EEE10hipError_tPvRmT3_T4_T5_T6_T7_T9_mT8_P12ihipStream_tbDpT10_ENKUlT_T0_E_clISt17integral_constantIbLb0EES18_IbLb1EEEEDaS14_S15_EUlS14_E_NS1_11comp_targetILNS1_3genE0ELNS1_11target_archE4294967295ELNS1_3gpuE0ELNS1_3repE0EEENS1_30default_config_static_selectorELNS0_4arch9wavefront6targetE0EEEvT1_.uses_vcc, 1
	.set _ZN7rocprim17ROCPRIM_400000_NS6detail17trampoline_kernelINS0_14default_configENS1_25partition_config_selectorILNS1_17partition_subalgoE8EN3c104HalfENS0_10empty_typeEbEEZZNS1_14partition_implILS5_8ELb0ES3_jPKS7_PS8_PKS8_NS0_5tupleIJPS7_S8_EEENSG_IJSD_SD_EEENS0_18inequality_wrapperIN6hipcub16HIPCUB_304000_NS8EqualityEEEPlJS8_EEE10hipError_tPvRmT3_T4_T5_T6_T7_T9_mT8_P12ihipStream_tbDpT10_ENKUlT_T0_E_clISt17integral_constantIbLb0EES18_IbLb1EEEEDaS14_S15_EUlS14_E_NS1_11comp_targetILNS1_3genE0ELNS1_11target_archE4294967295ELNS1_3gpuE0ELNS1_3repE0EEENS1_30default_config_static_selectorELNS0_4arch9wavefront6targetE0EEEvT1_.uses_flat_scratch, 0
	.set _ZN7rocprim17ROCPRIM_400000_NS6detail17trampoline_kernelINS0_14default_configENS1_25partition_config_selectorILNS1_17partition_subalgoE8EN3c104HalfENS0_10empty_typeEbEEZZNS1_14partition_implILS5_8ELb0ES3_jPKS7_PS8_PKS8_NS0_5tupleIJPS7_S8_EEENSG_IJSD_SD_EEENS0_18inequality_wrapperIN6hipcub16HIPCUB_304000_NS8EqualityEEEPlJS8_EEE10hipError_tPvRmT3_T4_T5_T6_T7_T9_mT8_P12ihipStream_tbDpT10_ENKUlT_T0_E_clISt17integral_constantIbLb0EES18_IbLb1EEEEDaS14_S15_EUlS14_E_NS1_11comp_targetILNS1_3genE0ELNS1_11target_archE4294967295ELNS1_3gpuE0ELNS1_3repE0EEENS1_30default_config_static_selectorELNS0_4arch9wavefront6targetE0EEEvT1_.has_dyn_sized_stack, 0
	.set _ZN7rocprim17ROCPRIM_400000_NS6detail17trampoline_kernelINS0_14default_configENS1_25partition_config_selectorILNS1_17partition_subalgoE8EN3c104HalfENS0_10empty_typeEbEEZZNS1_14partition_implILS5_8ELb0ES3_jPKS7_PS8_PKS8_NS0_5tupleIJPS7_S8_EEENSG_IJSD_SD_EEENS0_18inequality_wrapperIN6hipcub16HIPCUB_304000_NS8EqualityEEEPlJS8_EEE10hipError_tPvRmT3_T4_T5_T6_T7_T9_mT8_P12ihipStream_tbDpT10_ENKUlT_T0_E_clISt17integral_constantIbLb0EES18_IbLb1EEEEDaS14_S15_EUlS14_E_NS1_11comp_targetILNS1_3genE0ELNS1_11target_archE4294967295ELNS1_3gpuE0ELNS1_3repE0EEENS1_30default_config_static_selectorELNS0_4arch9wavefront6targetE0EEEvT1_.has_recursion, 0
	.set _ZN7rocprim17ROCPRIM_400000_NS6detail17trampoline_kernelINS0_14default_configENS1_25partition_config_selectorILNS1_17partition_subalgoE8EN3c104HalfENS0_10empty_typeEbEEZZNS1_14partition_implILS5_8ELb0ES3_jPKS7_PS8_PKS8_NS0_5tupleIJPS7_S8_EEENSG_IJSD_SD_EEENS0_18inequality_wrapperIN6hipcub16HIPCUB_304000_NS8EqualityEEEPlJS8_EEE10hipError_tPvRmT3_T4_T5_T6_T7_T9_mT8_P12ihipStream_tbDpT10_ENKUlT_T0_E_clISt17integral_constantIbLb0EES18_IbLb1EEEEDaS14_S15_EUlS14_E_NS1_11comp_targetILNS1_3genE0ELNS1_11target_archE4294967295ELNS1_3gpuE0ELNS1_3repE0EEENS1_30default_config_static_selectorELNS0_4arch9wavefront6targetE0EEEvT1_.has_indirect_call, 0
	.section	.AMDGPU.csdata,"",@progbits
; Kernel info:
; codeLenInByte = 14284
; TotalNumSgprs: 53
; NumVgprs: 116
; ScratchSize: 0
; MemoryBound: 0
; FloatMode: 240
; IeeeMode: 1
; LDSByteSize: 15368 bytes/workgroup (compile time only)
; SGPRBlocks: 0
; VGPRBlocks: 7
; NumSGPRsForWavesPerEU: 53
; NumVGPRsForWavesPerEU: 116
; NamedBarCnt: 0
; Occupancy: 8
; WaveLimiterHint : 1
; COMPUTE_PGM_RSRC2:SCRATCH_EN: 0
; COMPUTE_PGM_RSRC2:USER_SGPR: 2
; COMPUTE_PGM_RSRC2:TRAP_HANDLER: 0
; COMPUTE_PGM_RSRC2:TGID_X_EN: 1
; COMPUTE_PGM_RSRC2:TGID_Y_EN: 0
; COMPUTE_PGM_RSRC2:TGID_Z_EN: 0
; COMPUTE_PGM_RSRC2:TIDIG_COMP_CNT: 0
	.section	.text._ZN7rocprim17ROCPRIM_400000_NS6detail17trampoline_kernelINS0_14default_configENS1_25partition_config_selectorILNS1_17partition_subalgoE8EN3c104HalfENS0_10empty_typeEbEEZZNS1_14partition_implILS5_8ELb0ES3_jPKS7_PS8_PKS8_NS0_5tupleIJPS7_S8_EEENSG_IJSD_SD_EEENS0_18inequality_wrapperIN6hipcub16HIPCUB_304000_NS8EqualityEEEPlJS8_EEE10hipError_tPvRmT3_T4_T5_T6_T7_T9_mT8_P12ihipStream_tbDpT10_ENKUlT_T0_E_clISt17integral_constantIbLb0EES18_IbLb1EEEEDaS14_S15_EUlS14_E_NS1_11comp_targetILNS1_3genE5ELNS1_11target_archE942ELNS1_3gpuE9ELNS1_3repE0EEENS1_30default_config_static_selectorELNS0_4arch9wavefront6targetE0EEEvT1_,"axG",@progbits,_ZN7rocprim17ROCPRIM_400000_NS6detail17trampoline_kernelINS0_14default_configENS1_25partition_config_selectorILNS1_17partition_subalgoE8EN3c104HalfENS0_10empty_typeEbEEZZNS1_14partition_implILS5_8ELb0ES3_jPKS7_PS8_PKS8_NS0_5tupleIJPS7_S8_EEENSG_IJSD_SD_EEENS0_18inequality_wrapperIN6hipcub16HIPCUB_304000_NS8EqualityEEEPlJS8_EEE10hipError_tPvRmT3_T4_T5_T6_T7_T9_mT8_P12ihipStream_tbDpT10_ENKUlT_T0_E_clISt17integral_constantIbLb0EES18_IbLb1EEEEDaS14_S15_EUlS14_E_NS1_11comp_targetILNS1_3genE5ELNS1_11target_archE942ELNS1_3gpuE9ELNS1_3repE0EEENS1_30default_config_static_selectorELNS0_4arch9wavefront6targetE0EEEvT1_,comdat
	.protected	_ZN7rocprim17ROCPRIM_400000_NS6detail17trampoline_kernelINS0_14default_configENS1_25partition_config_selectorILNS1_17partition_subalgoE8EN3c104HalfENS0_10empty_typeEbEEZZNS1_14partition_implILS5_8ELb0ES3_jPKS7_PS8_PKS8_NS0_5tupleIJPS7_S8_EEENSG_IJSD_SD_EEENS0_18inequality_wrapperIN6hipcub16HIPCUB_304000_NS8EqualityEEEPlJS8_EEE10hipError_tPvRmT3_T4_T5_T6_T7_T9_mT8_P12ihipStream_tbDpT10_ENKUlT_T0_E_clISt17integral_constantIbLb0EES18_IbLb1EEEEDaS14_S15_EUlS14_E_NS1_11comp_targetILNS1_3genE5ELNS1_11target_archE942ELNS1_3gpuE9ELNS1_3repE0EEENS1_30default_config_static_selectorELNS0_4arch9wavefront6targetE0EEEvT1_ ; -- Begin function _ZN7rocprim17ROCPRIM_400000_NS6detail17trampoline_kernelINS0_14default_configENS1_25partition_config_selectorILNS1_17partition_subalgoE8EN3c104HalfENS0_10empty_typeEbEEZZNS1_14partition_implILS5_8ELb0ES3_jPKS7_PS8_PKS8_NS0_5tupleIJPS7_S8_EEENSG_IJSD_SD_EEENS0_18inequality_wrapperIN6hipcub16HIPCUB_304000_NS8EqualityEEEPlJS8_EEE10hipError_tPvRmT3_T4_T5_T6_T7_T9_mT8_P12ihipStream_tbDpT10_ENKUlT_T0_E_clISt17integral_constantIbLb0EES18_IbLb1EEEEDaS14_S15_EUlS14_E_NS1_11comp_targetILNS1_3genE5ELNS1_11target_archE942ELNS1_3gpuE9ELNS1_3repE0EEENS1_30default_config_static_selectorELNS0_4arch9wavefront6targetE0EEEvT1_
	.globl	_ZN7rocprim17ROCPRIM_400000_NS6detail17trampoline_kernelINS0_14default_configENS1_25partition_config_selectorILNS1_17partition_subalgoE8EN3c104HalfENS0_10empty_typeEbEEZZNS1_14partition_implILS5_8ELb0ES3_jPKS7_PS8_PKS8_NS0_5tupleIJPS7_S8_EEENSG_IJSD_SD_EEENS0_18inequality_wrapperIN6hipcub16HIPCUB_304000_NS8EqualityEEEPlJS8_EEE10hipError_tPvRmT3_T4_T5_T6_T7_T9_mT8_P12ihipStream_tbDpT10_ENKUlT_T0_E_clISt17integral_constantIbLb0EES18_IbLb1EEEEDaS14_S15_EUlS14_E_NS1_11comp_targetILNS1_3genE5ELNS1_11target_archE942ELNS1_3gpuE9ELNS1_3repE0EEENS1_30default_config_static_selectorELNS0_4arch9wavefront6targetE0EEEvT1_
	.p2align	8
	.type	_ZN7rocprim17ROCPRIM_400000_NS6detail17trampoline_kernelINS0_14default_configENS1_25partition_config_selectorILNS1_17partition_subalgoE8EN3c104HalfENS0_10empty_typeEbEEZZNS1_14partition_implILS5_8ELb0ES3_jPKS7_PS8_PKS8_NS0_5tupleIJPS7_S8_EEENSG_IJSD_SD_EEENS0_18inequality_wrapperIN6hipcub16HIPCUB_304000_NS8EqualityEEEPlJS8_EEE10hipError_tPvRmT3_T4_T5_T6_T7_T9_mT8_P12ihipStream_tbDpT10_ENKUlT_T0_E_clISt17integral_constantIbLb0EES18_IbLb1EEEEDaS14_S15_EUlS14_E_NS1_11comp_targetILNS1_3genE5ELNS1_11target_archE942ELNS1_3gpuE9ELNS1_3repE0EEENS1_30default_config_static_selectorELNS0_4arch9wavefront6targetE0EEEvT1_,@function
_ZN7rocprim17ROCPRIM_400000_NS6detail17trampoline_kernelINS0_14default_configENS1_25partition_config_selectorILNS1_17partition_subalgoE8EN3c104HalfENS0_10empty_typeEbEEZZNS1_14partition_implILS5_8ELb0ES3_jPKS7_PS8_PKS8_NS0_5tupleIJPS7_S8_EEENSG_IJSD_SD_EEENS0_18inequality_wrapperIN6hipcub16HIPCUB_304000_NS8EqualityEEEPlJS8_EEE10hipError_tPvRmT3_T4_T5_T6_T7_T9_mT8_P12ihipStream_tbDpT10_ENKUlT_T0_E_clISt17integral_constantIbLb0EES18_IbLb1EEEEDaS14_S15_EUlS14_E_NS1_11comp_targetILNS1_3genE5ELNS1_11target_archE942ELNS1_3gpuE9ELNS1_3repE0EEENS1_30default_config_static_selectorELNS0_4arch9wavefront6targetE0EEEvT1_: ; @_ZN7rocprim17ROCPRIM_400000_NS6detail17trampoline_kernelINS0_14default_configENS1_25partition_config_selectorILNS1_17partition_subalgoE8EN3c104HalfENS0_10empty_typeEbEEZZNS1_14partition_implILS5_8ELb0ES3_jPKS7_PS8_PKS8_NS0_5tupleIJPS7_S8_EEENSG_IJSD_SD_EEENS0_18inequality_wrapperIN6hipcub16HIPCUB_304000_NS8EqualityEEEPlJS8_EEE10hipError_tPvRmT3_T4_T5_T6_T7_T9_mT8_P12ihipStream_tbDpT10_ENKUlT_T0_E_clISt17integral_constantIbLb0EES18_IbLb1EEEEDaS14_S15_EUlS14_E_NS1_11comp_targetILNS1_3genE5ELNS1_11target_archE942ELNS1_3gpuE9ELNS1_3repE0EEENS1_30default_config_static_selectorELNS0_4arch9wavefront6targetE0EEEvT1_
; %bb.0:
	.section	.rodata,"a",@progbits
	.p2align	6, 0x0
	.amdhsa_kernel _ZN7rocprim17ROCPRIM_400000_NS6detail17trampoline_kernelINS0_14default_configENS1_25partition_config_selectorILNS1_17partition_subalgoE8EN3c104HalfENS0_10empty_typeEbEEZZNS1_14partition_implILS5_8ELb0ES3_jPKS7_PS8_PKS8_NS0_5tupleIJPS7_S8_EEENSG_IJSD_SD_EEENS0_18inequality_wrapperIN6hipcub16HIPCUB_304000_NS8EqualityEEEPlJS8_EEE10hipError_tPvRmT3_T4_T5_T6_T7_T9_mT8_P12ihipStream_tbDpT10_ENKUlT_T0_E_clISt17integral_constantIbLb0EES18_IbLb1EEEEDaS14_S15_EUlS14_E_NS1_11comp_targetILNS1_3genE5ELNS1_11target_archE942ELNS1_3gpuE9ELNS1_3repE0EEENS1_30default_config_static_selectorELNS0_4arch9wavefront6targetE0EEEvT1_
		.amdhsa_group_segment_fixed_size 0
		.amdhsa_private_segment_fixed_size 0
		.amdhsa_kernarg_size 128
		.amdhsa_user_sgpr_count 2
		.amdhsa_user_sgpr_dispatch_ptr 0
		.amdhsa_user_sgpr_queue_ptr 0
		.amdhsa_user_sgpr_kernarg_segment_ptr 1
		.amdhsa_user_sgpr_dispatch_id 0
		.amdhsa_user_sgpr_kernarg_preload_length 0
		.amdhsa_user_sgpr_kernarg_preload_offset 0
		.amdhsa_user_sgpr_private_segment_size 0
		.amdhsa_wavefront_size32 1
		.amdhsa_uses_dynamic_stack 0
		.amdhsa_enable_private_segment 0
		.amdhsa_system_sgpr_workgroup_id_x 1
		.amdhsa_system_sgpr_workgroup_id_y 0
		.amdhsa_system_sgpr_workgroup_id_z 0
		.amdhsa_system_sgpr_workgroup_info 0
		.amdhsa_system_vgpr_workitem_id 0
		.amdhsa_next_free_vgpr 1
		.amdhsa_next_free_sgpr 1
		.amdhsa_named_barrier_count 0
		.amdhsa_reserve_vcc 0
		.amdhsa_float_round_mode_32 0
		.amdhsa_float_round_mode_16_64 0
		.amdhsa_float_denorm_mode_32 3
		.amdhsa_float_denorm_mode_16_64 3
		.amdhsa_fp16_overflow 0
		.amdhsa_memory_ordered 1
		.amdhsa_forward_progress 1
		.amdhsa_inst_pref_size 0
		.amdhsa_round_robin_scheduling 0
		.amdhsa_exception_fp_ieee_invalid_op 0
		.amdhsa_exception_fp_denorm_src 0
		.amdhsa_exception_fp_ieee_div_zero 0
		.amdhsa_exception_fp_ieee_overflow 0
		.amdhsa_exception_fp_ieee_underflow 0
		.amdhsa_exception_fp_ieee_inexact 0
		.amdhsa_exception_int_div_zero 0
	.end_amdhsa_kernel
	.section	.text._ZN7rocprim17ROCPRIM_400000_NS6detail17trampoline_kernelINS0_14default_configENS1_25partition_config_selectorILNS1_17partition_subalgoE8EN3c104HalfENS0_10empty_typeEbEEZZNS1_14partition_implILS5_8ELb0ES3_jPKS7_PS8_PKS8_NS0_5tupleIJPS7_S8_EEENSG_IJSD_SD_EEENS0_18inequality_wrapperIN6hipcub16HIPCUB_304000_NS8EqualityEEEPlJS8_EEE10hipError_tPvRmT3_T4_T5_T6_T7_T9_mT8_P12ihipStream_tbDpT10_ENKUlT_T0_E_clISt17integral_constantIbLb0EES18_IbLb1EEEEDaS14_S15_EUlS14_E_NS1_11comp_targetILNS1_3genE5ELNS1_11target_archE942ELNS1_3gpuE9ELNS1_3repE0EEENS1_30default_config_static_selectorELNS0_4arch9wavefront6targetE0EEEvT1_,"axG",@progbits,_ZN7rocprim17ROCPRIM_400000_NS6detail17trampoline_kernelINS0_14default_configENS1_25partition_config_selectorILNS1_17partition_subalgoE8EN3c104HalfENS0_10empty_typeEbEEZZNS1_14partition_implILS5_8ELb0ES3_jPKS7_PS8_PKS8_NS0_5tupleIJPS7_S8_EEENSG_IJSD_SD_EEENS0_18inequality_wrapperIN6hipcub16HIPCUB_304000_NS8EqualityEEEPlJS8_EEE10hipError_tPvRmT3_T4_T5_T6_T7_T9_mT8_P12ihipStream_tbDpT10_ENKUlT_T0_E_clISt17integral_constantIbLb0EES18_IbLb1EEEEDaS14_S15_EUlS14_E_NS1_11comp_targetILNS1_3genE5ELNS1_11target_archE942ELNS1_3gpuE9ELNS1_3repE0EEENS1_30default_config_static_selectorELNS0_4arch9wavefront6targetE0EEEvT1_,comdat
.Lfunc_end918:
	.size	_ZN7rocprim17ROCPRIM_400000_NS6detail17trampoline_kernelINS0_14default_configENS1_25partition_config_selectorILNS1_17partition_subalgoE8EN3c104HalfENS0_10empty_typeEbEEZZNS1_14partition_implILS5_8ELb0ES3_jPKS7_PS8_PKS8_NS0_5tupleIJPS7_S8_EEENSG_IJSD_SD_EEENS0_18inequality_wrapperIN6hipcub16HIPCUB_304000_NS8EqualityEEEPlJS8_EEE10hipError_tPvRmT3_T4_T5_T6_T7_T9_mT8_P12ihipStream_tbDpT10_ENKUlT_T0_E_clISt17integral_constantIbLb0EES18_IbLb1EEEEDaS14_S15_EUlS14_E_NS1_11comp_targetILNS1_3genE5ELNS1_11target_archE942ELNS1_3gpuE9ELNS1_3repE0EEENS1_30default_config_static_selectorELNS0_4arch9wavefront6targetE0EEEvT1_, .Lfunc_end918-_ZN7rocprim17ROCPRIM_400000_NS6detail17trampoline_kernelINS0_14default_configENS1_25partition_config_selectorILNS1_17partition_subalgoE8EN3c104HalfENS0_10empty_typeEbEEZZNS1_14partition_implILS5_8ELb0ES3_jPKS7_PS8_PKS8_NS0_5tupleIJPS7_S8_EEENSG_IJSD_SD_EEENS0_18inequality_wrapperIN6hipcub16HIPCUB_304000_NS8EqualityEEEPlJS8_EEE10hipError_tPvRmT3_T4_T5_T6_T7_T9_mT8_P12ihipStream_tbDpT10_ENKUlT_T0_E_clISt17integral_constantIbLb0EES18_IbLb1EEEEDaS14_S15_EUlS14_E_NS1_11comp_targetILNS1_3genE5ELNS1_11target_archE942ELNS1_3gpuE9ELNS1_3repE0EEENS1_30default_config_static_selectorELNS0_4arch9wavefront6targetE0EEEvT1_
                                        ; -- End function
	.set _ZN7rocprim17ROCPRIM_400000_NS6detail17trampoline_kernelINS0_14default_configENS1_25partition_config_selectorILNS1_17partition_subalgoE8EN3c104HalfENS0_10empty_typeEbEEZZNS1_14partition_implILS5_8ELb0ES3_jPKS7_PS8_PKS8_NS0_5tupleIJPS7_S8_EEENSG_IJSD_SD_EEENS0_18inequality_wrapperIN6hipcub16HIPCUB_304000_NS8EqualityEEEPlJS8_EEE10hipError_tPvRmT3_T4_T5_T6_T7_T9_mT8_P12ihipStream_tbDpT10_ENKUlT_T0_E_clISt17integral_constantIbLb0EES18_IbLb1EEEEDaS14_S15_EUlS14_E_NS1_11comp_targetILNS1_3genE5ELNS1_11target_archE942ELNS1_3gpuE9ELNS1_3repE0EEENS1_30default_config_static_selectorELNS0_4arch9wavefront6targetE0EEEvT1_.num_vgpr, 0
	.set _ZN7rocprim17ROCPRIM_400000_NS6detail17trampoline_kernelINS0_14default_configENS1_25partition_config_selectorILNS1_17partition_subalgoE8EN3c104HalfENS0_10empty_typeEbEEZZNS1_14partition_implILS5_8ELb0ES3_jPKS7_PS8_PKS8_NS0_5tupleIJPS7_S8_EEENSG_IJSD_SD_EEENS0_18inequality_wrapperIN6hipcub16HIPCUB_304000_NS8EqualityEEEPlJS8_EEE10hipError_tPvRmT3_T4_T5_T6_T7_T9_mT8_P12ihipStream_tbDpT10_ENKUlT_T0_E_clISt17integral_constantIbLb0EES18_IbLb1EEEEDaS14_S15_EUlS14_E_NS1_11comp_targetILNS1_3genE5ELNS1_11target_archE942ELNS1_3gpuE9ELNS1_3repE0EEENS1_30default_config_static_selectorELNS0_4arch9wavefront6targetE0EEEvT1_.num_agpr, 0
	.set _ZN7rocprim17ROCPRIM_400000_NS6detail17trampoline_kernelINS0_14default_configENS1_25partition_config_selectorILNS1_17partition_subalgoE8EN3c104HalfENS0_10empty_typeEbEEZZNS1_14partition_implILS5_8ELb0ES3_jPKS7_PS8_PKS8_NS0_5tupleIJPS7_S8_EEENSG_IJSD_SD_EEENS0_18inequality_wrapperIN6hipcub16HIPCUB_304000_NS8EqualityEEEPlJS8_EEE10hipError_tPvRmT3_T4_T5_T6_T7_T9_mT8_P12ihipStream_tbDpT10_ENKUlT_T0_E_clISt17integral_constantIbLb0EES18_IbLb1EEEEDaS14_S15_EUlS14_E_NS1_11comp_targetILNS1_3genE5ELNS1_11target_archE942ELNS1_3gpuE9ELNS1_3repE0EEENS1_30default_config_static_selectorELNS0_4arch9wavefront6targetE0EEEvT1_.numbered_sgpr, 0
	.set _ZN7rocprim17ROCPRIM_400000_NS6detail17trampoline_kernelINS0_14default_configENS1_25partition_config_selectorILNS1_17partition_subalgoE8EN3c104HalfENS0_10empty_typeEbEEZZNS1_14partition_implILS5_8ELb0ES3_jPKS7_PS8_PKS8_NS0_5tupleIJPS7_S8_EEENSG_IJSD_SD_EEENS0_18inequality_wrapperIN6hipcub16HIPCUB_304000_NS8EqualityEEEPlJS8_EEE10hipError_tPvRmT3_T4_T5_T6_T7_T9_mT8_P12ihipStream_tbDpT10_ENKUlT_T0_E_clISt17integral_constantIbLb0EES18_IbLb1EEEEDaS14_S15_EUlS14_E_NS1_11comp_targetILNS1_3genE5ELNS1_11target_archE942ELNS1_3gpuE9ELNS1_3repE0EEENS1_30default_config_static_selectorELNS0_4arch9wavefront6targetE0EEEvT1_.num_named_barrier, 0
	.set _ZN7rocprim17ROCPRIM_400000_NS6detail17trampoline_kernelINS0_14default_configENS1_25partition_config_selectorILNS1_17partition_subalgoE8EN3c104HalfENS0_10empty_typeEbEEZZNS1_14partition_implILS5_8ELb0ES3_jPKS7_PS8_PKS8_NS0_5tupleIJPS7_S8_EEENSG_IJSD_SD_EEENS0_18inequality_wrapperIN6hipcub16HIPCUB_304000_NS8EqualityEEEPlJS8_EEE10hipError_tPvRmT3_T4_T5_T6_T7_T9_mT8_P12ihipStream_tbDpT10_ENKUlT_T0_E_clISt17integral_constantIbLb0EES18_IbLb1EEEEDaS14_S15_EUlS14_E_NS1_11comp_targetILNS1_3genE5ELNS1_11target_archE942ELNS1_3gpuE9ELNS1_3repE0EEENS1_30default_config_static_selectorELNS0_4arch9wavefront6targetE0EEEvT1_.private_seg_size, 0
	.set _ZN7rocprim17ROCPRIM_400000_NS6detail17trampoline_kernelINS0_14default_configENS1_25partition_config_selectorILNS1_17partition_subalgoE8EN3c104HalfENS0_10empty_typeEbEEZZNS1_14partition_implILS5_8ELb0ES3_jPKS7_PS8_PKS8_NS0_5tupleIJPS7_S8_EEENSG_IJSD_SD_EEENS0_18inequality_wrapperIN6hipcub16HIPCUB_304000_NS8EqualityEEEPlJS8_EEE10hipError_tPvRmT3_T4_T5_T6_T7_T9_mT8_P12ihipStream_tbDpT10_ENKUlT_T0_E_clISt17integral_constantIbLb0EES18_IbLb1EEEEDaS14_S15_EUlS14_E_NS1_11comp_targetILNS1_3genE5ELNS1_11target_archE942ELNS1_3gpuE9ELNS1_3repE0EEENS1_30default_config_static_selectorELNS0_4arch9wavefront6targetE0EEEvT1_.uses_vcc, 0
	.set _ZN7rocprim17ROCPRIM_400000_NS6detail17trampoline_kernelINS0_14default_configENS1_25partition_config_selectorILNS1_17partition_subalgoE8EN3c104HalfENS0_10empty_typeEbEEZZNS1_14partition_implILS5_8ELb0ES3_jPKS7_PS8_PKS8_NS0_5tupleIJPS7_S8_EEENSG_IJSD_SD_EEENS0_18inequality_wrapperIN6hipcub16HIPCUB_304000_NS8EqualityEEEPlJS8_EEE10hipError_tPvRmT3_T4_T5_T6_T7_T9_mT8_P12ihipStream_tbDpT10_ENKUlT_T0_E_clISt17integral_constantIbLb0EES18_IbLb1EEEEDaS14_S15_EUlS14_E_NS1_11comp_targetILNS1_3genE5ELNS1_11target_archE942ELNS1_3gpuE9ELNS1_3repE0EEENS1_30default_config_static_selectorELNS0_4arch9wavefront6targetE0EEEvT1_.uses_flat_scratch, 0
	.set _ZN7rocprim17ROCPRIM_400000_NS6detail17trampoline_kernelINS0_14default_configENS1_25partition_config_selectorILNS1_17partition_subalgoE8EN3c104HalfENS0_10empty_typeEbEEZZNS1_14partition_implILS5_8ELb0ES3_jPKS7_PS8_PKS8_NS0_5tupleIJPS7_S8_EEENSG_IJSD_SD_EEENS0_18inequality_wrapperIN6hipcub16HIPCUB_304000_NS8EqualityEEEPlJS8_EEE10hipError_tPvRmT3_T4_T5_T6_T7_T9_mT8_P12ihipStream_tbDpT10_ENKUlT_T0_E_clISt17integral_constantIbLb0EES18_IbLb1EEEEDaS14_S15_EUlS14_E_NS1_11comp_targetILNS1_3genE5ELNS1_11target_archE942ELNS1_3gpuE9ELNS1_3repE0EEENS1_30default_config_static_selectorELNS0_4arch9wavefront6targetE0EEEvT1_.has_dyn_sized_stack, 0
	.set _ZN7rocprim17ROCPRIM_400000_NS6detail17trampoline_kernelINS0_14default_configENS1_25partition_config_selectorILNS1_17partition_subalgoE8EN3c104HalfENS0_10empty_typeEbEEZZNS1_14partition_implILS5_8ELb0ES3_jPKS7_PS8_PKS8_NS0_5tupleIJPS7_S8_EEENSG_IJSD_SD_EEENS0_18inequality_wrapperIN6hipcub16HIPCUB_304000_NS8EqualityEEEPlJS8_EEE10hipError_tPvRmT3_T4_T5_T6_T7_T9_mT8_P12ihipStream_tbDpT10_ENKUlT_T0_E_clISt17integral_constantIbLb0EES18_IbLb1EEEEDaS14_S15_EUlS14_E_NS1_11comp_targetILNS1_3genE5ELNS1_11target_archE942ELNS1_3gpuE9ELNS1_3repE0EEENS1_30default_config_static_selectorELNS0_4arch9wavefront6targetE0EEEvT1_.has_recursion, 0
	.set _ZN7rocprim17ROCPRIM_400000_NS6detail17trampoline_kernelINS0_14default_configENS1_25partition_config_selectorILNS1_17partition_subalgoE8EN3c104HalfENS0_10empty_typeEbEEZZNS1_14partition_implILS5_8ELb0ES3_jPKS7_PS8_PKS8_NS0_5tupleIJPS7_S8_EEENSG_IJSD_SD_EEENS0_18inequality_wrapperIN6hipcub16HIPCUB_304000_NS8EqualityEEEPlJS8_EEE10hipError_tPvRmT3_T4_T5_T6_T7_T9_mT8_P12ihipStream_tbDpT10_ENKUlT_T0_E_clISt17integral_constantIbLb0EES18_IbLb1EEEEDaS14_S15_EUlS14_E_NS1_11comp_targetILNS1_3genE5ELNS1_11target_archE942ELNS1_3gpuE9ELNS1_3repE0EEENS1_30default_config_static_selectorELNS0_4arch9wavefront6targetE0EEEvT1_.has_indirect_call, 0
	.section	.AMDGPU.csdata,"",@progbits
; Kernel info:
; codeLenInByte = 0
; TotalNumSgprs: 0
; NumVgprs: 0
; ScratchSize: 0
; MemoryBound: 0
; FloatMode: 240
; IeeeMode: 1
; LDSByteSize: 0 bytes/workgroup (compile time only)
; SGPRBlocks: 0
; VGPRBlocks: 0
; NumSGPRsForWavesPerEU: 1
; NumVGPRsForWavesPerEU: 1
; NamedBarCnt: 0
; Occupancy: 16
; WaveLimiterHint : 0
; COMPUTE_PGM_RSRC2:SCRATCH_EN: 0
; COMPUTE_PGM_RSRC2:USER_SGPR: 2
; COMPUTE_PGM_RSRC2:TRAP_HANDLER: 0
; COMPUTE_PGM_RSRC2:TGID_X_EN: 1
; COMPUTE_PGM_RSRC2:TGID_Y_EN: 0
; COMPUTE_PGM_RSRC2:TGID_Z_EN: 0
; COMPUTE_PGM_RSRC2:TIDIG_COMP_CNT: 0
	.section	.text._ZN7rocprim17ROCPRIM_400000_NS6detail17trampoline_kernelINS0_14default_configENS1_25partition_config_selectorILNS1_17partition_subalgoE8EN3c104HalfENS0_10empty_typeEbEEZZNS1_14partition_implILS5_8ELb0ES3_jPKS7_PS8_PKS8_NS0_5tupleIJPS7_S8_EEENSG_IJSD_SD_EEENS0_18inequality_wrapperIN6hipcub16HIPCUB_304000_NS8EqualityEEEPlJS8_EEE10hipError_tPvRmT3_T4_T5_T6_T7_T9_mT8_P12ihipStream_tbDpT10_ENKUlT_T0_E_clISt17integral_constantIbLb0EES18_IbLb1EEEEDaS14_S15_EUlS14_E_NS1_11comp_targetILNS1_3genE4ELNS1_11target_archE910ELNS1_3gpuE8ELNS1_3repE0EEENS1_30default_config_static_selectorELNS0_4arch9wavefront6targetE0EEEvT1_,"axG",@progbits,_ZN7rocprim17ROCPRIM_400000_NS6detail17trampoline_kernelINS0_14default_configENS1_25partition_config_selectorILNS1_17partition_subalgoE8EN3c104HalfENS0_10empty_typeEbEEZZNS1_14partition_implILS5_8ELb0ES3_jPKS7_PS8_PKS8_NS0_5tupleIJPS7_S8_EEENSG_IJSD_SD_EEENS0_18inequality_wrapperIN6hipcub16HIPCUB_304000_NS8EqualityEEEPlJS8_EEE10hipError_tPvRmT3_T4_T5_T6_T7_T9_mT8_P12ihipStream_tbDpT10_ENKUlT_T0_E_clISt17integral_constantIbLb0EES18_IbLb1EEEEDaS14_S15_EUlS14_E_NS1_11comp_targetILNS1_3genE4ELNS1_11target_archE910ELNS1_3gpuE8ELNS1_3repE0EEENS1_30default_config_static_selectorELNS0_4arch9wavefront6targetE0EEEvT1_,comdat
	.protected	_ZN7rocprim17ROCPRIM_400000_NS6detail17trampoline_kernelINS0_14default_configENS1_25partition_config_selectorILNS1_17partition_subalgoE8EN3c104HalfENS0_10empty_typeEbEEZZNS1_14partition_implILS5_8ELb0ES3_jPKS7_PS8_PKS8_NS0_5tupleIJPS7_S8_EEENSG_IJSD_SD_EEENS0_18inequality_wrapperIN6hipcub16HIPCUB_304000_NS8EqualityEEEPlJS8_EEE10hipError_tPvRmT3_T4_T5_T6_T7_T9_mT8_P12ihipStream_tbDpT10_ENKUlT_T0_E_clISt17integral_constantIbLb0EES18_IbLb1EEEEDaS14_S15_EUlS14_E_NS1_11comp_targetILNS1_3genE4ELNS1_11target_archE910ELNS1_3gpuE8ELNS1_3repE0EEENS1_30default_config_static_selectorELNS0_4arch9wavefront6targetE0EEEvT1_ ; -- Begin function _ZN7rocprim17ROCPRIM_400000_NS6detail17trampoline_kernelINS0_14default_configENS1_25partition_config_selectorILNS1_17partition_subalgoE8EN3c104HalfENS0_10empty_typeEbEEZZNS1_14partition_implILS5_8ELb0ES3_jPKS7_PS8_PKS8_NS0_5tupleIJPS7_S8_EEENSG_IJSD_SD_EEENS0_18inequality_wrapperIN6hipcub16HIPCUB_304000_NS8EqualityEEEPlJS8_EEE10hipError_tPvRmT3_T4_T5_T6_T7_T9_mT8_P12ihipStream_tbDpT10_ENKUlT_T0_E_clISt17integral_constantIbLb0EES18_IbLb1EEEEDaS14_S15_EUlS14_E_NS1_11comp_targetILNS1_3genE4ELNS1_11target_archE910ELNS1_3gpuE8ELNS1_3repE0EEENS1_30default_config_static_selectorELNS0_4arch9wavefront6targetE0EEEvT1_
	.globl	_ZN7rocprim17ROCPRIM_400000_NS6detail17trampoline_kernelINS0_14default_configENS1_25partition_config_selectorILNS1_17partition_subalgoE8EN3c104HalfENS0_10empty_typeEbEEZZNS1_14partition_implILS5_8ELb0ES3_jPKS7_PS8_PKS8_NS0_5tupleIJPS7_S8_EEENSG_IJSD_SD_EEENS0_18inequality_wrapperIN6hipcub16HIPCUB_304000_NS8EqualityEEEPlJS8_EEE10hipError_tPvRmT3_T4_T5_T6_T7_T9_mT8_P12ihipStream_tbDpT10_ENKUlT_T0_E_clISt17integral_constantIbLb0EES18_IbLb1EEEEDaS14_S15_EUlS14_E_NS1_11comp_targetILNS1_3genE4ELNS1_11target_archE910ELNS1_3gpuE8ELNS1_3repE0EEENS1_30default_config_static_selectorELNS0_4arch9wavefront6targetE0EEEvT1_
	.p2align	8
	.type	_ZN7rocprim17ROCPRIM_400000_NS6detail17trampoline_kernelINS0_14default_configENS1_25partition_config_selectorILNS1_17partition_subalgoE8EN3c104HalfENS0_10empty_typeEbEEZZNS1_14partition_implILS5_8ELb0ES3_jPKS7_PS8_PKS8_NS0_5tupleIJPS7_S8_EEENSG_IJSD_SD_EEENS0_18inequality_wrapperIN6hipcub16HIPCUB_304000_NS8EqualityEEEPlJS8_EEE10hipError_tPvRmT3_T4_T5_T6_T7_T9_mT8_P12ihipStream_tbDpT10_ENKUlT_T0_E_clISt17integral_constantIbLb0EES18_IbLb1EEEEDaS14_S15_EUlS14_E_NS1_11comp_targetILNS1_3genE4ELNS1_11target_archE910ELNS1_3gpuE8ELNS1_3repE0EEENS1_30default_config_static_selectorELNS0_4arch9wavefront6targetE0EEEvT1_,@function
_ZN7rocprim17ROCPRIM_400000_NS6detail17trampoline_kernelINS0_14default_configENS1_25partition_config_selectorILNS1_17partition_subalgoE8EN3c104HalfENS0_10empty_typeEbEEZZNS1_14partition_implILS5_8ELb0ES3_jPKS7_PS8_PKS8_NS0_5tupleIJPS7_S8_EEENSG_IJSD_SD_EEENS0_18inequality_wrapperIN6hipcub16HIPCUB_304000_NS8EqualityEEEPlJS8_EEE10hipError_tPvRmT3_T4_T5_T6_T7_T9_mT8_P12ihipStream_tbDpT10_ENKUlT_T0_E_clISt17integral_constantIbLb0EES18_IbLb1EEEEDaS14_S15_EUlS14_E_NS1_11comp_targetILNS1_3genE4ELNS1_11target_archE910ELNS1_3gpuE8ELNS1_3repE0EEENS1_30default_config_static_selectorELNS0_4arch9wavefront6targetE0EEEvT1_: ; @_ZN7rocprim17ROCPRIM_400000_NS6detail17trampoline_kernelINS0_14default_configENS1_25partition_config_selectorILNS1_17partition_subalgoE8EN3c104HalfENS0_10empty_typeEbEEZZNS1_14partition_implILS5_8ELb0ES3_jPKS7_PS8_PKS8_NS0_5tupleIJPS7_S8_EEENSG_IJSD_SD_EEENS0_18inequality_wrapperIN6hipcub16HIPCUB_304000_NS8EqualityEEEPlJS8_EEE10hipError_tPvRmT3_T4_T5_T6_T7_T9_mT8_P12ihipStream_tbDpT10_ENKUlT_T0_E_clISt17integral_constantIbLb0EES18_IbLb1EEEEDaS14_S15_EUlS14_E_NS1_11comp_targetILNS1_3genE4ELNS1_11target_archE910ELNS1_3gpuE8ELNS1_3repE0EEENS1_30default_config_static_selectorELNS0_4arch9wavefront6targetE0EEEvT1_
; %bb.0:
	.section	.rodata,"a",@progbits
	.p2align	6, 0x0
	.amdhsa_kernel _ZN7rocprim17ROCPRIM_400000_NS6detail17trampoline_kernelINS0_14default_configENS1_25partition_config_selectorILNS1_17partition_subalgoE8EN3c104HalfENS0_10empty_typeEbEEZZNS1_14partition_implILS5_8ELb0ES3_jPKS7_PS8_PKS8_NS0_5tupleIJPS7_S8_EEENSG_IJSD_SD_EEENS0_18inequality_wrapperIN6hipcub16HIPCUB_304000_NS8EqualityEEEPlJS8_EEE10hipError_tPvRmT3_T4_T5_T6_T7_T9_mT8_P12ihipStream_tbDpT10_ENKUlT_T0_E_clISt17integral_constantIbLb0EES18_IbLb1EEEEDaS14_S15_EUlS14_E_NS1_11comp_targetILNS1_3genE4ELNS1_11target_archE910ELNS1_3gpuE8ELNS1_3repE0EEENS1_30default_config_static_selectorELNS0_4arch9wavefront6targetE0EEEvT1_
		.amdhsa_group_segment_fixed_size 0
		.amdhsa_private_segment_fixed_size 0
		.amdhsa_kernarg_size 128
		.amdhsa_user_sgpr_count 2
		.amdhsa_user_sgpr_dispatch_ptr 0
		.amdhsa_user_sgpr_queue_ptr 0
		.amdhsa_user_sgpr_kernarg_segment_ptr 1
		.amdhsa_user_sgpr_dispatch_id 0
		.amdhsa_user_sgpr_kernarg_preload_length 0
		.amdhsa_user_sgpr_kernarg_preload_offset 0
		.amdhsa_user_sgpr_private_segment_size 0
		.amdhsa_wavefront_size32 1
		.amdhsa_uses_dynamic_stack 0
		.amdhsa_enable_private_segment 0
		.amdhsa_system_sgpr_workgroup_id_x 1
		.amdhsa_system_sgpr_workgroup_id_y 0
		.amdhsa_system_sgpr_workgroup_id_z 0
		.amdhsa_system_sgpr_workgroup_info 0
		.amdhsa_system_vgpr_workitem_id 0
		.amdhsa_next_free_vgpr 1
		.amdhsa_next_free_sgpr 1
		.amdhsa_named_barrier_count 0
		.amdhsa_reserve_vcc 0
		.amdhsa_float_round_mode_32 0
		.amdhsa_float_round_mode_16_64 0
		.amdhsa_float_denorm_mode_32 3
		.amdhsa_float_denorm_mode_16_64 3
		.amdhsa_fp16_overflow 0
		.amdhsa_memory_ordered 1
		.amdhsa_forward_progress 1
		.amdhsa_inst_pref_size 0
		.amdhsa_round_robin_scheduling 0
		.amdhsa_exception_fp_ieee_invalid_op 0
		.amdhsa_exception_fp_denorm_src 0
		.amdhsa_exception_fp_ieee_div_zero 0
		.amdhsa_exception_fp_ieee_overflow 0
		.amdhsa_exception_fp_ieee_underflow 0
		.amdhsa_exception_fp_ieee_inexact 0
		.amdhsa_exception_int_div_zero 0
	.end_amdhsa_kernel
	.section	.text._ZN7rocprim17ROCPRIM_400000_NS6detail17trampoline_kernelINS0_14default_configENS1_25partition_config_selectorILNS1_17partition_subalgoE8EN3c104HalfENS0_10empty_typeEbEEZZNS1_14partition_implILS5_8ELb0ES3_jPKS7_PS8_PKS8_NS0_5tupleIJPS7_S8_EEENSG_IJSD_SD_EEENS0_18inequality_wrapperIN6hipcub16HIPCUB_304000_NS8EqualityEEEPlJS8_EEE10hipError_tPvRmT3_T4_T5_T6_T7_T9_mT8_P12ihipStream_tbDpT10_ENKUlT_T0_E_clISt17integral_constantIbLb0EES18_IbLb1EEEEDaS14_S15_EUlS14_E_NS1_11comp_targetILNS1_3genE4ELNS1_11target_archE910ELNS1_3gpuE8ELNS1_3repE0EEENS1_30default_config_static_selectorELNS0_4arch9wavefront6targetE0EEEvT1_,"axG",@progbits,_ZN7rocprim17ROCPRIM_400000_NS6detail17trampoline_kernelINS0_14default_configENS1_25partition_config_selectorILNS1_17partition_subalgoE8EN3c104HalfENS0_10empty_typeEbEEZZNS1_14partition_implILS5_8ELb0ES3_jPKS7_PS8_PKS8_NS0_5tupleIJPS7_S8_EEENSG_IJSD_SD_EEENS0_18inequality_wrapperIN6hipcub16HIPCUB_304000_NS8EqualityEEEPlJS8_EEE10hipError_tPvRmT3_T4_T5_T6_T7_T9_mT8_P12ihipStream_tbDpT10_ENKUlT_T0_E_clISt17integral_constantIbLb0EES18_IbLb1EEEEDaS14_S15_EUlS14_E_NS1_11comp_targetILNS1_3genE4ELNS1_11target_archE910ELNS1_3gpuE8ELNS1_3repE0EEENS1_30default_config_static_selectorELNS0_4arch9wavefront6targetE0EEEvT1_,comdat
.Lfunc_end919:
	.size	_ZN7rocprim17ROCPRIM_400000_NS6detail17trampoline_kernelINS0_14default_configENS1_25partition_config_selectorILNS1_17partition_subalgoE8EN3c104HalfENS0_10empty_typeEbEEZZNS1_14partition_implILS5_8ELb0ES3_jPKS7_PS8_PKS8_NS0_5tupleIJPS7_S8_EEENSG_IJSD_SD_EEENS0_18inequality_wrapperIN6hipcub16HIPCUB_304000_NS8EqualityEEEPlJS8_EEE10hipError_tPvRmT3_T4_T5_T6_T7_T9_mT8_P12ihipStream_tbDpT10_ENKUlT_T0_E_clISt17integral_constantIbLb0EES18_IbLb1EEEEDaS14_S15_EUlS14_E_NS1_11comp_targetILNS1_3genE4ELNS1_11target_archE910ELNS1_3gpuE8ELNS1_3repE0EEENS1_30default_config_static_selectorELNS0_4arch9wavefront6targetE0EEEvT1_, .Lfunc_end919-_ZN7rocprim17ROCPRIM_400000_NS6detail17trampoline_kernelINS0_14default_configENS1_25partition_config_selectorILNS1_17partition_subalgoE8EN3c104HalfENS0_10empty_typeEbEEZZNS1_14partition_implILS5_8ELb0ES3_jPKS7_PS8_PKS8_NS0_5tupleIJPS7_S8_EEENSG_IJSD_SD_EEENS0_18inequality_wrapperIN6hipcub16HIPCUB_304000_NS8EqualityEEEPlJS8_EEE10hipError_tPvRmT3_T4_T5_T6_T7_T9_mT8_P12ihipStream_tbDpT10_ENKUlT_T0_E_clISt17integral_constantIbLb0EES18_IbLb1EEEEDaS14_S15_EUlS14_E_NS1_11comp_targetILNS1_3genE4ELNS1_11target_archE910ELNS1_3gpuE8ELNS1_3repE0EEENS1_30default_config_static_selectorELNS0_4arch9wavefront6targetE0EEEvT1_
                                        ; -- End function
	.set _ZN7rocprim17ROCPRIM_400000_NS6detail17trampoline_kernelINS0_14default_configENS1_25partition_config_selectorILNS1_17partition_subalgoE8EN3c104HalfENS0_10empty_typeEbEEZZNS1_14partition_implILS5_8ELb0ES3_jPKS7_PS8_PKS8_NS0_5tupleIJPS7_S8_EEENSG_IJSD_SD_EEENS0_18inequality_wrapperIN6hipcub16HIPCUB_304000_NS8EqualityEEEPlJS8_EEE10hipError_tPvRmT3_T4_T5_T6_T7_T9_mT8_P12ihipStream_tbDpT10_ENKUlT_T0_E_clISt17integral_constantIbLb0EES18_IbLb1EEEEDaS14_S15_EUlS14_E_NS1_11comp_targetILNS1_3genE4ELNS1_11target_archE910ELNS1_3gpuE8ELNS1_3repE0EEENS1_30default_config_static_selectorELNS0_4arch9wavefront6targetE0EEEvT1_.num_vgpr, 0
	.set _ZN7rocprim17ROCPRIM_400000_NS6detail17trampoline_kernelINS0_14default_configENS1_25partition_config_selectorILNS1_17partition_subalgoE8EN3c104HalfENS0_10empty_typeEbEEZZNS1_14partition_implILS5_8ELb0ES3_jPKS7_PS8_PKS8_NS0_5tupleIJPS7_S8_EEENSG_IJSD_SD_EEENS0_18inequality_wrapperIN6hipcub16HIPCUB_304000_NS8EqualityEEEPlJS8_EEE10hipError_tPvRmT3_T4_T5_T6_T7_T9_mT8_P12ihipStream_tbDpT10_ENKUlT_T0_E_clISt17integral_constantIbLb0EES18_IbLb1EEEEDaS14_S15_EUlS14_E_NS1_11comp_targetILNS1_3genE4ELNS1_11target_archE910ELNS1_3gpuE8ELNS1_3repE0EEENS1_30default_config_static_selectorELNS0_4arch9wavefront6targetE0EEEvT1_.num_agpr, 0
	.set _ZN7rocprim17ROCPRIM_400000_NS6detail17trampoline_kernelINS0_14default_configENS1_25partition_config_selectorILNS1_17partition_subalgoE8EN3c104HalfENS0_10empty_typeEbEEZZNS1_14partition_implILS5_8ELb0ES3_jPKS7_PS8_PKS8_NS0_5tupleIJPS7_S8_EEENSG_IJSD_SD_EEENS0_18inequality_wrapperIN6hipcub16HIPCUB_304000_NS8EqualityEEEPlJS8_EEE10hipError_tPvRmT3_T4_T5_T6_T7_T9_mT8_P12ihipStream_tbDpT10_ENKUlT_T0_E_clISt17integral_constantIbLb0EES18_IbLb1EEEEDaS14_S15_EUlS14_E_NS1_11comp_targetILNS1_3genE4ELNS1_11target_archE910ELNS1_3gpuE8ELNS1_3repE0EEENS1_30default_config_static_selectorELNS0_4arch9wavefront6targetE0EEEvT1_.numbered_sgpr, 0
	.set _ZN7rocprim17ROCPRIM_400000_NS6detail17trampoline_kernelINS0_14default_configENS1_25partition_config_selectorILNS1_17partition_subalgoE8EN3c104HalfENS0_10empty_typeEbEEZZNS1_14partition_implILS5_8ELb0ES3_jPKS7_PS8_PKS8_NS0_5tupleIJPS7_S8_EEENSG_IJSD_SD_EEENS0_18inequality_wrapperIN6hipcub16HIPCUB_304000_NS8EqualityEEEPlJS8_EEE10hipError_tPvRmT3_T4_T5_T6_T7_T9_mT8_P12ihipStream_tbDpT10_ENKUlT_T0_E_clISt17integral_constantIbLb0EES18_IbLb1EEEEDaS14_S15_EUlS14_E_NS1_11comp_targetILNS1_3genE4ELNS1_11target_archE910ELNS1_3gpuE8ELNS1_3repE0EEENS1_30default_config_static_selectorELNS0_4arch9wavefront6targetE0EEEvT1_.num_named_barrier, 0
	.set _ZN7rocprim17ROCPRIM_400000_NS6detail17trampoline_kernelINS0_14default_configENS1_25partition_config_selectorILNS1_17partition_subalgoE8EN3c104HalfENS0_10empty_typeEbEEZZNS1_14partition_implILS5_8ELb0ES3_jPKS7_PS8_PKS8_NS0_5tupleIJPS7_S8_EEENSG_IJSD_SD_EEENS0_18inequality_wrapperIN6hipcub16HIPCUB_304000_NS8EqualityEEEPlJS8_EEE10hipError_tPvRmT3_T4_T5_T6_T7_T9_mT8_P12ihipStream_tbDpT10_ENKUlT_T0_E_clISt17integral_constantIbLb0EES18_IbLb1EEEEDaS14_S15_EUlS14_E_NS1_11comp_targetILNS1_3genE4ELNS1_11target_archE910ELNS1_3gpuE8ELNS1_3repE0EEENS1_30default_config_static_selectorELNS0_4arch9wavefront6targetE0EEEvT1_.private_seg_size, 0
	.set _ZN7rocprim17ROCPRIM_400000_NS6detail17trampoline_kernelINS0_14default_configENS1_25partition_config_selectorILNS1_17partition_subalgoE8EN3c104HalfENS0_10empty_typeEbEEZZNS1_14partition_implILS5_8ELb0ES3_jPKS7_PS8_PKS8_NS0_5tupleIJPS7_S8_EEENSG_IJSD_SD_EEENS0_18inequality_wrapperIN6hipcub16HIPCUB_304000_NS8EqualityEEEPlJS8_EEE10hipError_tPvRmT3_T4_T5_T6_T7_T9_mT8_P12ihipStream_tbDpT10_ENKUlT_T0_E_clISt17integral_constantIbLb0EES18_IbLb1EEEEDaS14_S15_EUlS14_E_NS1_11comp_targetILNS1_3genE4ELNS1_11target_archE910ELNS1_3gpuE8ELNS1_3repE0EEENS1_30default_config_static_selectorELNS0_4arch9wavefront6targetE0EEEvT1_.uses_vcc, 0
	.set _ZN7rocprim17ROCPRIM_400000_NS6detail17trampoline_kernelINS0_14default_configENS1_25partition_config_selectorILNS1_17partition_subalgoE8EN3c104HalfENS0_10empty_typeEbEEZZNS1_14partition_implILS5_8ELb0ES3_jPKS7_PS8_PKS8_NS0_5tupleIJPS7_S8_EEENSG_IJSD_SD_EEENS0_18inequality_wrapperIN6hipcub16HIPCUB_304000_NS8EqualityEEEPlJS8_EEE10hipError_tPvRmT3_T4_T5_T6_T7_T9_mT8_P12ihipStream_tbDpT10_ENKUlT_T0_E_clISt17integral_constantIbLb0EES18_IbLb1EEEEDaS14_S15_EUlS14_E_NS1_11comp_targetILNS1_3genE4ELNS1_11target_archE910ELNS1_3gpuE8ELNS1_3repE0EEENS1_30default_config_static_selectorELNS0_4arch9wavefront6targetE0EEEvT1_.uses_flat_scratch, 0
	.set _ZN7rocprim17ROCPRIM_400000_NS6detail17trampoline_kernelINS0_14default_configENS1_25partition_config_selectorILNS1_17partition_subalgoE8EN3c104HalfENS0_10empty_typeEbEEZZNS1_14partition_implILS5_8ELb0ES3_jPKS7_PS8_PKS8_NS0_5tupleIJPS7_S8_EEENSG_IJSD_SD_EEENS0_18inequality_wrapperIN6hipcub16HIPCUB_304000_NS8EqualityEEEPlJS8_EEE10hipError_tPvRmT3_T4_T5_T6_T7_T9_mT8_P12ihipStream_tbDpT10_ENKUlT_T0_E_clISt17integral_constantIbLb0EES18_IbLb1EEEEDaS14_S15_EUlS14_E_NS1_11comp_targetILNS1_3genE4ELNS1_11target_archE910ELNS1_3gpuE8ELNS1_3repE0EEENS1_30default_config_static_selectorELNS0_4arch9wavefront6targetE0EEEvT1_.has_dyn_sized_stack, 0
	.set _ZN7rocprim17ROCPRIM_400000_NS6detail17trampoline_kernelINS0_14default_configENS1_25partition_config_selectorILNS1_17partition_subalgoE8EN3c104HalfENS0_10empty_typeEbEEZZNS1_14partition_implILS5_8ELb0ES3_jPKS7_PS8_PKS8_NS0_5tupleIJPS7_S8_EEENSG_IJSD_SD_EEENS0_18inequality_wrapperIN6hipcub16HIPCUB_304000_NS8EqualityEEEPlJS8_EEE10hipError_tPvRmT3_T4_T5_T6_T7_T9_mT8_P12ihipStream_tbDpT10_ENKUlT_T0_E_clISt17integral_constantIbLb0EES18_IbLb1EEEEDaS14_S15_EUlS14_E_NS1_11comp_targetILNS1_3genE4ELNS1_11target_archE910ELNS1_3gpuE8ELNS1_3repE0EEENS1_30default_config_static_selectorELNS0_4arch9wavefront6targetE0EEEvT1_.has_recursion, 0
	.set _ZN7rocprim17ROCPRIM_400000_NS6detail17trampoline_kernelINS0_14default_configENS1_25partition_config_selectorILNS1_17partition_subalgoE8EN3c104HalfENS0_10empty_typeEbEEZZNS1_14partition_implILS5_8ELb0ES3_jPKS7_PS8_PKS8_NS0_5tupleIJPS7_S8_EEENSG_IJSD_SD_EEENS0_18inequality_wrapperIN6hipcub16HIPCUB_304000_NS8EqualityEEEPlJS8_EEE10hipError_tPvRmT3_T4_T5_T6_T7_T9_mT8_P12ihipStream_tbDpT10_ENKUlT_T0_E_clISt17integral_constantIbLb0EES18_IbLb1EEEEDaS14_S15_EUlS14_E_NS1_11comp_targetILNS1_3genE4ELNS1_11target_archE910ELNS1_3gpuE8ELNS1_3repE0EEENS1_30default_config_static_selectorELNS0_4arch9wavefront6targetE0EEEvT1_.has_indirect_call, 0
	.section	.AMDGPU.csdata,"",@progbits
; Kernel info:
; codeLenInByte = 0
; TotalNumSgprs: 0
; NumVgprs: 0
; ScratchSize: 0
; MemoryBound: 0
; FloatMode: 240
; IeeeMode: 1
; LDSByteSize: 0 bytes/workgroup (compile time only)
; SGPRBlocks: 0
; VGPRBlocks: 0
; NumSGPRsForWavesPerEU: 1
; NumVGPRsForWavesPerEU: 1
; NamedBarCnt: 0
; Occupancy: 16
; WaveLimiterHint : 0
; COMPUTE_PGM_RSRC2:SCRATCH_EN: 0
; COMPUTE_PGM_RSRC2:USER_SGPR: 2
; COMPUTE_PGM_RSRC2:TRAP_HANDLER: 0
; COMPUTE_PGM_RSRC2:TGID_X_EN: 1
; COMPUTE_PGM_RSRC2:TGID_Y_EN: 0
; COMPUTE_PGM_RSRC2:TGID_Z_EN: 0
; COMPUTE_PGM_RSRC2:TIDIG_COMP_CNT: 0
	.section	.text._ZN7rocprim17ROCPRIM_400000_NS6detail17trampoline_kernelINS0_14default_configENS1_25partition_config_selectorILNS1_17partition_subalgoE8EN3c104HalfENS0_10empty_typeEbEEZZNS1_14partition_implILS5_8ELb0ES3_jPKS7_PS8_PKS8_NS0_5tupleIJPS7_S8_EEENSG_IJSD_SD_EEENS0_18inequality_wrapperIN6hipcub16HIPCUB_304000_NS8EqualityEEEPlJS8_EEE10hipError_tPvRmT3_T4_T5_T6_T7_T9_mT8_P12ihipStream_tbDpT10_ENKUlT_T0_E_clISt17integral_constantIbLb0EES18_IbLb1EEEEDaS14_S15_EUlS14_E_NS1_11comp_targetILNS1_3genE3ELNS1_11target_archE908ELNS1_3gpuE7ELNS1_3repE0EEENS1_30default_config_static_selectorELNS0_4arch9wavefront6targetE0EEEvT1_,"axG",@progbits,_ZN7rocprim17ROCPRIM_400000_NS6detail17trampoline_kernelINS0_14default_configENS1_25partition_config_selectorILNS1_17partition_subalgoE8EN3c104HalfENS0_10empty_typeEbEEZZNS1_14partition_implILS5_8ELb0ES3_jPKS7_PS8_PKS8_NS0_5tupleIJPS7_S8_EEENSG_IJSD_SD_EEENS0_18inequality_wrapperIN6hipcub16HIPCUB_304000_NS8EqualityEEEPlJS8_EEE10hipError_tPvRmT3_T4_T5_T6_T7_T9_mT8_P12ihipStream_tbDpT10_ENKUlT_T0_E_clISt17integral_constantIbLb0EES18_IbLb1EEEEDaS14_S15_EUlS14_E_NS1_11comp_targetILNS1_3genE3ELNS1_11target_archE908ELNS1_3gpuE7ELNS1_3repE0EEENS1_30default_config_static_selectorELNS0_4arch9wavefront6targetE0EEEvT1_,comdat
	.protected	_ZN7rocprim17ROCPRIM_400000_NS6detail17trampoline_kernelINS0_14default_configENS1_25partition_config_selectorILNS1_17partition_subalgoE8EN3c104HalfENS0_10empty_typeEbEEZZNS1_14partition_implILS5_8ELb0ES3_jPKS7_PS8_PKS8_NS0_5tupleIJPS7_S8_EEENSG_IJSD_SD_EEENS0_18inequality_wrapperIN6hipcub16HIPCUB_304000_NS8EqualityEEEPlJS8_EEE10hipError_tPvRmT3_T4_T5_T6_T7_T9_mT8_P12ihipStream_tbDpT10_ENKUlT_T0_E_clISt17integral_constantIbLb0EES18_IbLb1EEEEDaS14_S15_EUlS14_E_NS1_11comp_targetILNS1_3genE3ELNS1_11target_archE908ELNS1_3gpuE7ELNS1_3repE0EEENS1_30default_config_static_selectorELNS0_4arch9wavefront6targetE0EEEvT1_ ; -- Begin function _ZN7rocprim17ROCPRIM_400000_NS6detail17trampoline_kernelINS0_14default_configENS1_25partition_config_selectorILNS1_17partition_subalgoE8EN3c104HalfENS0_10empty_typeEbEEZZNS1_14partition_implILS5_8ELb0ES3_jPKS7_PS8_PKS8_NS0_5tupleIJPS7_S8_EEENSG_IJSD_SD_EEENS0_18inequality_wrapperIN6hipcub16HIPCUB_304000_NS8EqualityEEEPlJS8_EEE10hipError_tPvRmT3_T4_T5_T6_T7_T9_mT8_P12ihipStream_tbDpT10_ENKUlT_T0_E_clISt17integral_constantIbLb0EES18_IbLb1EEEEDaS14_S15_EUlS14_E_NS1_11comp_targetILNS1_3genE3ELNS1_11target_archE908ELNS1_3gpuE7ELNS1_3repE0EEENS1_30default_config_static_selectorELNS0_4arch9wavefront6targetE0EEEvT1_
	.globl	_ZN7rocprim17ROCPRIM_400000_NS6detail17trampoline_kernelINS0_14default_configENS1_25partition_config_selectorILNS1_17partition_subalgoE8EN3c104HalfENS0_10empty_typeEbEEZZNS1_14partition_implILS5_8ELb0ES3_jPKS7_PS8_PKS8_NS0_5tupleIJPS7_S8_EEENSG_IJSD_SD_EEENS0_18inequality_wrapperIN6hipcub16HIPCUB_304000_NS8EqualityEEEPlJS8_EEE10hipError_tPvRmT3_T4_T5_T6_T7_T9_mT8_P12ihipStream_tbDpT10_ENKUlT_T0_E_clISt17integral_constantIbLb0EES18_IbLb1EEEEDaS14_S15_EUlS14_E_NS1_11comp_targetILNS1_3genE3ELNS1_11target_archE908ELNS1_3gpuE7ELNS1_3repE0EEENS1_30default_config_static_selectorELNS0_4arch9wavefront6targetE0EEEvT1_
	.p2align	8
	.type	_ZN7rocprim17ROCPRIM_400000_NS6detail17trampoline_kernelINS0_14default_configENS1_25partition_config_selectorILNS1_17partition_subalgoE8EN3c104HalfENS0_10empty_typeEbEEZZNS1_14partition_implILS5_8ELb0ES3_jPKS7_PS8_PKS8_NS0_5tupleIJPS7_S8_EEENSG_IJSD_SD_EEENS0_18inequality_wrapperIN6hipcub16HIPCUB_304000_NS8EqualityEEEPlJS8_EEE10hipError_tPvRmT3_T4_T5_T6_T7_T9_mT8_P12ihipStream_tbDpT10_ENKUlT_T0_E_clISt17integral_constantIbLb0EES18_IbLb1EEEEDaS14_S15_EUlS14_E_NS1_11comp_targetILNS1_3genE3ELNS1_11target_archE908ELNS1_3gpuE7ELNS1_3repE0EEENS1_30default_config_static_selectorELNS0_4arch9wavefront6targetE0EEEvT1_,@function
_ZN7rocprim17ROCPRIM_400000_NS6detail17trampoline_kernelINS0_14default_configENS1_25partition_config_selectorILNS1_17partition_subalgoE8EN3c104HalfENS0_10empty_typeEbEEZZNS1_14partition_implILS5_8ELb0ES3_jPKS7_PS8_PKS8_NS0_5tupleIJPS7_S8_EEENSG_IJSD_SD_EEENS0_18inequality_wrapperIN6hipcub16HIPCUB_304000_NS8EqualityEEEPlJS8_EEE10hipError_tPvRmT3_T4_T5_T6_T7_T9_mT8_P12ihipStream_tbDpT10_ENKUlT_T0_E_clISt17integral_constantIbLb0EES18_IbLb1EEEEDaS14_S15_EUlS14_E_NS1_11comp_targetILNS1_3genE3ELNS1_11target_archE908ELNS1_3gpuE7ELNS1_3repE0EEENS1_30default_config_static_selectorELNS0_4arch9wavefront6targetE0EEEvT1_: ; @_ZN7rocprim17ROCPRIM_400000_NS6detail17trampoline_kernelINS0_14default_configENS1_25partition_config_selectorILNS1_17partition_subalgoE8EN3c104HalfENS0_10empty_typeEbEEZZNS1_14partition_implILS5_8ELb0ES3_jPKS7_PS8_PKS8_NS0_5tupleIJPS7_S8_EEENSG_IJSD_SD_EEENS0_18inequality_wrapperIN6hipcub16HIPCUB_304000_NS8EqualityEEEPlJS8_EEE10hipError_tPvRmT3_T4_T5_T6_T7_T9_mT8_P12ihipStream_tbDpT10_ENKUlT_T0_E_clISt17integral_constantIbLb0EES18_IbLb1EEEEDaS14_S15_EUlS14_E_NS1_11comp_targetILNS1_3genE3ELNS1_11target_archE908ELNS1_3gpuE7ELNS1_3repE0EEENS1_30default_config_static_selectorELNS0_4arch9wavefront6targetE0EEEvT1_
; %bb.0:
	.section	.rodata,"a",@progbits
	.p2align	6, 0x0
	.amdhsa_kernel _ZN7rocprim17ROCPRIM_400000_NS6detail17trampoline_kernelINS0_14default_configENS1_25partition_config_selectorILNS1_17partition_subalgoE8EN3c104HalfENS0_10empty_typeEbEEZZNS1_14partition_implILS5_8ELb0ES3_jPKS7_PS8_PKS8_NS0_5tupleIJPS7_S8_EEENSG_IJSD_SD_EEENS0_18inequality_wrapperIN6hipcub16HIPCUB_304000_NS8EqualityEEEPlJS8_EEE10hipError_tPvRmT3_T4_T5_T6_T7_T9_mT8_P12ihipStream_tbDpT10_ENKUlT_T0_E_clISt17integral_constantIbLb0EES18_IbLb1EEEEDaS14_S15_EUlS14_E_NS1_11comp_targetILNS1_3genE3ELNS1_11target_archE908ELNS1_3gpuE7ELNS1_3repE0EEENS1_30default_config_static_selectorELNS0_4arch9wavefront6targetE0EEEvT1_
		.amdhsa_group_segment_fixed_size 0
		.amdhsa_private_segment_fixed_size 0
		.amdhsa_kernarg_size 128
		.amdhsa_user_sgpr_count 2
		.amdhsa_user_sgpr_dispatch_ptr 0
		.amdhsa_user_sgpr_queue_ptr 0
		.amdhsa_user_sgpr_kernarg_segment_ptr 1
		.amdhsa_user_sgpr_dispatch_id 0
		.amdhsa_user_sgpr_kernarg_preload_length 0
		.amdhsa_user_sgpr_kernarg_preload_offset 0
		.amdhsa_user_sgpr_private_segment_size 0
		.amdhsa_wavefront_size32 1
		.amdhsa_uses_dynamic_stack 0
		.amdhsa_enable_private_segment 0
		.amdhsa_system_sgpr_workgroup_id_x 1
		.amdhsa_system_sgpr_workgroup_id_y 0
		.amdhsa_system_sgpr_workgroup_id_z 0
		.amdhsa_system_sgpr_workgroup_info 0
		.amdhsa_system_vgpr_workitem_id 0
		.amdhsa_next_free_vgpr 1
		.amdhsa_next_free_sgpr 1
		.amdhsa_named_barrier_count 0
		.amdhsa_reserve_vcc 0
		.amdhsa_float_round_mode_32 0
		.amdhsa_float_round_mode_16_64 0
		.amdhsa_float_denorm_mode_32 3
		.amdhsa_float_denorm_mode_16_64 3
		.amdhsa_fp16_overflow 0
		.amdhsa_memory_ordered 1
		.amdhsa_forward_progress 1
		.amdhsa_inst_pref_size 0
		.amdhsa_round_robin_scheduling 0
		.amdhsa_exception_fp_ieee_invalid_op 0
		.amdhsa_exception_fp_denorm_src 0
		.amdhsa_exception_fp_ieee_div_zero 0
		.amdhsa_exception_fp_ieee_overflow 0
		.amdhsa_exception_fp_ieee_underflow 0
		.amdhsa_exception_fp_ieee_inexact 0
		.amdhsa_exception_int_div_zero 0
	.end_amdhsa_kernel
	.section	.text._ZN7rocprim17ROCPRIM_400000_NS6detail17trampoline_kernelINS0_14default_configENS1_25partition_config_selectorILNS1_17partition_subalgoE8EN3c104HalfENS0_10empty_typeEbEEZZNS1_14partition_implILS5_8ELb0ES3_jPKS7_PS8_PKS8_NS0_5tupleIJPS7_S8_EEENSG_IJSD_SD_EEENS0_18inequality_wrapperIN6hipcub16HIPCUB_304000_NS8EqualityEEEPlJS8_EEE10hipError_tPvRmT3_T4_T5_T6_T7_T9_mT8_P12ihipStream_tbDpT10_ENKUlT_T0_E_clISt17integral_constantIbLb0EES18_IbLb1EEEEDaS14_S15_EUlS14_E_NS1_11comp_targetILNS1_3genE3ELNS1_11target_archE908ELNS1_3gpuE7ELNS1_3repE0EEENS1_30default_config_static_selectorELNS0_4arch9wavefront6targetE0EEEvT1_,"axG",@progbits,_ZN7rocprim17ROCPRIM_400000_NS6detail17trampoline_kernelINS0_14default_configENS1_25partition_config_selectorILNS1_17partition_subalgoE8EN3c104HalfENS0_10empty_typeEbEEZZNS1_14partition_implILS5_8ELb0ES3_jPKS7_PS8_PKS8_NS0_5tupleIJPS7_S8_EEENSG_IJSD_SD_EEENS0_18inequality_wrapperIN6hipcub16HIPCUB_304000_NS8EqualityEEEPlJS8_EEE10hipError_tPvRmT3_T4_T5_T6_T7_T9_mT8_P12ihipStream_tbDpT10_ENKUlT_T0_E_clISt17integral_constantIbLb0EES18_IbLb1EEEEDaS14_S15_EUlS14_E_NS1_11comp_targetILNS1_3genE3ELNS1_11target_archE908ELNS1_3gpuE7ELNS1_3repE0EEENS1_30default_config_static_selectorELNS0_4arch9wavefront6targetE0EEEvT1_,comdat
.Lfunc_end920:
	.size	_ZN7rocprim17ROCPRIM_400000_NS6detail17trampoline_kernelINS0_14default_configENS1_25partition_config_selectorILNS1_17partition_subalgoE8EN3c104HalfENS0_10empty_typeEbEEZZNS1_14partition_implILS5_8ELb0ES3_jPKS7_PS8_PKS8_NS0_5tupleIJPS7_S8_EEENSG_IJSD_SD_EEENS0_18inequality_wrapperIN6hipcub16HIPCUB_304000_NS8EqualityEEEPlJS8_EEE10hipError_tPvRmT3_T4_T5_T6_T7_T9_mT8_P12ihipStream_tbDpT10_ENKUlT_T0_E_clISt17integral_constantIbLb0EES18_IbLb1EEEEDaS14_S15_EUlS14_E_NS1_11comp_targetILNS1_3genE3ELNS1_11target_archE908ELNS1_3gpuE7ELNS1_3repE0EEENS1_30default_config_static_selectorELNS0_4arch9wavefront6targetE0EEEvT1_, .Lfunc_end920-_ZN7rocprim17ROCPRIM_400000_NS6detail17trampoline_kernelINS0_14default_configENS1_25partition_config_selectorILNS1_17partition_subalgoE8EN3c104HalfENS0_10empty_typeEbEEZZNS1_14partition_implILS5_8ELb0ES3_jPKS7_PS8_PKS8_NS0_5tupleIJPS7_S8_EEENSG_IJSD_SD_EEENS0_18inequality_wrapperIN6hipcub16HIPCUB_304000_NS8EqualityEEEPlJS8_EEE10hipError_tPvRmT3_T4_T5_T6_T7_T9_mT8_P12ihipStream_tbDpT10_ENKUlT_T0_E_clISt17integral_constantIbLb0EES18_IbLb1EEEEDaS14_S15_EUlS14_E_NS1_11comp_targetILNS1_3genE3ELNS1_11target_archE908ELNS1_3gpuE7ELNS1_3repE0EEENS1_30default_config_static_selectorELNS0_4arch9wavefront6targetE0EEEvT1_
                                        ; -- End function
	.set _ZN7rocprim17ROCPRIM_400000_NS6detail17trampoline_kernelINS0_14default_configENS1_25partition_config_selectorILNS1_17partition_subalgoE8EN3c104HalfENS0_10empty_typeEbEEZZNS1_14partition_implILS5_8ELb0ES3_jPKS7_PS8_PKS8_NS0_5tupleIJPS7_S8_EEENSG_IJSD_SD_EEENS0_18inequality_wrapperIN6hipcub16HIPCUB_304000_NS8EqualityEEEPlJS8_EEE10hipError_tPvRmT3_T4_T5_T6_T7_T9_mT8_P12ihipStream_tbDpT10_ENKUlT_T0_E_clISt17integral_constantIbLb0EES18_IbLb1EEEEDaS14_S15_EUlS14_E_NS1_11comp_targetILNS1_3genE3ELNS1_11target_archE908ELNS1_3gpuE7ELNS1_3repE0EEENS1_30default_config_static_selectorELNS0_4arch9wavefront6targetE0EEEvT1_.num_vgpr, 0
	.set _ZN7rocprim17ROCPRIM_400000_NS6detail17trampoline_kernelINS0_14default_configENS1_25partition_config_selectorILNS1_17partition_subalgoE8EN3c104HalfENS0_10empty_typeEbEEZZNS1_14partition_implILS5_8ELb0ES3_jPKS7_PS8_PKS8_NS0_5tupleIJPS7_S8_EEENSG_IJSD_SD_EEENS0_18inequality_wrapperIN6hipcub16HIPCUB_304000_NS8EqualityEEEPlJS8_EEE10hipError_tPvRmT3_T4_T5_T6_T7_T9_mT8_P12ihipStream_tbDpT10_ENKUlT_T0_E_clISt17integral_constantIbLb0EES18_IbLb1EEEEDaS14_S15_EUlS14_E_NS1_11comp_targetILNS1_3genE3ELNS1_11target_archE908ELNS1_3gpuE7ELNS1_3repE0EEENS1_30default_config_static_selectorELNS0_4arch9wavefront6targetE0EEEvT1_.num_agpr, 0
	.set _ZN7rocprim17ROCPRIM_400000_NS6detail17trampoline_kernelINS0_14default_configENS1_25partition_config_selectorILNS1_17partition_subalgoE8EN3c104HalfENS0_10empty_typeEbEEZZNS1_14partition_implILS5_8ELb0ES3_jPKS7_PS8_PKS8_NS0_5tupleIJPS7_S8_EEENSG_IJSD_SD_EEENS0_18inequality_wrapperIN6hipcub16HIPCUB_304000_NS8EqualityEEEPlJS8_EEE10hipError_tPvRmT3_T4_T5_T6_T7_T9_mT8_P12ihipStream_tbDpT10_ENKUlT_T0_E_clISt17integral_constantIbLb0EES18_IbLb1EEEEDaS14_S15_EUlS14_E_NS1_11comp_targetILNS1_3genE3ELNS1_11target_archE908ELNS1_3gpuE7ELNS1_3repE0EEENS1_30default_config_static_selectorELNS0_4arch9wavefront6targetE0EEEvT1_.numbered_sgpr, 0
	.set _ZN7rocprim17ROCPRIM_400000_NS6detail17trampoline_kernelINS0_14default_configENS1_25partition_config_selectorILNS1_17partition_subalgoE8EN3c104HalfENS0_10empty_typeEbEEZZNS1_14partition_implILS5_8ELb0ES3_jPKS7_PS8_PKS8_NS0_5tupleIJPS7_S8_EEENSG_IJSD_SD_EEENS0_18inequality_wrapperIN6hipcub16HIPCUB_304000_NS8EqualityEEEPlJS8_EEE10hipError_tPvRmT3_T4_T5_T6_T7_T9_mT8_P12ihipStream_tbDpT10_ENKUlT_T0_E_clISt17integral_constantIbLb0EES18_IbLb1EEEEDaS14_S15_EUlS14_E_NS1_11comp_targetILNS1_3genE3ELNS1_11target_archE908ELNS1_3gpuE7ELNS1_3repE0EEENS1_30default_config_static_selectorELNS0_4arch9wavefront6targetE0EEEvT1_.num_named_barrier, 0
	.set _ZN7rocprim17ROCPRIM_400000_NS6detail17trampoline_kernelINS0_14default_configENS1_25partition_config_selectorILNS1_17partition_subalgoE8EN3c104HalfENS0_10empty_typeEbEEZZNS1_14partition_implILS5_8ELb0ES3_jPKS7_PS8_PKS8_NS0_5tupleIJPS7_S8_EEENSG_IJSD_SD_EEENS0_18inequality_wrapperIN6hipcub16HIPCUB_304000_NS8EqualityEEEPlJS8_EEE10hipError_tPvRmT3_T4_T5_T6_T7_T9_mT8_P12ihipStream_tbDpT10_ENKUlT_T0_E_clISt17integral_constantIbLb0EES18_IbLb1EEEEDaS14_S15_EUlS14_E_NS1_11comp_targetILNS1_3genE3ELNS1_11target_archE908ELNS1_3gpuE7ELNS1_3repE0EEENS1_30default_config_static_selectorELNS0_4arch9wavefront6targetE0EEEvT1_.private_seg_size, 0
	.set _ZN7rocprim17ROCPRIM_400000_NS6detail17trampoline_kernelINS0_14default_configENS1_25partition_config_selectorILNS1_17partition_subalgoE8EN3c104HalfENS0_10empty_typeEbEEZZNS1_14partition_implILS5_8ELb0ES3_jPKS7_PS8_PKS8_NS0_5tupleIJPS7_S8_EEENSG_IJSD_SD_EEENS0_18inequality_wrapperIN6hipcub16HIPCUB_304000_NS8EqualityEEEPlJS8_EEE10hipError_tPvRmT3_T4_T5_T6_T7_T9_mT8_P12ihipStream_tbDpT10_ENKUlT_T0_E_clISt17integral_constantIbLb0EES18_IbLb1EEEEDaS14_S15_EUlS14_E_NS1_11comp_targetILNS1_3genE3ELNS1_11target_archE908ELNS1_3gpuE7ELNS1_3repE0EEENS1_30default_config_static_selectorELNS0_4arch9wavefront6targetE0EEEvT1_.uses_vcc, 0
	.set _ZN7rocprim17ROCPRIM_400000_NS6detail17trampoline_kernelINS0_14default_configENS1_25partition_config_selectorILNS1_17partition_subalgoE8EN3c104HalfENS0_10empty_typeEbEEZZNS1_14partition_implILS5_8ELb0ES3_jPKS7_PS8_PKS8_NS0_5tupleIJPS7_S8_EEENSG_IJSD_SD_EEENS0_18inequality_wrapperIN6hipcub16HIPCUB_304000_NS8EqualityEEEPlJS8_EEE10hipError_tPvRmT3_T4_T5_T6_T7_T9_mT8_P12ihipStream_tbDpT10_ENKUlT_T0_E_clISt17integral_constantIbLb0EES18_IbLb1EEEEDaS14_S15_EUlS14_E_NS1_11comp_targetILNS1_3genE3ELNS1_11target_archE908ELNS1_3gpuE7ELNS1_3repE0EEENS1_30default_config_static_selectorELNS0_4arch9wavefront6targetE0EEEvT1_.uses_flat_scratch, 0
	.set _ZN7rocprim17ROCPRIM_400000_NS6detail17trampoline_kernelINS0_14default_configENS1_25partition_config_selectorILNS1_17partition_subalgoE8EN3c104HalfENS0_10empty_typeEbEEZZNS1_14partition_implILS5_8ELb0ES3_jPKS7_PS8_PKS8_NS0_5tupleIJPS7_S8_EEENSG_IJSD_SD_EEENS0_18inequality_wrapperIN6hipcub16HIPCUB_304000_NS8EqualityEEEPlJS8_EEE10hipError_tPvRmT3_T4_T5_T6_T7_T9_mT8_P12ihipStream_tbDpT10_ENKUlT_T0_E_clISt17integral_constantIbLb0EES18_IbLb1EEEEDaS14_S15_EUlS14_E_NS1_11comp_targetILNS1_3genE3ELNS1_11target_archE908ELNS1_3gpuE7ELNS1_3repE0EEENS1_30default_config_static_selectorELNS0_4arch9wavefront6targetE0EEEvT1_.has_dyn_sized_stack, 0
	.set _ZN7rocprim17ROCPRIM_400000_NS6detail17trampoline_kernelINS0_14default_configENS1_25partition_config_selectorILNS1_17partition_subalgoE8EN3c104HalfENS0_10empty_typeEbEEZZNS1_14partition_implILS5_8ELb0ES3_jPKS7_PS8_PKS8_NS0_5tupleIJPS7_S8_EEENSG_IJSD_SD_EEENS0_18inequality_wrapperIN6hipcub16HIPCUB_304000_NS8EqualityEEEPlJS8_EEE10hipError_tPvRmT3_T4_T5_T6_T7_T9_mT8_P12ihipStream_tbDpT10_ENKUlT_T0_E_clISt17integral_constantIbLb0EES18_IbLb1EEEEDaS14_S15_EUlS14_E_NS1_11comp_targetILNS1_3genE3ELNS1_11target_archE908ELNS1_3gpuE7ELNS1_3repE0EEENS1_30default_config_static_selectorELNS0_4arch9wavefront6targetE0EEEvT1_.has_recursion, 0
	.set _ZN7rocprim17ROCPRIM_400000_NS6detail17trampoline_kernelINS0_14default_configENS1_25partition_config_selectorILNS1_17partition_subalgoE8EN3c104HalfENS0_10empty_typeEbEEZZNS1_14partition_implILS5_8ELb0ES3_jPKS7_PS8_PKS8_NS0_5tupleIJPS7_S8_EEENSG_IJSD_SD_EEENS0_18inequality_wrapperIN6hipcub16HIPCUB_304000_NS8EqualityEEEPlJS8_EEE10hipError_tPvRmT3_T4_T5_T6_T7_T9_mT8_P12ihipStream_tbDpT10_ENKUlT_T0_E_clISt17integral_constantIbLb0EES18_IbLb1EEEEDaS14_S15_EUlS14_E_NS1_11comp_targetILNS1_3genE3ELNS1_11target_archE908ELNS1_3gpuE7ELNS1_3repE0EEENS1_30default_config_static_selectorELNS0_4arch9wavefront6targetE0EEEvT1_.has_indirect_call, 0
	.section	.AMDGPU.csdata,"",@progbits
; Kernel info:
; codeLenInByte = 0
; TotalNumSgprs: 0
; NumVgprs: 0
; ScratchSize: 0
; MemoryBound: 0
; FloatMode: 240
; IeeeMode: 1
; LDSByteSize: 0 bytes/workgroup (compile time only)
; SGPRBlocks: 0
; VGPRBlocks: 0
; NumSGPRsForWavesPerEU: 1
; NumVGPRsForWavesPerEU: 1
; NamedBarCnt: 0
; Occupancy: 16
; WaveLimiterHint : 0
; COMPUTE_PGM_RSRC2:SCRATCH_EN: 0
; COMPUTE_PGM_RSRC2:USER_SGPR: 2
; COMPUTE_PGM_RSRC2:TRAP_HANDLER: 0
; COMPUTE_PGM_RSRC2:TGID_X_EN: 1
; COMPUTE_PGM_RSRC2:TGID_Y_EN: 0
; COMPUTE_PGM_RSRC2:TGID_Z_EN: 0
; COMPUTE_PGM_RSRC2:TIDIG_COMP_CNT: 0
	.section	.text._ZN7rocprim17ROCPRIM_400000_NS6detail17trampoline_kernelINS0_14default_configENS1_25partition_config_selectorILNS1_17partition_subalgoE8EN3c104HalfENS0_10empty_typeEbEEZZNS1_14partition_implILS5_8ELb0ES3_jPKS7_PS8_PKS8_NS0_5tupleIJPS7_S8_EEENSG_IJSD_SD_EEENS0_18inequality_wrapperIN6hipcub16HIPCUB_304000_NS8EqualityEEEPlJS8_EEE10hipError_tPvRmT3_T4_T5_T6_T7_T9_mT8_P12ihipStream_tbDpT10_ENKUlT_T0_E_clISt17integral_constantIbLb0EES18_IbLb1EEEEDaS14_S15_EUlS14_E_NS1_11comp_targetILNS1_3genE2ELNS1_11target_archE906ELNS1_3gpuE6ELNS1_3repE0EEENS1_30default_config_static_selectorELNS0_4arch9wavefront6targetE0EEEvT1_,"axG",@progbits,_ZN7rocprim17ROCPRIM_400000_NS6detail17trampoline_kernelINS0_14default_configENS1_25partition_config_selectorILNS1_17partition_subalgoE8EN3c104HalfENS0_10empty_typeEbEEZZNS1_14partition_implILS5_8ELb0ES3_jPKS7_PS8_PKS8_NS0_5tupleIJPS7_S8_EEENSG_IJSD_SD_EEENS0_18inequality_wrapperIN6hipcub16HIPCUB_304000_NS8EqualityEEEPlJS8_EEE10hipError_tPvRmT3_T4_T5_T6_T7_T9_mT8_P12ihipStream_tbDpT10_ENKUlT_T0_E_clISt17integral_constantIbLb0EES18_IbLb1EEEEDaS14_S15_EUlS14_E_NS1_11comp_targetILNS1_3genE2ELNS1_11target_archE906ELNS1_3gpuE6ELNS1_3repE0EEENS1_30default_config_static_selectorELNS0_4arch9wavefront6targetE0EEEvT1_,comdat
	.protected	_ZN7rocprim17ROCPRIM_400000_NS6detail17trampoline_kernelINS0_14default_configENS1_25partition_config_selectorILNS1_17partition_subalgoE8EN3c104HalfENS0_10empty_typeEbEEZZNS1_14partition_implILS5_8ELb0ES3_jPKS7_PS8_PKS8_NS0_5tupleIJPS7_S8_EEENSG_IJSD_SD_EEENS0_18inequality_wrapperIN6hipcub16HIPCUB_304000_NS8EqualityEEEPlJS8_EEE10hipError_tPvRmT3_T4_T5_T6_T7_T9_mT8_P12ihipStream_tbDpT10_ENKUlT_T0_E_clISt17integral_constantIbLb0EES18_IbLb1EEEEDaS14_S15_EUlS14_E_NS1_11comp_targetILNS1_3genE2ELNS1_11target_archE906ELNS1_3gpuE6ELNS1_3repE0EEENS1_30default_config_static_selectorELNS0_4arch9wavefront6targetE0EEEvT1_ ; -- Begin function _ZN7rocprim17ROCPRIM_400000_NS6detail17trampoline_kernelINS0_14default_configENS1_25partition_config_selectorILNS1_17partition_subalgoE8EN3c104HalfENS0_10empty_typeEbEEZZNS1_14partition_implILS5_8ELb0ES3_jPKS7_PS8_PKS8_NS0_5tupleIJPS7_S8_EEENSG_IJSD_SD_EEENS0_18inequality_wrapperIN6hipcub16HIPCUB_304000_NS8EqualityEEEPlJS8_EEE10hipError_tPvRmT3_T4_T5_T6_T7_T9_mT8_P12ihipStream_tbDpT10_ENKUlT_T0_E_clISt17integral_constantIbLb0EES18_IbLb1EEEEDaS14_S15_EUlS14_E_NS1_11comp_targetILNS1_3genE2ELNS1_11target_archE906ELNS1_3gpuE6ELNS1_3repE0EEENS1_30default_config_static_selectorELNS0_4arch9wavefront6targetE0EEEvT1_
	.globl	_ZN7rocprim17ROCPRIM_400000_NS6detail17trampoline_kernelINS0_14default_configENS1_25partition_config_selectorILNS1_17partition_subalgoE8EN3c104HalfENS0_10empty_typeEbEEZZNS1_14partition_implILS5_8ELb0ES3_jPKS7_PS8_PKS8_NS0_5tupleIJPS7_S8_EEENSG_IJSD_SD_EEENS0_18inequality_wrapperIN6hipcub16HIPCUB_304000_NS8EqualityEEEPlJS8_EEE10hipError_tPvRmT3_T4_T5_T6_T7_T9_mT8_P12ihipStream_tbDpT10_ENKUlT_T0_E_clISt17integral_constantIbLb0EES18_IbLb1EEEEDaS14_S15_EUlS14_E_NS1_11comp_targetILNS1_3genE2ELNS1_11target_archE906ELNS1_3gpuE6ELNS1_3repE0EEENS1_30default_config_static_selectorELNS0_4arch9wavefront6targetE0EEEvT1_
	.p2align	8
	.type	_ZN7rocprim17ROCPRIM_400000_NS6detail17trampoline_kernelINS0_14default_configENS1_25partition_config_selectorILNS1_17partition_subalgoE8EN3c104HalfENS0_10empty_typeEbEEZZNS1_14partition_implILS5_8ELb0ES3_jPKS7_PS8_PKS8_NS0_5tupleIJPS7_S8_EEENSG_IJSD_SD_EEENS0_18inequality_wrapperIN6hipcub16HIPCUB_304000_NS8EqualityEEEPlJS8_EEE10hipError_tPvRmT3_T4_T5_T6_T7_T9_mT8_P12ihipStream_tbDpT10_ENKUlT_T0_E_clISt17integral_constantIbLb0EES18_IbLb1EEEEDaS14_S15_EUlS14_E_NS1_11comp_targetILNS1_3genE2ELNS1_11target_archE906ELNS1_3gpuE6ELNS1_3repE0EEENS1_30default_config_static_selectorELNS0_4arch9wavefront6targetE0EEEvT1_,@function
_ZN7rocprim17ROCPRIM_400000_NS6detail17trampoline_kernelINS0_14default_configENS1_25partition_config_selectorILNS1_17partition_subalgoE8EN3c104HalfENS0_10empty_typeEbEEZZNS1_14partition_implILS5_8ELb0ES3_jPKS7_PS8_PKS8_NS0_5tupleIJPS7_S8_EEENSG_IJSD_SD_EEENS0_18inequality_wrapperIN6hipcub16HIPCUB_304000_NS8EqualityEEEPlJS8_EEE10hipError_tPvRmT3_T4_T5_T6_T7_T9_mT8_P12ihipStream_tbDpT10_ENKUlT_T0_E_clISt17integral_constantIbLb0EES18_IbLb1EEEEDaS14_S15_EUlS14_E_NS1_11comp_targetILNS1_3genE2ELNS1_11target_archE906ELNS1_3gpuE6ELNS1_3repE0EEENS1_30default_config_static_selectorELNS0_4arch9wavefront6targetE0EEEvT1_: ; @_ZN7rocprim17ROCPRIM_400000_NS6detail17trampoline_kernelINS0_14default_configENS1_25partition_config_selectorILNS1_17partition_subalgoE8EN3c104HalfENS0_10empty_typeEbEEZZNS1_14partition_implILS5_8ELb0ES3_jPKS7_PS8_PKS8_NS0_5tupleIJPS7_S8_EEENSG_IJSD_SD_EEENS0_18inequality_wrapperIN6hipcub16HIPCUB_304000_NS8EqualityEEEPlJS8_EEE10hipError_tPvRmT3_T4_T5_T6_T7_T9_mT8_P12ihipStream_tbDpT10_ENKUlT_T0_E_clISt17integral_constantIbLb0EES18_IbLb1EEEEDaS14_S15_EUlS14_E_NS1_11comp_targetILNS1_3genE2ELNS1_11target_archE906ELNS1_3gpuE6ELNS1_3repE0EEENS1_30default_config_static_selectorELNS0_4arch9wavefront6targetE0EEEvT1_
; %bb.0:
	.section	.rodata,"a",@progbits
	.p2align	6, 0x0
	.amdhsa_kernel _ZN7rocprim17ROCPRIM_400000_NS6detail17trampoline_kernelINS0_14default_configENS1_25partition_config_selectorILNS1_17partition_subalgoE8EN3c104HalfENS0_10empty_typeEbEEZZNS1_14partition_implILS5_8ELb0ES3_jPKS7_PS8_PKS8_NS0_5tupleIJPS7_S8_EEENSG_IJSD_SD_EEENS0_18inequality_wrapperIN6hipcub16HIPCUB_304000_NS8EqualityEEEPlJS8_EEE10hipError_tPvRmT3_T4_T5_T6_T7_T9_mT8_P12ihipStream_tbDpT10_ENKUlT_T0_E_clISt17integral_constantIbLb0EES18_IbLb1EEEEDaS14_S15_EUlS14_E_NS1_11comp_targetILNS1_3genE2ELNS1_11target_archE906ELNS1_3gpuE6ELNS1_3repE0EEENS1_30default_config_static_selectorELNS0_4arch9wavefront6targetE0EEEvT1_
		.amdhsa_group_segment_fixed_size 0
		.amdhsa_private_segment_fixed_size 0
		.amdhsa_kernarg_size 128
		.amdhsa_user_sgpr_count 2
		.amdhsa_user_sgpr_dispatch_ptr 0
		.amdhsa_user_sgpr_queue_ptr 0
		.amdhsa_user_sgpr_kernarg_segment_ptr 1
		.amdhsa_user_sgpr_dispatch_id 0
		.amdhsa_user_sgpr_kernarg_preload_length 0
		.amdhsa_user_sgpr_kernarg_preload_offset 0
		.amdhsa_user_sgpr_private_segment_size 0
		.amdhsa_wavefront_size32 1
		.amdhsa_uses_dynamic_stack 0
		.amdhsa_enable_private_segment 0
		.amdhsa_system_sgpr_workgroup_id_x 1
		.amdhsa_system_sgpr_workgroup_id_y 0
		.amdhsa_system_sgpr_workgroup_id_z 0
		.amdhsa_system_sgpr_workgroup_info 0
		.amdhsa_system_vgpr_workitem_id 0
		.amdhsa_next_free_vgpr 1
		.amdhsa_next_free_sgpr 1
		.amdhsa_named_barrier_count 0
		.amdhsa_reserve_vcc 0
		.amdhsa_float_round_mode_32 0
		.amdhsa_float_round_mode_16_64 0
		.amdhsa_float_denorm_mode_32 3
		.amdhsa_float_denorm_mode_16_64 3
		.amdhsa_fp16_overflow 0
		.amdhsa_memory_ordered 1
		.amdhsa_forward_progress 1
		.amdhsa_inst_pref_size 0
		.amdhsa_round_robin_scheduling 0
		.amdhsa_exception_fp_ieee_invalid_op 0
		.amdhsa_exception_fp_denorm_src 0
		.amdhsa_exception_fp_ieee_div_zero 0
		.amdhsa_exception_fp_ieee_overflow 0
		.amdhsa_exception_fp_ieee_underflow 0
		.amdhsa_exception_fp_ieee_inexact 0
		.amdhsa_exception_int_div_zero 0
	.end_amdhsa_kernel
	.section	.text._ZN7rocprim17ROCPRIM_400000_NS6detail17trampoline_kernelINS0_14default_configENS1_25partition_config_selectorILNS1_17partition_subalgoE8EN3c104HalfENS0_10empty_typeEbEEZZNS1_14partition_implILS5_8ELb0ES3_jPKS7_PS8_PKS8_NS0_5tupleIJPS7_S8_EEENSG_IJSD_SD_EEENS0_18inequality_wrapperIN6hipcub16HIPCUB_304000_NS8EqualityEEEPlJS8_EEE10hipError_tPvRmT3_T4_T5_T6_T7_T9_mT8_P12ihipStream_tbDpT10_ENKUlT_T0_E_clISt17integral_constantIbLb0EES18_IbLb1EEEEDaS14_S15_EUlS14_E_NS1_11comp_targetILNS1_3genE2ELNS1_11target_archE906ELNS1_3gpuE6ELNS1_3repE0EEENS1_30default_config_static_selectorELNS0_4arch9wavefront6targetE0EEEvT1_,"axG",@progbits,_ZN7rocprim17ROCPRIM_400000_NS6detail17trampoline_kernelINS0_14default_configENS1_25partition_config_selectorILNS1_17partition_subalgoE8EN3c104HalfENS0_10empty_typeEbEEZZNS1_14partition_implILS5_8ELb0ES3_jPKS7_PS8_PKS8_NS0_5tupleIJPS7_S8_EEENSG_IJSD_SD_EEENS0_18inequality_wrapperIN6hipcub16HIPCUB_304000_NS8EqualityEEEPlJS8_EEE10hipError_tPvRmT3_T4_T5_T6_T7_T9_mT8_P12ihipStream_tbDpT10_ENKUlT_T0_E_clISt17integral_constantIbLb0EES18_IbLb1EEEEDaS14_S15_EUlS14_E_NS1_11comp_targetILNS1_3genE2ELNS1_11target_archE906ELNS1_3gpuE6ELNS1_3repE0EEENS1_30default_config_static_selectorELNS0_4arch9wavefront6targetE0EEEvT1_,comdat
.Lfunc_end921:
	.size	_ZN7rocprim17ROCPRIM_400000_NS6detail17trampoline_kernelINS0_14default_configENS1_25partition_config_selectorILNS1_17partition_subalgoE8EN3c104HalfENS0_10empty_typeEbEEZZNS1_14partition_implILS5_8ELb0ES3_jPKS7_PS8_PKS8_NS0_5tupleIJPS7_S8_EEENSG_IJSD_SD_EEENS0_18inequality_wrapperIN6hipcub16HIPCUB_304000_NS8EqualityEEEPlJS8_EEE10hipError_tPvRmT3_T4_T5_T6_T7_T9_mT8_P12ihipStream_tbDpT10_ENKUlT_T0_E_clISt17integral_constantIbLb0EES18_IbLb1EEEEDaS14_S15_EUlS14_E_NS1_11comp_targetILNS1_3genE2ELNS1_11target_archE906ELNS1_3gpuE6ELNS1_3repE0EEENS1_30default_config_static_selectorELNS0_4arch9wavefront6targetE0EEEvT1_, .Lfunc_end921-_ZN7rocprim17ROCPRIM_400000_NS6detail17trampoline_kernelINS0_14default_configENS1_25partition_config_selectorILNS1_17partition_subalgoE8EN3c104HalfENS0_10empty_typeEbEEZZNS1_14partition_implILS5_8ELb0ES3_jPKS7_PS8_PKS8_NS0_5tupleIJPS7_S8_EEENSG_IJSD_SD_EEENS0_18inequality_wrapperIN6hipcub16HIPCUB_304000_NS8EqualityEEEPlJS8_EEE10hipError_tPvRmT3_T4_T5_T6_T7_T9_mT8_P12ihipStream_tbDpT10_ENKUlT_T0_E_clISt17integral_constantIbLb0EES18_IbLb1EEEEDaS14_S15_EUlS14_E_NS1_11comp_targetILNS1_3genE2ELNS1_11target_archE906ELNS1_3gpuE6ELNS1_3repE0EEENS1_30default_config_static_selectorELNS0_4arch9wavefront6targetE0EEEvT1_
                                        ; -- End function
	.set _ZN7rocprim17ROCPRIM_400000_NS6detail17trampoline_kernelINS0_14default_configENS1_25partition_config_selectorILNS1_17partition_subalgoE8EN3c104HalfENS0_10empty_typeEbEEZZNS1_14partition_implILS5_8ELb0ES3_jPKS7_PS8_PKS8_NS0_5tupleIJPS7_S8_EEENSG_IJSD_SD_EEENS0_18inequality_wrapperIN6hipcub16HIPCUB_304000_NS8EqualityEEEPlJS8_EEE10hipError_tPvRmT3_T4_T5_T6_T7_T9_mT8_P12ihipStream_tbDpT10_ENKUlT_T0_E_clISt17integral_constantIbLb0EES18_IbLb1EEEEDaS14_S15_EUlS14_E_NS1_11comp_targetILNS1_3genE2ELNS1_11target_archE906ELNS1_3gpuE6ELNS1_3repE0EEENS1_30default_config_static_selectorELNS0_4arch9wavefront6targetE0EEEvT1_.num_vgpr, 0
	.set _ZN7rocprim17ROCPRIM_400000_NS6detail17trampoline_kernelINS0_14default_configENS1_25partition_config_selectorILNS1_17partition_subalgoE8EN3c104HalfENS0_10empty_typeEbEEZZNS1_14partition_implILS5_8ELb0ES3_jPKS7_PS8_PKS8_NS0_5tupleIJPS7_S8_EEENSG_IJSD_SD_EEENS0_18inequality_wrapperIN6hipcub16HIPCUB_304000_NS8EqualityEEEPlJS8_EEE10hipError_tPvRmT3_T4_T5_T6_T7_T9_mT8_P12ihipStream_tbDpT10_ENKUlT_T0_E_clISt17integral_constantIbLb0EES18_IbLb1EEEEDaS14_S15_EUlS14_E_NS1_11comp_targetILNS1_3genE2ELNS1_11target_archE906ELNS1_3gpuE6ELNS1_3repE0EEENS1_30default_config_static_selectorELNS0_4arch9wavefront6targetE0EEEvT1_.num_agpr, 0
	.set _ZN7rocprim17ROCPRIM_400000_NS6detail17trampoline_kernelINS0_14default_configENS1_25partition_config_selectorILNS1_17partition_subalgoE8EN3c104HalfENS0_10empty_typeEbEEZZNS1_14partition_implILS5_8ELb0ES3_jPKS7_PS8_PKS8_NS0_5tupleIJPS7_S8_EEENSG_IJSD_SD_EEENS0_18inequality_wrapperIN6hipcub16HIPCUB_304000_NS8EqualityEEEPlJS8_EEE10hipError_tPvRmT3_T4_T5_T6_T7_T9_mT8_P12ihipStream_tbDpT10_ENKUlT_T0_E_clISt17integral_constantIbLb0EES18_IbLb1EEEEDaS14_S15_EUlS14_E_NS1_11comp_targetILNS1_3genE2ELNS1_11target_archE906ELNS1_3gpuE6ELNS1_3repE0EEENS1_30default_config_static_selectorELNS0_4arch9wavefront6targetE0EEEvT1_.numbered_sgpr, 0
	.set _ZN7rocprim17ROCPRIM_400000_NS6detail17trampoline_kernelINS0_14default_configENS1_25partition_config_selectorILNS1_17partition_subalgoE8EN3c104HalfENS0_10empty_typeEbEEZZNS1_14partition_implILS5_8ELb0ES3_jPKS7_PS8_PKS8_NS0_5tupleIJPS7_S8_EEENSG_IJSD_SD_EEENS0_18inequality_wrapperIN6hipcub16HIPCUB_304000_NS8EqualityEEEPlJS8_EEE10hipError_tPvRmT3_T4_T5_T6_T7_T9_mT8_P12ihipStream_tbDpT10_ENKUlT_T0_E_clISt17integral_constantIbLb0EES18_IbLb1EEEEDaS14_S15_EUlS14_E_NS1_11comp_targetILNS1_3genE2ELNS1_11target_archE906ELNS1_3gpuE6ELNS1_3repE0EEENS1_30default_config_static_selectorELNS0_4arch9wavefront6targetE0EEEvT1_.num_named_barrier, 0
	.set _ZN7rocprim17ROCPRIM_400000_NS6detail17trampoline_kernelINS0_14default_configENS1_25partition_config_selectorILNS1_17partition_subalgoE8EN3c104HalfENS0_10empty_typeEbEEZZNS1_14partition_implILS5_8ELb0ES3_jPKS7_PS8_PKS8_NS0_5tupleIJPS7_S8_EEENSG_IJSD_SD_EEENS0_18inequality_wrapperIN6hipcub16HIPCUB_304000_NS8EqualityEEEPlJS8_EEE10hipError_tPvRmT3_T4_T5_T6_T7_T9_mT8_P12ihipStream_tbDpT10_ENKUlT_T0_E_clISt17integral_constantIbLb0EES18_IbLb1EEEEDaS14_S15_EUlS14_E_NS1_11comp_targetILNS1_3genE2ELNS1_11target_archE906ELNS1_3gpuE6ELNS1_3repE0EEENS1_30default_config_static_selectorELNS0_4arch9wavefront6targetE0EEEvT1_.private_seg_size, 0
	.set _ZN7rocprim17ROCPRIM_400000_NS6detail17trampoline_kernelINS0_14default_configENS1_25partition_config_selectorILNS1_17partition_subalgoE8EN3c104HalfENS0_10empty_typeEbEEZZNS1_14partition_implILS5_8ELb0ES3_jPKS7_PS8_PKS8_NS0_5tupleIJPS7_S8_EEENSG_IJSD_SD_EEENS0_18inequality_wrapperIN6hipcub16HIPCUB_304000_NS8EqualityEEEPlJS8_EEE10hipError_tPvRmT3_T4_T5_T6_T7_T9_mT8_P12ihipStream_tbDpT10_ENKUlT_T0_E_clISt17integral_constantIbLb0EES18_IbLb1EEEEDaS14_S15_EUlS14_E_NS1_11comp_targetILNS1_3genE2ELNS1_11target_archE906ELNS1_3gpuE6ELNS1_3repE0EEENS1_30default_config_static_selectorELNS0_4arch9wavefront6targetE0EEEvT1_.uses_vcc, 0
	.set _ZN7rocprim17ROCPRIM_400000_NS6detail17trampoline_kernelINS0_14default_configENS1_25partition_config_selectorILNS1_17partition_subalgoE8EN3c104HalfENS0_10empty_typeEbEEZZNS1_14partition_implILS5_8ELb0ES3_jPKS7_PS8_PKS8_NS0_5tupleIJPS7_S8_EEENSG_IJSD_SD_EEENS0_18inequality_wrapperIN6hipcub16HIPCUB_304000_NS8EqualityEEEPlJS8_EEE10hipError_tPvRmT3_T4_T5_T6_T7_T9_mT8_P12ihipStream_tbDpT10_ENKUlT_T0_E_clISt17integral_constantIbLb0EES18_IbLb1EEEEDaS14_S15_EUlS14_E_NS1_11comp_targetILNS1_3genE2ELNS1_11target_archE906ELNS1_3gpuE6ELNS1_3repE0EEENS1_30default_config_static_selectorELNS0_4arch9wavefront6targetE0EEEvT1_.uses_flat_scratch, 0
	.set _ZN7rocprim17ROCPRIM_400000_NS6detail17trampoline_kernelINS0_14default_configENS1_25partition_config_selectorILNS1_17partition_subalgoE8EN3c104HalfENS0_10empty_typeEbEEZZNS1_14partition_implILS5_8ELb0ES3_jPKS7_PS8_PKS8_NS0_5tupleIJPS7_S8_EEENSG_IJSD_SD_EEENS0_18inequality_wrapperIN6hipcub16HIPCUB_304000_NS8EqualityEEEPlJS8_EEE10hipError_tPvRmT3_T4_T5_T6_T7_T9_mT8_P12ihipStream_tbDpT10_ENKUlT_T0_E_clISt17integral_constantIbLb0EES18_IbLb1EEEEDaS14_S15_EUlS14_E_NS1_11comp_targetILNS1_3genE2ELNS1_11target_archE906ELNS1_3gpuE6ELNS1_3repE0EEENS1_30default_config_static_selectorELNS0_4arch9wavefront6targetE0EEEvT1_.has_dyn_sized_stack, 0
	.set _ZN7rocprim17ROCPRIM_400000_NS6detail17trampoline_kernelINS0_14default_configENS1_25partition_config_selectorILNS1_17partition_subalgoE8EN3c104HalfENS0_10empty_typeEbEEZZNS1_14partition_implILS5_8ELb0ES3_jPKS7_PS8_PKS8_NS0_5tupleIJPS7_S8_EEENSG_IJSD_SD_EEENS0_18inequality_wrapperIN6hipcub16HIPCUB_304000_NS8EqualityEEEPlJS8_EEE10hipError_tPvRmT3_T4_T5_T6_T7_T9_mT8_P12ihipStream_tbDpT10_ENKUlT_T0_E_clISt17integral_constantIbLb0EES18_IbLb1EEEEDaS14_S15_EUlS14_E_NS1_11comp_targetILNS1_3genE2ELNS1_11target_archE906ELNS1_3gpuE6ELNS1_3repE0EEENS1_30default_config_static_selectorELNS0_4arch9wavefront6targetE0EEEvT1_.has_recursion, 0
	.set _ZN7rocprim17ROCPRIM_400000_NS6detail17trampoline_kernelINS0_14default_configENS1_25partition_config_selectorILNS1_17partition_subalgoE8EN3c104HalfENS0_10empty_typeEbEEZZNS1_14partition_implILS5_8ELb0ES3_jPKS7_PS8_PKS8_NS0_5tupleIJPS7_S8_EEENSG_IJSD_SD_EEENS0_18inequality_wrapperIN6hipcub16HIPCUB_304000_NS8EqualityEEEPlJS8_EEE10hipError_tPvRmT3_T4_T5_T6_T7_T9_mT8_P12ihipStream_tbDpT10_ENKUlT_T0_E_clISt17integral_constantIbLb0EES18_IbLb1EEEEDaS14_S15_EUlS14_E_NS1_11comp_targetILNS1_3genE2ELNS1_11target_archE906ELNS1_3gpuE6ELNS1_3repE0EEENS1_30default_config_static_selectorELNS0_4arch9wavefront6targetE0EEEvT1_.has_indirect_call, 0
	.section	.AMDGPU.csdata,"",@progbits
; Kernel info:
; codeLenInByte = 0
; TotalNumSgprs: 0
; NumVgprs: 0
; ScratchSize: 0
; MemoryBound: 0
; FloatMode: 240
; IeeeMode: 1
; LDSByteSize: 0 bytes/workgroup (compile time only)
; SGPRBlocks: 0
; VGPRBlocks: 0
; NumSGPRsForWavesPerEU: 1
; NumVGPRsForWavesPerEU: 1
; NamedBarCnt: 0
; Occupancy: 16
; WaveLimiterHint : 0
; COMPUTE_PGM_RSRC2:SCRATCH_EN: 0
; COMPUTE_PGM_RSRC2:USER_SGPR: 2
; COMPUTE_PGM_RSRC2:TRAP_HANDLER: 0
; COMPUTE_PGM_RSRC2:TGID_X_EN: 1
; COMPUTE_PGM_RSRC2:TGID_Y_EN: 0
; COMPUTE_PGM_RSRC2:TGID_Z_EN: 0
; COMPUTE_PGM_RSRC2:TIDIG_COMP_CNT: 0
	.section	.text._ZN7rocprim17ROCPRIM_400000_NS6detail17trampoline_kernelINS0_14default_configENS1_25partition_config_selectorILNS1_17partition_subalgoE8EN3c104HalfENS0_10empty_typeEbEEZZNS1_14partition_implILS5_8ELb0ES3_jPKS7_PS8_PKS8_NS0_5tupleIJPS7_S8_EEENSG_IJSD_SD_EEENS0_18inequality_wrapperIN6hipcub16HIPCUB_304000_NS8EqualityEEEPlJS8_EEE10hipError_tPvRmT3_T4_T5_T6_T7_T9_mT8_P12ihipStream_tbDpT10_ENKUlT_T0_E_clISt17integral_constantIbLb0EES18_IbLb1EEEEDaS14_S15_EUlS14_E_NS1_11comp_targetILNS1_3genE10ELNS1_11target_archE1200ELNS1_3gpuE4ELNS1_3repE0EEENS1_30default_config_static_selectorELNS0_4arch9wavefront6targetE0EEEvT1_,"axG",@progbits,_ZN7rocprim17ROCPRIM_400000_NS6detail17trampoline_kernelINS0_14default_configENS1_25partition_config_selectorILNS1_17partition_subalgoE8EN3c104HalfENS0_10empty_typeEbEEZZNS1_14partition_implILS5_8ELb0ES3_jPKS7_PS8_PKS8_NS0_5tupleIJPS7_S8_EEENSG_IJSD_SD_EEENS0_18inequality_wrapperIN6hipcub16HIPCUB_304000_NS8EqualityEEEPlJS8_EEE10hipError_tPvRmT3_T4_T5_T6_T7_T9_mT8_P12ihipStream_tbDpT10_ENKUlT_T0_E_clISt17integral_constantIbLb0EES18_IbLb1EEEEDaS14_S15_EUlS14_E_NS1_11comp_targetILNS1_3genE10ELNS1_11target_archE1200ELNS1_3gpuE4ELNS1_3repE0EEENS1_30default_config_static_selectorELNS0_4arch9wavefront6targetE0EEEvT1_,comdat
	.protected	_ZN7rocprim17ROCPRIM_400000_NS6detail17trampoline_kernelINS0_14default_configENS1_25partition_config_selectorILNS1_17partition_subalgoE8EN3c104HalfENS0_10empty_typeEbEEZZNS1_14partition_implILS5_8ELb0ES3_jPKS7_PS8_PKS8_NS0_5tupleIJPS7_S8_EEENSG_IJSD_SD_EEENS0_18inequality_wrapperIN6hipcub16HIPCUB_304000_NS8EqualityEEEPlJS8_EEE10hipError_tPvRmT3_T4_T5_T6_T7_T9_mT8_P12ihipStream_tbDpT10_ENKUlT_T0_E_clISt17integral_constantIbLb0EES18_IbLb1EEEEDaS14_S15_EUlS14_E_NS1_11comp_targetILNS1_3genE10ELNS1_11target_archE1200ELNS1_3gpuE4ELNS1_3repE0EEENS1_30default_config_static_selectorELNS0_4arch9wavefront6targetE0EEEvT1_ ; -- Begin function _ZN7rocprim17ROCPRIM_400000_NS6detail17trampoline_kernelINS0_14default_configENS1_25partition_config_selectorILNS1_17partition_subalgoE8EN3c104HalfENS0_10empty_typeEbEEZZNS1_14partition_implILS5_8ELb0ES3_jPKS7_PS8_PKS8_NS0_5tupleIJPS7_S8_EEENSG_IJSD_SD_EEENS0_18inequality_wrapperIN6hipcub16HIPCUB_304000_NS8EqualityEEEPlJS8_EEE10hipError_tPvRmT3_T4_T5_T6_T7_T9_mT8_P12ihipStream_tbDpT10_ENKUlT_T0_E_clISt17integral_constantIbLb0EES18_IbLb1EEEEDaS14_S15_EUlS14_E_NS1_11comp_targetILNS1_3genE10ELNS1_11target_archE1200ELNS1_3gpuE4ELNS1_3repE0EEENS1_30default_config_static_selectorELNS0_4arch9wavefront6targetE0EEEvT1_
	.globl	_ZN7rocprim17ROCPRIM_400000_NS6detail17trampoline_kernelINS0_14default_configENS1_25partition_config_selectorILNS1_17partition_subalgoE8EN3c104HalfENS0_10empty_typeEbEEZZNS1_14partition_implILS5_8ELb0ES3_jPKS7_PS8_PKS8_NS0_5tupleIJPS7_S8_EEENSG_IJSD_SD_EEENS0_18inequality_wrapperIN6hipcub16HIPCUB_304000_NS8EqualityEEEPlJS8_EEE10hipError_tPvRmT3_T4_T5_T6_T7_T9_mT8_P12ihipStream_tbDpT10_ENKUlT_T0_E_clISt17integral_constantIbLb0EES18_IbLb1EEEEDaS14_S15_EUlS14_E_NS1_11comp_targetILNS1_3genE10ELNS1_11target_archE1200ELNS1_3gpuE4ELNS1_3repE0EEENS1_30default_config_static_selectorELNS0_4arch9wavefront6targetE0EEEvT1_
	.p2align	8
	.type	_ZN7rocprim17ROCPRIM_400000_NS6detail17trampoline_kernelINS0_14default_configENS1_25partition_config_selectorILNS1_17partition_subalgoE8EN3c104HalfENS0_10empty_typeEbEEZZNS1_14partition_implILS5_8ELb0ES3_jPKS7_PS8_PKS8_NS0_5tupleIJPS7_S8_EEENSG_IJSD_SD_EEENS0_18inequality_wrapperIN6hipcub16HIPCUB_304000_NS8EqualityEEEPlJS8_EEE10hipError_tPvRmT3_T4_T5_T6_T7_T9_mT8_P12ihipStream_tbDpT10_ENKUlT_T0_E_clISt17integral_constantIbLb0EES18_IbLb1EEEEDaS14_S15_EUlS14_E_NS1_11comp_targetILNS1_3genE10ELNS1_11target_archE1200ELNS1_3gpuE4ELNS1_3repE0EEENS1_30default_config_static_selectorELNS0_4arch9wavefront6targetE0EEEvT1_,@function
_ZN7rocprim17ROCPRIM_400000_NS6detail17trampoline_kernelINS0_14default_configENS1_25partition_config_selectorILNS1_17partition_subalgoE8EN3c104HalfENS0_10empty_typeEbEEZZNS1_14partition_implILS5_8ELb0ES3_jPKS7_PS8_PKS8_NS0_5tupleIJPS7_S8_EEENSG_IJSD_SD_EEENS0_18inequality_wrapperIN6hipcub16HIPCUB_304000_NS8EqualityEEEPlJS8_EEE10hipError_tPvRmT3_T4_T5_T6_T7_T9_mT8_P12ihipStream_tbDpT10_ENKUlT_T0_E_clISt17integral_constantIbLb0EES18_IbLb1EEEEDaS14_S15_EUlS14_E_NS1_11comp_targetILNS1_3genE10ELNS1_11target_archE1200ELNS1_3gpuE4ELNS1_3repE0EEENS1_30default_config_static_selectorELNS0_4arch9wavefront6targetE0EEEvT1_: ; @_ZN7rocprim17ROCPRIM_400000_NS6detail17trampoline_kernelINS0_14default_configENS1_25partition_config_selectorILNS1_17partition_subalgoE8EN3c104HalfENS0_10empty_typeEbEEZZNS1_14partition_implILS5_8ELb0ES3_jPKS7_PS8_PKS8_NS0_5tupleIJPS7_S8_EEENSG_IJSD_SD_EEENS0_18inequality_wrapperIN6hipcub16HIPCUB_304000_NS8EqualityEEEPlJS8_EEE10hipError_tPvRmT3_T4_T5_T6_T7_T9_mT8_P12ihipStream_tbDpT10_ENKUlT_T0_E_clISt17integral_constantIbLb0EES18_IbLb1EEEEDaS14_S15_EUlS14_E_NS1_11comp_targetILNS1_3genE10ELNS1_11target_archE1200ELNS1_3gpuE4ELNS1_3repE0EEENS1_30default_config_static_selectorELNS0_4arch9wavefront6targetE0EEEvT1_
; %bb.0:
	.section	.rodata,"a",@progbits
	.p2align	6, 0x0
	.amdhsa_kernel _ZN7rocprim17ROCPRIM_400000_NS6detail17trampoline_kernelINS0_14default_configENS1_25partition_config_selectorILNS1_17partition_subalgoE8EN3c104HalfENS0_10empty_typeEbEEZZNS1_14partition_implILS5_8ELb0ES3_jPKS7_PS8_PKS8_NS0_5tupleIJPS7_S8_EEENSG_IJSD_SD_EEENS0_18inequality_wrapperIN6hipcub16HIPCUB_304000_NS8EqualityEEEPlJS8_EEE10hipError_tPvRmT3_T4_T5_T6_T7_T9_mT8_P12ihipStream_tbDpT10_ENKUlT_T0_E_clISt17integral_constantIbLb0EES18_IbLb1EEEEDaS14_S15_EUlS14_E_NS1_11comp_targetILNS1_3genE10ELNS1_11target_archE1200ELNS1_3gpuE4ELNS1_3repE0EEENS1_30default_config_static_selectorELNS0_4arch9wavefront6targetE0EEEvT1_
		.amdhsa_group_segment_fixed_size 0
		.amdhsa_private_segment_fixed_size 0
		.amdhsa_kernarg_size 128
		.amdhsa_user_sgpr_count 2
		.amdhsa_user_sgpr_dispatch_ptr 0
		.amdhsa_user_sgpr_queue_ptr 0
		.amdhsa_user_sgpr_kernarg_segment_ptr 1
		.amdhsa_user_sgpr_dispatch_id 0
		.amdhsa_user_sgpr_kernarg_preload_length 0
		.amdhsa_user_sgpr_kernarg_preload_offset 0
		.amdhsa_user_sgpr_private_segment_size 0
		.amdhsa_wavefront_size32 1
		.amdhsa_uses_dynamic_stack 0
		.amdhsa_enable_private_segment 0
		.amdhsa_system_sgpr_workgroup_id_x 1
		.amdhsa_system_sgpr_workgroup_id_y 0
		.amdhsa_system_sgpr_workgroup_id_z 0
		.amdhsa_system_sgpr_workgroup_info 0
		.amdhsa_system_vgpr_workitem_id 0
		.amdhsa_next_free_vgpr 1
		.amdhsa_next_free_sgpr 1
		.amdhsa_named_barrier_count 0
		.amdhsa_reserve_vcc 0
		.amdhsa_float_round_mode_32 0
		.amdhsa_float_round_mode_16_64 0
		.amdhsa_float_denorm_mode_32 3
		.amdhsa_float_denorm_mode_16_64 3
		.amdhsa_fp16_overflow 0
		.amdhsa_memory_ordered 1
		.amdhsa_forward_progress 1
		.amdhsa_inst_pref_size 0
		.amdhsa_round_robin_scheduling 0
		.amdhsa_exception_fp_ieee_invalid_op 0
		.amdhsa_exception_fp_denorm_src 0
		.amdhsa_exception_fp_ieee_div_zero 0
		.amdhsa_exception_fp_ieee_overflow 0
		.amdhsa_exception_fp_ieee_underflow 0
		.amdhsa_exception_fp_ieee_inexact 0
		.amdhsa_exception_int_div_zero 0
	.end_amdhsa_kernel
	.section	.text._ZN7rocprim17ROCPRIM_400000_NS6detail17trampoline_kernelINS0_14default_configENS1_25partition_config_selectorILNS1_17partition_subalgoE8EN3c104HalfENS0_10empty_typeEbEEZZNS1_14partition_implILS5_8ELb0ES3_jPKS7_PS8_PKS8_NS0_5tupleIJPS7_S8_EEENSG_IJSD_SD_EEENS0_18inequality_wrapperIN6hipcub16HIPCUB_304000_NS8EqualityEEEPlJS8_EEE10hipError_tPvRmT3_T4_T5_T6_T7_T9_mT8_P12ihipStream_tbDpT10_ENKUlT_T0_E_clISt17integral_constantIbLb0EES18_IbLb1EEEEDaS14_S15_EUlS14_E_NS1_11comp_targetILNS1_3genE10ELNS1_11target_archE1200ELNS1_3gpuE4ELNS1_3repE0EEENS1_30default_config_static_selectorELNS0_4arch9wavefront6targetE0EEEvT1_,"axG",@progbits,_ZN7rocprim17ROCPRIM_400000_NS6detail17trampoline_kernelINS0_14default_configENS1_25partition_config_selectorILNS1_17partition_subalgoE8EN3c104HalfENS0_10empty_typeEbEEZZNS1_14partition_implILS5_8ELb0ES3_jPKS7_PS8_PKS8_NS0_5tupleIJPS7_S8_EEENSG_IJSD_SD_EEENS0_18inequality_wrapperIN6hipcub16HIPCUB_304000_NS8EqualityEEEPlJS8_EEE10hipError_tPvRmT3_T4_T5_T6_T7_T9_mT8_P12ihipStream_tbDpT10_ENKUlT_T0_E_clISt17integral_constantIbLb0EES18_IbLb1EEEEDaS14_S15_EUlS14_E_NS1_11comp_targetILNS1_3genE10ELNS1_11target_archE1200ELNS1_3gpuE4ELNS1_3repE0EEENS1_30default_config_static_selectorELNS0_4arch9wavefront6targetE0EEEvT1_,comdat
.Lfunc_end922:
	.size	_ZN7rocprim17ROCPRIM_400000_NS6detail17trampoline_kernelINS0_14default_configENS1_25partition_config_selectorILNS1_17partition_subalgoE8EN3c104HalfENS0_10empty_typeEbEEZZNS1_14partition_implILS5_8ELb0ES3_jPKS7_PS8_PKS8_NS0_5tupleIJPS7_S8_EEENSG_IJSD_SD_EEENS0_18inequality_wrapperIN6hipcub16HIPCUB_304000_NS8EqualityEEEPlJS8_EEE10hipError_tPvRmT3_T4_T5_T6_T7_T9_mT8_P12ihipStream_tbDpT10_ENKUlT_T0_E_clISt17integral_constantIbLb0EES18_IbLb1EEEEDaS14_S15_EUlS14_E_NS1_11comp_targetILNS1_3genE10ELNS1_11target_archE1200ELNS1_3gpuE4ELNS1_3repE0EEENS1_30default_config_static_selectorELNS0_4arch9wavefront6targetE0EEEvT1_, .Lfunc_end922-_ZN7rocprim17ROCPRIM_400000_NS6detail17trampoline_kernelINS0_14default_configENS1_25partition_config_selectorILNS1_17partition_subalgoE8EN3c104HalfENS0_10empty_typeEbEEZZNS1_14partition_implILS5_8ELb0ES3_jPKS7_PS8_PKS8_NS0_5tupleIJPS7_S8_EEENSG_IJSD_SD_EEENS0_18inequality_wrapperIN6hipcub16HIPCUB_304000_NS8EqualityEEEPlJS8_EEE10hipError_tPvRmT3_T4_T5_T6_T7_T9_mT8_P12ihipStream_tbDpT10_ENKUlT_T0_E_clISt17integral_constantIbLb0EES18_IbLb1EEEEDaS14_S15_EUlS14_E_NS1_11comp_targetILNS1_3genE10ELNS1_11target_archE1200ELNS1_3gpuE4ELNS1_3repE0EEENS1_30default_config_static_selectorELNS0_4arch9wavefront6targetE0EEEvT1_
                                        ; -- End function
	.set _ZN7rocprim17ROCPRIM_400000_NS6detail17trampoline_kernelINS0_14default_configENS1_25partition_config_selectorILNS1_17partition_subalgoE8EN3c104HalfENS0_10empty_typeEbEEZZNS1_14partition_implILS5_8ELb0ES3_jPKS7_PS8_PKS8_NS0_5tupleIJPS7_S8_EEENSG_IJSD_SD_EEENS0_18inequality_wrapperIN6hipcub16HIPCUB_304000_NS8EqualityEEEPlJS8_EEE10hipError_tPvRmT3_T4_T5_T6_T7_T9_mT8_P12ihipStream_tbDpT10_ENKUlT_T0_E_clISt17integral_constantIbLb0EES18_IbLb1EEEEDaS14_S15_EUlS14_E_NS1_11comp_targetILNS1_3genE10ELNS1_11target_archE1200ELNS1_3gpuE4ELNS1_3repE0EEENS1_30default_config_static_selectorELNS0_4arch9wavefront6targetE0EEEvT1_.num_vgpr, 0
	.set _ZN7rocprim17ROCPRIM_400000_NS6detail17trampoline_kernelINS0_14default_configENS1_25partition_config_selectorILNS1_17partition_subalgoE8EN3c104HalfENS0_10empty_typeEbEEZZNS1_14partition_implILS5_8ELb0ES3_jPKS7_PS8_PKS8_NS0_5tupleIJPS7_S8_EEENSG_IJSD_SD_EEENS0_18inequality_wrapperIN6hipcub16HIPCUB_304000_NS8EqualityEEEPlJS8_EEE10hipError_tPvRmT3_T4_T5_T6_T7_T9_mT8_P12ihipStream_tbDpT10_ENKUlT_T0_E_clISt17integral_constantIbLb0EES18_IbLb1EEEEDaS14_S15_EUlS14_E_NS1_11comp_targetILNS1_3genE10ELNS1_11target_archE1200ELNS1_3gpuE4ELNS1_3repE0EEENS1_30default_config_static_selectorELNS0_4arch9wavefront6targetE0EEEvT1_.num_agpr, 0
	.set _ZN7rocprim17ROCPRIM_400000_NS6detail17trampoline_kernelINS0_14default_configENS1_25partition_config_selectorILNS1_17partition_subalgoE8EN3c104HalfENS0_10empty_typeEbEEZZNS1_14partition_implILS5_8ELb0ES3_jPKS7_PS8_PKS8_NS0_5tupleIJPS7_S8_EEENSG_IJSD_SD_EEENS0_18inequality_wrapperIN6hipcub16HIPCUB_304000_NS8EqualityEEEPlJS8_EEE10hipError_tPvRmT3_T4_T5_T6_T7_T9_mT8_P12ihipStream_tbDpT10_ENKUlT_T0_E_clISt17integral_constantIbLb0EES18_IbLb1EEEEDaS14_S15_EUlS14_E_NS1_11comp_targetILNS1_3genE10ELNS1_11target_archE1200ELNS1_3gpuE4ELNS1_3repE0EEENS1_30default_config_static_selectorELNS0_4arch9wavefront6targetE0EEEvT1_.numbered_sgpr, 0
	.set _ZN7rocprim17ROCPRIM_400000_NS6detail17trampoline_kernelINS0_14default_configENS1_25partition_config_selectorILNS1_17partition_subalgoE8EN3c104HalfENS0_10empty_typeEbEEZZNS1_14partition_implILS5_8ELb0ES3_jPKS7_PS8_PKS8_NS0_5tupleIJPS7_S8_EEENSG_IJSD_SD_EEENS0_18inequality_wrapperIN6hipcub16HIPCUB_304000_NS8EqualityEEEPlJS8_EEE10hipError_tPvRmT3_T4_T5_T6_T7_T9_mT8_P12ihipStream_tbDpT10_ENKUlT_T0_E_clISt17integral_constantIbLb0EES18_IbLb1EEEEDaS14_S15_EUlS14_E_NS1_11comp_targetILNS1_3genE10ELNS1_11target_archE1200ELNS1_3gpuE4ELNS1_3repE0EEENS1_30default_config_static_selectorELNS0_4arch9wavefront6targetE0EEEvT1_.num_named_barrier, 0
	.set _ZN7rocprim17ROCPRIM_400000_NS6detail17trampoline_kernelINS0_14default_configENS1_25partition_config_selectorILNS1_17partition_subalgoE8EN3c104HalfENS0_10empty_typeEbEEZZNS1_14partition_implILS5_8ELb0ES3_jPKS7_PS8_PKS8_NS0_5tupleIJPS7_S8_EEENSG_IJSD_SD_EEENS0_18inequality_wrapperIN6hipcub16HIPCUB_304000_NS8EqualityEEEPlJS8_EEE10hipError_tPvRmT3_T4_T5_T6_T7_T9_mT8_P12ihipStream_tbDpT10_ENKUlT_T0_E_clISt17integral_constantIbLb0EES18_IbLb1EEEEDaS14_S15_EUlS14_E_NS1_11comp_targetILNS1_3genE10ELNS1_11target_archE1200ELNS1_3gpuE4ELNS1_3repE0EEENS1_30default_config_static_selectorELNS0_4arch9wavefront6targetE0EEEvT1_.private_seg_size, 0
	.set _ZN7rocprim17ROCPRIM_400000_NS6detail17trampoline_kernelINS0_14default_configENS1_25partition_config_selectorILNS1_17partition_subalgoE8EN3c104HalfENS0_10empty_typeEbEEZZNS1_14partition_implILS5_8ELb0ES3_jPKS7_PS8_PKS8_NS0_5tupleIJPS7_S8_EEENSG_IJSD_SD_EEENS0_18inequality_wrapperIN6hipcub16HIPCUB_304000_NS8EqualityEEEPlJS8_EEE10hipError_tPvRmT3_T4_T5_T6_T7_T9_mT8_P12ihipStream_tbDpT10_ENKUlT_T0_E_clISt17integral_constantIbLb0EES18_IbLb1EEEEDaS14_S15_EUlS14_E_NS1_11comp_targetILNS1_3genE10ELNS1_11target_archE1200ELNS1_3gpuE4ELNS1_3repE0EEENS1_30default_config_static_selectorELNS0_4arch9wavefront6targetE0EEEvT1_.uses_vcc, 0
	.set _ZN7rocprim17ROCPRIM_400000_NS6detail17trampoline_kernelINS0_14default_configENS1_25partition_config_selectorILNS1_17partition_subalgoE8EN3c104HalfENS0_10empty_typeEbEEZZNS1_14partition_implILS5_8ELb0ES3_jPKS7_PS8_PKS8_NS0_5tupleIJPS7_S8_EEENSG_IJSD_SD_EEENS0_18inequality_wrapperIN6hipcub16HIPCUB_304000_NS8EqualityEEEPlJS8_EEE10hipError_tPvRmT3_T4_T5_T6_T7_T9_mT8_P12ihipStream_tbDpT10_ENKUlT_T0_E_clISt17integral_constantIbLb0EES18_IbLb1EEEEDaS14_S15_EUlS14_E_NS1_11comp_targetILNS1_3genE10ELNS1_11target_archE1200ELNS1_3gpuE4ELNS1_3repE0EEENS1_30default_config_static_selectorELNS0_4arch9wavefront6targetE0EEEvT1_.uses_flat_scratch, 0
	.set _ZN7rocprim17ROCPRIM_400000_NS6detail17trampoline_kernelINS0_14default_configENS1_25partition_config_selectorILNS1_17partition_subalgoE8EN3c104HalfENS0_10empty_typeEbEEZZNS1_14partition_implILS5_8ELb0ES3_jPKS7_PS8_PKS8_NS0_5tupleIJPS7_S8_EEENSG_IJSD_SD_EEENS0_18inequality_wrapperIN6hipcub16HIPCUB_304000_NS8EqualityEEEPlJS8_EEE10hipError_tPvRmT3_T4_T5_T6_T7_T9_mT8_P12ihipStream_tbDpT10_ENKUlT_T0_E_clISt17integral_constantIbLb0EES18_IbLb1EEEEDaS14_S15_EUlS14_E_NS1_11comp_targetILNS1_3genE10ELNS1_11target_archE1200ELNS1_3gpuE4ELNS1_3repE0EEENS1_30default_config_static_selectorELNS0_4arch9wavefront6targetE0EEEvT1_.has_dyn_sized_stack, 0
	.set _ZN7rocprim17ROCPRIM_400000_NS6detail17trampoline_kernelINS0_14default_configENS1_25partition_config_selectorILNS1_17partition_subalgoE8EN3c104HalfENS0_10empty_typeEbEEZZNS1_14partition_implILS5_8ELb0ES3_jPKS7_PS8_PKS8_NS0_5tupleIJPS7_S8_EEENSG_IJSD_SD_EEENS0_18inequality_wrapperIN6hipcub16HIPCUB_304000_NS8EqualityEEEPlJS8_EEE10hipError_tPvRmT3_T4_T5_T6_T7_T9_mT8_P12ihipStream_tbDpT10_ENKUlT_T0_E_clISt17integral_constantIbLb0EES18_IbLb1EEEEDaS14_S15_EUlS14_E_NS1_11comp_targetILNS1_3genE10ELNS1_11target_archE1200ELNS1_3gpuE4ELNS1_3repE0EEENS1_30default_config_static_selectorELNS0_4arch9wavefront6targetE0EEEvT1_.has_recursion, 0
	.set _ZN7rocprim17ROCPRIM_400000_NS6detail17trampoline_kernelINS0_14default_configENS1_25partition_config_selectorILNS1_17partition_subalgoE8EN3c104HalfENS0_10empty_typeEbEEZZNS1_14partition_implILS5_8ELb0ES3_jPKS7_PS8_PKS8_NS0_5tupleIJPS7_S8_EEENSG_IJSD_SD_EEENS0_18inequality_wrapperIN6hipcub16HIPCUB_304000_NS8EqualityEEEPlJS8_EEE10hipError_tPvRmT3_T4_T5_T6_T7_T9_mT8_P12ihipStream_tbDpT10_ENKUlT_T0_E_clISt17integral_constantIbLb0EES18_IbLb1EEEEDaS14_S15_EUlS14_E_NS1_11comp_targetILNS1_3genE10ELNS1_11target_archE1200ELNS1_3gpuE4ELNS1_3repE0EEENS1_30default_config_static_selectorELNS0_4arch9wavefront6targetE0EEEvT1_.has_indirect_call, 0
	.section	.AMDGPU.csdata,"",@progbits
; Kernel info:
; codeLenInByte = 0
; TotalNumSgprs: 0
; NumVgprs: 0
; ScratchSize: 0
; MemoryBound: 0
; FloatMode: 240
; IeeeMode: 1
; LDSByteSize: 0 bytes/workgroup (compile time only)
; SGPRBlocks: 0
; VGPRBlocks: 0
; NumSGPRsForWavesPerEU: 1
; NumVGPRsForWavesPerEU: 1
; NamedBarCnt: 0
; Occupancy: 16
; WaveLimiterHint : 0
; COMPUTE_PGM_RSRC2:SCRATCH_EN: 0
; COMPUTE_PGM_RSRC2:USER_SGPR: 2
; COMPUTE_PGM_RSRC2:TRAP_HANDLER: 0
; COMPUTE_PGM_RSRC2:TGID_X_EN: 1
; COMPUTE_PGM_RSRC2:TGID_Y_EN: 0
; COMPUTE_PGM_RSRC2:TGID_Z_EN: 0
; COMPUTE_PGM_RSRC2:TIDIG_COMP_CNT: 0
	.section	.text._ZN7rocprim17ROCPRIM_400000_NS6detail17trampoline_kernelINS0_14default_configENS1_25partition_config_selectorILNS1_17partition_subalgoE8EN3c104HalfENS0_10empty_typeEbEEZZNS1_14partition_implILS5_8ELb0ES3_jPKS7_PS8_PKS8_NS0_5tupleIJPS7_S8_EEENSG_IJSD_SD_EEENS0_18inequality_wrapperIN6hipcub16HIPCUB_304000_NS8EqualityEEEPlJS8_EEE10hipError_tPvRmT3_T4_T5_T6_T7_T9_mT8_P12ihipStream_tbDpT10_ENKUlT_T0_E_clISt17integral_constantIbLb0EES18_IbLb1EEEEDaS14_S15_EUlS14_E_NS1_11comp_targetILNS1_3genE9ELNS1_11target_archE1100ELNS1_3gpuE3ELNS1_3repE0EEENS1_30default_config_static_selectorELNS0_4arch9wavefront6targetE0EEEvT1_,"axG",@progbits,_ZN7rocprim17ROCPRIM_400000_NS6detail17trampoline_kernelINS0_14default_configENS1_25partition_config_selectorILNS1_17partition_subalgoE8EN3c104HalfENS0_10empty_typeEbEEZZNS1_14partition_implILS5_8ELb0ES3_jPKS7_PS8_PKS8_NS0_5tupleIJPS7_S8_EEENSG_IJSD_SD_EEENS0_18inequality_wrapperIN6hipcub16HIPCUB_304000_NS8EqualityEEEPlJS8_EEE10hipError_tPvRmT3_T4_T5_T6_T7_T9_mT8_P12ihipStream_tbDpT10_ENKUlT_T0_E_clISt17integral_constantIbLb0EES18_IbLb1EEEEDaS14_S15_EUlS14_E_NS1_11comp_targetILNS1_3genE9ELNS1_11target_archE1100ELNS1_3gpuE3ELNS1_3repE0EEENS1_30default_config_static_selectorELNS0_4arch9wavefront6targetE0EEEvT1_,comdat
	.protected	_ZN7rocprim17ROCPRIM_400000_NS6detail17trampoline_kernelINS0_14default_configENS1_25partition_config_selectorILNS1_17partition_subalgoE8EN3c104HalfENS0_10empty_typeEbEEZZNS1_14partition_implILS5_8ELb0ES3_jPKS7_PS8_PKS8_NS0_5tupleIJPS7_S8_EEENSG_IJSD_SD_EEENS0_18inequality_wrapperIN6hipcub16HIPCUB_304000_NS8EqualityEEEPlJS8_EEE10hipError_tPvRmT3_T4_T5_T6_T7_T9_mT8_P12ihipStream_tbDpT10_ENKUlT_T0_E_clISt17integral_constantIbLb0EES18_IbLb1EEEEDaS14_S15_EUlS14_E_NS1_11comp_targetILNS1_3genE9ELNS1_11target_archE1100ELNS1_3gpuE3ELNS1_3repE0EEENS1_30default_config_static_selectorELNS0_4arch9wavefront6targetE0EEEvT1_ ; -- Begin function _ZN7rocprim17ROCPRIM_400000_NS6detail17trampoline_kernelINS0_14default_configENS1_25partition_config_selectorILNS1_17partition_subalgoE8EN3c104HalfENS0_10empty_typeEbEEZZNS1_14partition_implILS5_8ELb0ES3_jPKS7_PS8_PKS8_NS0_5tupleIJPS7_S8_EEENSG_IJSD_SD_EEENS0_18inequality_wrapperIN6hipcub16HIPCUB_304000_NS8EqualityEEEPlJS8_EEE10hipError_tPvRmT3_T4_T5_T6_T7_T9_mT8_P12ihipStream_tbDpT10_ENKUlT_T0_E_clISt17integral_constantIbLb0EES18_IbLb1EEEEDaS14_S15_EUlS14_E_NS1_11comp_targetILNS1_3genE9ELNS1_11target_archE1100ELNS1_3gpuE3ELNS1_3repE0EEENS1_30default_config_static_selectorELNS0_4arch9wavefront6targetE0EEEvT1_
	.globl	_ZN7rocprim17ROCPRIM_400000_NS6detail17trampoline_kernelINS0_14default_configENS1_25partition_config_selectorILNS1_17partition_subalgoE8EN3c104HalfENS0_10empty_typeEbEEZZNS1_14partition_implILS5_8ELb0ES3_jPKS7_PS8_PKS8_NS0_5tupleIJPS7_S8_EEENSG_IJSD_SD_EEENS0_18inequality_wrapperIN6hipcub16HIPCUB_304000_NS8EqualityEEEPlJS8_EEE10hipError_tPvRmT3_T4_T5_T6_T7_T9_mT8_P12ihipStream_tbDpT10_ENKUlT_T0_E_clISt17integral_constantIbLb0EES18_IbLb1EEEEDaS14_S15_EUlS14_E_NS1_11comp_targetILNS1_3genE9ELNS1_11target_archE1100ELNS1_3gpuE3ELNS1_3repE0EEENS1_30default_config_static_selectorELNS0_4arch9wavefront6targetE0EEEvT1_
	.p2align	8
	.type	_ZN7rocprim17ROCPRIM_400000_NS6detail17trampoline_kernelINS0_14default_configENS1_25partition_config_selectorILNS1_17partition_subalgoE8EN3c104HalfENS0_10empty_typeEbEEZZNS1_14partition_implILS5_8ELb0ES3_jPKS7_PS8_PKS8_NS0_5tupleIJPS7_S8_EEENSG_IJSD_SD_EEENS0_18inequality_wrapperIN6hipcub16HIPCUB_304000_NS8EqualityEEEPlJS8_EEE10hipError_tPvRmT3_T4_T5_T6_T7_T9_mT8_P12ihipStream_tbDpT10_ENKUlT_T0_E_clISt17integral_constantIbLb0EES18_IbLb1EEEEDaS14_S15_EUlS14_E_NS1_11comp_targetILNS1_3genE9ELNS1_11target_archE1100ELNS1_3gpuE3ELNS1_3repE0EEENS1_30default_config_static_selectorELNS0_4arch9wavefront6targetE0EEEvT1_,@function
_ZN7rocprim17ROCPRIM_400000_NS6detail17trampoline_kernelINS0_14default_configENS1_25partition_config_selectorILNS1_17partition_subalgoE8EN3c104HalfENS0_10empty_typeEbEEZZNS1_14partition_implILS5_8ELb0ES3_jPKS7_PS8_PKS8_NS0_5tupleIJPS7_S8_EEENSG_IJSD_SD_EEENS0_18inequality_wrapperIN6hipcub16HIPCUB_304000_NS8EqualityEEEPlJS8_EEE10hipError_tPvRmT3_T4_T5_T6_T7_T9_mT8_P12ihipStream_tbDpT10_ENKUlT_T0_E_clISt17integral_constantIbLb0EES18_IbLb1EEEEDaS14_S15_EUlS14_E_NS1_11comp_targetILNS1_3genE9ELNS1_11target_archE1100ELNS1_3gpuE3ELNS1_3repE0EEENS1_30default_config_static_selectorELNS0_4arch9wavefront6targetE0EEEvT1_: ; @_ZN7rocprim17ROCPRIM_400000_NS6detail17trampoline_kernelINS0_14default_configENS1_25partition_config_selectorILNS1_17partition_subalgoE8EN3c104HalfENS0_10empty_typeEbEEZZNS1_14partition_implILS5_8ELb0ES3_jPKS7_PS8_PKS8_NS0_5tupleIJPS7_S8_EEENSG_IJSD_SD_EEENS0_18inequality_wrapperIN6hipcub16HIPCUB_304000_NS8EqualityEEEPlJS8_EEE10hipError_tPvRmT3_T4_T5_T6_T7_T9_mT8_P12ihipStream_tbDpT10_ENKUlT_T0_E_clISt17integral_constantIbLb0EES18_IbLb1EEEEDaS14_S15_EUlS14_E_NS1_11comp_targetILNS1_3genE9ELNS1_11target_archE1100ELNS1_3gpuE3ELNS1_3repE0EEENS1_30default_config_static_selectorELNS0_4arch9wavefront6targetE0EEEvT1_
; %bb.0:
	.section	.rodata,"a",@progbits
	.p2align	6, 0x0
	.amdhsa_kernel _ZN7rocprim17ROCPRIM_400000_NS6detail17trampoline_kernelINS0_14default_configENS1_25partition_config_selectorILNS1_17partition_subalgoE8EN3c104HalfENS0_10empty_typeEbEEZZNS1_14partition_implILS5_8ELb0ES3_jPKS7_PS8_PKS8_NS0_5tupleIJPS7_S8_EEENSG_IJSD_SD_EEENS0_18inequality_wrapperIN6hipcub16HIPCUB_304000_NS8EqualityEEEPlJS8_EEE10hipError_tPvRmT3_T4_T5_T6_T7_T9_mT8_P12ihipStream_tbDpT10_ENKUlT_T0_E_clISt17integral_constantIbLb0EES18_IbLb1EEEEDaS14_S15_EUlS14_E_NS1_11comp_targetILNS1_3genE9ELNS1_11target_archE1100ELNS1_3gpuE3ELNS1_3repE0EEENS1_30default_config_static_selectorELNS0_4arch9wavefront6targetE0EEEvT1_
		.amdhsa_group_segment_fixed_size 0
		.amdhsa_private_segment_fixed_size 0
		.amdhsa_kernarg_size 128
		.amdhsa_user_sgpr_count 2
		.amdhsa_user_sgpr_dispatch_ptr 0
		.amdhsa_user_sgpr_queue_ptr 0
		.amdhsa_user_sgpr_kernarg_segment_ptr 1
		.amdhsa_user_sgpr_dispatch_id 0
		.amdhsa_user_sgpr_kernarg_preload_length 0
		.amdhsa_user_sgpr_kernarg_preload_offset 0
		.amdhsa_user_sgpr_private_segment_size 0
		.amdhsa_wavefront_size32 1
		.amdhsa_uses_dynamic_stack 0
		.amdhsa_enable_private_segment 0
		.amdhsa_system_sgpr_workgroup_id_x 1
		.amdhsa_system_sgpr_workgroup_id_y 0
		.amdhsa_system_sgpr_workgroup_id_z 0
		.amdhsa_system_sgpr_workgroup_info 0
		.amdhsa_system_vgpr_workitem_id 0
		.amdhsa_next_free_vgpr 1
		.amdhsa_next_free_sgpr 1
		.amdhsa_named_barrier_count 0
		.amdhsa_reserve_vcc 0
		.amdhsa_float_round_mode_32 0
		.amdhsa_float_round_mode_16_64 0
		.amdhsa_float_denorm_mode_32 3
		.amdhsa_float_denorm_mode_16_64 3
		.amdhsa_fp16_overflow 0
		.amdhsa_memory_ordered 1
		.amdhsa_forward_progress 1
		.amdhsa_inst_pref_size 0
		.amdhsa_round_robin_scheduling 0
		.amdhsa_exception_fp_ieee_invalid_op 0
		.amdhsa_exception_fp_denorm_src 0
		.amdhsa_exception_fp_ieee_div_zero 0
		.amdhsa_exception_fp_ieee_overflow 0
		.amdhsa_exception_fp_ieee_underflow 0
		.amdhsa_exception_fp_ieee_inexact 0
		.amdhsa_exception_int_div_zero 0
	.end_amdhsa_kernel
	.section	.text._ZN7rocprim17ROCPRIM_400000_NS6detail17trampoline_kernelINS0_14default_configENS1_25partition_config_selectorILNS1_17partition_subalgoE8EN3c104HalfENS0_10empty_typeEbEEZZNS1_14partition_implILS5_8ELb0ES3_jPKS7_PS8_PKS8_NS0_5tupleIJPS7_S8_EEENSG_IJSD_SD_EEENS0_18inequality_wrapperIN6hipcub16HIPCUB_304000_NS8EqualityEEEPlJS8_EEE10hipError_tPvRmT3_T4_T5_T6_T7_T9_mT8_P12ihipStream_tbDpT10_ENKUlT_T0_E_clISt17integral_constantIbLb0EES18_IbLb1EEEEDaS14_S15_EUlS14_E_NS1_11comp_targetILNS1_3genE9ELNS1_11target_archE1100ELNS1_3gpuE3ELNS1_3repE0EEENS1_30default_config_static_selectorELNS0_4arch9wavefront6targetE0EEEvT1_,"axG",@progbits,_ZN7rocprim17ROCPRIM_400000_NS6detail17trampoline_kernelINS0_14default_configENS1_25partition_config_selectorILNS1_17partition_subalgoE8EN3c104HalfENS0_10empty_typeEbEEZZNS1_14partition_implILS5_8ELb0ES3_jPKS7_PS8_PKS8_NS0_5tupleIJPS7_S8_EEENSG_IJSD_SD_EEENS0_18inequality_wrapperIN6hipcub16HIPCUB_304000_NS8EqualityEEEPlJS8_EEE10hipError_tPvRmT3_T4_T5_T6_T7_T9_mT8_P12ihipStream_tbDpT10_ENKUlT_T0_E_clISt17integral_constantIbLb0EES18_IbLb1EEEEDaS14_S15_EUlS14_E_NS1_11comp_targetILNS1_3genE9ELNS1_11target_archE1100ELNS1_3gpuE3ELNS1_3repE0EEENS1_30default_config_static_selectorELNS0_4arch9wavefront6targetE0EEEvT1_,comdat
.Lfunc_end923:
	.size	_ZN7rocprim17ROCPRIM_400000_NS6detail17trampoline_kernelINS0_14default_configENS1_25partition_config_selectorILNS1_17partition_subalgoE8EN3c104HalfENS0_10empty_typeEbEEZZNS1_14partition_implILS5_8ELb0ES3_jPKS7_PS8_PKS8_NS0_5tupleIJPS7_S8_EEENSG_IJSD_SD_EEENS0_18inequality_wrapperIN6hipcub16HIPCUB_304000_NS8EqualityEEEPlJS8_EEE10hipError_tPvRmT3_T4_T5_T6_T7_T9_mT8_P12ihipStream_tbDpT10_ENKUlT_T0_E_clISt17integral_constantIbLb0EES18_IbLb1EEEEDaS14_S15_EUlS14_E_NS1_11comp_targetILNS1_3genE9ELNS1_11target_archE1100ELNS1_3gpuE3ELNS1_3repE0EEENS1_30default_config_static_selectorELNS0_4arch9wavefront6targetE0EEEvT1_, .Lfunc_end923-_ZN7rocprim17ROCPRIM_400000_NS6detail17trampoline_kernelINS0_14default_configENS1_25partition_config_selectorILNS1_17partition_subalgoE8EN3c104HalfENS0_10empty_typeEbEEZZNS1_14partition_implILS5_8ELb0ES3_jPKS7_PS8_PKS8_NS0_5tupleIJPS7_S8_EEENSG_IJSD_SD_EEENS0_18inequality_wrapperIN6hipcub16HIPCUB_304000_NS8EqualityEEEPlJS8_EEE10hipError_tPvRmT3_T4_T5_T6_T7_T9_mT8_P12ihipStream_tbDpT10_ENKUlT_T0_E_clISt17integral_constantIbLb0EES18_IbLb1EEEEDaS14_S15_EUlS14_E_NS1_11comp_targetILNS1_3genE9ELNS1_11target_archE1100ELNS1_3gpuE3ELNS1_3repE0EEENS1_30default_config_static_selectorELNS0_4arch9wavefront6targetE0EEEvT1_
                                        ; -- End function
	.set _ZN7rocprim17ROCPRIM_400000_NS6detail17trampoline_kernelINS0_14default_configENS1_25partition_config_selectorILNS1_17partition_subalgoE8EN3c104HalfENS0_10empty_typeEbEEZZNS1_14partition_implILS5_8ELb0ES3_jPKS7_PS8_PKS8_NS0_5tupleIJPS7_S8_EEENSG_IJSD_SD_EEENS0_18inequality_wrapperIN6hipcub16HIPCUB_304000_NS8EqualityEEEPlJS8_EEE10hipError_tPvRmT3_T4_T5_T6_T7_T9_mT8_P12ihipStream_tbDpT10_ENKUlT_T0_E_clISt17integral_constantIbLb0EES18_IbLb1EEEEDaS14_S15_EUlS14_E_NS1_11comp_targetILNS1_3genE9ELNS1_11target_archE1100ELNS1_3gpuE3ELNS1_3repE0EEENS1_30default_config_static_selectorELNS0_4arch9wavefront6targetE0EEEvT1_.num_vgpr, 0
	.set _ZN7rocprim17ROCPRIM_400000_NS6detail17trampoline_kernelINS0_14default_configENS1_25partition_config_selectorILNS1_17partition_subalgoE8EN3c104HalfENS0_10empty_typeEbEEZZNS1_14partition_implILS5_8ELb0ES3_jPKS7_PS8_PKS8_NS0_5tupleIJPS7_S8_EEENSG_IJSD_SD_EEENS0_18inequality_wrapperIN6hipcub16HIPCUB_304000_NS8EqualityEEEPlJS8_EEE10hipError_tPvRmT3_T4_T5_T6_T7_T9_mT8_P12ihipStream_tbDpT10_ENKUlT_T0_E_clISt17integral_constantIbLb0EES18_IbLb1EEEEDaS14_S15_EUlS14_E_NS1_11comp_targetILNS1_3genE9ELNS1_11target_archE1100ELNS1_3gpuE3ELNS1_3repE0EEENS1_30default_config_static_selectorELNS0_4arch9wavefront6targetE0EEEvT1_.num_agpr, 0
	.set _ZN7rocprim17ROCPRIM_400000_NS6detail17trampoline_kernelINS0_14default_configENS1_25partition_config_selectorILNS1_17partition_subalgoE8EN3c104HalfENS0_10empty_typeEbEEZZNS1_14partition_implILS5_8ELb0ES3_jPKS7_PS8_PKS8_NS0_5tupleIJPS7_S8_EEENSG_IJSD_SD_EEENS0_18inequality_wrapperIN6hipcub16HIPCUB_304000_NS8EqualityEEEPlJS8_EEE10hipError_tPvRmT3_T4_T5_T6_T7_T9_mT8_P12ihipStream_tbDpT10_ENKUlT_T0_E_clISt17integral_constantIbLb0EES18_IbLb1EEEEDaS14_S15_EUlS14_E_NS1_11comp_targetILNS1_3genE9ELNS1_11target_archE1100ELNS1_3gpuE3ELNS1_3repE0EEENS1_30default_config_static_selectorELNS0_4arch9wavefront6targetE0EEEvT1_.numbered_sgpr, 0
	.set _ZN7rocprim17ROCPRIM_400000_NS6detail17trampoline_kernelINS0_14default_configENS1_25partition_config_selectorILNS1_17partition_subalgoE8EN3c104HalfENS0_10empty_typeEbEEZZNS1_14partition_implILS5_8ELb0ES3_jPKS7_PS8_PKS8_NS0_5tupleIJPS7_S8_EEENSG_IJSD_SD_EEENS0_18inequality_wrapperIN6hipcub16HIPCUB_304000_NS8EqualityEEEPlJS8_EEE10hipError_tPvRmT3_T4_T5_T6_T7_T9_mT8_P12ihipStream_tbDpT10_ENKUlT_T0_E_clISt17integral_constantIbLb0EES18_IbLb1EEEEDaS14_S15_EUlS14_E_NS1_11comp_targetILNS1_3genE9ELNS1_11target_archE1100ELNS1_3gpuE3ELNS1_3repE0EEENS1_30default_config_static_selectorELNS0_4arch9wavefront6targetE0EEEvT1_.num_named_barrier, 0
	.set _ZN7rocprim17ROCPRIM_400000_NS6detail17trampoline_kernelINS0_14default_configENS1_25partition_config_selectorILNS1_17partition_subalgoE8EN3c104HalfENS0_10empty_typeEbEEZZNS1_14partition_implILS5_8ELb0ES3_jPKS7_PS8_PKS8_NS0_5tupleIJPS7_S8_EEENSG_IJSD_SD_EEENS0_18inequality_wrapperIN6hipcub16HIPCUB_304000_NS8EqualityEEEPlJS8_EEE10hipError_tPvRmT3_T4_T5_T6_T7_T9_mT8_P12ihipStream_tbDpT10_ENKUlT_T0_E_clISt17integral_constantIbLb0EES18_IbLb1EEEEDaS14_S15_EUlS14_E_NS1_11comp_targetILNS1_3genE9ELNS1_11target_archE1100ELNS1_3gpuE3ELNS1_3repE0EEENS1_30default_config_static_selectorELNS0_4arch9wavefront6targetE0EEEvT1_.private_seg_size, 0
	.set _ZN7rocprim17ROCPRIM_400000_NS6detail17trampoline_kernelINS0_14default_configENS1_25partition_config_selectorILNS1_17partition_subalgoE8EN3c104HalfENS0_10empty_typeEbEEZZNS1_14partition_implILS5_8ELb0ES3_jPKS7_PS8_PKS8_NS0_5tupleIJPS7_S8_EEENSG_IJSD_SD_EEENS0_18inequality_wrapperIN6hipcub16HIPCUB_304000_NS8EqualityEEEPlJS8_EEE10hipError_tPvRmT3_T4_T5_T6_T7_T9_mT8_P12ihipStream_tbDpT10_ENKUlT_T0_E_clISt17integral_constantIbLb0EES18_IbLb1EEEEDaS14_S15_EUlS14_E_NS1_11comp_targetILNS1_3genE9ELNS1_11target_archE1100ELNS1_3gpuE3ELNS1_3repE0EEENS1_30default_config_static_selectorELNS0_4arch9wavefront6targetE0EEEvT1_.uses_vcc, 0
	.set _ZN7rocprim17ROCPRIM_400000_NS6detail17trampoline_kernelINS0_14default_configENS1_25partition_config_selectorILNS1_17partition_subalgoE8EN3c104HalfENS0_10empty_typeEbEEZZNS1_14partition_implILS5_8ELb0ES3_jPKS7_PS8_PKS8_NS0_5tupleIJPS7_S8_EEENSG_IJSD_SD_EEENS0_18inequality_wrapperIN6hipcub16HIPCUB_304000_NS8EqualityEEEPlJS8_EEE10hipError_tPvRmT3_T4_T5_T6_T7_T9_mT8_P12ihipStream_tbDpT10_ENKUlT_T0_E_clISt17integral_constantIbLb0EES18_IbLb1EEEEDaS14_S15_EUlS14_E_NS1_11comp_targetILNS1_3genE9ELNS1_11target_archE1100ELNS1_3gpuE3ELNS1_3repE0EEENS1_30default_config_static_selectorELNS0_4arch9wavefront6targetE0EEEvT1_.uses_flat_scratch, 0
	.set _ZN7rocprim17ROCPRIM_400000_NS6detail17trampoline_kernelINS0_14default_configENS1_25partition_config_selectorILNS1_17partition_subalgoE8EN3c104HalfENS0_10empty_typeEbEEZZNS1_14partition_implILS5_8ELb0ES3_jPKS7_PS8_PKS8_NS0_5tupleIJPS7_S8_EEENSG_IJSD_SD_EEENS0_18inequality_wrapperIN6hipcub16HIPCUB_304000_NS8EqualityEEEPlJS8_EEE10hipError_tPvRmT3_T4_T5_T6_T7_T9_mT8_P12ihipStream_tbDpT10_ENKUlT_T0_E_clISt17integral_constantIbLb0EES18_IbLb1EEEEDaS14_S15_EUlS14_E_NS1_11comp_targetILNS1_3genE9ELNS1_11target_archE1100ELNS1_3gpuE3ELNS1_3repE0EEENS1_30default_config_static_selectorELNS0_4arch9wavefront6targetE0EEEvT1_.has_dyn_sized_stack, 0
	.set _ZN7rocprim17ROCPRIM_400000_NS6detail17trampoline_kernelINS0_14default_configENS1_25partition_config_selectorILNS1_17partition_subalgoE8EN3c104HalfENS0_10empty_typeEbEEZZNS1_14partition_implILS5_8ELb0ES3_jPKS7_PS8_PKS8_NS0_5tupleIJPS7_S8_EEENSG_IJSD_SD_EEENS0_18inequality_wrapperIN6hipcub16HIPCUB_304000_NS8EqualityEEEPlJS8_EEE10hipError_tPvRmT3_T4_T5_T6_T7_T9_mT8_P12ihipStream_tbDpT10_ENKUlT_T0_E_clISt17integral_constantIbLb0EES18_IbLb1EEEEDaS14_S15_EUlS14_E_NS1_11comp_targetILNS1_3genE9ELNS1_11target_archE1100ELNS1_3gpuE3ELNS1_3repE0EEENS1_30default_config_static_selectorELNS0_4arch9wavefront6targetE0EEEvT1_.has_recursion, 0
	.set _ZN7rocprim17ROCPRIM_400000_NS6detail17trampoline_kernelINS0_14default_configENS1_25partition_config_selectorILNS1_17partition_subalgoE8EN3c104HalfENS0_10empty_typeEbEEZZNS1_14partition_implILS5_8ELb0ES3_jPKS7_PS8_PKS8_NS0_5tupleIJPS7_S8_EEENSG_IJSD_SD_EEENS0_18inequality_wrapperIN6hipcub16HIPCUB_304000_NS8EqualityEEEPlJS8_EEE10hipError_tPvRmT3_T4_T5_T6_T7_T9_mT8_P12ihipStream_tbDpT10_ENKUlT_T0_E_clISt17integral_constantIbLb0EES18_IbLb1EEEEDaS14_S15_EUlS14_E_NS1_11comp_targetILNS1_3genE9ELNS1_11target_archE1100ELNS1_3gpuE3ELNS1_3repE0EEENS1_30default_config_static_selectorELNS0_4arch9wavefront6targetE0EEEvT1_.has_indirect_call, 0
	.section	.AMDGPU.csdata,"",@progbits
; Kernel info:
; codeLenInByte = 0
; TotalNumSgprs: 0
; NumVgprs: 0
; ScratchSize: 0
; MemoryBound: 0
; FloatMode: 240
; IeeeMode: 1
; LDSByteSize: 0 bytes/workgroup (compile time only)
; SGPRBlocks: 0
; VGPRBlocks: 0
; NumSGPRsForWavesPerEU: 1
; NumVGPRsForWavesPerEU: 1
; NamedBarCnt: 0
; Occupancy: 16
; WaveLimiterHint : 0
; COMPUTE_PGM_RSRC2:SCRATCH_EN: 0
; COMPUTE_PGM_RSRC2:USER_SGPR: 2
; COMPUTE_PGM_RSRC2:TRAP_HANDLER: 0
; COMPUTE_PGM_RSRC2:TGID_X_EN: 1
; COMPUTE_PGM_RSRC2:TGID_Y_EN: 0
; COMPUTE_PGM_RSRC2:TGID_Z_EN: 0
; COMPUTE_PGM_RSRC2:TIDIG_COMP_CNT: 0
	.section	.text._ZN7rocprim17ROCPRIM_400000_NS6detail17trampoline_kernelINS0_14default_configENS1_25partition_config_selectorILNS1_17partition_subalgoE8EN3c104HalfENS0_10empty_typeEbEEZZNS1_14partition_implILS5_8ELb0ES3_jPKS7_PS8_PKS8_NS0_5tupleIJPS7_S8_EEENSG_IJSD_SD_EEENS0_18inequality_wrapperIN6hipcub16HIPCUB_304000_NS8EqualityEEEPlJS8_EEE10hipError_tPvRmT3_T4_T5_T6_T7_T9_mT8_P12ihipStream_tbDpT10_ENKUlT_T0_E_clISt17integral_constantIbLb0EES18_IbLb1EEEEDaS14_S15_EUlS14_E_NS1_11comp_targetILNS1_3genE8ELNS1_11target_archE1030ELNS1_3gpuE2ELNS1_3repE0EEENS1_30default_config_static_selectorELNS0_4arch9wavefront6targetE0EEEvT1_,"axG",@progbits,_ZN7rocprim17ROCPRIM_400000_NS6detail17trampoline_kernelINS0_14default_configENS1_25partition_config_selectorILNS1_17partition_subalgoE8EN3c104HalfENS0_10empty_typeEbEEZZNS1_14partition_implILS5_8ELb0ES3_jPKS7_PS8_PKS8_NS0_5tupleIJPS7_S8_EEENSG_IJSD_SD_EEENS0_18inequality_wrapperIN6hipcub16HIPCUB_304000_NS8EqualityEEEPlJS8_EEE10hipError_tPvRmT3_T4_T5_T6_T7_T9_mT8_P12ihipStream_tbDpT10_ENKUlT_T0_E_clISt17integral_constantIbLb0EES18_IbLb1EEEEDaS14_S15_EUlS14_E_NS1_11comp_targetILNS1_3genE8ELNS1_11target_archE1030ELNS1_3gpuE2ELNS1_3repE0EEENS1_30default_config_static_selectorELNS0_4arch9wavefront6targetE0EEEvT1_,comdat
	.protected	_ZN7rocprim17ROCPRIM_400000_NS6detail17trampoline_kernelINS0_14default_configENS1_25partition_config_selectorILNS1_17partition_subalgoE8EN3c104HalfENS0_10empty_typeEbEEZZNS1_14partition_implILS5_8ELb0ES3_jPKS7_PS8_PKS8_NS0_5tupleIJPS7_S8_EEENSG_IJSD_SD_EEENS0_18inequality_wrapperIN6hipcub16HIPCUB_304000_NS8EqualityEEEPlJS8_EEE10hipError_tPvRmT3_T4_T5_T6_T7_T9_mT8_P12ihipStream_tbDpT10_ENKUlT_T0_E_clISt17integral_constantIbLb0EES18_IbLb1EEEEDaS14_S15_EUlS14_E_NS1_11comp_targetILNS1_3genE8ELNS1_11target_archE1030ELNS1_3gpuE2ELNS1_3repE0EEENS1_30default_config_static_selectorELNS0_4arch9wavefront6targetE0EEEvT1_ ; -- Begin function _ZN7rocprim17ROCPRIM_400000_NS6detail17trampoline_kernelINS0_14default_configENS1_25partition_config_selectorILNS1_17partition_subalgoE8EN3c104HalfENS0_10empty_typeEbEEZZNS1_14partition_implILS5_8ELb0ES3_jPKS7_PS8_PKS8_NS0_5tupleIJPS7_S8_EEENSG_IJSD_SD_EEENS0_18inequality_wrapperIN6hipcub16HIPCUB_304000_NS8EqualityEEEPlJS8_EEE10hipError_tPvRmT3_T4_T5_T6_T7_T9_mT8_P12ihipStream_tbDpT10_ENKUlT_T0_E_clISt17integral_constantIbLb0EES18_IbLb1EEEEDaS14_S15_EUlS14_E_NS1_11comp_targetILNS1_3genE8ELNS1_11target_archE1030ELNS1_3gpuE2ELNS1_3repE0EEENS1_30default_config_static_selectorELNS0_4arch9wavefront6targetE0EEEvT1_
	.globl	_ZN7rocprim17ROCPRIM_400000_NS6detail17trampoline_kernelINS0_14default_configENS1_25partition_config_selectorILNS1_17partition_subalgoE8EN3c104HalfENS0_10empty_typeEbEEZZNS1_14partition_implILS5_8ELb0ES3_jPKS7_PS8_PKS8_NS0_5tupleIJPS7_S8_EEENSG_IJSD_SD_EEENS0_18inequality_wrapperIN6hipcub16HIPCUB_304000_NS8EqualityEEEPlJS8_EEE10hipError_tPvRmT3_T4_T5_T6_T7_T9_mT8_P12ihipStream_tbDpT10_ENKUlT_T0_E_clISt17integral_constantIbLb0EES18_IbLb1EEEEDaS14_S15_EUlS14_E_NS1_11comp_targetILNS1_3genE8ELNS1_11target_archE1030ELNS1_3gpuE2ELNS1_3repE0EEENS1_30default_config_static_selectorELNS0_4arch9wavefront6targetE0EEEvT1_
	.p2align	8
	.type	_ZN7rocprim17ROCPRIM_400000_NS6detail17trampoline_kernelINS0_14default_configENS1_25partition_config_selectorILNS1_17partition_subalgoE8EN3c104HalfENS0_10empty_typeEbEEZZNS1_14partition_implILS5_8ELb0ES3_jPKS7_PS8_PKS8_NS0_5tupleIJPS7_S8_EEENSG_IJSD_SD_EEENS0_18inequality_wrapperIN6hipcub16HIPCUB_304000_NS8EqualityEEEPlJS8_EEE10hipError_tPvRmT3_T4_T5_T6_T7_T9_mT8_P12ihipStream_tbDpT10_ENKUlT_T0_E_clISt17integral_constantIbLb0EES18_IbLb1EEEEDaS14_S15_EUlS14_E_NS1_11comp_targetILNS1_3genE8ELNS1_11target_archE1030ELNS1_3gpuE2ELNS1_3repE0EEENS1_30default_config_static_selectorELNS0_4arch9wavefront6targetE0EEEvT1_,@function
_ZN7rocprim17ROCPRIM_400000_NS6detail17trampoline_kernelINS0_14default_configENS1_25partition_config_selectorILNS1_17partition_subalgoE8EN3c104HalfENS0_10empty_typeEbEEZZNS1_14partition_implILS5_8ELb0ES3_jPKS7_PS8_PKS8_NS0_5tupleIJPS7_S8_EEENSG_IJSD_SD_EEENS0_18inequality_wrapperIN6hipcub16HIPCUB_304000_NS8EqualityEEEPlJS8_EEE10hipError_tPvRmT3_T4_T5_T6_T7_T9_mT8_P12ihipStream_tbDpT10_ENKUlT_T0_E_clISt17integral_constantIbLb0EES18_IbLb1EEEEDaS14_S15_EUlS14_E_NS1_11comp_targetILNS1_3genE8ELNS1_11target_archE1030ELNS1_3gpuE2ELNS1_3repE0EEENS1_30default_config_static_selectorELNS0_4arch9wavefront6targetE0EEEvT1_: ; @_ZN7rocprim17ROCPRIM_400000_NS6detail17trampoline_kernelINS0_14default_configENS1_25partition_config_selectorILNS1_17partition_subalgoE8EN3c104HalfENS0_10empty_typeEbEEZZNS1_14partition_implILS5_8ELb0ES3_jPKS7_PS8_PKS8_NS0_5tupleIJPS7_S8_EEENSG_IJSD_SD_EEENS0_18inequality_wrapperIN6hipcub16HIPCUB_304000_NS8EqualityEEEPlJS8_EEE10hipError_tPvRmT3_T4_T5_T6_T7_T9_mT8_P12ihipStream_tbDpT10_ENKUlT_T0_E_clISt17integral_constantIbLb0EES18_IbLb1EEEEDaS14_S15_EUlS14_E_NS1_11comp_targetILNS1_3genE8ELNS1_11target_archE1030ELNS1_3gpuE2ELNS1_3repE0EEENS1_30default_config_static_selectorELNS0_4arch9wavefront6targetE0EEEvT1_
; %bb.0:
	.section	.rodata,"a",@progbits
	.p2align	6, 0x0
	.amdhsa_kernel _ZN7rocprim17ROCPRIM_400000_NS6detail17trampoline_kernelINS0_14default_configENS1_25partition_config_selectorILNS1_17partition_subalgoE8EN3c104HalfENS0_10empty_typeEbEEZZNS1_14partition_implILS5_8ELb0ES3_jPKS7_PS8_PKS8_NS0_5tupleIJPS7_S8_EEENSG_IJSD_SD_EEENS0_18inequality_wrapperIN6hipcub16HIPCUB_304000_NS8EqualityEEEPlJS8_EEE10hipError_tPvRmT3_T4_T5_T6_T7_T9_mT8_P12ihipStream_tbDpT10_ENKUlT_T0_E_clISt17integral_constantIbLb0EES18_IbLb1EEEEDaS14_S15_EUlS14_E_NS1_11comp_targetILNS1_3genE8ELNS1_11target_archE1030ELNS1_3gpuE2ELNS1_3repE0EEENS1_30default_config_static_selectorELNS0_4arch9wavefront6targetE0EEEvT1_
		.amdhsa_group_segment_fixed_size 0
		.amdhsa_private_segment_fixed_size 0
		.amdhsa_kernarg_size 128
		.amdhsa_user_sgpr_count 2
		.amdhsa_user_sgpr_dispatch_ptr 0
		.amdhsa_user_sgpr_queue_ptr 0
		.amdhsa_user_sgpr_kernarg_segment_ptr 1
		.amdhsa_user_sgpr_dispatch_id 0
		.amdhsa_user_sgpr_kernarg_preload_length 0
		.amdhsa_user_sgpr_kernarg_preload_offset 0
		.amdhsa_user_sgpr_private_segment_size 0
		.amdhsa_wavefront_size32 1
		.amdhsa_uses_dynamic_stack 0
		.amdhsa_enable_private_segment 0
		.amdhsa_system_sgpr_workgroup_id_x 1
		.amdhsa_system_sgpr_workgroup_id_y 0
		.amdhsa_system_sgpr_workgroup_id_z 0
		.amdhsa_system_sgpr_workgroup_info 0
		.amdhsa_system_vgpr_workitem_id 0
		.amdhsa_next_free_vgpr 1
		.amdhsa_next_free_sgpr 1
		.amdhsa_named_barrier_count 0
		.amdhsa_reserve_vcc 0
		.amdhsa_float_round_mode_32 0
		.amdhsa_float_round_mode_16_64 0
		.amdhsa_float_denorm_mode_32 3
		.amdhsa_float_denorm_mode_16_64 3
		.amdhsa_fp16_overflow 0
		.amdhsa_memory_ordered 1
		.amdhsa_forward_progress 1
		.amdhsa_inst_pref_size 0
		.amdhsa_round_robin_scheduling 0
		.amdhsa_exception_fp_ieee_invalid_op 0
		.amdhsa_exception_fp_denorm_src 0
		.amdhsa_exception_fp_ieee_div_zero 0
		.amdhsa_exception_fp_ieee_overflow 0
		.amdhsa_exception_fp_ieee_underflow 0
		.amdhsa_exception_fp_ieee_inexact 0
		.amdhsa_exception_int_div_zero 0
	.end_amdhsa_kernel
	.section	.text._ZN7rocprim17ROCPRIM_400000_NS6detail17trampoline_kernelINS0_14default_configENS1_25partition_config_selectorILNS1_17partition_subalgoE8EN3c104HalfENS0_10empty_typeEbEEZZNS1_14partition_implILS5_8ELb0ES3_jPKS7_PS8_PKS8_NS0_5tupleIJPS7_S8_EEENSG_IJSD_SD_EEENS0_18inequality_wrapperIN6hipcub16HIPCUB_304000_NS8EqualityEEEPlJS8_EEE10hipError_tPvRmT3_T4_T5_T6_T7_T9_mT8_P12ihipStream_tbDpT10_ENKUlT_T0_E_clISt17integral_constantIbLb0EES18_IbLb1EEEEDaS14_S15_EUlS14_E_NS1_11comp_targetILNS1_3genE8ELNS1_11target_archE1030ELNS1_3gpuE2ELNS1_3repE0EEENS1_30default_config_static_selectorELNS0_4arch9wavefront6targetE0EEEvT1_,"axG",@progbits,_ZN7rocprim17ROCPRIM_400000_NS6detail17trampoline_kernelINS0_14default_configENS1_25partition_config_selectorILNS1_17partition_subalgoE8EN3c104HalfENS0_10empty_typeEbEEZZNS1_14partition_implILS5_8ELb0ES3_jPKS7_PS8_PKS8_NS0_5tupleIJPS7_S8_EEENSG_IJSD_SD_EEENS0_18inequality_wrapperIN6hipcub16HIPCUB_304000_NS8EqualityEEEPlJS8_EEE10hipError_tPvRmT3_T4_T5_T6_T7_T9_mT8_P12ihipStream_tbDpT10_ENKUlT_T0_E_clISt17integral_constantIbLb0EES18_IbLb1EEEEDaS14_S15_EUlS14_E_NS1_11comp_targetILNS1_3genE8ELNS1_11target_archE1030ELNS1_3gpuE2ELNS1_3repE0EEENS1_30default_config_static_selectorELNS0_4arch9wavefront6targetE0EEEvT1_,comdat
.Lfunc_end924:
	.size	_ZN7rocprim17ROCPRIM_400000_NS6detail17trampoline_kernelINS0_14default_configENS1_25partition_config_selectorILNS1_17partition_subalgoE8EN3c104HalfENS0_10empty_typeEbEEZZNS1_14partition_implILS5_8ELb0ES3_jPKS7_PS8_PKS8_NS0_5tupleIJPS7_S8_EEENSG_IJSD_SD_EEENS0_18inequality_wrapperIN6hipcub16HIPCUB_304000_NS8EqualityEEEPlJS8_EEE10hipError_tPvRmT3_T4_T5_T6_T7_T9_mT8_P12ihipStream_tbDpT10_ENKUlT_T0_E_clISt17integral_constantIbLb0EES18_IbLb1EEEEDaS14_S15_EUlS14_E_NS1_11comp_targetILNS1_3genE8ELNS1_11target_archE1030ELNS1_3gpuE2ELNS1_3repE0EEENS1_30default_config_static_selectorELNS0_4arch9wavefront6targetE0EEEvT1_, .Lfunc_end924-_ZN7rocprim17ROCPRIM_400000_NS6detail17trampoline_kernelINS0_14default_configENS1_25partition_config_selectorILNS1_17partition_subalgoE8EN3c104HalfENS0_10empty_typeEbEEZZNS1_14partition_implILS5_8ELb0ES3_jPKS7_PS8_PKS8_NS0_5tupleIJPS7_S8_EEENSG_IJSD_SD_EEENS0_18inequality_wrapperIN6hipcub16HIPCUB_304000_NS8EqualityEEEPlJS8_EEE10hipError_tPvRmT3_T4_T5_T6_T7_T9_mT8_P12ihipStream_tbDpT10_ENKUlT_T0_E_clISt17integral_constantIbLb0EES18_IbLb1EEEEDaS14_S15_EUlS14_E_NS1_11comp_targetILNS1_3genE8ELNS1_11target_archE1030ELNS1_3gpuE2ELNS1_3repE0EEENS1_30default_config_static_selectorELNS0_4arch9wavefront6targetE0EEEvT1_
                                        ; -- End function
	.set _ZN7rocprim17ROCPRIM_400000_NS6detail17trampoline_kernelINS0_14default_configENS1_25partition_config_selectorILNS1_17partition_subalgoE8EN3c104HalfENS0_10empty_typeEbEEZZNS1_14partition_implILS5_8ELb0ES3_jPKS7_PS8_PKS8_NS0_5tupleIJPS7_S8_EEENSG_IJSD_SD_EEENS0_18inequality_wrapperIN6hipcub16HIPCUB_304000_NS8EqualityEEEPlJS8_EEE10hipError_tPvRmT3_T4_T5_T6_T7_T9_mT8_P12ihipStream_tbDpT10_ENKUlT_T0_E_clISt17integral_constantIbLb0EES18_IbLb1EEEEDaS14_S15_EUlS14_E_NS1_11comp_targetILNS1_3genE8ELNS1_11target_archE1030ELNS1_3gpuE2ELNS1_3repE0EEENS1_30default_config_static_selectorELNS0_4arch9wavefront6targetE0EEEvT1_.num_vgpr, 0
	.set _ZN7rocprim17ROCPRIM_400000_NS6detail17trampoline_kernelINS0_14default_configENS1_25partition_config_selectorILNS1_17partition_subalgoE8EN3c104HalfENS0_10empty_typeEbEEZZNS1_14partition_implILS5_8ELb0ES3_jPKS7_PS8_PKS8_NS0_5tupleIJPS7_S8_EEENSG_IJSD_SD_EEENS0_18inequality_wrapperIN6hipcub16HIPCUB_304000_NS8EqualityEEEPlJS8_EEE10hipError_tPvRmT3_T4_T5_T6_T7_T9_mT8_P12ihipStream_tbDpT10_ENKUlT_T0_E_clISt17integral_constantIbLb0EES18_IbLb1EEEEDaS14_S15_EUlS14_E_NS1_11comp_targetILNS1_3genE8ELNS1_11target_archE1030ELNS1_3gpuE2ELNS1_3repE0EEENS1_30default_config_static_selectorELNS0_4arch9wavefront6targetE0EEEvT1_.num_agpr, 0
	.set _ZN7rocprim17ROCPRIM_400000_NS6detail17trampoline_kernelINS0_14default_configENS1_25partition_config_selectorILNS1_17partition_subalgoE8EN3c104HalfENS0_10empty_typeEbEEZZNS1_14partition_implILS5_8ELb0ES3_jPKS7_PS8_PKS8_NS0_5tupleIJPS7_S8_EEENSG_IJSD_SD_EEENS0_18inequality_wrapperIN6hipcub16HIPCUB_304000_NS8EqualityEEEPlJS8_EEE10hipError_tPvRmT3_T4_T5_T6_T7_T9_mT8_P12ihipStream_tbDpT10_ENKUlT_T0_E_clISt17integral_constantIbLb0EES18_IbLb1EEEEDaS14_S15_EUlS14_E_NS1_11comp_targetILNS1_3genE8ELNS1_11target_archE1030ELNS1_3gpuE2ELNS1_3repE0EEENS1_30default_config_static_selectorELNS0_4arch9wavefront6targetE0EEEvT1_.numbered_sgpr, 0
	.set _ZN7rocprim17ROCPRIM_400000_NS6detail17trampoline_kernelINS0_14default_configENS1_25partition_config_selectorILNS1_17partition_subalgoE8EN3c104HalfENS0_10empty_typeEbEEZZNS1_14partition_implILS5_8ELb0ES3_jPKS7_PS8_PKS8_NS0_5tupleIJPS7_S8_EEENSG_IJSD_SD_EEENS0_18inequality_wrapperIN6hipcub16HIPCUB_304000_NS8EqualityEEEPlJS8_EEE10hipError_tPvRmT3_T4_T5_T6_T7_T9_mT8_P12ihipStream_tbDpT10_ENKUlT_T0_E_clISt17integral_constantIbLb0EES18_IbLb1EEEEDaS14_S15_EUlS14_E_NS1_11comp_targetILNS1_3genE8ELNS1_11target_archE1030ELNS1_3gpuE2ELNS1_3repE0EEENS1_30default_config_static_selectorELNS0_4arch9wavefront6targetE0EEEvT1_.num_named_barrier, 0
	.set _ZN7rocprim17ROCPRIM_400000_NS6detail17trampoline_kernelINS0_14default_configENS1_25partition_config_selectorILNS1_17partition_subalgoE8EN3c104HalfENS0_10empty_typeEbEEZZNS1_14partition_implILS5_8ELb0ES3_jPKS7_PS8_PKS8_NS0_5tupleIJPS7_S8_EEENSG_IJSD_SD_EEENS0_18inequality_wrapperIN6hipcub16HIPCUB_304000_NS8EqualityEEEPlJS8_EEE10hipError_tPvRmT3_T4_T5_T6_T7_T9_mT8_P12ihipStream_tbDpT10_ENKUlT_T0_E_clISt17integral_constantIbLb0EES18_IbLb1EEEEDaS14_S15_EUlS14_E_NS1_11comp_targetILNS1_3genE8ELNS1_11target_archE1030ELNS1_3gpuE2ELNS1_3repE0EEENS1_30default_config_static_selectorELNS0_4arch9wavefront6targetE0EEEvT1_.private_seg_size, 0
	.set _ZN7rocprim17ROCPRIM_400000_NS6detail17trampoline_kernelINS0_14default_configENS1_25partition_config_selectorILNS1_17partition_subalgoE8EN3c104HalfENS0_10empty_typeEbEEZZNS1_14partition_implILS5_8ELb0ES3_jPKS7_PS8_PKS8_NS0_5tupleIJPS7_S8_EEENSG_IJSD_SD_EEENS0_18inequality_wrapperIN6hipcub16HIPCUB_304000_NS8EqualityEEEPlJS8_EEE10hipError_tPvRmT3_T4_T5_T6_T7_T9_mT8_P12ihipStream_tbDpT10_ENKUlT_T0_E_clISt17integral_constantIbLb0EES18_IbLb1EEEEDaS14_S15_EUlS14_E_NS1_11comp_targetILNS1_3genE8ELNS1_11target_archE1030ELNS1_3gpuE2ELNS1_3repE0EEENS1_30default_config_static_selectorELNS0_4arch9wavefront6targetE0EEEvT1_.uses_vcc, 0
	.set _ZN7rocprim17ROCPRIM_400000_NS6detail17trampoline_kernelINS0_14default_configENS1_25partition_config_selectorILNS1_17partition_subalgoE8EN3c104HalfENS0_10empty_typeEbEEZZNS1_14partition_implILS5_8ELb0ES3_jPKS7_PS8_PKS8_NS0_5tupleIJPS7_S8_EEENSG_IJSD_SD_EEENS0_18inequality_wrapperIN6hipcub16HIPCUB_304000_NS8EqualityEEEPlJS8_EEE10hipError_tPvRmT3_T4_T5_T6_T7_T9_mT8_P12ihipStream_tbDpT10_ENKUlT_T0_E_clISt17integral_constantIbLb0EES18_IbLb1EEEEDaS14_S15_EUlS14_E_NS1_11comp_targetILNS1_3genE8ELNS1_11target_archE1030ELNS1_3gpuE2ELNS1_3repE0EEENS1_30default_config_static_selectorELNS0_4arch9wavefront6targetE0EEEvT1_.uses_flat_scratch, 0
	.set _ZN7rocprim17ROCPRIM_400000_NS6detail17trampoline_kernelINS0_14default_configENS1_25partition_config_selectorILNS1_17partition_subalgoE8EN3c104HalfENS0_10empty_typeEbEEZZNS1_14partition_implILS5_8ELb0ES3_jPKS7_PS8_PKS8_NS0_5tupleIJPS7_S8_EEENSG_IJSD_SD_EEENS0_18inequality_wrapperIN6hipcub16HIPCUB_304000_NS8EqualityEEEPlJS8_EEE10hipError_tPvRmT3_T4_T5_T6_T7_T9_mT8_P12ihipStream_tbDpT10_ENKUlT_T0_E_clISt17integral_constantIbLb0EES18_IbLb1EEEEDaS14_S15_EUlS14_E_NS1_11comp_targetILNS1_3genE8ELNS1_11target_archE1030ELNS1_3gpuE2ELNS1_3repE0EEENS1_30default_config_static_selectorELNS0_4arch9wavefront6targetE0EEEvT1_.has_dyn_sized_stack, 0
	.set _ZN7rocprim17ROCPRIM_400000_NS6detail17trampoline_kernelINS0_14default_configENS1_25partition_config_selectorILNS1_17partition_subalgoE8EN3c104HalfENS0_10empty_typeEbEEZZNS1_14partition_implILS5_8ELb0ES3_jPKS7_PS8_PKS8_NS0_5tupleIJPS7_S8_EEENSG_IJSD_SD_EEENS0_18inequality_wrapperIN6hipcub16HIPCUB_304000_NS8EqualityEEEPlJS8_EEE10hipError_tPvRmT3_T4_T5_T6_T7_T9_mT8_P12ihipStream_tbDpT10_ENKUlT_T0_E_clISt17integral_constantIbLb0EES18_IbLb1EEEEDaS14_S15_EUlS14_E_NS1_11comp_targetILNS1_3genE8ELNS1_11target_archE1030ELNS1_3gpuE2ELNS1_3repE0EEENS1_30default_config_static_selectorELNS0_4arch9wavefront6targetE0EEEvT1_.has_recursion, 0
	.set _ZN7rocprim17ROCPRIM_400000_NS6detail17trampoline_kernelINS0_14default_configENS1_25partition_config_selectorILNS1_17partition_subalgoE8EN3c104HalfENS0_10empty_typeEbEEZZNS1_14partition_implILS5_8ELb0ES3_jPKS7_PS8_PKS8_NS0_5tupleIJPS7_S8_EEENSG_IJSD_SD_EEENS0_18inequality_wrapperIN6hipcub16HIPCUB_304000_NS8EqualityEEEPlJS8_EEE10hipError_tPvRmT3_T4_T5_T6_T7_T9_mT8_P12ihipStream_tbDpT10_ENKUlT_T0_E_clISt17integral_constantIbLb0EES18_IbLb1EEEEDaS14_S15_EUlS14_E_NS1_11comp_targetILNS1_3genE8ELNS1_11target_archE1030ELNS1_3gpuE2ELNS1_3repE0EEENS1_30default_config_static_selectorELNS0_4arch9wavefront6targetE0EEEvT1_.has_indirect_call, 0
	.section	.AMDGPU.csdata,"",@progbits
; Kernel info:
; codeLenInByte = 0
; TotalNumSgprs: 0
; NumVgprs: 0
; ScratchSize: 0
; MemoryBound: 0
; FloatMode: 240
; IeeeMode: 1
; LDSByteSize: 0 bytes/workgroup (compile time only)
; SGPRBlocks: 0
; VGPRBlocks: 0
; NumSGPRsForWavesPerEU: 1
; NumVGPRsForWavesPerEU: 1
; NamedBarCnt: 0
; Occupancy: 16
; WaveLimiterHint : 0
; COMPUTE_PGM_RSRC2:SCRATCH_EN: 0
; COMPUTE_PGM_RSRC2:USER_SGPR: 2
; COMPUTE_PGM_RSRC2:TRAP_HANDLER: 0
; COMPUTE_PGM_RSRC2:TGID_X_EN: 1
; COMPUTE_PGM_RSRC2:TGID_Y_EN: 0
; COMPUTE_PGM_RSRC2:TGID_Z_EN: 0
; COMPUTE_PGM_RSRC2:TIDIG_COMP_CNT: 0
	.section	.text._ZN7rocprim17ROCPRIM_400000_NS6detail17trampoline_kernelINS0_14default_configENS1_33run_length_encode_config_selectorIN3c104HalfEjNS0_4plusIjEEEEZZNS1_33reduce_by_key_impl_wrapped_configILNS1_25lookback_scan_determinismE0ES3_S9_PKS6_NS0_17constant_iteratorIjlEEPS6_PlSH_S8_NS0_8equal_toIS6_EEEE10hipError_tPvRmT2_T3_mT4_T5_T6_T7_T8_P12ihipStream_tbENKUlT_T0_E_clISt17integral_constantIbLb0EES11_EEDaSW_SX_EUlSW_E_NS1_11comp_targetILNS1_3genE0ELNS1_11target_archE4294967295ELNS1_3gpuE0ELNS1_3repE0EEENS1_30default_config_static_selectorELNS0_4arch9wavefront6targetE0EEEvT1_,"axG",@progbits,_ZN7rocprim17ROCPRIM_400000_NS6detail17trampoline_kernelINS0_14default_configENS1_33run_length_encode_config_selectorIN3c104HalfEjNS0_4plusIjEEEEZZNS1_33reduce_by_key_impl_wrapped_configILNS1_25lookback_scan_determinismE0ES3_S9_PKS6_NS0_17constant_iteratorIjlEEPS6_PlSH_S8_NS0_8equal_toIS6_EEEE10hipError_tPvRmT2_T3_mT4_T5_T6_T7_T8_P12ihipStream_tbENKUlT_T0_E_clISt17integral_constantIbLb0EES11_EEDaSW_SX_EUlSW_E_NS1_11comp_targetILNS1_3genE0ELNS1_11target_archE4294967295ELNS1_3gpuE0ELNS1_3repE0EEENS1_30default_config_static_selectorELNS0_4arch9wavefront6targetE0EEEvT1_,comdat
	.protected	_ZN7rocprim17ROCPRIM_400000_NS6detail17trampoline_kernelINS0_14default_configENS1_33run_length_encode_config_selectorIN3c104HalfEjNS0_4plusIjEEEEZZNS1_33reduce_by_key_impl_wrapped_configILNS1_25lookback_scan_determinismE0ES3_S9_PKS6_NS0_17constant_iteratorIjlEEPS6_PlSH_S8_NS0_8equal_toIS6_EEEE10hipError_tPvRmT2_T3_mT4_T5_T6_T7_T8_P12ihipStream_tbENKUlT_T0_E_clISt17integral_constantIbLb0EES11_EEDaSW_SX_EUlSW_E_NS1_11comp_targetILNS1_3genE0ELNS1_11target_archE4294967295ELNS1_3gpuE0ELNS1_3repE0EEENS1_30default_config_static_selectorELNS0_4arch9wavefront6targetE0EEEvT1_ ; -- Begin function _ZN7rocprim17ROCPRIM_400000_NS6detail17trampoline_kernelINS0_14default_configENS1_33run_length_encode_config_selectorIN3c104HalfEjNS0_4plusIjEEEEZZNS1_33reduce_by_key_impl_wrapped_configILNS1_25lookback_scan_determinismE0ES3_S9_PKS6_NS0_17constant_iteratorIjlEEPS6_PlSH_S8_NS0_8equal_toIS6_EEEE10hipError_tPvRmT2_T3_mT4_T5_T6_T7_T8_P12ihipStream_tbENKUlT_T0_E_clISt17integral_constantIbLb0EES11_EEDaSW_SX_EUlSW_E_NS1_11comp_targetILNS1_3genE0ELNS1_11target_archE4294967295ELNS1_3gpuE0ELNS1_3repE0EEENS1_30default_config_static_selectorELNS0_4arch9wavefront6targetE0EEEvT1_
	.globl	_ZN7rocprim17ROCPRIM_400000_NS6detail17trampoline_kernelINS0_14default_configENS1_33run_length_encode_config_selectorIN3c104HalfEjNS0_4plusIjEEEEZZNS1_33reduce_by_key_impl_wrapped_configILNS1_25lookback_scan_determinismE0ES3_S9_PKS6_NS0_17constant_iteratorIjlEEPS6_PlSH_S8_NS0_8equal_toIS6_EEEE10hipError_tPvRmT2_T3_mT4_T5_T6_T7_T8_P12ihipStream_tbENKUlT_T0_E_clISt17integral_constantIbLb0EES11_EEDaSW_SX_EUlSW_E_NS1_11comp_targetILNS1_3genE0ELNS1_11target_archE4294967295ELNS1_3gpuE0ELNS1_3repE0EEENS1_30default_config_static_selectorELNS0_4arch9wavefront6targetE0EEEvT1_
	.p2align	8
	.type	_ZN7rocprim17ROCPRIM_400000_NS6detail17trampoline_kernelINS0_14default_configENS1_33run_length_encode_config_selectorIN3c104HalfEjNS0_4plusIjEEEEZZNS1_33reduce_by_key_impl_wrapped_configILNS1_25lookback_scan_determinismE0ES3_S9_PKS6_NS0_17constant_iteratorIjlEEPS6_PlSH_S8_NS0_8equal_toIS6_EEEE10hipError_tPvRmT2_T3_mT4_T5_T6_T7_T8_P12ihipStream_tbENKUlT_T0_E_clISt17integral_constantIbLb0EES11_EEDaSW_SX_EUlSW_E_NS1_11comp_targetILNS1_3genE0ELNS1_11target_archE4294967295ELNS1_3gpuE0ELNS1_3repE0EEENS1_30default_config_static_selectorELNS0_4arch9wavefront6targetE0EEEvT1_,@function
_ZN7rocprim17ROCPRIM_400000_NS6detail17trampoline_kernelINS0_14default_configENS1_33run_length_encode_config_selectorIN3c104HalfEjNS0_4plusIjEEEEZZNS1_33reduce_by_key_impl_wrapped_configILNS1_25lookback_scan_determinismE0ES3_S9_PKS6_NS0_17constant_iteratorIjlEEPS6_PlSH_S8_NS0_8equal_toIS6_EEEE10hipError_tPvRmT2_T3_mT4_T5_T6_T7_T8_P12ihipStream_tbENKUlT_T0_E_clISt17integral_constantIbLb0EES11_EEDaSW_SX_EUlSW_E_NS1_11comp_targetILNS1_3genE0ELNS1_11target_archE4294967295ELNS1_3gpuE0ELNS1_3repE0EEENS1_30default_config_static_selectorELNS0_4arch9wavefront6targetE0EEEvT1_: ; @_ZN7rocprim17ROCPRIM_400000_NS6detail17trampoline_kernelINS0_14default_configENS1_33run_length_encode_config_selectorIN3c104HalfEjNS0_4plusIjEEEEZZNS1_33reduce_by_key_impl_wrapped_configILNS1_25lookback_scan_determinismE0ES3_S9_PKS6_NS0_17constant_iteratorIjlEEPS6_PlSH_S8_NS0_8equal_toIS6_EEEE10hipError_tPvRmT2_T3_mT4_T5_T6_T7_T8_P12ihipStream_tbENKUlT_T0_E_clISt17integral_constantIbLb0EES11_EEDaSW_SX_EUlSW_E_NS1_11comp_targetILNS1_3genE0ELNS1_11target_archE4294967295ELNS1_3gpuE0ELNS1_3repE0EEENS1_30default_config_static_selectorELNS0_4arch9wavefront6targetE0EEEvT1_
; %bb.0:
	s_clause 0x4
	s_load_b128 s[4:7], s[0:1], 0x0
	s_load_b256 s[20:27], s[0:1], 0x40
	s_load_b32 s40, s[0:1], 0x10
	s_load_b128 s[28:31], s[0:1], 0x20
	s_load_b64 s[34:35], s[0:1], 0x30
	s_bfe_u32 s8, ttmp6, 0x4000c
	s_clause 0x1
	s_load_b64 s[36:37], s[0:1], 0x70
	s_load_b128 s[16:19], s[0:1], 0x60
	s_add_co_i32 s8, s8, 1
	s_and_b32 s2, ttmp6, 15
	s_wait_xcnt 0x0
	s_mul_i32 s0, ttmp9, s8
	s_getreg_b32 s9, hwreg(HW_REG_IB_STS2, 6, 4)
	s_add_co_i32 s2, s2, s0
	s_mov_b32 s3, 0
	s_delay_alu instid0(SALU_CYCLE_1)
	s_mov_b32 s39, s3
	s_wait_kmcnt 0x0
	s_lshl_b64 s[0:1], s[6:7], 1
	s_cmp_eq_u32 s9, 0
	s_mul_u64 s[6:7], s[24:25], s[22:23]
	s_cselect_b32 s38, ttmp9, s2
	s_add_nc_u64 s[8:9], s[26:27], -1
	s_mul_i32 s2, s38, 0xf00
	s_add_nc_u64 s[14:15], s[6:7], s[38:39]
	s_lshl_b64 s[6:7], s[2:3], 1
	s_cmp_eq_u64 s[14:15], s[8:9]
	s_add_nc_u64 s[0:1], s[4:5], s[0:1]
	s_cselect_b32 s33, -1, 0
	s_cmp_lg_u64 s[14:15], s[8:9]
	s_add_nc_u64 s[24:25], s[0:1], s[6:7]
	s_cselect_b32 s26, -1, 0
	s_and_b32 vcc_lo, exec_lo, s33
	s_mul_i32 s39, s8, 0xfffff100
	s_cbranch_vccnz .LBB925_2
; %bb.1:
	s_clause 0xe
	global_load_u16 v1, v0, s[24:25] scale_offset
	global_load_u16 v2, v0, s[24:25] offset:512 scale_offset
	global_load_u16 v3, v0, s[24:25] offset:1024 scale_offset
	;; [unrolled: 1-line block ×14, first 2 shown]
	v_lshlrev_b32_e32 v16, 1, v0
	s_wait_loadcnt 0xe
	ds_store_b16 v16, v1
	s_wait_loadcnt 0xd
	ds_store_b16 v16, v2 offset:512
	s_wait_loadcnt 0xc
	ds_store_b16 v16, v3 offset:1024
	;; [unrolled: 2-line block ×14, first 2 shown]
	v_mov_b32_e32 v7, s40
	v_mad_u32_u24 v17, v0, 28, v16
	s_wait_dscnt 0x0
	s_barrier_signal -1
	s_barrier_wait -1
	ds_load_u16 v78, v17
	ds_load_b128 v[2:5], v17 offset:2
	ds_load_b96 v[14:16], v17 offset:18
	v_mul_u32_u24_e32 v1, 15, v0
	v_mad_i32_i24 v6, 0xffffffe6, v0, v17
	s_wait_dscnt 0x0
	s_barrier_signal -1
	s_barrier_wait -1
	ds_store_2addr_stride64_b32 v6, v7, v7 offset1:4
	ds_store_2addr_stride64_b32 v6, v7, v7 offset0:8 offset1:12
	ds_store_2addr_stride64_b32 v6, v7, v7 offset0:16 offset1:20
	;; [unrolled: 1-line block ×6, first 2 shown]
	ds_store_b32 v6, v7 offset:14336
	s_wait_dscnt 0x0
	s_barrier_signal -1
	s_barrier_wait -1
	s_and_not1_b32 vcc_lo, exec_lo, s3
	s_add_co_i32 s39, s39, s16
	s_cbranch_vccz .LBB925_3
	s_branch .LBB925_34
.LBB925_2:
                                        ; implicit-def: $vgpr2
                                        ; implicit-def: $vgpr14
                                        ; implicit-def: $vgpr78
                                        ; implicit-def: $vgpr1
	s_add_co_i32 s39, s39, s16
.LBB925_3:
	s_delay_alu instid0(SALU_CYCLE_1)
	v_cmp_gt_u32_e32 vcc_lo, s39, v0
                                        ; implicit-def: $vgpr1
	s_and_saveexec_b32 s0, vcc_lo
	s_cbranch_execz .LBB925_5
; %bb.4:
	global_load_u16 v1, v0, s[24:25] scale_offset
.LBB925_5:
	s_wait_xcnt 0x0
	s_or_b32 exec_lo, exec_lo, s0
	v_or_b32_e32 v2, 0x100, v0
	s_delay_alu instid0(VALU_DEP_1)
	v_cmp_gt_u32_e64 s0, s39, v2
                                        ; implicit-def: $vgpr2
	s_and_saveexec_b32 s1, s0
	s_cbranch_execz .LBB925_7
; %bb.6:
	global_load_u16 v2, v0, s[24:25] offset:512 scale_offset
.LBB925_7:
	s_wait_xcnt 0x0
	s_or_b32 exec_lo, exec_lo, s1
	v_or_b32_e32 v3, 0x200, v0
	s_delay_alu instid0(VALU_DEP_1)
	v_cmp_gt_u32_e64 s1, s39, v3
                                        ; implicit-def: $vgpr3
	s_and_saveexec_b32 s2, s1
	s_cbranch_execz .LBB925_9
; %bb.8:
	global_load_u16 v3, v0, s[24:25] offset:1024 scale_offset
.LBB925_9:
	s_wait_xcnt 0x0
	s_or_b32 exec_lo, exec_lo, s2
	v_or_b32_e32 v4, 0x300, v0
	s_delay_alu instid0(VALU_DEP_1)
	v_cmp_gt_u32_e64 s2, s39, v4
                                        ; implicit-def: $vgpr4
	s_and_saveexec_b32 s3, s2
	s_cbranch_execz .LBB925_11
; %bb.10:
	global_load_u16 v4, v0, s[24:25] offset:1536 scale_offset
.LBB925_11:
	s_wait_xcnt 0x0
	s_or_b32 exec_lo, exec_lo, s3
	v_or_b32_e32 v5, 0x400, v0
	s_delay_alu instid0(VALU_DEP_1)
	v_cmp_gt_u32_e64 s3, s39, v5
                                        ; implicit-def: $vgpr5
	s_and_saveexec_b32 s4, s3
	s_cbranch_execz .LBB925_13
; %bb.12:
	global_load_u16 v5, v0, s[24:25] offset:2048 scale_offset
.LBB925_13:
	s_wait_xcnt 0x0
	s_or_b32 exec_lo, exec_lo, s4
	v_or_b32_e32 v6, 0x500, v0
	s_delay_alu instid0(VALU_DEP_1)
	v_cmp_gt_u32_e64 s4, s39, v6
                                        ; implicit-def: $vgpr6
	s_and_saveexec_b32 s5, s4
	s_cbranch_execz .LBB925_15
; %bb.14:
	global_load_u16 v6, v0, s[24:25] offset:2560 scale_offset
.LBB925_15:
	s_wait_xcnt 0x0
	s_or_b32 exec_lo, exec_lo, s5
	v_or_b32_e32 v7, 0x600, v0
	s_delay_alu instid0(VALU_DEP_1)
	v_cmp_gt_u32_e64 s5, s39, v7
                                        ; implicit-def: $vgpr7
	s_and_saveexec_b32 s6, s5
	s_cbranch_execz .LBB925_17
; %bb.16:
	global_load_u16 v7, v0, s[24:25] offset:3072 scale_offset
.LBB925_17:
	s_wait_xcnt 0x0
	s_or_b32 exec_lo, exec_lo, s6
	v_or_b32_e32 v8, 0x700, v0
	s_delay_alu instid0(VALU_DEP_1)
	v_cmp_gt_u32_e64 s6, s39, v8
                                        ; implicit-def: $vgpr8
	s_and_saveexec_b32 s7, s6
	s_cbranch_execz .LBB925_19
; %bb.18:
	global_load_u16 v8, v0, s[24:25] offset:3584 scale_offset
.LBB925_19:
	s_wait_xcnt 0x0
	s_or_b32 exec_lo, exec_lo, s7
	v_or_b32_e32 v9, 0x800, v0
	s_delay_alu instid0(VALU_DEP_1)
	v_cmp_gt_u32_e64 s7, s39, v9
                                        ; implicit-def: $vgpr9
	s_and_saveexec_b32 s8, s7
	s_cbranch_execz .LBB925_21
; %bb.20:
	global_load_u16 v9, v0, s[24:25] offset:4096 scale_offset
.LBB925_21:
	s_wait_xcnt 0x0
	s_or_b32 exec_lo, exec_lo, s8
	v_or_b32_e32 v10, 0x900, v0
	s_delay_alu instid0(VALU_DEP_1)
	v_cmp_gt_u32_e64 s8, s39, v10
                                        ; implicit-def: $vgpr10
	s_and_saveexec_b32 s9, s8
	s_cbranch_execz .LBB925_23
; %bb.22:
	global_load_u16 v10, v0, s[24:25] offset:4608 scale_offset
.LBB925_23:
	s_wait_xcnt 0x0
	s_or_b32 exec_lo, exec_lo, s9
	v_or_b32_e32 v11, 0xa00, v0
	s_delay_alu instid0(VALU_DEP_1)
	v_cmp_gt_u32_e64 s9, s39, v11
                                        ; implicit-def: $vgpr11
	s_and_saveexec_b32 s10, s9
	s_cbranch_execz .LBB925_25
; %bb.24:
	global_load_u16 v11, v0, s[24:25] offset:5120 scale_offset
.LBB925_25:
	s_wait_xcnt 0x0
	s_or_b32 exec_lo, exec_lo, s10
	v_or_b32_e32 v12, 0xb00, v0
	s_delay_alu instid0(VALU_DEP_1)
	v_cmp_gt_u32_e64 s10, s39, v12
                                        ; implicit-def: $vgpr12
	s_and_saveexec_b32 s11, s10
	s_cbranch_execz .LBB925_27
; %bb.26:
	global_load_u16 v12, v0, s[24:25] offset:5632 scale_offset
.LBB925_27:
	s_wait_xcnt 0x0
	s_or_b32 exec_lo, exec_lo, s11
	v_or_b32_e32 v13, 0xc00, v0
	s_delay_alu instid0(VALU_DEP_1)
	v_cmp_gt_u32_e64 s11, s39, v13
                                        ; implicit-def: $vgpr13
	s_and_saveexec_b32 s12, s11
	s_cbranch_execz .LBB925_29
; %bb.28:
	global_load_u16 v13, v0, s[24:25] offset:6144 scale_offset
.LBB925_29:
	s_wait_xcnt 0x0
	s_or_b32 exec_lo, exec_lo, s12
	v_or_b32_e32 v14, 0xd00, v0
	s_delay_alu instid0(VALU_DEP_1)
	v_cmp_gt_u32_e64 s12, s39, v14
                                        ; implicit-def: $vgpr14
	s_and_saveexec_b32 s13, s12
	s_cbranch_execz .LBB925_31
; %bb.30:
	global_load_u16 v14, v0, s[24:25] offset:6656 scale_offset
.LBB925_31:
	s_wait_xcnt 0x0
	s_or_b32 exec_lo, exec_lo, s13
	v_or_b32_e32 v15, 0xe00, v0
	s_delay_alu instid0(VALU_DEP_1)
	v_cmp_gt_u32_e64 s13, s39, v15
                                        ; implicit-def: $vgpr15
	s_and_saveexec_b32 s27, s13
	s_cbranch_execz .LBB925_33
; %bb.32:
	global_load_u16 v15, v0, s[24:25] offset:7168 scale_offset
.LBB925_33:
	s_wait_xcnt 0x0
	s_or_b32 exec_lo, exec_lo, s27
	v_lshlrev_b32_e32 v16, 1, v0
	v_cndmask_b32_e64 v17, 0, s40, s6
	v_cndmask_b32_e64 v18, 0, s40, s7
	;; [unrolled: 1-line block ×4, first 2 shown]
	s_wait_loadcnt 0x0
	ds_store_b16 v16, v1
	ds_store_b16 v16, v2 offset:512
	ds_store_b16 v16, v3 offset:1024
	;; [unrolled: 1-line block ×14, first 2 shown]
	v_mad_u32_u24 v6, v0, 28, v16
	s_wait_dscnt 0x0
	s_barrier_signal -1
	s_barrier_wait -1
	ds_load_u16 v78, v6
	ds_load_b128 v[2:5], v6 offset:2
	ds_load_b96 v[14:16], v6 offset:18
	v_mul_u32_u24_e32 v1, 15, v0
	v_cndmask_b32_e64 v7, 0, s40, vcc_lo
	v_cndmask_b32_e64 v8, 0, s40, s0
	v_mad_i32_i24 v6, 0xffffffe6, v0, v6
	v_cndmask_b32_e64 v9, 0, s40, s1
	v_cndmask_b32_e64 v10, 0, s40, s2
	;; [unrolled: 1-line block ×5, first 2 shown]
	s_wait_dscnt 0x0
	s_barrier_signal -1
	s_barrier_wait -1
	v_cndmask_b32_e64 v21, 0, s40, s10
	v_cndmask_b32_e64 v22, 0, s40, s11
	v_cndmask_b32_e64 v23, 0, s40, s12
	v_cndmask_b32_e64 v24, 0, s40, s13
	ds_store_2addr_stride64_b32 v6, v7, v8 offset1:4
	ds_store_2addr_stride64_b32 v6, v9, v10 offset0:8 offset1:12
	ds_store_2addr_stride64_b32 v6, v11, v12 offset0:16 offset1:20
	;; [unrolled: 1-line block ×6, first 2 shown]
	ds_store_b32 v6, v24 offset:14336
	s_wait_dscnt 0x0
	s_barrier_signal -1
	s_barrier_wait -1
.LBB925_34:
	v_dual_lshlrev_b32 v1, 2, v1 :: v_dual_lshrrev_b32 v83, 16, v2
	s_cmp_eq_u64 s[14:15], 0
	v_dual_lshrrev_b32 v82, 16, v3 :: v_dual_lshrrev_b32 v81, 16, v4
	ds_load_2addr_b32 v[54:55], v1 offset1:1
	ds_load_2addr_b32 v[52:53], v1 offset0:2 offset1:3
	ds_load_2addr_b32 v[50:51], v1 offset0:4 offset1:5
	;; [unrolled: 1-line block ×6, first 2 shown]
	ds_load_b32 v85, v1 offset:56
	v_dual_lshrrev_b32 v80, 16, v5 :: v_dual_lshrrev_b32 v79, 16, v14
	v_dual_lshrrev_b32 v77, 16, v15 :: v_dual_lshrrev_b32 v1, 16, v16
	s_cselect_b32 s40, -1, 0
	s_cmp_lg_u64 s[14:15], 0
	s_wait_dscnt 0x0
	s_cselect_b32 s27, -1, 0
	s_and_b32 vcc_lo, exec_lo, s26
	s_barrier_signal -1
	s_barrier_wait -1
	s_cbranch_vccz .LBB925_39
; %bb.35:
	s_and_b32 vcc_lo, exec_lo, s27
	s_cbranch_vccz .LBB925_40
; %bb.36:
	v_dual_mov_b32 v6, 0 :: v_dual_lshlrev_b32 v7, 1, v0
	v_cmp_neq_f16_e64 s0, v77, v16
	v_cmp_neq_f16_e64 s1, v15, v77
	;; [unrolled: 1-line block ×3, first 2 shown]
	global_load_u16 v6, v6, s[24:25] offset:-2
	v_cmp_neq_f16_e64 s3, v14, v79
	v_cmp_neq_f16_e64 s4, v80, v14
	;; [unrolled: 1-line block ×10, first 2 shown]
	s_mov_b32 s26, 0
	s_mov_b32 s41, exec_lo
	ds_store_b16 v7, v1
	v_cmp_neq_f16_e32 vcc_lo, v16, v1
	s_wait_loadcnt_dscnt 0x0
	s_barrier_signal -1
	s_barrier_wait -1
	v_cmpx_ne_u32_e32 0, v0
; %bb.37:
	v_add_nc_u32_e32 v6, -2, v7
	ds_load_u16 v6, v6
; %bb.38:
	s_or_b32 exec_lo, exec_lo, s41
	v_cndmask_b32_e64 v68, 0, 1, vcc_lo
	v_cndmask_b32_e64 v69, 0, 1, s0
	v_cndmask_b32_e64 v70, 0, 1, s1
	;; [unrolled: 1-line block ×13, first 2 shown]
	s_wait_dscnt 0x0
	v_cmp_neq_f16_e64 s42, v78, v6
	s_mov_b32 s41, -1
	s_and_b32 vcc_lo, exec_lo, s26
	s_cbranch_vccnz .LBB925_41
	s_branch .LBB925_44
.LBB925_39:
	s_mov_b32 s41, 0
                                        ; implicit-def: $sgpr42
                                        ; implicit-def: $vgpr68
                                        ; implicit-def: $vgpr69
                                        ; implicit-def: $vgpr70
                                        ; implicit-def: $vgpr64
                                        ; implicit-def: $vgpr17
                                        ; implicit-def: $vgpr65
                                        ; implicit-def: $vgpr66
                                        ; implicit-def: $vgpr67
                                        ; implicit-def: $vgpr73
                                        ; implicit-def: $vgpr71
                                        ; implicit-def: $vgpr72
                                        ; implicit-def: $vgpr74
                                        ; implicit-def: $vgpr75
                                        ; implicit-def: $vgpr76
	s_cbranch_execnz .LBB925_45
	s_branch .LBB925_53
.LBB925_40:
	s_mov_b32 s41, 0
                                        ; implicit-def: $sgpr42
                                        ; implicit-def: $vgpr68
                                        ; implicit-def: $vgpr69
                                        ; implicit-def: $vgpr70
                                        ; implicit-def: $vgpr64
                                        ; implicit-def: $vgpr17
                                        ; implicit-def: $vgpr65
                                        ; implicit-def: $vgpr66
                                        ; implicit-def: $vgpr67
                                        ; implicit-def: $vgpr73
                                        ; implicit-def: $vgpr71
                                        ; implicit-def: $vgpr72
                                        ; implicit-def: $vgpr74
                                        ; implicit-def: $vgpr75
                                        ; implicit-def: $vgpr76
	s_cbranch_execz .LBB925_44
.LBB925_41:
	v_lshlrev_b32_e32 v6, 1, v0
	v_cmp_neq_f16_e64 s0, v77, v16
	v_cmp_neq_f16_e64 s1, v15, v77
	;; [unrolled: 1-line block ×13, first 2 shown]
	v_cmp_ne_u32_e64 s13, 0, v0
	v_cmp_neq_f16_e32 vcc_lo, v16, v1
	ds_store_b16 v6, v1
	s_wait_dscnt 0x0
	s_barrier_signal -1
	s_barrier_wait -1
                                        ; implicit-def: $sgpr42
	s_and_saveexec_b32 s26, s13
	s_delay_alu instid0(SALU_CYCLE_1)
	s_xor_b32 s13, exec_lo, s26
	s_cbranch_execz .LBB925_43
; %bb.42:
	v_add_nc_u32_e32 v6, -2, v6
	s_or_b32 s41, s41, exec_lo
	ds_load_u16 v6, v6
	s_wait_dscnt 0x0
	v_cmp_neq_f16_e64 s42, v6, v78
.LBB925_43:
	s_or_b32 exec_lo, exec_lo, s13
	v_cndmask_b32_e64 v68, 0, 1, vcc_lo
	v_cndmask_b32_e64 v69, 0, 1, s0
	v_cndmask_b32_e64 v70, 0, 1, s1
	;; [unrolled: 1-line block ×13, first 2 shown]
.LBB925_44:
	s_branch .LBB925_53
.LBB925_45:
	s_mov_b64 s[0:1], 0xfffffffffffff100
	v_cmp_neq_f16_e64 s13, v16, v1
	s_mul_u64 s[42:43], s[14:15], s[0:1]
	v_cmp_neq_f16_e64 s14, v77, v16
	v_cmp_neq_f16_e64 s11, v15, v77
	;; [unrolled: 1-line block ×13, first 2 shown]
	v_mad_u32_u24 v6, v0, 15, 14
	v_mad_u32_u24 v44, v0, 15, 13
	;; [unrolled: 1-line block ×14, first 2 shown]
	v_cmp_ne_u32_e64 s7, 0, v0
	s_and_b32 vcc_lo, exec_lo, s27
	s_add_nc_u64 s[26:27], s[42:43], s[16:17]
	s_cbranch_vccz .LBB925_49
; %bb.46:
	v_dual_mov_b32 v7, 0 :: v_dual_lshlrev_b32 v17, 1, v0
	v_mul_u32_u24_e32 v46, 15, v0
	global_load_u16 v48, v7, s[24:25] offset:-2
	v_dual_mov_b32 v45, v7 :: v_dual_mov_b32 v43, v7
	v_cmp_gt_u64_e32 vcc_lo, s[26:27], v[6:7]
	v_dual_mov_b32 v41, v7 :: v_dual_mov_b32 v39, v7
	s_delay_alu instid0(VALU_DEP_3) | instskip(SKIP_2) | instid1(VALU_DEP_4)
	v_cmp_gt_u64_e64 s15, s[26:27], v[44:45]
	v_dual_mov_b32 v35, v7 :: v_dual_mov_b32 v33, v7
	v_cmp_gt_u64_e64 s16, s[26:27], v[42:43]
	v_cmp_gt_u64_e64 s17, s[26:27], v[40:41]
	s_wait_xcnt 0x0
	s_and_b32 s24, vcc_lo, s13
	v_cmp_gt_u64_e32 vcc_lo, s[26:27], v[38:39]
	s_and_b32 s15, s15, s14
	v_cmp_gt_u64_e64 s13, s[26:27], v[34:35]
	v_cmp_gt_u64_e64 s14, s[26:27], v[32:33]
	v_dual_mov_b32 v31, v7 :: v_dual_mov_b32 v27, v7
	v_dual_mov_b32 v25, v7 :: v_dual_mov_b32 v19, v7
	;; [unrolled: 1-line block ×3, first 2 shown]
	v_mov_b32_e32 v9, v7
	s_and_b32 s16, s16, s11
	s_and_b32 s17, s17, s12
	s_and_b32 s25, vcc_lo, s8
	s_and_b32 s41, s13, s9
	s_and_b32 s14, s14, s10
	v_cmp_gt_u64_e32 vcc_lo, s[26:27], v[30:31]
	v_cmp_gt_u64_e64 s8, s[26:27], v[26:27]
	v_cmp_gt_u64_e64 s9, s[26:27], v[24:25]
	;; [unrolled: 1-line block ×6, first 2 shown]
	s_and_b32 s42, vcc_lo, s0
	s_and_b32 s8, s8, s1
	s_and_b32 s9, s9, s2
	;; [unrolled: 1-line block ×6, first 2 shown]
	s_mov_b32 s1, 0
	ds_store_b16 v17, v1
	s_wait_loadcnt_dscnt 0x0
	s_barrier_signal -1
	s_barrier_wait -1
	s_and_saveexec_b32 s5, s7
; %bb.47:
	v_add_nc_u32_e32 v9, -2, v17
	ds_load_u16 v48, v9
; %bb.48:
	s_or_b32 exec_lo, exec_lo, s5
	v_mov_b32_e32 v47, v7
	v_cndmask_b32_e64 v72, 0, 1, s0
	s_wait_dscnt 0x0
	v_cmp_neq_f16_e64 s0, v78, v48
	v_cndmask_b32_e64 v68, 0, 1, s24
	v_cndmask_b32_e64 v69, 0, 1, s15
	v_cmp_gt_u64_e32 vcc_lo, s[26:27], v[46:47]
	v_cndmask_b32_e64 v70, 0, 1, s16
	v_cndmask_b32_e64 v64, 0, 1, s17
	;; [unrolled: 1-line block ×11, first 2 shown]
	s_and_b32 s42, vcc_lo, s0
	s_mov_b32 s41, -1
	s_and_b32 vcc_lo, exec_lo, s1
	s_cbranch_vccnz .LBB925_50
	s_branch .LBB925_53
.LBB925_49:
                                        ; implicit-def: $sgpr42
                                        ; implicit-def: $vgpr68
                                        ; implicit-def: $vgpr69
                                        ; implicit-def: $vgpr70
                                        ; implicit-def: $vgpr64
                                        ; implicit-def: $vgpr17
                                        ; implicit-def: $vgpr65
                                        ; implicit-def: $vgpr66
                                        ; implicit-def: $vgpr67
                                        ; implicit-def: $vgpr73
                                        ; implicit-def: $vgpr71
                                        ; implicit-def: $vgpr72
                                        ; implicit-def: $vgpr74
                                        ; implicit-def: $vgpr75
                                        ; implicit-def: $vgpr76
	s_cbranch_execz .LBB925_53
.LBB925_50:
	v_dual_mov_b32 v7, 0 :: v_dual_lshlrev_b32 v17, 1, v0
	v_cmp_neq_f16_e32 vcc_lo, v16, v1
	v_cmp_neq_f16_e64 s0, v77, v16
	v_cmp_neq_f16_e64 s5, v79, v15
	s_delay_alu instid0(VALU_DEP_4) | instskip(SKIP_3) | instid1(VALU_DEP_3)
	v_cmp_gt_u64_e64 s1, s[26:27], v[6:7]
	v_dual_mov_b32 v45, v7 :: v_dual_mov_b32 v43, v7
	v_dual_mov_b32 v41, v7 :: v_dual_mov_b32 v39, v7
	;; [unrolled: 1-line block ×3, first 2 shown]
	v_cmp_gt_u64_e64 s3, s[26:27], v[42:43]
	s_delay_alu instid0(VALU_DEP_4)
	v_cmp_gt_u64_e64 s2, s[26:27], v[44:45]
	s_and_b32 s9, s1, vcc_lo
	v_cmp_neq_f16_e32 vcc_lo, v15, v77
	v_cmp_gt_u64_e64 s1, s[26:27], v[40:41]
	v_cmp_gt_u64_e64 s4, s[26:27], v[38:39]
	v_dual_mov_b32 v31, v7 :: v_dual_mov_b32 v27, v7
	s_and_b32 s11, s3, vcc_lo
	v_cmp_gt_u64_e32 vcc_lo, s[26:27], v[34:35]
	v_cmp_neq_f16_e64 s6, v14, v79
	s_and_b32 s10, s2, s0
	v_cmp_neq_f16_e64 s0, v80, v14
	s_and_b32 s12, s1, s5
	v_cmp_gt_u64_e64 s1, s[26:27], v[32:33]
	v_cmp_gt_u64_e64 s3, s[26:27], v[30:31]
	;; [unrolled: 1-line block ×3, first 2 shown]
	s_and_b32 s13, s4, s6
	v_cmp_neq_f16_e64 s2, v5, v80
	v_cmp_neq_f16_e64 s4, v81, v5
	s_and_b32 s14, vcc_lo, s0
	v_cmp_neq_f16_e32 vcc_lo, v4, v81
	v_dual_mov_b32 v25, v7 :: v_dual_mov_b32 v19, v7
	v_dual_mov_b32 v13, v7 :: v_dual_mov_b32 v11, v7
	v_mov_b32_e32 v9, v7
	s_and_b32 s15, s1, s2
	s_and_b32 s16, s3, s4
	s_and_b32 s17, s5, vcc_lo
	v_cmp_gt_u64_e32 vcc_lo, s[26:27], v[24:25]
	v_cmp_gt_u64_e64 s1, s[26:27], v[18:19]
	v_cmp_gt_u64_e64 s3, s[26:27], v[12:13]
	;; [unrolled: 1-line block ×4, first 2 shown]
	v_cmp_neq_f16_e64 s0, v82, v4
	v_cmp_neq_f16_e64 s2, v3, v82
	;; [unrolled: 1-line block ×5, first 2 shown]
	s_and_b32 s24, vcc_lo, s0
	s_and_b32 s1, s1, s2
	s_and_b32 s2, s3, s4
	;; [unrolled: 1-line block ×4, first 2 shown]
	s_mov_b32 s5, exec_lo
	ds_store_b16 v17, v1
	s_wait_dscnt 0x0
	s_barrier_signal -1
	s_barrier_wait -1
                                        ; implicit-def: $sgpr42
	v_cmpx_ne_u32_e32 0, v0
	s_cbranch_execz .LBB925_52
; %bb.51:
	v_add_nc_u32_e32 v6, -2, v17
	s_or_b32 s41, s41, exec_lo
	ds_load_u16 v8, v6
	v_mul_u32_u24_e32 v6, 15, v0
	s_delay_alu instid0(VALU_DEP_1)
	v_cmp_gt_u64_e32 vcc_lo, s[26:27], v[6:7]
	s_wait_dscnt 0x0
	v_cmp_neq_f16_e64 s0, v8, v78
	s_and_b32 s42, vcc_lo, s0
.LBB925_52:
	s_or_b32 exec_lo, exec_lo, s5
	v_cndmask_b32_e64 v68, 0, 1, s9
	v_cndmask_b32_e64 v69, 0, 1, s10
	;; [unrolled: 1-line block ×14, first 2 shown]
.LBB925_53:
	v_mov_b32_e32 v84, 1
	s_and_saveexec_b32 s0, s41
; %bb.54:
	v_cndmask_b32_e64 v84, 0, 1, s42
; %bb.55:
	s_or_b32 exec_lo, exec_lo, s0
	s_delay_alu instid0(VALU_DEP_1)
	v_add3_u32 v6, v76, v84, v75
	v_cmp_eq_u32_e64 s12, 0, v76
	v_cmp_eq_u32_e64 s11, 0, v75
	;; [unrolled: 1-line block ×4, first 2 shown]
	v_add3_u32 v89, v6, v74, v72
	v_cmp_eq_u32_e64 s8, 0, v71
	v_cmp_eq_u32_e64 s7, 0, v73
	;; [unrolled: 1-line block ×9, first 2 shown]
	v_mbcnt_lo_u32_b32 v86, -1, 0
	v_dual_lshrrev_b32 v87, 5, v0 :: v_dual_bitop2_b32 v88, 31, v0 bitop3:0x54
	s_cmp_eq_u64 s[22:23], 0
	v_cmp_eq_u32_e32 vcc_lo, 0, v68
	s_cselect_b32 s16, -1, 0
	s_cmp_lg_u32 s38, 0
	s_cbranch_scc0 .LBB925_76
; %bb.56:
	v_add3_u32 v7, v89, v71, v73
	v_cndmask_b32_e64 v6, 0, v54, s12
	v_and_b32_e32 v9, 15, v86
	s_delay_alu instid0(VALU_DEP_3) | instskip(NEXT) | instid1(VALU_DEP_3)
	v_add3_u32 v7, v7, v67, v66
	v_add_nc_u32_e32 v6, v6, v55
	s_delay_alu instid0(VALU_DEP_2) | instskip(NEXT) | instid1(VALU_DEP_1)
	v_add3_u32 v7, v7, v65, v17
	v_add3_u32 v7, v7, v64, v70
	s_delay_alu instid0(VALU_DEP_1) | instskip(NEXT) | instid1(VALU_DEP_4)
	v_add3_u32 v7, v7, v69, v68
	v_cndmask_b32_e64 v6, 0, v6, s11
	s_delay_alu instid0(VALU_DEP_2) | instskip(NEXT) | instid1(VALU_DEP_2)
	v_mov_b32_dpp v10, v7 row_shr:1 row_mask:0xf bank_mask:0xf
	v_add_nc_u32_e32 v6, v6, v52
	s_delay_alu instid0(VALU_DEP_1) | instskip(NEXT) | instid1(VALU_DEP_1)
	v_cndmask_b32_e64 v6, 0, v6, s10
	v_add_nc_u32_e32 v6, v6, v53
	s_delay_alu instid0(VALU_DEP_1) | instskip(NEXT) | instid1(VALU_DEP_1)
	v_cndmask_b32_e64 v6, 0, v6, s9
	v_add_nc_u32_e32 v6, v6, v50
	s_delay_alu instid0(VALU_DEP_1) | instskip(NEXT) | instid1(VALU_DEP_1)
	v_cndmask_b32_e64 v6, 0, v6, s8
	v_add_nc_u32_e32 v6, v6, v51
	s_delay_alu instid0(VALU_DEP_1) | instskip(NEXT) | instid1(VALU_DEP_1)
	v_cndmask_b32_e64 v6, 0, v6, s7
	v_add_nc_u32_e32 v6, v6, v36
	s_delay_alu instid0(VALU_DEP_1) | instskip(NEXT) | instid1(VALU_DEP_1)
	v_cndmask_b32_e64 v6, 0, v6, s6
	v_add_nc_u32_e32 v6, v6, v37
	s_delay_alu instid0(VALU_DEP_1) | instskip(NEXT) | instid1(VALU_DEP_1)
	v_cndmask_b32_e64 v6, 0, v6, s5
	v_add_nc_u32_e32 v6, v6, v28
	s_delay_alu instid0(VALU_DEP_1) | instskip(NEXT) | instid1(VALU_DEP_1)
	v_cndmask_b32_e64 v6, 0, v6, s4
	v_add_nc_u32_e32 v6, v6, v29
	s_delay_alu instid0(VALU_DEP_1) | instskip(NEXT) | instid1(VALU_DEP_1)
	v_cndmask_b32_e64 v6, 0, v6, s3
	v_add_nc_u32_e32 v6, v6, v22
	s_delay_alu instid0(VALU_DEP_1) | instskip(NEXT) | instid1(VALU_DEP_1)
	v_cndmask_b32_e64 v6, 0, v6, s2
	v_add_nc_u32_e32 v6, v6, v23
	s_delay_alu instid0(VALU_DEP_1) | instskip(NEXT) | instid1(VALU_DEP_1)
	v_cndmask_b32_e64 v6, 0, v6, s1
	v_add_nc_u32_e32 v6, v6, v20
	s_delay_alu instid0(VALU_DEP_1) | instskip(NEXT) | instid1(VALU_DEP_1)
	v_cndmask_b32_e64 v6, 0, v6, s0
	v_add_nc_u32_e32 v6, v6, v21
	s_delay_alu instid0(VALU_DEP_1) | instskip(SKIP_1) | instid1(VALU_DEP_2)
	v_cndmask_b32_e32 v6, 0, v6, vcc_lo
	v_cmp_eq_u32_e32 vcc_lo, 0, v7
	v_add_nc_u32_e32 v6, v6, v85
	s_delay_alu instid0(VALU_DEP_1) | instskip(NEXT) | instid1(VALU_DEP_1)
	v_mov_b32_dpp v8, v6 row_shr:1 row_mask:0xf bank_mask:0xf
	v_cndmask_b32_e32 v8, 0, v8, vcc_lo
	v_cmp_eq_u32_e32 vcc_lo, 0, v9
	v_cndmask_b32_e64 v10, v10, 0, vcc_lo
	s_delay_alu instid0(VALU_DEP_3) | instskip(SKIP_1) | instid1(VALU_DEP_2)
	v_cndmask_b32_e64 v8, v8, 0, vcc_lo
	v_cmp_lt_u32_e32 vcc_lo, 1, v9
	v_dual_add_nc_u32 v7, v10, v7 :: v_dual_add_nc_u32 v6, v8, v6
	s_delay_alu instid0(VALU_DEP_1) | instskip(SKIP_1) | instid1(VALU_DEP_3)
	v_mov_b32_dpp v8, v7 row_shr:2 row_mask:0xf bank_mask:0xf
	v_cmp_eq_u32_e64 s13, 0, v7
	v_mov_b32_dpp v10, v6 row_shr:2 row_mask:0xf bank_mask:0xf
	s_delay_alu instid0(VALU_DEP_3) | instskip(SKIP_1) | instid1(VALU_DEP_2)
	v_cndmask_b32_e32 v8, 0, v8, vcc_lo
	s_and_b32 vcc_lo, vcc_lo, s13
	v_cndmask_b32_e32 v10, 0, v10, vcc_lo
	v_cmp_lt_u32_e32 vcc_lo, 3, v9
	s_delay_alu instid0(VALU_DEP_2) | instskip(NEXT) | instid1(VALU_DEP_1)
	v_dual_add_nc_u32 v7, v7, v8 :: v_dual_add_nc_u32 v6, v10, v6
	v_mov_b32_dpp v8, v7 row_shr:4 row_mask:0xf bank_mask:0xf
	v_cmp_eq_u32_e64 s13, 0, v7
	s_delay_alu instid0(VALU_DEP_3) | instskip(NEXT) | instid1(VALU_DEP_3)
	v_mov_b32_dpp v10, v6 row_shr:4 row_mask:0xf bank_mask:0xf
	v_cndmask_b32_e32 v8, 0, v8, vcc_lo
	s_and_b32 vcc_lo, vcc_lo, s13
	s_delay_alu instid0(VALU_DEP_2) | instskip(SKIP_1) | instid1(VALU_DEP_2)
	v_cndmask_b32_e32 v10, 0, v10, vcc_lo
	v_cmp_lt_u32_e32 vcc_lo, 7, v9
	v_dual_add_nc_u32 v7, v8, v7 :: v_dual_add_nc_u32 v6, v6, v10
	v_bfe_i32 v10, v86, 4, 1
	s_delay_alu instid0(VALU_DEP_2) | instskip(SKIP_1) | instid1(VALU_DEP_4)
	v_mov_b32_dpp v8, v7 row_shr:8 row_mask:0xf bank_mask:0xf
	v_cmp_eq_u32_e64 s13, 0, v7
	v_mov_b32_dpp v9, v6 row_shr:8 row_mask:0xf bank_mask:0xf
	s_delay_alu instid0(VALU_DEP_3) | instskip(SKIP_2) | instid1(VALU_DEP_2)
	v_cndmask_b32_e32 v8, 0, v8, vcc_lo
	s_and_b32 vcc_lo, vcc_lo, s13
	s_mov_b32 s13, exec_lo
	v_cndmask_b32_e32 v9, 0, v9, vcc_lo
	s_delay_alu instid0(VALU_DEP_1)
	v_dual_add_nc_u32 v9, v9, v6 :: v_dual_add_nc_u32 v6, v8, v7
	ds_swizzle_b32 v7, v9 offset:swizzle(BROADCAST,32,15)
	ds_swizzle_b32 v8, v6 offset:swizzle(BROADCAST,32,15)
	v_cmp_eq_u32_e32 vcc_lo, 0, v6
	s_wait_dscnt 0x0
	v_dual_cndmask_b32 v7, 0, v7, vcc_lo :: v_dual_bitop2_b32 v8, v10, v8 bitop3:0x40
	s_delay_alu instid0(VALU_DEP_1) | instskip(NEXT) | instid1(VALU_DEP_1)
	v_dual_add_nc_u32 v6, v8, v6 :: v_dual_bitop2_b32 v7, v10, v7 bitop3:0x40
	v_dual_lshlrev_b32 v8, 3, v87 :: v_dual_add_nc_u32 v7, v7, v9
	v_cmpx_eq_u32_e64 v0, v88
; %bb.57:
	ds_store_b64 v8, v[6:7] offset:1040
; %bb.58:
	s_or_b32 exec_lo, exec_lo, s13
	s_delay_alu instid0(SALU_CYCLE_1)
	s_mov_b32 s14, exec_lo
	s_wait_dscnt 0x0
	s_barrier_signal -1
	s_barrier_wait -1
	v_cmpx_gt_u32_e32 8, v0
	s_cbranch_execz .LBB925_60
; %bb.59:
	v_dual_lshlrev_b32 v9, 3, v0 :: v_dual_bitop2_b32 v13, 7, v86 bitop3:0x40
	ds_load_b64 v[10:11], v9 offset:1040
	s_wait_dscnt 0x0
	v_mov_b32_dpp v12, v11 row_shr:1 row_mask:0xf bank_mask:0xf
	v_cmp_eq_u32_e32 vcc_lo, 0, v10
	v_mov_b32_dpp v18, v10 row_shr:1 row_mask:0xf bank_mask:0xf
	s_delay_alu instid0(VALU_DEP_3) | instskip(SKIP_1) | instid1(VALU_DEP_3)
	v_cndmask_b32_e32 v12, 0, v12, vcc_lo
	v_cmp_eq_u32_e32 vcc_lo, 0, v13
	v_cndmask_b32_e64 v18, v18, 0, vcc_lo
	s_delay_alu instid0(VALU_DEP_1) | instskip(NEXT) | instid1(VALU_DEP_4)
	v_add_nc_u32_e32 v10, v18, v10
	v_cndmask_b32_e64 v12, v12, 0, vcc_lo
	v_cmp_lt_u32_e32 vcc_lo, 1, v13
	s_delay_alu instid0(VALU_DEP_3) | instskip(NEXT) | instid1(VALU_DEP_3)
	v_cmp_eq_u32_e64 s13, 0, v10
	v_add_nc_u32_e32 v11, v12, v11
	v_mov_b32_dpp v12, v10 row_shr:2 row_mask:0xf bank_mask:0xf
	s_delay_alu instid0(VALU_DEP_1) | instskip(NEXT) | instid1(VALU_DEP_3)
	v_cndmask_b32_e32 v12, 0, v12, vcc_lo
	v_mov_b32_dpp v18, v11 row_shr:2 row_mask:0xf bank_mask:0xf
	s_and_b32 vcc_lo, vcc_lo, s13
	s_delay_alu instid0(VALU_DEP_2) | instskip(NEXT) | instid1(VALU_DEP_1)
	v_add_nc_u32_e32 v10, v12, v10
	v_mov_b32_dpp v12, v10 row_shr:4 row_mask:0xf bank_mask:0xf
	s_delay_alu instid0(VALU_DEP_3) | instskip(SKIP_1) | instid1(VALU_DEP_2)
	v_cndmask_b32_e32 v18, 0, v18, vcc_lo
	v_cmp_lt_u32_e32 vcc_lo, 3, v13
	v_dual_cndmask_b32 v12, 0, v12 :: v_dual_add_nc_u32 v11, v18, v11
	v_cmp_eq_u32_e64 s13, 0, v10
	s_delay_alu instid0(VALU_DEP_2) | instskip(NEXT) | instid1(VALU_DEP_3)
	v_add_nc_u32_e32 v10, v12, v10
	v_mov_b32_dpp v13, v11 row_shr:4 row_mask:0xf bank_mask:0xf
	s_and_b32 vcc_lo, vcc_lo, s13
	s_delay_alu instid0(VALU_DEP_1) | instskip(NEXT) | instid1(VALU_DEP_1)
	v_cndmask_b32_e32 v13, 0, v13, vcc_lo
	v_add_nc_u32_e32 v11, v13, v11
	ds_store_b64 v9, v[10:11] offset:1040
.LBB925_60:
	s_or_b32 exec_lo, exec_lo, s14
	v_dual_mov_b32 v18, 0 :: v_dual_mov_b32 v19, 0
	s_mov_b32 s14, exec_lo
	v_cmp_gt_u32_e32 vcc_lo, 32, v0
	s_wait_dscnt 0x0
	s_barrier_signal -1
	s_barrier_wait -1
	v_cmpx_lt_u32_e32 31, v0
	s_cbranch_execz .LBB925_62
; %bb.61:
	ds_load_b64 v[18:19], v8 offset:1032
	v_cmp_eq_u32_e64 s13, 0, v6
	s_wait_dscnt 0x0
	s_delay_alu instid0(VALU_DEP_1) | instskip(NEXT) | instid1(VALU_DEP_1)
	v_dual_cndmask_b32 v8, 0, v19, s13 :: v_dual_add_nc_u32 v6, v18, v6
	v_add_nc_u32_e32 v7, v8, v7
.LBB925_62:
	s_or_b32 exec_lo, exec_lo, s14
	v_sub_co_u32 v8, s13, v86, 1
	s_delay_alu instid0(VALU_DEP_1) | instskip(NEXT) | instid1(VALU_DEP_1)
	v_cmp_gt_i32_e64 s14, 0, v8
	v_cndmask_b32_e64 v8, v8, v86, s14
	s_delay_alu instid0(VALU_DEP_1)
	v_lshlrev_b32_e32 v8, 2, v8
	ds_bpermute_b32 v30, v8, v6
	ds_bpermute_b32 v31, v8, v7
	s_and_saveexec_b32 s17, vcc_lo
	s_cbranch_execz .LBB925_81
; %bb.63:
	v_mov_b32_e32 v9, 0
	ds_load_b64 v[6:7], v9 offset:1096
	s_and_saveexec_b32 s14, s13
	s_cbranch_execz .LBB925_65
; %bb.64:
	s_add_co_i32 s22, s38, 32
	s_mov_b32 s23, 0
	v_mov_b32_e32 v8, 1
	s_lshl_b64 s[22:23], s[22:23], 4
	s_delay_alu instid0(SALU_CYCLE_1) | instskip(NEXT) | instid1(SALU_CYCLE_1)
	s_add_nc_u64 s[22:23], s[20:21], s[22:23]
	v_mov_b64_e32 v[10:11], s[22:23]
	s_wait_dscnt 0x0
	;;#ASMSTART
	global_store_b128 v[10:11], v[6:9] off scope:SCOPE_DEV	
s_wait_storecnt 0x0
	;;#ASMEND
.LBB925_65:
	s_or_b32 exec_lo, exec_lo, s14
	v_xad_u32 v24, v86, -1, s38
	s_mov_b32 s15, 0
	s_mov_b32 s14, exec_lo
	s_delay_alu instid0(VALU_DEP_1) | instskip(NEXT) | instid1(VALU_DEP_1)
	v_add_nc_u32_e32 v8, 32, v24
	v_lshl_add_u64 v[8:9], v[8:9], 4, s[20:21]
	;;#ASMSTART
	global_load_b128 v[10:13], v[8:9] off scope:SCOPE_DEV	
s_wait_loadcnt 0x0
	;;#ASMEND
	v_and_b32_e32 v13, 0xff, v12
	s_delay_alu instid0(VALU_DEP_1)
	v_cmpx_eq_u16_e32 0, v13
	s_cbranch_execz .LBB925_68
.LBB925_66:                             ; =>This Inner Loop Header: Depth=1
	;;#ASMSTART
	global_load_b128 v[10:13], v[8:9] off scope:SCOPE_DEV	
s_wait_loadcnt 0x0
	;;#ASMEND
	v_and_b32_e32 v13, 0xff, v12
	s_delay_alu instid0(VALU_DEP_1) | instskip(SKIP_1) | instid1(SALU_CYCLE_1)
	v_cmp_ne_u16_e32 vcc_lo, 0, v13
	s_or_b32 s15, vcc_lo, s15
	s_and_not1_b32 exec_lo, exec_lo, s15
	s_cbranch_execnz .LBB925_66
; %bb.67:
	s_or_b32 exec_lo, exec_lo, s15
.LBB925_68:
	s_delay_alu instid0(SALU_CYCLE_1)
	s_or_b32 exec_lo, exec_lo, s14
	v_cmp_ne_u32_e32 vcc_lo, 31, v86
	v_lshlrev_b32_e64 v33, v86, -1
	v_cmp_gt_u32_e64 s15, 30, v86
	v_dual_add_nc_u32 v41, 8, v86 :: v_dual_add_nc_u32 v43, 16, v86
	v_add_co_ci_u32_e64 v8, null, 0, v86, vcc_lo
	s_delay_alu instid0(VALU_DEP_3) | instskip(SKIP_1) | instid1(VALU_DEP_3)
	v_cndmask_b32_e64 v25, 0, 2, s15
	v_lshl_or_b32 v42, v86, 2, 64
	v_dual_add_nc_u32 v35, 2, v86 :: v_dual_lshlrev_b32 v32, 2, v8
	v_and_b32_e32 v8, 0xff, v12
	s_delay_alu instid0(VALU_DEP_4)
	v_add_lshl_u32 v34, v25, v86, 2
	v_add_nc_u32_e32 v39, 4, v86
	ds_bpermute_b32 v9, v32, v10
	v_cmp_eq_u16_e32 vcc_lo, 2, v8
	v_and_or_b32 v13, vcc_lo, v33, 0x80000000
	v_cmp_eq_u32_e32 vcc_lo, 0, v10
	s_delay_alu instid0(VALU_DEP_2) | instskip(NEXT) | instid1(VALU_DEP_1)
	v_ctz_i32_b32_e32 v13, v13
	v_cmp_lt_u32_e64 s14, v86, v13
	s_wait_dscnt 0x0
	s_delay_alu instid0(VALU_DEP_1) | instskip(SKIP_4) | instid1(VALU_DEP_1)
	v_cndmask_b32_e64 v9, 0, v9, s14
	ds_bpermute_b32 v8, v32, v11
	s_and_b32 vcc_lo, s14, vcc_lo
	s_wait_dscnt 0x0
	v_dual_cndmask_b32 v8, 0, v8 :: v_dual_add_nc_u32 v9, v9, v10
	v_cmp_eq_u32_e32 vcc_lo, 0, v9
	s_delay_alu instid0(VALU_DEP_2)
	v_add_nc_u32_e32 v8, v8, v11
	ds_bpermute_b32 v11, v34, v8
	s_wait_dscnt 0x0
	v_cndmask_b32_e32 v10, 0, v11, vcc_lo
	ds_bpermute_b32 v11, v34, v9
	v_cmp_gt_u32_e32 vcc_lo, 28, v86
	v_cndmask_b32_e64 v25, 0, 4, vcc_lo
	v_cmp_gt_u32_e32 vcc_lo, v35, v13
	s_delay_alu instid0(VALU_DEP_2) | instskip(SKIP_2) | instid1(VALU_DEP_1)
	v_add_lshl_u32 v38, v25, v86, 2
	s_wait_dscnt 0x0
	v_cndmask_b32_e64 v11, v11, 0, vcc_lo
	v_add_nc_u32_e32 v9, v9, v11
	v_cndmask_b32_e64 v10, v10, 0, vcc_lo
	ds_bpermute_b32 v11, v38, v9
	v_add_nc_u32_e32 v8, v10, v8
	v_cmp_eq_u32_e32 vcc_lo, 0, v9
	ds_bpermute_b32 v10, v38, v8
	s_wait_dscnt 0x0
	v_cndmask_b32_e32 v10, 0, v10, vcc_lo
	v_cmp_gt_u32_e32 vcc_lo, 24, v86
	v_cndmask_b32_e64 v25, 0, 8, vcc_lo
	v_cmp_gt_u32_e32 vcc_lo, v39, v13
	s_delay_alu instid0(VALU_DEP_2) | instskip(SKIP_1) | instid1(VALU_DEP_1)
	v_add_lshl_u32 v40, v25, v86, 2
	v_cndmask_b32_e64 v11, v11, 0, vcc_lo
	v_dual_mov_b32 v25, 0 :: v_dual_add_nc_u32 v9, v9, v11
	v_cndmask_b32_e64 v10, v10, 0, vcc_lo
	s_delay_alu instid0(VALU_DEP_2) | instskip(NEXT) | instid1(VALU_DEP_2)
	v_cmp_eq_u32_e32 vcc_lo, 0, v9
	v_add_nc_u32_e32 v8, v8, v10
	ds_bpermute_b32 v11, v40, v9
	ds_bpermute_b32 v10, v40, v8
	s_wait_dscnt 0x0
	v_cndmask_b32_e32 v10, 0, v10, vcc_lo
	v_cmp_gt_u32_e32 vcc_lo, v41, v13
	s_delay_alu instid0(VALU_DEP_2) | instskip(NEXT) | instid1(VALU_DEP_1)
	v_cndmask_b32_e64 v10, v10, 0, vcc_lo
	v_add_nc_u32_e32 v8, v8, v10
	v_cndmask_b32_e64 v10, v11, 0, vcc_lo
	s_delay_alu instid0(VALU_DEP_1)
	v_add_nc_u32_e32 v9, v9, v10
	ds_bpermute_b32 v11, v42, v8
	ds_bpermute_b32 v10, v42, v9
	v_cmp_eq_u32_e32 vcc_lo, 0, v9
	s_wait_dscnt 0x1
	v_cndmask_b32_e32 v11, 0, v11, vcc_lo
	v_cmp_gt_u32_e32 vcc_lo, v43, v13
	s_wait_dscnt 0x0
	v_cndmask_b32_e64 v10, v10, 0, vcc_lo
	s_delay_alu instid0(VALU_DEP_1) | instskip(SKIP_1) | instid1(VALU_DEP_1)
	v_add_nc_u32_e32 v10, v10, v9
	v_cndmask_b32_e64 v11, v11, 0, vcc_lo
	v_add_nc_u32_e32 v11, v11, v8
	s_branch .LBB925_72
.LBB925_69:                             ;   in Loop: Header=BB925_72 Depth=1
	s_or_b32 exec_lo, exec_lo, s15
.LBB925_70:                             ;   in Loop: Header=BB925_72 Depth=1
	s_delay_alu instid0(SALU_CYCLE_1)
	s_or_b32 exec_lo, exec_lo, s14
	v_and_b32_e32 v13, 0xff, v12
	ds_bpermute_b32 v26, v32, v10
	v_subrev_nc_u32_e32 v24, 32, v24
	v_cmp_eq_u16_e32 vcc_lo, 2, v13
	ds_bpermute_b32 v13, v32, v11
	v_and_or_b32 v27, vcc_lo, v33, 0x80000000
	v_cmp_eq_u32_e32 vcc_lo, 0, v10
	s_delay_alu instid0(VALU_DEP_2) | instskip(NEXT) | instid1(VALU_DEP_1)
	v_ctz_i32_b32_e32 v27, v27
	v_cmp_lt_u32_e64 s14, v86, v27
	s_and_b32 vcc_lo, s14, vcc_lo
	s_wait_dscnt 0x0
	v_dual_cndmask_b32 v26, 0, v26, s14 :: v_dual_cndmask_b32 v13, 0, v13, vcc_lo
	s_mov_b32 s14, 0
	s_delay_alu instid0(VALU_DEP_1)
	v_dual_add_nc_u32 v10, v26, v10 :: v_dual_add_nc_u32 v11, v13, v11
	ds_bpermute_b32 v26, v34, v10
	ds_bpermute_b32 v13, v34, v11
	v_cmp_eq_u32_e32 vcc_lo, 0, v10
	s_wait_dscnt 0x0
	v_cndmask_b32_e32 v13, 0, v13, vcc_lo
	v_cmp_gt_u32_e32 vcc_lo, v35, v27
	v_cndmask_b32_e64 v26, v26, 0, vcc_lo
	s_delay_alu instid0(VALU_DEP_1) | instskip(NEXT) | instid1(VALU_DEP_4)
	v_add_nc_u32_e32 v10, v10, v26
	v_cndmask_b32_e64 v13, v13, 0, vcc_lo
	s_delay_alu instid0(VALU_DEP_2) | instskip(NEXT) | instid1(VALU_DEP_2)
	v_cmp_eq_u32_e32 vcc_lo, 0, v10
	v_add_nc_u32_e32 v11, v13, v11
	ds_bpermute_b32 v26, v38, v10
	ds_bpermute_b32 v13, v38, v11
	s_wait_dscnt 0x0
	v_cndmask_b32_e32 v13, 0, v13, vcc_lo
	v_cmp_gt_u32_e32 vcc_lo, v39, v27
	s_delay_alu instid0(VALU_DEP_2) | instskip(SKIP_1) | instid1(VALU_DEP_1)
	v_cndmask_b32_e64 v13, v13, 0, vcc_lo
	v_cndmask_b32_e64 v26, v26, 0, vcc_lo
	v_dual_add_nc_u32 v11, v11, v13 :: v_dual_add_nc_u32 v10, v10, v26
	ds_bpermute_b32 v13, v40, v11
	ds_bpermute_b32 v26, v40, v10
	v_cmp_eq_u32_e32 vcc_lo, 0, v10
	s_wait_dscnt 0x1
	v_cndmask_b32_e32 v13, 0, v13, vcc_lo
	v_cmp_gt_u32_e32 vcc_lo, v41, v27
	s_wait_dscnt 0x0
	v_cndmask_b32_e64 v26, v26, 0, vcc_lo
	s_delay_alu instid0(VALU_DEP_1) | instskip(SKIP_1) | instid1(VALU_DEP_2)
	v_add_nc_u32_e32 v10, v10, v26
	v_cndmask_b32_e64 v13, v13, 0, vcc_lo
	v_cmp_eq_u32_e32 vcc_lo, 0, v10
	s_delay_alu instid0(VALU_DEP_2)
	v_add_nc_u32_e32 v11, v11, v13
	ds_bpermute_b32 v26, v42, v10
	ds_bpermute_b32 v13, v42, v11
	s_wait_dscnt 0x0
	v_cndmask_b32_e32 v13, 0, v13, vcc_lo
	v_cmp_gt_u32_e32 vcc_lo, v43, v27
	s_delay_alu instid0(VALU_DEP_2) | instskip(NEXT) | instid1(VALU_DEP_1)
	v_cndmask_b32_e64 v13, v13, 0, vcc_lo
	v_add_nc_u32_e32 v11, v13, v11
	v_cndmask_b32_e64 v13, v26, 0, vcc_lo
	v_cmp_eq_u32_e32 vcc_lo, 0, v8
	s_delay_alu instid0(VALU_DEP_2) | instskip(NEXT) | instid1(VALU_DEP_4)
	v_add3_u32 v10, v10, v8, v13
	v_cndmask_b32_e32 v11, 0, v11, vcc_lo
	s_delay_alu instid0(VALU_DEP_1)
	v_add_nc_u32_e32 v11, v11, v9
.LBB925_71:                             ;   in Loop: Header=BB925_72 Depth=1
	s_and_b32 vcc_lo, exec_lo, s14
	s_cbranch_vccnz .LBB925_77
.LBB925_72:                             ; =>This Loop Header: Depth=1
                                        ;     Child Loop BB925_75 Depth 2
	v_and_b32_e32 v8, 0xff, v12
	s_delay_alu instid0(VALU_DEP_2) | instskip(SKIP_1) | instid1(VALU_DEP_2)
	v_mov_b32_e32 v9, v11
	s_mov_b32 s14, -1
                                        ; implicit-def: $vgpr11
                                        ; implicit-def: $vgpr12
	v_cmp_ne_u16_e32 vcc_lo, 2, v8
	v_mov_b32_e32 v8, v10
                                        ; implicit-def: $vgpr10
	s_cmp_lg_u32 vcc_lo, exec_lo
	s_cbranch_scc1 .LBB925_71
; %bb.73:                               ;   in Loop: Header=BB925_72 Depth=1
	v_lshl_add_u64 v[26:27], v[24:25], 4, s[20:21]
	;;#ASMSTART
	global_load_b128 v[10:13], v[26:27] off scope:SCOPE_DEV	
s_wait_loadcnt 0x0
	;;#ASMEND
	v_and_b32_e32 v13, 0xff, v12
	s_mov_b32 s14, exec_lo
	s_delay_alu instid0(VALU_DEP_1)
	v_cmpx_eq_u16_e32 0, v13
	s_cbranch_execz .LBB925_70
; %bb.74:                               ;   in Loop: Header=BB925_72 Depth=1
	s_mov_b32 s15, 0
.LBB925_75:                             ;   Parent Loop BB925_72 Depth=1
                                        ; =>  This Inner Loop Header: Depth=2
	;;#ASMSTART
	global_load_b128 v[10:13], v[26:27] off scope:SCOPE_DEV	
s_wait_loadcnt 0x0
	;;#ASMEND
	v_and_b32_e32 v13, 0xff, v12
	s_delay_alu instid0(VALU_DEP_1) | instskip(SKIP_1) | instid1(SALU_CYCLE_1)
	v_cmp_ne_u16_e32 vcc_lo, 0, v13
	s_or_b32 s15, vcc_lo, s15
	s_and_not1_b32 exec_lo, exec_lo, s15
	s_cbranch_execnz .LBB925_75
	s_branch .LBB925_69
.LBB925_76:
                                        ; implicit-def: $vgpr6
                                        ; implicit-def: $vgpr18
                                        ; implicit-def: $vgpr24_vgpr25
                                        ; implicit-def: $vgpr32_vgpr33
                                        ; implicit-def: $vgpr40_vgpr41
                                        ; implicit-def: $vgpr34_vgpr35
                                        ; implicit-def: $vgpr58_vgpr59
                                        ; implicit-def: $vgpr62_vgpr63
                                        ; implicit-def: $vgpr60_vgpr61
                                        ; implicit-def: $vgpr56_vgpr57
                                        ; implicit-def: $vgpr46_vgpr47
                                        ; implicit-def: $vgpr42_vgpr43
                                        ; implicit-def: $vgpr38_vgpr39
                                        ; implicit-def: $vgpr44_vgpr45
                                        ; implicit-def: $vgpr48_vgpr49
                                        ; implicit-def: $vgpr26_vgpr27
                                        ; implicit-def: $vgpr30_vgpr31
	s_cbranch_execnz .LBB925_82
	s_branch .LBB925_93
.LBB925_77:
	s_and_saveexec_b32 s14, s13
	s_cbranch_execz .LBB925_79
; %bb.78:
	v_cmp_eq_u32_e32 vcc_lo, 0, v6
	s_mov_b32 s23, 0
	s_add_co_i32 s22, s38, 32
	v_mov_b32_e32 v13, 0
	s_lshl_b64 s[22:23], s[22:23], 4
	v_dual_cndmask_b32 v11, 0, v9 :: v_dual_add_nc_u32 v10, v8, v6
	s_add_nc_u64 s[22:23], s[20:21], s[22:23]
	v_mov_b32_e32 v12, 2
	v_mov_b64_e32 v[24:25], s[22:23]
	s_delay_alu instid0(VALU_DEP_3)
	v_add_nc_u32_e32 v11, v11, v7
	;;#ASMSTART
	global_store_b128 v[24:25], v[10:13] off scope:SCOPE_DEV	
s_wait_storecnt 0x0
	;;#ASMEND
	ds_store_b128 v13, v[6:9] offset:1024
.LBB925_79:
	s_or_b32 exec_lo, exec_lo, s14
	v_cmp_eq_u32_e32 vcc_lo, 0, v0
	s_and_b32 exec_lo, exec_lo, vcc_lo
; %bb.80:
	v_mov_b32_e32 v6, 0
	ds_store_b64 v6, v[8:9] offset:1096
.LBB925_81:
	s_or_b32 exec_lo, exec_lo, s17
	s_wait_dscnt 0x1
	v_dual_mov_b32 v8, 0 :: v_dual_cndmask_b32 v9, v30, v18, s13
	s_wait_dscnt 0x0
	s_barrier_signal -1
	s_barrier_wait -1
	ds_load_b64 v[6:7], v8 offset:1096
	v_cmp_eq_u32_e32 vcc_lo, 0, v9
	v_cndmask_b32_e64 v10, v31, v19, s13
	v_cmp_eq_u32_e64 s13, 0, v84
	s_wait_dscnt 0x0
	s_barrier_signal -1
	s_barrier_wait -1
	v_cndmask_b32_e32 v11, 0, v7, vcc_lo
	v_cmp_eq_u32_e32 vcc_lo, 0, v0
	s_delay_alu instid0(VALU_DEP_2) | instskip(NEXT) | instid1(VALU_DEP_1)
	v_add_nc_u32_e32 v10, v11, v10
	v_cndmask_b32_e32 v59, v10, v7, vcc_lo
	s_delay_alu instid0(VALU_DEP_1) | instskip(NEXT) | instid1(VALU_DEP_1)
	v_cndmask_b32_e64 v7, 0, v59, s13
	v_add_nc_u32_e32 v63, v7, v54
	s_delay_alu instid0(VALU_DEP_1) | instskip(NEXT) | instid1(VALU_DEP_1)
	v_cndmask_b32_e64 v7, 0, v63, s12
	v_add_nc_u32_e32 v61, v7, v55
	;; [unrolled: 3-line block ×6, first 2 shown]
	v_cndmask_b32_e64 v7, v9, 0, vcc_lo
	s_delay_alu instid0(VALU_DEP_2) | instskip(NEXT) | instid1(VALU_DEP_1)
	v_cndmask_b32_e64 v9, 0, v39, s7
	v_dual_add_nc_u32 v58, v6, v7 :: v_dual_add_nc_u32 v45, v9, v36
	s_delay_alu instid0(VALU_DEP_1) | instskip(NEXT) | instid1(VALU_DEP_1)
	v_cndmask_b32_e64 v6, 0, v45, s6
	v_add_nc_u32_e32 v49, v6, v37
	s_delay_alu instid0(VALU_DEP_1) | instskip(NEXT) | instid1(VALU_DEP_1)
	v_dual_add_nc_u32 v62, v58, v84 :: v_dual_cndmask_b32 v6, 0, v49, s5
	v_add_nc_u32_e32 v60, v62, v76
	s_delay_alu instid0(VALU_DEP_1) | instskip(NEXT) | instid1(VALU_DEP_1)
	v_dual_add_nc_u32 v27, v6, v28 :: v_dual_add_nc_u32 v56, v60, v75
	v_dual_cndmask_b32 v6, 0, v27, s4 :: v_dual_add_nc_u32 v46, v56, v74
	s_delay_alu instid0(VALU_DEP_1) | instskip(NEXT) | instid1(VALU_DEP_1)
	v_add_nc_u32_e32 v31, v6, v29
	v_dual_add_nc_u32 v42, v46, v72 :: v_dual_cndmask_b32 v6, 0, v31, s3
	s_delay_alu instid0(VALU_DEP_1) | instskip(NEXT) | instid1(VALU_DEP_2)
	v_add_nc_u32_e32 v38, v42, v71
	v_add_nc_u32_e32 v35, v6, v22
	ds_load_b128 v[6:9], v8 offset:1024
	v_dual_add_nc_u32 v44, v38, v73 :: v_dual_cndmask_b32 v10, 0, v35, s2
	s_delay_alu instid0(VALU_DEP_1) | instskip(NEXT) | instid1(VALU_DEP_1)
	v_add_nc_u32_e32 v48, v44, v67
	v_dual_add_nc_u32 v41, v10, v23 :: v_dual_add_nc_u32 v26, v48, v66
	s_delay_alu instid0(VALU_DEP_1) | instskip(NEXT) | instid1(VALU_DEP_2)
	v_cndmask_b32_e64 v10, 0, v41, s1
	v_add_nc_u32_e32 v30, v26, v65
	s_delay_alu instid0(VALU_DEP_2) | instskip(SKIP_2) | instid1(VALU_DEP_2)
	v_add_nc_u32_e32 v33, v10, v20
	s_wait_dscnt 0x0
	v_cmp_eq_u32_e32 vcc_lo, 0, v6
	v_cndmask_b32_e64 v10, 0, v33, s0
	v_cndmask_b32_e32 v9, 0, v9, vcc_lo
	v_add_nc_u32_e32 v34, v30, v17
	s_delay_alu instid0(VALU_DEP_2) | instskip(NEXT) | instid1(VALU_DEP_2)
	v_dual_add_nc_u32 v25, v10, v21 :: v_dual_add_nc_u32 v18, v9, v7
	v_add_nc_u32_e32 v40, v34, v64
	s_delay_alu instid0(VALU_DEP_1) | instskip(NEXT) | instid1(VALU_DEP_1)
	v_add_nc_u32_e32 v32, v40, v70
	v_add_nc_u32_e32 v24, v32, v69
	s_branch .LBB925_93
.LBB925_82:
	s_cmp_eq_u64 s[36:37], 0
	v_mov_b32_e32 v10, v54
	s_cselect_b32 s0, -1, 0
	s_delay_alu instid0(SALU_CYCLE_1) | instskip(NEXT) | instid1(SALU_CYCLE_1)
	s_or_b32 s0, s16, s0
	s_and_b32 vcc_lo, exec_lo, s0
	s_cbranch_vccnz .LBB925_84
; %bb.83:
	v_mov_b32_e32 v6, 0
	global_load_b32 v10, v6, s[36:37]
.LBB925_84:
	v_add3_u32 v7, v89, v71, v73
	v_cmp_eq_u32_e64 s6, 0, v76
	v_cmp_eq_u32_e64 s7, 0, v75
	;; [unrolled: 1-line block ×4, first 2 shown]
	v_add3_u32 v7, v7, v67, v66
	s_wait_xcnt 0x0
	v_cndmask_b32_e64 v6, 0, v54, s6
	v_cmp_eq_u32_e64 s10, 0, v71
	v_cmp_eq_u32_e64 s11, 0, v73
	;; [unrolled: 1-line block ×3, first 2 shown]
	v_add3_u32 v7, v7, v65, v17
	v_dual_add_nc_u32 v6, v6, v55 :: v_dual_bitop2_b32 v9, 15, v86 bitop3:0x40
	v_cmp_eq_u32_e64 s4, 0, v66
	v_cmp_eq_u32_e64 s3, 0, v65
	s_delay_alu instid0(VALU_DEP_4)
	v_add3_u32 v7, v7, v64, v70
	v_cmp_eq_u32_e64 s2, 0, v17
	v_cmp_eq_u32_e64 s1, 0, v64
	v_cmp_eq_u32_e32 vcc_lo, 0, v70
	v_cmp_eq_u32_e64 s0, 0, v69
	v_add3_u32 v7, v7, v69, v68
	v_cndmask_b32_e64 v6, 0, v6, s7
	v_cmp_eq_u32_e64 s12, 0, v68
	s_delay_alu instid0(VALU_DEP_3) | instskip(NEXT) | instid1(VALU_DEP_3)
	v_mov_b32_dpp v11, v7 row_shr:1 row_mask:0xf bank_mask:0xf
	v_add_nc_u32_e32 v6, v6, v52
	s_delay_alu instid0(VALU_DEP_1) | instskip(NEXT) | instid1(VALU_DEP_1)
	v_cndmask_b32_e64 v6, 0, v6, s8
	v_add_nc_u32_e32 v6, v6, v53
	s_delay_alu instid0(VALU_DEP_1) | instskip(NEXT) | instid1(VALU_DEP_1)
	v_cndmask_b32_e64 v6, 0, v6, s9
	;; [unrolled: 3-line block ×9, first 2 shown]
	v_add_nc_u32_e32 v6, v6, v23
	s_delay_alu instid0(VALU_DEP_1) | instskip(NEXT) | instid1(VALU_DEP_1)
	v_cndmask_b32_e32 v6, 0, v6, vcc_lo
	v_add_nc_u32_e32 v6, v6, v20
	s_delay_alu instid0(VALU_DEP_1) | instskip(NEXT) | instid1(VALU_DEP_1)
	v_cndmask_b32_e64 v6, 0, v6, s0
	v_add_nc_u32_e32 v6, v6, v21
	s_delay_alu instid0(VALU_DEP_1) | instskip(SKIP_1) | instid1(VALU_DEP_2)
	v_cndmask_b32_e64 v6, 0, v6, s12
	v_cmp_eq_u32_e64 s12, 0, v7
	v_add_nc_u32_e32 v6, v6, v85
	s_delay_alu instid0(VALU_DEP_1) | instskip(NEXT) | instid1(VALU_DEP_1)
	v_mov_b32_dpp v8, v6 row_shr:1 row_mask:0xf bank_mask:0xf
	v_cndmask_b32_e64 v8, 0, v8, s12
	v_cmp_eq_u32_e64 s12, 0, v9
	s_delay_alu instid0(VALU_DEP_1) | instskip(NEXT) | instid1(VALU_DEP_3)
	v_cndmask_b32_e64 v11, v11, 0, s12
	v_cndmask_b32_e64 v8, v8, 0, s12
	v_cmp_lt_u32_e64 s12, 1, v9
	s_delay_alu instid0(VALU_DEP_2) | instskip(NEXT) | instid1(VALU_DEP_1)
	v_dual_add_nc_u32 v7, v11, v7 :: v_dual_add_nc_u32 v6, v8, v6
	v_mov_b32_dpp v8, v7 row_shr:2 row_mask:0xf bank_mask:0xf
	v_cmp_eq_u32_e64 s13, 0, v7
	s_delay_alu instid0(VALU_DEP_3) | instskip(NEXT) | instid1(VALU_DEP_3)
	v_mov_b32_dpp v11, v6 row_shr:2 row_mask:0xf bank_mask:0xf
	v_cndmask_b32_e64 v8, 0, v8, s12
	s_and_b32 s12, s12, s13
	s_delay_alu instid0(VALU_DEP_2) | instid1(SALU_CYCLE_1)
	v_cndmask_b32_e64 v11, 0, v11, s12
	v_cmp_lt_u32_e64 s12, 3, v9
	s_delay_alu instid0(VALU_DEP_3) | instskip(NEXT) | instid1(VALU_DEP_3)
	v_add_nc_u32_e32 v7, v7, v8
	v_add_nc_u32_e32 v6, v11, v6
	s_delay_alu instid0(VALU_DEP_2) | instskip(SKIP_1) | instid1(VALU_DEP_3)
	v_mov_b32_dpp v8, v7 row_shr:4 row_mask:0xf bank_mask:0xf
	v_cmp_eq_u32_e64 s13, 0, v7
	v_mov_b32_dpp v11, v6 row_shr:4 row_mask:0xf bank_mask:0xf
	s_delay_alu instid0(VALU_DEP_3)
	v_cndmask_b32_e64 v8, 0, v8, s12
	s_and_b32 s12, s12, s13
	s_delay_alu instid0(VALU_DEP_2) | instid1(SALU_CYCLE_1)
	v_cndmask_b32_e64 v11, 0, v11, s12
	v_cmp_lt_u32_e64 s12, 7, v9
	s_delay_alu instid0(VALU_DEP_3) | instskip(NEXT) | instid1(VALU_DEP_3)
	v_add_nc_u32_e32 v7, v8, v7
	v_add_nc_u32_e32 v6, v6, v11
	v_bfe_i32 v11, v86, 4, 1
	s_delay_alu instid0(VALU_DEP_3) | instskip(SKIP_1) | instid1(VALU_DEP_4)
	v_mov_b32_dpp v8, v7 row_shr:8 row_mask:0xf bank_mask:0xf
	v_cmp_eq_u32_e64 s13, 0, v7
	v_mov_b32_dpp v9, v6 row_shr:8 row_mask:0xf bank_mask:0xf
	s_delay_alu instid0(VALU_DEP_3) | instskip(SKIP_2) | instid1(VALU_DEP_2)
	v_cndmask_b32_e64 v8, 0, v8, s12
	s_and_b32 s12, s12, s13
	s_mov_b32 s13, exec_lo
	v_cndmask_b32_e64 v9, 0, v9, s12
	s_delay_alu instid0(VALU_DEP_1) | instskip(SKIP_4) | instid1(VALU_DEP_1)
	v_dual_add_nc_u32 v9, v9, v6 :: v_dual_add_nc_u32 v6, v8, v7
	ds_swizzle_b32 v7, v9 offset:swizzle(BROADCAST,32,15)
	ds_swizzle_b32 v8, v6 offset:swizzle(BROADCAST,32,15)
	v_cmp_eq_u32_e64 s12, 0, v6
	s_wait_dscnt 0x0
	v_dual_cndmask_b32 v7, 0, v7, s12 :: v_dual_bitop2_b32 v8, v11, v8 bitop3:0x40
	s_delay_alu instid0(VALU_DEP_1) | instskip(NEXT) | instid1(VALU_DEP_1)
	v_dual_add_nc_u32 v6, v8, v6 :: v_dual_bitop2_b32 v7, v11, v7 bitop3:0x40
	v_dual_add_nc_u32 v7, v7, v9 :: v_dual_lshlrev_b32 v9, 3, v87
	v_cmpx_eq_u32_e64 v0, v88
; %bb.85:
	ds_store_b64 v9, v[6:7] offset:1040
; %bb.86:
	s_or_b32 exec_lo, exec_lo, s13
	s_delay_alu instid0(SALU_CYCLE_1)
	s_mov_b32 s14, exec_lo
	s_wait_loadcnt_dscnt 0x0
	s_barrier_signal -1
	s_barrier_wait -1
	v_cmpx_gt_u32_e32 8, v0
	s_cbranch_execz .LBB925_88
; %bb.87:
	v_dual_lshlrev_b32 v8, 3, v0 :: v_dual_bitop2_b32 v18, 7, v86 bitop3:0x40
	ds_load_b64 v[12:13], v8 offset:1040
	s_wait_dscnt 0x0
	v_mov_b32_dpp v11, v13 row_shr:1 row_mask:0xf bank_mask:0xf
	v_cmp_eq_u32_e64 s12, 0, v12
	v_mov_b32_dpp v19, v12 row_shr:1 row_mask:0xf bank_mask:0xf
	s_delay_alu instid0(VALU_DEP_2) | instskip(SKIP_1) | instid1(VALU_DEP_1)
	v_cndmask_b32_e64 v11, 0, v11, s12
	v_cmp_eq_u32_e64 s12, 0, v18
	v_cndmask_b32_e64 v19, v19, 0, s12
	s_delay_alu instid0(VALU_DEP_1) | instskip(NEXT) | instid1(VALU_DEP_4)
	v_add_nc_u32_e32 v12, v19, v12
	v_cndmask_b32_e64 v11, v11, 0, s12
	v_cmp_lt_u32_e64 s12, 1, v18
	s_delay_alu instid0(VALU_DEP_3) | instskip(NEXT) | instid1(VALU_DEP_3)
	v_cmp_eq_u32_e64 s13, 0, v12
	v_add_nc_u32_e32 v11, v11, v13
	v_mov_b32_dpp v13, v12 row_shr:2 row_mask:0xf bank_mask:0xf
	s_delay_alu instid0(VALU_DEP_1) | instskip(NEXT) | instid1(VALU_DEP_3)
	v_cndmask_b32_e64 v13, 0, v13, s12
	v_mov_b32_dpp v19, v11 row_shr:2 row_mask:0xf bank_mask:0xf
	s_and_b32 s12, s12, s13
	s_delay_alu instid0(VALU_DEP_1) | instid1(SALU_CYCLE_1)
	v_dual_add_nc_u32 v12, v13, v12 :: v_dual_cndmask_b32 v19, 0, v19, s12
	v_cmp_lt_u32_e64 s12, 3, v18
	s_delay_alu instid0(VALU_DEP_2) | instskip(NEXT) | instid1(VALU_DEP_3)
	v_mov_b32_dpp v13, v12 row_shr:4 row_mask:0xf bank_mask:0xf
	v_add_nc_u32_e32 v11, v19, v11
	v_cmp_eq_u32_e64 s13, 0, v12
	s_delay_alu instid0(VALU_DEP_3) | instskip(NEXT) | instid1(VALU_DEP_3)
	v_cndmask_b32_e64 v13, 0, v13, s12
	v_mov_b32_dpp v18, v11 row_shr:4 row_mask:0xf bank_mask:0xf
	s_and_b32 s12, s12, s13
	s_delay_alu instid0(VALU_DEP_1) | instid1(SALU_CYCLE_1)
	v_dual_add_nc_u32 v12, v13, v12 :: v_dual_cndmask_b32 v18, 0, v18, s12
	s_delay_alu instid0(VALU_DEP_1)
	v_add_nc_u32_e32 v13, v18, v11
	ds_store_b64 v8, v[12:13] offset:1040
.LBB925_88:
	s_or_b32 exec_lo, exec_lo, s14
	v_dual_mov_b32 v11, 0 :: v_dual_mov_b32 v8, 0
	v_mov_b32_e32 v12, v10
	s_mov_b32 s13, exec_lo
	s_wait_dscnt 0x0
	s_barrier_signal -1
	s_barrier_wait -1
	v_cmpx_lt_u32_e32 31, v0
	s_cbranch_execz .LBB925_90
; %bb.89:
	ds_load_b64 v[8:9], v9 offset:1032
	s_wait_dscnt 0x0
	v_cmp_eq_u32_e64 s12, 0, v8
	s_delay_alu instid0(VALU_DEP_1) | instskip(NEXT) | instid1(VALU_DEP_1)
	v_cndmask_b32_e64 v12, 0, v10, s12
	v_add_nc_u32_e32 v12, v12, v9
.LBB925_90:
	s_or_b32 exec_lo, exec_lo, s13
	v_sub_co_u32 v9, s12, v86, 1
	s_delay_alu instid0(VALU_DEP_1) | instskip(NEXT) | instid1(VALU_DEP_1)
	v_cmp_gt_i32_e64 s13, 0, v9
	v_cndmask_b32_e64 v9, v9, v86, s13
	v_cmp_eq_u32_e64 s13, 0, v6
	s_delay_alu instid0(VALU_DEP_1) | instskip(NEXT) | instid1(VALU_DEP_3)
	v_dual_cndmask_b32 v13, 0, v12, s13 :: v_dual_add_nc_u32 v6, v8, v6
	v_lshlrev_b32_e32 v9, 2, v9
	v_cmp_eq_u32_e64 s13, 0, v84
	ds_bpermute_b32 v6, v9, v6
	s_wait_dscnt 0x0
	v_dual_add_nc_u32 v7, v13, v7 :: v_dual_cndmask_b32 v6, v6, v8, s12
	ds_bpermute_b32 v7, v9, v7
	s_wait_dscnt 0x0
	v_cndmask_b32_e64 v7, v7, v12, s12
	v_cmp_eq_u32_e64 s12, 0, v0
	s_delay_alu instid0(VALU_DEP_1) | instskip(SKIP_1) | instid1(VALU_DEP_1)
	v_cndmask_b32_e64 v59, v7, v10, s12
	v_cndmask_b32_e64 v58, v6, 0, s12
	v_dual_cndmask_b32 v7, 0, v59, s13 :: v_dual_add_nc_u32 v62, v58, v84
	s_delay_alu instid0(VALU_DEP_1) | instskip(NEXT) | instid1(VALU_DEP_1)
	v_dual_add_nc_u32 v63, v7, v54 :: v_dual_add_nc_u32 v60, v62, v76
	v_cndmask_b32_e64 v7, 0, v63, s6
	s_delay_alu instid0(VALU_DEP_2) | instskip(NEXT) | instid1(VALU_DEP_1)
	v_add_nc_u32_e32 v56, v60, v75
	v_dual_add_nc_u32 v61, v7, v55 :: v_dual_add_nc_u32 v46, v56, v74
	s_delay_alu instid0(VALU_DEP_1) | instskip(NEXT) | instid1(VALU_DEP_1)
	v_cndmask_b32_e64 v7, 0, v61, s7
	v_add_nc_u32_e32 v57, v7, v52
	s_delay_alu instid0(VALU_DEP_1) | instskip(NEXT) | instid1(VALU_DEP_1)
	v_cndmask_b32_e64 v7, 0, v57, s8
	v_add_nc_u32_e32 v47, v7, v53
	s_delay_alu instid0(VALU_DEP_1) | instskip(NEXT) | instid1(VALU_DEP_1)
	v_cndmask_b32_e64 v7, 0, v47, s9
	v_add_nc_u32_e32 v43, v7, v50
	s_delay_alu instid0(VALU_DEP_1) | instskip(NEXT) | instid1(VALU_DEP_1)
	v_cndmask_b32_e64 v7, 0, v43, s10
	v_add_nc_u32_e32 v39, v7, v51
	s_delay_alu instid0(VALU_DEP_1) | instskip(NEXT) | instid1(VALU_DEP_1)
	v_cndmask_b32_e64 v7, 0, v39, s11
	v_add_nc_u32_e32 v45, v7, v36
	s_delay_alu instid0(VALU_DEP_1) | instskip(NEXT) | instid1(VALU_DEP_1)
	v_cndmask_b32_e64 v6, 0, v45, s5
	v_add_nc_u32_e32 v49, v6, v37
	s_delay_alu instid0(VALU_DEP_1) | instskip(NEXT) | instid1(VALU_DEP_1)
	v_cndmask_b32_e64 v6, 0, v49, s4
	v_add_nc_u32_e32 v27, v6, v28
	s_delay_alu instid0(VALU_DEP_1) | instskip(NEXT) | instid1(VALU_DEP_1)
	v_cndmask_b32_e64 v6, 0, v27, s3
	v_add_nc_u32_e32 v31, v6, v29
	s_delay_alu instid0(VALU_DEP_1) | instskip(NEXT) | instid1(VALU_DEP_1)
	v_dual_add_nc_u32 v42, v46, v72 :: v_dual_cndmask_b32 v6, 0, v31, s2
	v_add_nc_u32_e32 v38, v42, v71
	s_delay_alu instid0(VALU_DEP_2) | instskip(NEXT) | instid1(VALU_DEP_2)
	v_add_nc_u32_e32 v35, v6, v22
	v_add_nc_u32_e32 v44, v38, v73
	ds_load_b64 v[6:7], v11 offset:1096
	v_cndmask_b32_e64 v8, 0, v35, s1
	v_add_nc_u32_e32 v48, v44, v67
	s_delay_alu instid0(VALU_DEP_2) | instskip(NEXT) | instid1(VALU_DEP_1)
	v_add_nc_u32_e32 v41, v8, v23
	v_dual_add_nc_u32 v26, v48, v66 :: v_dual_cndmask_b32 v8, 0, v41, vcc_lo
	s_delay_alu instid0(VALU_DEP_1) | instskip(NEXT) | instid1(VALU_DEP_1)
	v_dual_add_nc_u32 v30, v26, v65 :: v_dual_add_nc_u32 v33, v8, v20
	v_add_nc_u32_e32 v34, v30, v17
	s_wait_dscnt 0x0
	v_cmp_eq_u32_e32 vcc_lo, 0, v6
	s_delay_alu instid0(VALU_DEP_2) | instskip(NEXT) | instid1(VALU_DEP_1)
	v_dual_cndmask_b32 v8, 0, v33, s0 :: v_dual_add_nc_u32 v40, v34, v64
	v_add_nc_u32_e32 v32, v40, v70
	s_delay_alu instid0(VALU_DEP_1) | instskip(NEXT) | instid1(VALU_DEP_1)
	v_dual_cndmask_b32 v9, 0, v10 :: v_dual_add_nc_u32 v24, v32, v69
	v_dual_add_nc_u32 v25, v8, v21 :: v_dual_add_nc_u32 v18, v9, v7
	s_and_saveexec_b32 s0, s12
	s_cbranch_execz .LBB925_92
; %bb.91:
	s_add_nc_u64 s[2:3], s[20:21], 0x200
	v_dual_mov_b32 v8, 2 :: v_dual_mov_b32 v9, 0
	v_mov_b32_e32 v7, v18
	v_mov_b64_e32 v[10:11], s[2:3]
	;;#ASMSTART
	global_store_b128 v[10:11], v[6:9] off scope:SCOPE_DEV	
s_wait_storecnt 0x0
	;;#ASMEND
.LBB925_92:
	s_or_b32 exec_lo, exec_lo, s0
	v_mov_b32_e32 v8, 0
.LBB925_93:
	s_cmp_eq_u64 s[18:19], 0
	v_mov_b64_e32 v[20:21], 0
	s_cselect_b32 s0, -1, 0
	s_delay_alu instid0(SALU_CYCLE_1)
	s_or_b32 s0, s16, s0
	s_barrier_signal -1
	s_and_b32 vcc_lo, exec_lo, s0
	s_barrier_wait -1
	s_cbranch_vccnz .LBB925_95
; %bb.94:
	v_mov_b32_e32 v7, 0
	global_load_b64 v[20:21], v7, s[18:19]
.LBB925_95:
	v_cmp_eq_u32_e32 vcc_lo, 0, v84
	v_cmp_ne_u32_e64 s14, 0, v84
	v_cmp_ne_u32_e64 s13, 0, v76
	;; [unrolled: 1-line block ×4, first 2 shown]
	s_wait_xcnt 0x0
	v_cndmask_b32_e64 v7, 1, 2, vcc_lo
	v_cmp_eq_u32_e32 vcc_lo, 0, v76
	v_cmp_ne_u32_e64 s10, 0, v72
	v_cmp_ne_u32_e64 s9, 0, v71
	;; [unrolled: 1-line block ×4, first 2 shown]
	v_cndmask_b32_e64 v9, 1, 2, vcc_lo
	v_cmp_eq_u32_e32 vcc_lo, 0, v75
	v_cmp_ne_u32_e64 s6, 0, v66
	v_cmp_ne_u32_e64 s5, 0, v65
	;; [unrolled: 1-line block ×4, first 2 shown]
	v_cndmask_b32_e64 v10, 1, 2, vcc_lo
	v_cmp_eq_u32_e32 vcc_lo, 0, v74
	v_cmp_ne_u32_e64 s2, 0, v70
	v_cmp_ne_u32_e64 s1, 0, v69
	v_cmp_ne_u32_e64 s0, 0, v68
	v_bitop3_b16 v7, v9, v10, v7 bitop3:0x80
	v_cndmask_b32_e64 v12, 1, 2, vcc_lo
	v_cmp_eq_u32_e32 vcc_lo, 0, v72
	s_wait_loadcnt 0x0
	v_lshlrev_b64_e32 v[10:11], 1, v[20:21]
	v_mov_b32_e32 v9, 0
	s_mov_b32 s16, -1
	v_cndmask_b32_e64 v13, 1, 2, vcc_lo
	v_cmp_eq_u32_e32 vcc_lo, 0, v71
	s_delay_alu instid0(VALU_DEP_4) | instskip(NEXT) | instid1(VALU_DEP_3)
	v_add_nc_u64_e32 v[10:11], s[28:29], v[10:11]
	v_bitop3_b16 v7, v7, v13, v12 bitop3:0x80
	v_cndmask_b32_e64 v19, 1, 2, vcc_lo
	v_cmp_eq_u32_e32 vcc_lo, 0, v73
	v_lshlrev_b64_e32 v[12:13], 1, v[8:9]
	v_cndmask_b32_e64 v22, 1, 2, vcc_lo
	v_cmp_eq_u32_e32 vcc_lo, 0, v67
	s_delay_alu instid0(VALU_DEP_2)
	v_bitop3_b16 v7, v7, v22, v19 bitop3:0x80
	v_cndmask_b32_e64 v19, 1, 2, vcc_lo
	v_cmp_eq_u32_e32 vcc_lo, 0, v66
	v_add_nc_u64_e32 v[22:23], v[10:11], v[12:13]
	v_cndmask_b32_e64 v28, 1, 2, vcc_lo
	v_cmp_eq_u32_e32 vcc_lo, 0, v65
	s_delay_alu instid0(VALU_DEP_2) | instskip(SKIP_4) | instid1(VALU_DEP_2)
	v_bitop3_b16 v7, v7, v28, v19 bitop3:0x80
	v_cndmask_b32_e64 v10, 1, 2, vcc_lo
	v_cmp_eq_u32_e32 vcc_lo, 0, v17
	v_cndmask_b32_e64 v11, 1, 2, vcc_lo
	v_cmp_eq_u32_e32 vcc_lo, 0, v64
	v_bitop3_b16 v7, v7, v11, v10 bitop3:0x80
	v_cndmask_b32_e64 v10, 1, 2, vcc_lo
	v_cmp_eq_u32_e32 vcc_lo, 0, v70
	v_cndmask_b32_e64 v11, 1, 2, vcc_lo
	v_cmp_eq_u32_e32 vcc_lo, 0, v69
	s_delay_alu instid0(VALU_DEP_2) | instskip(SKIP_4) | instid1(VALU_DEP_2)
	v_bitop3_b16 v7, v7, v11, v10 bitop3:0x80
	v_cndmask_b32_e64 v10, 1, 2, vcc_lo
	v_cmp_eq_u32_e32 vcc_lo, 0, v68
	v_cndmask_b32_e64 v11, 1, 2, vcc_lo
	v_cmp_gt_u32_e32 vcc_lo, 0x100, v6
	v_bitop3_b16 v7, v7, v11, v10 bitop3:0x80
	s_delay_alu instid0(VALU_DEP_1)
	v_cmp_gt_i16_e64 s15, 2, v7
	s_cbranch_vccz .LBB925_102
; %bb.96:
	s_and_saveexec_b32 s16, s15
	s_cbranch_execz .LBB925_101
; %bb.97:
	s_mov_b32 s17, 0
	s_mov_b32 s15, exec_lo
	v_cmpx_ne_u16_e32 1, v7
	s_xor_b32 s15, exec_lo, s15
	s_cbranch_execnz .LBB925_145
; %bb.98:
	s_and_not1_saveexec_b32 s15, s15
	s_cbranch_execnz .LBB925_161
.LBB925_99:
	s_or_b32 exec_lo, exec_lo, s15
	s_delay_alu instid0(SALU_CYCLE_1)
	s_and_b32 exec_lo, exec_lo, s17
	s_cbranch_execz .LBB925_101
.LBB925_100:
	v_sub_nc_u32_e32 v10, v24, v8
	v_readfirstlane_b32 s18, v22
	v_readfirstlane_b32 s19, v23
	global_store_b16 v10, v1, s[18:19] scale_offset
.LBB925_101:
	s_wait_xcnt 0x0
	s_or_b32 exec_lo, exec_lo, s16
	s_mov_b32 s16, 0
.LBB925_102:
	s_delay_alu instid0(SALU_CYCLE_1)
	s_and_b32 vcc_lo, exec_lo, s16
	s_cbranch_vccz .LBB925_124
; %bb.103:
	s_mov_b32 s15, exec_lo
	v_cmpx_gt_i16_e32 2, v7
	s_cbranch_execz .LBB925_108
; %bb.104:
	s_mov_b32 s17, 0
	s_mov_b32 s16, exec_lo
	v_cmpx_ne_u16_e32 1, v7
	s_xor_b32 s16, exec_lo, s16
	s_cbranch_execnz .LBB925_162
; %bb.105:
	s_and_not1_saveexec_b32 s0, s16
	s_cbranch_execnz .LBB925_178
.LBB925_106:
	s_or_b32 exec_lo, exec_lo, s0
	s_delay_alu instid0(SALU_CYCLE_1)
	s_and_b32 exec_lo, exec_lo, s17
.LBB925_107:
	v_sub_nc_u32_e32 v2, v24, v8
	s_delay_alu instid0(VALU_DEP_1)
	v_lshlrev_b32_e32 v2, 1, v2
	ds_store_b16 v2, v1
.LBB925_108:
	s_or_b32 exec_lo, exec_lo, s15
	s_delay_alu instid0(SALU_CYCLE_1)
	s_mov_b32 s0, exec_lo
	s_wait_storecnt_dscnt 0x0
	s_barrier_signal -1
	s_barrier_wait -1
	v_cmpx_lt_u32_e64 v0, v6
	s_cbranch_execz .LBB925_123
; %bb.109:
	v_xad_u32 v2, v0, -1, v6
	v_mov_b32_e32 v1, v0
	s_mov_b32 s4, -1
	s_mov_b32 s2, exec_lo
	s_delay_alu instid0(VALU_DEP_2)
	v_cmp_gt_u32_e64 s1, 0x1b00, v2
	v_cmpx_lt_u32_e32 0x1aff, v2
	s_cbranch_execz .LBB925_120
; %bb.110:
	v_sub_nc_u32_e32 v1, v0, v6
	s_delay_alu instid0(VALU_DEP_1) | instskip(NEXT) | instid1(VALU_DEP_1)
	v_or_b32_e32 v1, 0xff, v1
	v_cmp_ge_u32_e32 vcc_lo, v1, v0
	v_mov_b32_e32 v1, v0
	s_and_saveexec_b32 s3, vcc_lo
	s_cbranch_execz .LBB925_119
; %bb.111:
	v_lshrrev_b32_e32 v7, 8, v2
	v_or_b32_e32 v3, 0x300, v0
	v_or_b32_e32 v2, 0x200, v0
	;; [unrolled: 1-line block ×3, first 2 shown]
	s_mov_b32 s4, exec_lo
	v_dual_add_nc_u32 v4, -3, v7 :: v_dual_mov_b32 v28, 0
	s_delay_alu instid0(VALU_DEP_3) | instskip(NEXT) | instid1(VALU_DEP_3)
	v_mov_b64_e32 v[12:13], v[2:3]
	v_mov_b64_e32 v[10:11], v[0:1]
	s_delay_alu instid0(VALU_DEP_3) | instskip(NEXT) | instid1(VALU_DEP_1)
	v_lshrrev_b32_e32 v5, 2, v4
	v_dual_lshlrev_b32 v14, 1, v0 :: v_dual_add_nc_u32 v15, 1, v5
	v_cmpx_lt_u32_e32 11, v4
	s_cbranch_execz .LBB925_115
; %bb.112:
	v_mov_b64_e32 v[12:13], v[2:3]
	v_mov_b64_e32 v[10:11], v[0:1]
	v_and_b32_e32 v16, 0x7ffffffc, v15
	v_dual_mov_b32 v5, 0 :: v_dual_mov_b32 v19, v14
	s_mov_b32 s5, 0
	s_mov_b32 s6, 0
.LBB925_113:                            ; =>This Inner Loop Header: Depth=1
	s_delay_alu instid0(VALU_DEP_1) | instskip(SKIP_2) | instid1(VALU_DEP_3)
	v_dual_mov_b32 v4, v10 :: v_dual_mov_b32 v51, v5
	v_add_nc_u32_e32 v16, -4, v16
	v_dual_mov_b32 v79, v5 :: v_dual_add_nc_u32 v50, 0x400, v11
	v_lshl_add_u64 v[88:89], v[4:5], 1, v[22:23]
	v_mov_b32_e32 v4, v11
	ds_load_u16 v1, v19
	ds_load_u16 v29, v19 offset:512
	ds_load_u16 v77, v19 offset:1024
	;; [unrolled: 1-line block ×7, first 2 shown]
	v_dual_mov_b32 v87, v5 :: v_dual_add_nc_u32 v78, 0x800, v11
	v_add_nc_u32_e32 v86, 0xc00, v11
	v_add_nc_u32_e32 v11, 0x1000, v11
	v_lshl_add_u64 v[90:91], v[4:5], 1, v[22:23]
	v_mov_b32_e32 v4, v12
	ds_load_u16 v100, v19 offset:4096
	ds_load_u16 v101, v19 offset:4608
	;; [unrolled: 1-line block ×8, first 2 shown]
	v_dual_mov_b32 v37, v5 :: v_dual_add_nc_u32 v2, 0x400, v13
	v_dual_mov_b32 v55, v5 :: v_dual_add_nc_u32 v52, 0x800, v13
	v_lshl_add_u64 v[92:93], v[4:5], 1, v[22:23]
	v_mov_b32_e32 v4, v13
	v_dual_mov_b32 v83, v5 :: v_dual_add_nc_u32 v80, 0xc00, v13
	v_add_nc_u32_e32 v13, 0x1000, v13
	s_wait_dscnt 0xf
	global_store_b16 v[88:89], v1, off
	s_wait_dscnt 0xe
	global_store_b16 v[90:91], v29, off
	;; [unrolled: 2-line block ×3, first 2 shown]
	v_lshl_add_u64 v[94:95], v[4:5], 1, v[22:23]
	v_add_nc_u32_e32 v4, 0x400, v10
	v_dual_mov_b32 v3, v5 :: v_dual_add_nc_u32 v36, 0x400, v12
	v_dual_mov_b32 v53, v5 :: v_dual_add_nc_u32 v54, 0x800, v12
	s_wait_xcnt 0x2
	s_delay_alu instid0(VALU_DEP_3)
	v_lshl_add_u64 v[88:89], v[4:5], 1, v[22:23]
	v_add_nc_u32_e32 v4, 0x800, v10
	s_add_co_i32 s6, s6, 16
	v_cmp_eq_u32_e32 vcc_lo, 0, v16
	v_lshl_add_u64 v[50:51], v[50:51], 1, v[22:23]
	s_wait_dscnt 0xc
	global_store_b16 v[94:95], v85, off
	s_wait_dscnt 0xb
	global_store_b16 v[88:89], v96, off
	s_wait_xcnt 0x0
	v_lshl_add_u64 v[88:89], v[4:5], 1, v[22:23]
	v_add_nc_u32_e32 v4, 0xc00, v10
	v_dual_mov_b32 v81, v5 :: v_dual_add_nc_u32 v82, 0xc00, v12
	v_dual_mov_b32 v28, s6 :: v_dual_add_nc_u32 v19, 0x2000, v19
	v_lshl_add_u64 v[36:37], v[36:37], 1, v[22:23]
	v_add_nc_u32_e32 v12, 0x1000, v12
	v_add_nc_u32_e32 v10, 0x1000, v10
	v_lshl_add_u64 v[2:3], v[2:3], 1, v[22:23]
	v_lshl_add_u64 v[78:79], v[78:79], 1, v[22:23]
	;; [unrolled: 1-line block ×4, first 2 shown]
	s_or_b32 s5, vcc_lo, s5
	s_wait_dscnt 0xa
	global_store_b16 v[50:51], v97, off
	s_wait_dscnt 0x9
	global_store_b16 v[36:37], v98, off
	;; [unrolled: 2-line block ×3, first 2 shown]
	s_wait_xcnt 0x0
	v_lshl_add_u64 v[2:3], v[4:5], 1, v[22:23]
	v_lshl_add_u64 v[86:87], v[86:87], 1, v[22:23]
	;; [unrolled: 1-line block ×4, first 2 shown]
	s_wait_dscnt 0x7
	global_store_b16 v[88:89], v100, off
	s_wait_dscnt 0x6
	global_store_b16 v[78:79], v101, off
	s_wait_dscnt 0x5
	global_store_b16 v[54:55], v102, off
	s_wait_dscnt 0x4
	global_store_b16 v[52:53], v103, off
	s_wait_dscnt 0x3
	global_store_b16 v[2:3], v104, off
	s_wait_dscnt 0x2
	global_store_b16 v[86:87], v105, off
	s_wait_dscnt 0x1
	global_store_b16 v[82:83], v106, off
	s_wait_dscnt 0x0
	global_store_b16 v[80:81], v107, off
	s_wait_xcnt 0x0
	s_and_not1_b32 exec_lo, exec_lo, s5
	s_cbranch_execnz .LBB925_113
; %bb.114:
	s_or_b32 exec_lo, exec_lo, s5
.LBB925_115:
	s_delay_alu instid0(SALU_CYCLE_1) | instskip(NEXT) | instid1(VALU_DEP_2)
	s_or_b32 exec_lo, exec_lo, s4
	v_and_b32_e32 v1, 3, v15
	s_mov_b32 s5, 0
	s_mov_b32 s4, exec_lo
	s_delay_alu instid0(VALU_DEP_1)
	v_cmpx_ne_u32_e32 0, v1
	s_cbranch_execz .LBB925_118
; %bb.116:
	v_lshl_or_b32 v4, v28, 9, v14
	v_mov_b32_e32 v3, 0
.LBB925_117:                            ; =>This Inner Loop Header: Depth=1
	v_dual_mov_b32 v2, v10 :: v_dual_add_nc_u32 v1, -1, v1
	ds_load_u16 v5, v4
	ds_load_u16 v16, v4 offset:512
	ds_load_u16 v19, v4 offset:1024
	;; [unrolled: 1-line block ×3, first 2 shown]
	v_add_nc_u32_e32 v10, 0x400, v10
	v_add_nc_u32_e32 v4, 0x800, v4
	v_lshl_add_u64 v[14:15], v[2:3], 1, v[22:23]
	v_dual_mov_b32 v2, v11 :: v_dual_add_nc_u32 v11, 0x400, v11
	v_cmp_eq_u32_e32 vcc_lo, 0, v1
	s_delay_alu instid0(VALU_DEP_2) | instskip(SKIP_3) | instid1(VALU_DEP_2)
	v_lshl_add_u64 v[28:29], v[2:3], 1, v[22:23]
	v_mov_b32_e32 v2, v12
	v_add_nc_u32_e32 v12, 0x400, v12
	s_or_b32 s5, vcc_lo, s5
	v_lshl_add_u64 v[36:37], v[2:3], 1, v[22:23]
	v_dual_mov_b32 v2, v13 :: v_dual_add_nc_u32 v13, 0x400, v13
	s_delay_alu instid0(VALU_DEP_1)
	v_lshl_add_u64 v[50:51], v[2:3], 1, v[22:23]
	s_wait_dscnt 0x3
	global_store_b16 v[14:15], v5, off
	s_wait_dscnt 0x2
	global_store_b16 v[28:29], v16, off
	;; [unrolled: 2-line block ×4, first 2 shown]
	s_wait_xcnt 0x0
	s_and_not1_b32 exec_lo, exec_lo, s5
	s_cbranch_execnz .LBB925_117
.LBB925_118:
	s_or_b32 exec_lo, exec_lo, s4
	v_add_nc_u32_e32 v1, 1, v7
	s_delay_alu instid0(VALU_DEP_1) | instskip(NEXT) | instid1(VALU_DEP_1)
	v_and_b32_e32 v2, 0x1fffffc, v1
	v_cmp_ne_u32_e32 vcc_lo, v1, v2
	v_lshl_or_b32 v1, v2, 8, v0
	s_or_not1_b32 s4, vcc_lo, exec_lo
.LBB925_119:
	s_or_b32 exec_lo, exec_lo, s3
	s_delay_alu instid0(SALU_CYCLE_1) | instskip(SKIP_1) | instid1(SALU_CYCLE_1)
	s_and_not1_b32 s1, s1, exec_lo
	s_and_b32 s3, s4, exec_lo
	s_or_b32 s1, s1, s3
.LBB925_120:
	s_or_b32 exec_lo, exec_lo, s2
	s_delay_alu instid0(SALU_CYCLE_1)
	s_and_b32 exec_lo, exec_lo, s1
	s_cbranch_execz .LBB925_123
; %bb.121:
	v_lshlrev_b32_e32 v2, 1, v1
	s_mov_b32 s1, 0
.LBB925_122:                            ; =>This Inner Loop Header: Depth=1
	ds_load_u16 v3, v2
	v_readfirstlane_b32 s2, v22
	v_readfirstlane_b32 s3, v23
	v_add_nc_u32_e32 v2, 0x200, v2
	s_wait_dscnt 0x0
	global_store_b16 v1, v3, s[2:3] scale_offset
	s_wait_xcnt 0x0
	v_add_nc_u32_e32 v1, 0x100, v1
	s_delay_alu instid0(VALU_DEP_1) | instskip(SKIP_1) | instid1(SALU_CYCLE_1)
	v_cmp_ge_u32_e32 vcc_lo, v1, v6
	s_or_b32 s1, vcc_lo, s1
	s_and_not1_b32 exec_lo, exec_lo, s1
	s_cbranch_execnz .LBB925_122
.LBB925_123:
	s_or_b32 exec_lo, exec_lo, s0
.LBB925_124:
	s_cmp_lg_u32 s39, 0xf00
	v_cmp_eq_u32_e32 vcc_lo, 0, v0
	s_cselect_b32 s0, -1, 0
	v_cndmask_b32_e64 v7, 0, 1, s40
	s_and_b32 s0, s33, s0
	v_mad_i32_i24 v3, v0, -15, s39
	v_cndmask_b32_e64 v2, 0, 1, s0
	s_mul_hi_u32 s0, s39, 0x88888889
	s_and_b32 s1, vcc_lo, s40
	s_lshr_b32 s0, s0, 3
	v_cndmask_b32_e64 v4, v84, 0, s1
	v_cmp_eq_u32_e32 vcc_lo, s0, v0
	v_cmp_ne_u32_e64 s0, 0, v3
	v_sub_nc_u32_e32 v1, v6, v7
	s_mov_b32 s16, -1
	s_wait_storecnt 0x0
	s_and_b32 vcc_lo, s33, vcc_lo
	s_barrier_signal -1
	v_dual_add_nc_u32 v1, v1, v2 :: v_dual_cndmask_b32 v2, 1, v4, s0
	v_cmp_ne_u32_e64 s0, 1, v3
	s_barrier_wait -1
	s_delay_alu instid0(VALU_DEP_1) | instskip(SKIP_1) | instid1(VALU_DEP_1)
	v_cndmask_b32_e64 v5, 1, v76, s0
	v_cmp_ne_u32_e64 s0, 2, v3
	v_dual_cndmask_b32 v50, v76, v5, vcc_lo :: v_dual_cndmask_b32 v10, 1, v75, s0
	v_cmp_ne_u32_e64 s0, 3, v3
	s_delay_alu instid0(VALU_DEP_2) | instskip(NEXT) | instid1(VALU_DEP_2)
	v_cmp_ne_u32_e64 s13, 0, v50
	v_cndmask_b32_e64 v11, 1, v74, s0
	v_cmp_ne_u32_e64 s0, 4, v3
	v_cndmask_b32_e32 v37, v4, v2, vcc_lo
	v_lshlrev_b64_e32 v[4:5], 3, v[8:9]
	s_delay_alu instid0(VALU_DEP_3) | instskip(SKIP_1) | instid1(VALU_DEP_4)
	v_dual_cndmask_b32 v11, v74, v11, vcc_lo :: v_dual_cndmask_b32 v12, 1, v72, s0
	v_cmp_ne_u32_e64 s0, 5, v3
	v_cmp_ne_u32_e64 s14, 0, v37
	s_delay_alu instid0(VALU_DEP_3) | instskip(NEXT) | instid1(VALU_DEP_3)
	v_cmp_ne_u32_e64 s11, 0, v11
	v_cndmask_b32_e64 v13, 1, v71, s0
	v_cmp_ne_u32_e64 s0, 6, v3
	v_dual_cndmask_b32 v10, v75, v10, vcc_lo :: v_dual_cndmask_b32 v12, v72, v12, vcc_lo
	s_delay_alu instid0(VALU_DEP_3) | instskip(NEXT) | instid1(VALU_DEP_3)
	v_cndmask_b32_e32 v13, v71, v13, vcc_lo
	v_cndmask_b32_e64 v14, 1, v73, s0
	v_cmp_ne_u32_e64 s0, 7, v3
	s_delay_alu instid0(VALU_DEP_4) | instskip(SKIP_1) | instid1(VALU_DEP_3)
	v_cmp_ne_u32_e64 s12, 0, v10
	v_cmp_ne_u32_e64 s10, 0, v12
	v_cndmask_b32_e64 v15, 1, v67, s0
	v_cmp_ne_u32_e64 s0, 8, v3
	s_delay_alu instid0(VALU_DEP_2) | instskip(NEXT) | instid1(VALU_DEP_2)
	v_dual_cndmask_b32 v14, v73, v14 :: v_dual_cndmask_b32 v15, v67, v15
	v_cndmask_b32_e64 v16, 1, v66, s0
	v_cmp_ne_u32_e64 s0, 9, v3
	s_delay_alu instid0(VALU_DEP_3) | instskip(NEXT) | instid1(VALU_DEP_4)
	v_cmp_ne_u32_e64 s8, 0, v14
	v_cmp_ne_u32_e64 s7, 0, v15
	s_delay_alu instid0(VALU_DEP_3) | instskip(SKIP_1) | instid1(VALU_DEP_1)
	v_cndmask_b32_e64 v19, 1, v65, s0
	v_cmp_ne_u32_e64 s0, 10, v3
	v_dual_cndmask_b32 v19, v65, v19, vcc_lo :: v_dual_cndmask_b32 v22, 1, v17, s0
	v_cmp_ne_u32_e64 s0, 12, v3
	s_delay_alu instid0(VALU_DEP_2) | instskip(NEXT) | instid1(VALU_DEP_2)
	v_cmp_ne_u32_e64 s5, 0, v19
	v_cndmask_b32_e64 v23, 1, v70, s0
	v_cmp_ne_u32_e64 s0, 14, v3
	v_dual_cndmask_b32 v16, v66, v16 :: v_dual_cndmask_b32 v17, v17, v22
	s_delay_alu instid0(VALU_DEP_2) | instskip(SKIP_1) | instid1(VALU_DEP_3)
	v_dual_cndmask_b32 v23, v70, v23, vcc_lo :: v_dual_cndmask_b32 v28, 1, v68, s0
	v_cmp_ne_u32_e64 s0, 13, v3
	v_cmp_ne_u32_e64 s6, 0, v16
	s_delay_alu instid0(VALU_DEP_4) | instskip(NEXT) | instid1(VALU_DEP_4)
	v_cmp_ne_u32_e64 s4, 0, v17
	v_cmp_ne_u32_e64 s2, 0, v23
	s_delay_alu instid0(VALU_DEP_4) | instskip(SKIP_2) | instid1(VALU_DEP_3)
	v_cndmask_b32_e64 v29, 1, v69, s0
	v_cmp_ne_u32_e64 s0, 11, v3
	v_lshlrev_b64_e32 v[2:3], 3, v[20:21]
	v_dual_cndmask_b32 v28, v68, v28 :: v_dual_cndmask_b32 v29, v69, v29
	s_delay_alu instid0(VALU_DEP_3) | instskip(SKIP_1) | instid1(VALU_DEP_4)
	v_cndmask_b32_e64 v36, 1, v64, s0
	v_cmp_eq_u32_e64 s0, 0, v37
	v_add_nc_u64_e32 v[2:3], s[30:31], v[2:3]
	s_delay_alu instid0(VALU_DEP_4) | instskip(NEXT) | instid1(VALU_DEP_4)
	v_cmp_ne_u32_e64 s1, 0, v29
	v_cndmask_b32_e32 v36, v64, v36, vcc_lo
	s_delay_alu instid0(VALU_DEP_4) | instskip(SKIP_4) | instid1(VALU_DEP_4)
	v_cndmask_b32_e64 v51, 1, 2, s0
	v_cmp_eq_u32_e64 s0, 0, v50
	v_cmp_eq_u32_e32 vcc_lo, 0, v19
	v_add_nc_u64_e32 v[2:3], v[2:3], v[4:5]
	v_lshlrev_b32_e32 v4, 3, v7
	v_cndmask_b32_e64 v52, 1, 2, s0
	v_cmp_eq_u32_e64 s0, 0, v10
	v_dual_mov_b32 v5, 0 :: v_dual_add_nc_u32 v7, v8, v7
	v_cmp_ne_u32_e64 s9, 0, v13
	v_cmp_ne_u32_e64 s3, 0, v36
	s_delay_alu instid0(VALU_DEP_4) | instskip(SKIP_2) | instid1(VALU_DEP_3)
	v_cndmask_b32_e64 v53, 1, 2, s0
	v_cmp_eq_u32_e64 s0, 0, v11
	v_add_nc_u64_e32 v[4:5], v[2:3], v[4:5]
	v_bitop3_b16 v51, v52, v53, v51 bitop3:0x80
	s_delay_alu instid0(VALU_DEP_3) | instskip(SKIP_1) | instid1(VALU_DEP_4)
	v_cndmask_b32_e64 v52, 1, 2, s0
	v_cmp_eq_u32_e64 s0, 0, v12
	v_add_nc_u64_e32 v[4:5], -8, v[4:5]
	s_delay_alu instid0(VALU_DEP_2) | instskip(SKIP_1) | instid1(VALU_DEP_2)
	v_cndmask_b32_e64 v53, 1, 2, s0
	v_cmp_eq_u32_e64 s0, 0, v13
	v_bitop3_b16 v51, v51, v53, v52 bitop3:0x80
	s_delay_alu instid0(VALU_DEP_2) | instskip(SKIP_1) | instid1(VALU_DEP_1)
	v_cndmask_b32_e64 v52, 1, 2, s0
	v_cmp_eq_u32_e64 s0, 0, v14
	v_cndmask_b32_e64 v53, 1, 2, s0
	v_cmp_eq_u32_e64 s0, 0, v15
	s_delay_alu instid0(VALU_DEP_2) | instskip(NEXT) | instid1(VALU_DEP_2)
	v_bitop3_b16 v51, v51, v53, v52 bitop3:0x80
	v_cndmask_b32_e64 v52, 1, 2, s0
	v_cmp_eq_u32_e64 s0, 0, v16
	s_delay_alu instid0(VALU_DEP_1) | instskip(SKIP_1) | instid1(VALU_DEP_2)
	v_cndmask_b32_e64 v53, 1, 2, s0
	v_cmp_ne_u32_e64 s0, 0, v28
	v_bitop3_b16 v22, v51, v53, v52 bitop3:0x80
	v_cndmask_b32_e64 v51, 1, 2, vcc_lo
	v_cmp_eq_u32_e32 vcc_lo, 0, v17
	v_cndmask_b32_e64 v52, 1, 2, vcc_lo
	v_cmp_eq_u32_e32 vcc_lo, 0, v36
	s_delay_alu instid0(VALU_DEP_2) | instskip(SKIP_4) | instid1(VALU_DEP_2)
	v_bitop3_b16 v10, v22, v52, v51 bitop3:0x80
	v_cndmask_b32_e64 v11, 1, 2, vcc_lo
	v_cmp_eq_u32_e32 vcc_lo, 0, v23
	v_cndmask_b32_e64 v22, 1, 2, vcc_lo
	v_cmp_eq_u32_e32 vcc_lo, 0, v29
	v_bitop3_b16 v10, v10, v22, v11 bitop3:0x80
	v_cndmask_b32_e64 v11, 1, 2, vcc_lo
	v_cmp_eq_u32_e32 vcc_lo, 0, v28
	v_cndmask_b32_e64 v12, 1, 2, vcc_lo
	v_cmp_gt_u32_e32 vcc_lo, 0x100, v1
	s_delay_alu instid0(VALU_DEP_2) | instskip(NEXT) | instid1(VALU_DEP_1)
	v_bitop3_b16 v10, v10, v12, v11 bitop3:0x80
	v_cmp_gt_i16_e64 s15, 2, v10
	s_cbranch_vccnz .LBB925_128
; %bb.125:
	s_and_b32 vcc_lo, exec_lo, s16
	s_cbranch_vccnz .LBB925_134
.LBB925_126:
	v_cmp_eq_u32_e32 vcc_lo, 0xff, v0
	s_and_b32 s0, vcc_lo, s33
	s_delay_alu instid0(SALU_CYCLE_1)
	s_and_saveexec_b32 s1, s0
	s_cbranch_execnz .LBB925_143
.LBB925_127:
	s_sendmsg sendmsg(MSG_DEALLOC_VGPRS)
	s_endpgm
.LBB925_128:
	s_and_saveexec_b32 s16, s15
	s_cbranch_execz .LBB925_133
; %bb.129:
	s_mov_b32 s17, 0
	s_mov_b32 s15, exec_lo
	v_cmpx_ne_u16_e32 1, v10
	s_xor_b32 s15, exec_lo, s15
	s_cbranch_execnz .LBB925_179
; %bb.130:
	s_and_not1_saveexec_b32 s15, s15
	s_cbranch_execnz .LBB925_195
.LBB925_131:
	s_or_b32 exec_lo, exec_lo, s15
	s_delay_alu instid0(SALU_CYCLE_1)
	s_and_b32 exec_lo, exec_lo, s17
	s_cbranch_execz .LBB925_133
.LBB925_132:
	v_dual_mov_b32 v13, 0 :: v_dual_mov_b32 v12, v25
	v_sub_nc_u32_e32 v11, v24, v7
	v_readfirstlane_b32 s18, v4
	v_readfirstlane_b32 s19, v5
	global_store_b64 v11, v[12:13], s[18:19] scale_offset
.LBB925_133:
	s_wait_xcnt 0x0
	s_or_b32 exec_lo, exec_lo, s16
	s_branch .LBB925_126
.LBB925_134:
	s_mov_b32 s15, exec_lo
	v_cmpx_gt_i16_e32 2, v10
	s_cbranch_execz .LBB925_139
; %bb.135:
	s_mov_b32 s17, 0
	s_mov_b32 s16, exec_lo
	v_cmpx_ne_u16_e32 1, v10
	s_xor_b32 s16, exec_lo, s16
	s_cbranch_execnz .LBB925_196
; %bb.136:
	s_and_not1_saveexec_b32 s0, s16
	s_cbranch_execnz .LBB925_212
.LBB925_137:
	s_or_b32 exec_lo, exec_lo, s0
	s_delay_alu instid0(SALU_CYCLE_1)
	s_and_b32 exec_lo, exec_lo, s17
.LBB925_138:
	v_sub_nc_u32_e32 v7, v24, v7
	s_delay_alu instid0(VALU_DEP_1)
	v_lshlrev_b32_e32 v7, 2, v7
	ds_store_b32 v7, v25
.LBB925_139:
	s_or_b32 exec_lo, exec_lo, s15
	s_delay_alu instid0(SALU_CYCLE_1)
	s_mov_b32 s0, exec_lo
	s_wait_storecnt_dscnt 0x0
	s_barrier_signal -1
	s_barrier_wait -1
	v_cmpx_lt_u32_e64 v0, v1
	s_cbranch_execz .LBB925_142
; %bb.140:
	v_dual_lshlrev_b32 v7, 2, v0 :: v_dual_mov_b32 v11, 0
	v_mov_b32_e32 v12, v0
	s_mov_b32 s1, 0
.LBB925_141:                            ; =>This Inner Loop Header: Depth=1
	ds_load_b32 v10, v7
	v_readfirstlane_b32 s2, v4
	v_readfirstlane_b32 s3, v5
	v_add_nc_u32_e32 v7, 0x400, v7
	s_wait_dscnt 0x0
	global_store_b64 v12, v[10:11], s[2:3] scale_offset
	s_wait_xcnt 0x0
	v_add_nc_u32_e32 v12, 0x100, v12
	s_delay_alu instid0(VALU_DEP_1) | instskip(SKIP_1) | instid1(SALU_CYCLE_1)
	v_cmp_ge_u32_e32 vcc_lo, v12, v1
	s_or_b32 s1, vcc_lo, s1
	s_and_not1_b32 exec_lo, exec_lo, s1
	s_cbranch_execnz .LBB925_141
.LBB925_142:
	s_or_b32 exec_lo, exec_lo, s0
	v_cmp_eq_u32_e32 vcc_lo, 0xff, v0
	s_and_b32 s0, vcc_lo, s33
	s_delay_alu instid0(SALU_CYCLE_1)
	s_and_saveexec_b32 s1, s0
	s_cbranch_execz .LBB925_127
.LBB925_143:
	v_mov_b32_e32 v7, 0
	s_cmp_lg_u32 s39, 0xf00
	s_delay_alu instid0(VALU_DEP_1) | instskip(NEXT) | instid1(VALU_DEP_1)
	v_add_nc_u64_e32 v[0:1], v[6:7], v[8:9]
	v_add_nc_u64_e32 v[0:1], v[0:1], v[20:21]
	global_store_b64 v7, v[0:1], s[34:35]
	s_cbranch_scc1 .LBB925_127
; %bb.144:
	s_wait_xcnt 0x0
	v_lshlrev_b64_e32 v[0:1], 3, v[6:7]
	v_mov_b32_e32 v19, v7
	s_delay_alu instid0(VALU_DEP_2)
	v_add_nc_u64_e32 v[0:1], v[2:3], v[0:1]
	global_store_b64 v[0:1], v[18:19], off offset:-8
	s_sendmsg sendmsg(MSG_DEALLOC_VGPRS)
	s_endpgm
.LBB925_145:
	s_and_saveexec_b32 s17, s14
	s_cbranch_execnz .LBB925_213
; %bb.146:
	s_or_b32 exec_lo, exec_lo, s17
	s_and_saveexec_b32 s17, s13
	s_cbranch_execnz .LBB925_214
.LBB925_147:
	s_or_b32 exec_lo, exec_lo, s17
	s_and_saveexec_b32 s17, s12
	s_cbranch_execnz .LBB925_215
.LBB925_148:
	s_or_b32 exec_lo, exec_lo, s17
	s_and_saveexec_b32 s17, s11
	s_cbranch_execnz .LBB925_216
.LBB925_149:
	s_or_b32 exec_lo, exec_lo, s17
	s_and_saveexec_b32 s17, s10
	s_cbranch_execnz .LBB925_217
.LBB925_150:
	s_or_b32 exec_lo, exec_lo, s17
	s_and_saveexec_b32 s17, s9
	s_cbranch_execnz .LBB925_218
.LBB925_151:
	s_or_b32 exec_lo, exec_lo, s17
	s_and_saveexec_b32 s17, s8
	s_cbranch_execnz .LBB925_219
.LBB925_152:
	s_or_b32 exec_lo, exec_lo, s17
	s_and_saveexec_b32 s17, s7
	s_cbranch_execnz .LBB925_220
.LBB925_153:
	s_or_b32 exec_lo, exec_lo, s17
	s_and_saveexec_b32 s17, s6
	s_cbranch_execnz .LBB925_221
.LBB925_154:
	s_or_b32 exec_lo, exec_lo, s17
	s_and_saveexec_b32 s17, s5
	s_cbranch_execnz .LBB925_222
.LBB925_155:
	s_or_b32 exec_lo, exec_lo, s17
	s_and_saveexec_b32 s17, s4
	s_cbranch_execnz .LBB925_223
.LBB925_156:
	s_or_b32 exec_lo, exec_lo, s17
	s_and_saveexec_b32 s17, s3
	s_cbranch_execnz .LBB925_224
.LBB925_157:
	s_or_b32 exec_lo, exec_lo, s17
	s_and_saveexec_b32 s17, s2
	s_cbranch_execnz .LBB925_225
.LBB925_158:
	s_or_b32 exec_lo, exec_lo, s17
	s_and_saveexec_b32 s17, s1
	s_cbranch_execz .LBB925_160
.LBB925_159:
	v_sub_nc_u32_e32 v10, v32, v8
	v_readfirstlane_b32 s18, v22
	v_readfirstlane_b32 s19, v23
	global_store_b16 v10, v16, s[18:19] scale_offset
.LBB925_160:
	s_wait_xcnt 0x0
	s_or_b32 exec_lo, exec_lo, s17
	s_delay_alu instid0(SALU_CYCLE_1)
	s_and_b32 s17, s0, exec_lo
	s_and_not1_saveexec_b32 s15, s15
	s_cbranch_execz .LBB925_99
.LBB925_161:
	v_dual_sub_nc_u32 v10, v58, v8 :: v_dual_sub_nc_u32 v12, v60, v8
	v_readfirstlane_b32 s18, v22
	v_readfirstlane_b32 s19, v23
	v_dual_sub_nc_u32 v11, v62, v8 :: v_dual_sub_nc_u32 v13, v56, v8
	s_clause 0x2
	global_store_b16 v10, v78, s[18:19] scale_offset
	global_store_b16 v11, v2, s[18:19] scale_offset
	;; [unrolled: 1-line block ×3, first 2 shown]
	s_wait_xcnt 0x2
	v_sub_nc_u32_e32 v10, v46, v8
	s_wait_xcnt 0x1
	v_sub_nc_u32_e32 v11, v42, v8
	;; [unrolled: 2-line block ×3, first 2 shown]
	global_store_b16 v13, v3, s[18:19] scale_offset
	s_wait_xcnt 0x0
	v_sub_nc_u32_e32 v13, v44, v8
	global_store_b16 v10, v82, s[18:19] scale_offset
	s_wait_xcnt 0x0
	v_sub_nc_u32_e32 v10, v48, v8
	s_clause 0x2
	global_store_b16 v11, v4, s[18:19] scale_offset
	global_store_b16 v12, v81, s[18:19] scale_offset
	;; [unrolled: 1-line block ×3, first 2 shown]
	s_wait_xcnt 0x2
	v_sub_nc_u32_e32 v11, v26, v8
	s_wait_xcnt 0x0
	v_dual_sub_nc_u32 v12, v34, v8 :: v_dual_sub_nc_u32 v13, v40, v8
	global_store_b16 v10, v80, s[18:19] scale_offset
	s_wait_xcnt 0x0
	v_sub_nc_u32_e32 v10, v30, v8
	global_store_b16 v11, v14, s[18:19] scale_offset
	s_wait_xcnt 0x0
	v_sub_nc_u32_e32 v11, v32, v8
	s_or_b32 s17, s17, exec_lo
	s_clause 0x3
	global_store_b16 v10, v79, s[18:19] scale_offset
	global_store_b16 v12, v15, s[18:19] scale_offset
	;; [unrolled: 1-line block ×4, first 2 shown]
	s_wait_xcnt 0x0
	s_or_b32 exec_lo, exec_lo, s15
	s_delay_alu instid0(SALU_CYCLE_1)
	s_and_b32 exec_lo, exec_lo, s17
	s_cbranch_execnz .LBB925_100
	s_branch .LBB925_101
.LBB925_162:
	s_and_saveexec_b32 s17, s14
	s_cbranch_execnz .LBB925_226
; %bb.163:
	s_or_b32 exec_lo, exec_lo, s17
	s_and_saveexec_b32 s14, s13
	s_cbranch_execnz .LBB925_227
.LBB925_164:
	s_or_b32 exec_lo, exec_lo, s14
	s_and_saveexec_b32 s13, s12
	s_cbranch_execnz .LBB925_228
.LBB925_165:
	s_or_b32 exec_lo, exec_lo, s13
	s_and_saveexec_b32 s12, s11
	s_cbranch_execnz .LBB925_229
.LBB925_166:
	s_or_b32 exec_lo, exec_lo, s12
	s_and_saveexec_b32 s11, s10
	s_cbranch_execnz .LBB925_230
.LBB925_167:
	s_or_b32 exec_lo, exec_lo, s11
	s_and_saveexec_b32 s10, s9
	s_cbranch_execnz .LBB925_231
.LBB925_168:
	s_or_b32 exec_lo, exec_lo, s10
	s_and_saveexec_b32 s9, s8
	s_cbranch_execnz .LBB925_232
.LBB925_169:
	s_or_b32 exec_lo, exec_lo, s9
	s_and_saveexec_b32 s8, s7
	s_cbranch_execnz .LBB925_233
.LBB925_170:
	s_or_b32 exec_lo, exec_lo, s8
	s_and_saveexec_b32 s7, s6
	s_cbranch_execnz .LBB925_234
.LBB925_171:
	s_or_b32 exec_lo, exec_lo, s7
	s_and_saveexec_b32 s6, s5
	s_cbranch_execnz .LBB925_235
.LBB925_172:
	s_or_b32 exec_lo, exec_lo, s6
	s_and_saveexec_b32 s5, s4
	s_cbranch_execnz .LBB925_236
.LBB925_173:
	s_or_b32 exec_lo, exec_lo, s5
	s_and_saveexec_b32 s4, s3
	s_cbranch_execnz .LBB925_237
.LBB925_174:
	s_or_b32 exec_lo, exec_lo, s4
	s_and_saveexec_b32 s3, s2
	s_cbranch_execnz .LBB925_238
.LBB925_175:
	s_or_b32 exec_lo, exec_lo, s3
	s_and_saveexec_b32 s2, s1
.LBB925_176:
	v_sub_nc_u32_e32 v2, v32, v8
	s_delay_alu instid0(VALU_DEP_1)
	v_lshlrev_b32_e32 v2, 1, v2
	ds_store_b16 v2, v16
.LBB925_177:
	s_or_b32 exec_lo, exec_lo, s2
	s_delay_alu instid0(SALU_CYCLE_1)
	s_and_b32 s17, s0, exec_lo
                                        ; implicit-def: $vgpr2
                                        ; implicit-def: $vgpr14
                                        ; implicit-def: $vgpr78
                                        ; implicit-def: $vgpr83
                                        ; implicit-def: $vgpr82
                                        ; implicit-def: $vgpr81
                                        ; implicit-def: $vgpr80
                                        ; implicit-def: $vgpr79
                                        ; implicit-def: $vgpr77
	s_and_not1_saveexec_b32 s0, s16
	s_cbranch_execz .LBB925_106
.LBB925_178:
	v_dual_sub_nc_u32 v7, v58, v8 :: v_dual_sub_nc_u32 v11, v60, v8
	v_dual_sub_nc_u32 v10, v62, v8 :: v_dual_sub_nc_u32 v12, v56, v8
	s_or_b32 s17, s17, exec_lo
	s_delay_alu instid0(VALU_DEP_2) | instskip(NEXT) | instid1(VALU_DEP_2)
	v_lshlrev_b32_e32 v7, 1, v7
	v_dual_lshlrev_b32 v11, 1, v11 :: v_dual_lshlrev_b32 v10, 1, v10
	s_delay_alu instid0(VALU_DEP_3)
	v_lshlrev_b32_e32 v12, 1, v12
	ds_store_b16 v7, v78
	ds_store_b16 v10, v2
	;; [unrolled: 1-line block ×3, first 2 shown]
	v_dual_sub_nc_u32 v2, v46, v8 :: v_dual_sub_nc_u32 v10, v44, v8
	ds_store_b16 v12, v3
	v_sub_nc_u32_e32 v3, v42, v8
	v_dual_sub_nc_u32 v7, v38, v8 :: v_dual_sub_nc_u32 v11, v48, v8
	v_lshlrev_b32_e32 v2, 1, v2
	s_delay_alu instid0(VALU_DEP_3) | instskip(NEXT) | instid1(VALU_DEP_3)
	v_dual_lshlrev_b32 v10, 1, v10 :: v_dual_lshlrev_b32 v3, 1, v3
	v_lshlrev_b32_e32 v7, 1, v7
	ds_store_b16 v2, v82
	v_lshlrev_b32_e32 v2, 1, v11
	ds_store_b16 v3, v4
	ds_store_b16 v7, v81
	;; [unrolled: 1-line block ×3, first 2 shown]
	v_sub_nc_u32_e32 v3, v26, v8
	v_dual_sub_nc_u32 v4, v34, v8 :: v_dual_sub_nc_u32 v5, v40, v8
	ds_store_b16 v2, v80
	v_dual_sub_nc_u32 v2, v30, v8 :: v_dual_lshlrev_b32 v3, 1, v3
	v_dual_sub_nc_u32 v7, v32, v8 :: v_dual_lshlrev_b32 v5, 1, v5
	s_delay_alu instid0(VALU_DEP_2)
	v_dual_lshlrev_b32 v4, 1, v4 :: v_dual_lshlrev_b32 v2, 1, v2
	ds_store_b16 v3, v14
	v_lshlrev_b32_e32 v3, 1, v7
	ds_store_b16 v2, v79
	ds_store_b16 v4, v15
	;; [unrolled: 1-line block ×4, first 2 shown]
	s_or_b32 exec_lo, exec_lo, s0
	s_delay_alu instid0(SALU_CYCLE_1)
	s_and_b32 exec_lo, exec_lo, s17
	s_cbranch_execnz .LBB925_107
	s_branch .LBB925_108
.LBB925_179:
	s_and_saveexec_b32 s17, s14
	s_cbranch_execnz .LBB925_239
; %bb.180:
	s_or_b32 exec_lo, exec_lo, s17
	s_and_saveexec_b32 s17, s13
	s_cbranch_execnz .LBB925_240
.LBB925_181:
	s_or_b32 exec_lo, exec_lo, s17
	s_and_saveexec_b32 s17, s12
	s_cbranch_execnz .LBB925_241
.LBB925_182:
	s_or_b32 exec_lo, exec_lo, s17
	s_and_saveexec_b32 s17, s11
	s_cbranch_execnz .LBB925_242
.LBB925_183:
	s_or_b32 exec_lo, exec_lo, s17
	s_and_saveexec_b32 s17, s10
	s_cbranch_execnz .LBB925_243
.LBB925_184:
	s_or_b32 exec_lo, exec_lo, s17
	s_and_saveexec_b32 s17, s9
	s_cbranch_execnz .LBB925_244
.LBB925_185:
	s_or_b32 exec_lo, exec_lo, s17
	s_and_saveexec_b32 s17, s8
	s_cbranch_execnz .LBB925_245
.LBB925_186:
	s_or_b32 exec_lo, exec_lo, s17
	s_and_saveexec_b32 s17, s7
	s_cbranch_execnz .LBB925_246
.LBB925_187:
	s_or_b32 exec_lo, exec_lo, s17
	s_and_saveexec_b32 s17, s6
	s_cbranch_execnz .LBB925_247
.LBB925_188:
	s_or_b32 exec_lo, exec_lo, s17
	s_and_saveexec_b32 s17, s5
	s_cbranch_execnz .LBB925_248
.LBB925_189:
	s_or_b32 exec_lo, exec_lo, s17
	s_and_saveexec_b32 s17, s4
	s_cbranch_execnz .LBB925_249
.LBB925_190:
	s_or_b32 exec_lo, exec_lo, s17
	s_and_saveexec_b32 s17, s3
	s_cbranch_execnz .LBB925_250
.LBB925_191:
	s_or_b32 exec_lo, exec_lo, s17
	s_and_saveexec_b32 s17, s2
	s_cbranch_execnz .LBB925_251
.LBB925_192:
	s_or_b32 exec_lo, exec_lo, s17
	s_and_saveexec_b32 s17, s1
	s_cbranch_execz .LBB925_194
.LBB925_193:
	v_dual_sub_nc_u32 v11, v32, v7 :: v_dual_mov_b32 v13, 0
	v_mov_b32_e32 v12, v33
	v_readfirstlane_b32 s18, v4
	v_readfirstlane_b32 s19, v5
	global_store_b64 v11, v[12:13], s[18:19] scale_offset
.LBB925_194:
	s_wait_xcnt 0x0
	s_or_b32 exec_lo, exec_lo, s17
	s_delay_alu instid0(SALU_CYCLE_1)
	s_and_b32 s17, s0, exec_lo
	s_and_not1_saveexec_b32 s15, s15
	s_cbranch_execz .LBB925_131
.LBB925_195:
	v_dual_mov_b32 v13, 0 :: v_dual_mov_b32 v12, v59
	v_sub_nc_u32_e32 v11, v58, v7
	v_readfirstlane_b32 s18, v4
	v_readfirstlane_b32 s19, v5
	v_sub_nc_u32_e32 v14, v60, v7
	s_or_b32 s17, s17, exec_lo
	global_store_b64 v11, v[12:13], s[18:19] scale_offset
	s_wait_xcnt 0x0
	v_dual_mov_b32 v12, v63 :: v_dual_sub_nc_u32 v11, v62, v7
	global_store_b64 v11, v[12:13], s[18:19] scale_offset
	s_wait_xcnt 0x0
	v_dual_mov_b32 v12, v61 :: v_dual_sub_nc_u32 v11, v56, v7
	global_store_b64 v14, v[12:13], s[18:19] scale_offset
	s_wait_xcnt 0x0
	v_dual_mov_b32 v12, v57 :: v_dual_sub_nc_u32 v14, v46, v7
	global_store_b64 v11, v[12:13], s[18:19] scale_offset
	s_wait_xcnt 0x0
	v_dual_mov_b32 v12, v47 :: v_dual_sub_nc_u32 v11, v42, v7
	global_store_b64 v14, v[12:13], s[18:19] scale_offset
	s_wait_xcnt 0x0
	v_dual_mov_b32 v12, v43 :: v_dual_sub_nc_u32 v14, v38, v7
	global_store_b64 v11, v[12:13], s[18:19] scale_offset
	s_wait_xcnt 0x0
	v_dual_mov_b32 v12, v39 :: v_dual_sub_nc_u32 v11, v44, v7
	global_store_b64 v14, v[12:13], s[18:19] scale_offset
	s_wait_xcnt 0x0
	v_dual_mov_b32 v12, v45 :: v_dual_sub_nc_u32 v14, v48, v7
	global_store_b64 v11, v[12:13], s[18:19] scale_offset
	s_wait_xcnt 0x0
	v_dual_mov_b32 v12, v49 :: v_dual_sub_nc_u32 v11, v26, v7
	global_store_b64 v14, v[12:13], s[18:19] scale_offset
	s_wait_xcnt 0x0
	v_dual_mov_b32 v12, v27 :: v_dual_sub_nc_u32 v14, v30, v7
	global_store_b64 v11, v[12:13], s[18:19] scale_offset
	s_wait_xcnt 0x0
	v_dual_mov_b32 v12, v31 :: v_dual_sub_nc_u32 v11, v34, v7
	global_store_b64 v14, v[12:13], s[18:19] scale_offset
	s_wait_xcnt 0x0
	v_dual_mov_b32 v12, v35 :: v_dual_sub_nc_u32 v14, v40, v7
	global_store_b64 v11, v[12:13], s[18:19] scale_offset
	s_wait_xcnt 0x0
	v_dual_mov_b32 v12, v41 :: v_dual_sub_nc_u32 v11, v32, v7
	global_store_b64 v14, v[12:13], s[18:19] scale_offset
	s_wait_xcnt 0x0
	v_mov_b32_e32 v12, v33
	global_store_b64 v11, v[12:13], s[18:19] scale_offset
	s_wait_xcnt 0x0
	s_or_b32 exec_lo, exec_lo, s15
	s_delay_alu instid0(SALU_CYCLE_1)
	s_and_b32 exec_lo, exec_lo, s17
	s_cbranch_execnz .LBB925_132
	s_branch .LBB925_133
.LBB925_196:
	s_and_saveexec_b32 s17, s14
	s_cbranch_execnz .LBB925_252
; %bb.197:
	s_or_b32 exec_lo, exec_lo, s17
	s_and_saveexec_b32 s14, s13
	s_cbranch_execnz .LBB925_253
.LBB925_198:
	s_or_b32 exec_lo, exec_lo, s14
	s_and_saveexec_b32 s13, s12
	s_cbranch_execnz .LBB925_254
.LBB925_199:
	s_or_b32 exec_lo, exec_lo, s13
	s_and_saveexec_b32 s12, s11
	s_cbranch_execnz .LBB925_255
.LBB925_200:
	s_or_b32 exec_lo, exec_lo, s12
	s_and_saveexec_b32 s11, s10
	s_cbranch_execnz .LBB925_256
.LBB925_201:
	s_or_b32 exec_lo, exec_lo, s11
	s_and_saveexec_b32 s10, s9
	s_cbranch_execnz .LBB925_257
.LBB925_202:
	s_or_b32 exec_lo, exec_lo, s10
	s_and_saveexec_b32 s9, s8
	s_cbranch_execnz .LBB925_258
.LBB925_203:
	s_or_b32 exec_lo, exec_lo, s9
	s_and_saveexec_b32 s8, s7
	s_cbranch_execnz .LBB925_259
.LBB925_204:
	s_or_b32 exec_lo, exec_lo, s8
	s_and_saveexec_b32 s7, s6
	s_cbranch_execnz .LBB925_260
.LBB925_205:
	s_or_b32 exec_lo, exec_lo, s7
	s_and_saveexec_b32 s6, s5
	s_cbranch_execnz .LBB925_261
.LBB925_206:
	s_or_b32 exec_lo, exec_lo, s6
	s_and_saveexec_b32 s5, s4
	s_cbranch_execnz .LBB925_262
.LBB925_207:
	s_or_b32 exec_lo, exec_lo, s5
	s_and_saveexec_b32 s4, s3
	s_cbranch_execnz .LBB925_263
.LBB925_208:
	s_or_b32 exec_lo, exec_lo, s4
	s_and_saveexec_b32 s3, s2
	s_cbranch_execnz .LBB925_264
.LBB925_209:
	s_or_b32 exec_lo, exec_lo, s3
	s_and_saveexec_b32 s2, s1
.LBB925_210:
	v_sub_nc_u32_e32 v10, v32, v7
	s_delay_alu instid0(VALU_DEP_1)
	v_lshlrev_b32_e32 v10, 2, v10
	ds_store_b32 v10, v33
.LBB925_211:
	s_or_b32 exec_lo, exec_lo, s2
	s_delay_alu instid0(SALU_CYCLE_1)
	s_and_b32 s17, s0, exec_lo
                                        ; implicit-def: $vgpr32_vgpr33
                                        ; implicit-def: $vgpr40_vgpr41
                                        ; implicit-def: $vgpr34_vgpr35
                                        ; implicit-def: $vgpr58_vgpr59
                                        ; implicit-def: $vgpr62_vgpr63
                                        ; implicit-def: $vgpr60_vgpr61
                                        ; implicit-def: $vgpr56_vgpr57
                                        ; implicit-def: $vgpr46_vgpr47
                                        ; implicit-def: $vgpr42_vgpr43
                                        ; implicit-def: $vgpr38_vgpr39
                                        ; implicit-def: $vgpr44_vgpr45
                                        ; implicit-def: $vgpr48_vgpr49
                                        ; implicit-def: $vgpr26_vgpr27
                                        ; implicit-def: $vgpr30_vgpr31
	s_and_not1_saveexec_b32 s0, s16
	s_cbranch_execz .LBB925_137
.LBB925_212:
	v_dual_sub_nc_u32 v10, v58, v7 :: v_dual_sub_nc_u32 v12, v60, v7
	v_dual_sub_nc_u32 v11, v62, v7 :: v_dual_sub_nc_u32 v13, v56, v7
	s_or_b32 s17, s17, exec_lo
	s_delay_alu instid0(VALU_DEP_2) | instskip(NEXT) | instid1(VALU_DEP_2)
	v_dual_lshlrev_b32 v10, 2, v10 :: v_dual_lshlrev_b32 v12, 2, v12
	v_dual_lshlrev_b32 v11, 2, v11 :: v_dual_lshlrev_b32 v13, 2, v13
	ds_store_b32 v10, v59
	ds_store_b32 v11, v63
	;; [unrolled: 1-line block ×3, first 2 shown]
	v_sub_nc_u32_e32 v10, v46, v7
	ds_store_b32 v13, v57
	v_dual_sub_nc_u32 v12, v38, v7 :: v_dual_sub_nc_u32 v14, v48, v7
	v_dual_sub_nc_u32 v13, v44, v7 :: v_dual_sub_nc_u32 v11, v42, v7
	s_delay_alu instid0(VALU_DEP_2) | instskip(NEXT) | instid1(VALU_DEP_2)
	v_dual_lshlrev_b32 v10, 2, v10 :: v_dual_lshlrev_b32 v12, 2, v12
	v_dual_lshlrev_b32 v13, 2, v13 :: v_dual_lshlrev_b32 v11, 2, v11
	ds_store_b32 v10, v47
	v_lshlrev_b32_e32 v10, 2, v14
	ds_store_b32 v11, v43
	ds_store_b32 v12, v39
	;; [unrolled: 1-line block ×3, first 2 shown]
	v_dual_sub_nc_u32 v11, v26, v7 :: v_dual_sub_nc_u32 v13, v40, v7
	ds_store_b32 v10, v49
	v_dual_sub_nc_u32 v10, v30, v7 :: v_dual_sub_nc_u32 v14, v32, v7
	v_dual_sub_nc_u32 v12, v34, v7 :: v_dual_lshlrev_b32 v13, 2, v13
	s_delay_alu instid0(VALU_DEP_2) | instskip(NEXT) | instid1(VALU_DEP_2)
	v_dual_lshlrev_b32 v10, 2, v10 :: v_dual_lshlrev_b32 v11, 2, v11
	v_lshlrev_b32_e32 v12, 2, v12
	ds_store_b32 v11, v27
	v_lshlrev_b32_e32 v11, 2, v14
	ds_store_b32 v10, v31
	ds_store_b32 v12, v35
	;; [unrolled: 1-line block ×4, first 2 shown]
	s_or_b32 exec_lo, exec_lo, s0
	s_delay_alu instid0(SALU_CYCLE_1)
	s_and_b32 exec_lo, exec_lo, s17
	s_cbranch_execnz .LBB925_138
	s_branch .LBB925_139
.LBB925_213:
	v_sub_nc_u32_e32 v10, v58, v8
	v_readfirstlane_b32 s18, v22
	v_readfirstlane_b32 s19, v23
	global_store_b16 v10, v78, s[18:19] scale_offset
	s_wait_xcnt 0x0
	s_or_b32 exec_lo, exec_lo, s17
	s_and_saveexec_b32 s17, s13
	s_cbranch_execz .LBB925_147
.LBB925_214:
	v_sub_nc_u32_e32 v10, v62, v8
	v_readfirstlane_b32 s18, v22
	v_readfirstlane_b32 s19, v23
	global_store_b16 v10, v2, s[18:19] scale_offset
	s_wait_xcnt 0x0
	s_or_b32 exec_lo, exec_lo, s17
	s_and_saveexec_b32 s17, s12
	s_cbranch_execz .LBB925_148
.LBB925_215:
	v_sub_nc_u32_e32 v10, v60, v8
	v_readfirstlane_b32 s18, v22
	v_readfirstlane_b32 s19, v23
	global_store_b16 v10, v83, s[18:19] scale_offset
	s_wait_xcnt 0x0
	s_or_b32 exec_lo, exec_lo, s17
	s_and_saveexec_b32 s17, s11
	s_cbranch_execz .LBB925_149
.LBB925_216:
	v_sub_nc_u32_e32 v10, v56, v8
	v_readfirstlane_b32 s18, v22
	v_readfirstlane_b32 s19, v23
	global_store_b16 v10, v3, s[18:19] scale_offset
	s_wait_xcnt 0x0
	s_or_b32 exec_lo, exec_lo, s17
	s_and_saveexec_b32 s17, s10
	s_cbranch_execz .LBB925_150
.LBB925_217:
	v_sub_nc_u32_e32 v10, v46, v8
	v_readfirstlane_b32 s18, v22
	v_readfirstlane_b32 s19, v23
	global_store_b16 v10, v82, s[18:19] scale_offset
	s_wait_xcnt 0x0
	s_or_b32 exec_lo, exec_lo, s17
	s_and_saveexec_b32 s17, s9
	s_cbranch_execz .LBB925_151
.LBB925_218:
	v_sub_nc_u32_e32 v10, v42, v8
	v_readfirstlane_b32 s18, v22
	v_readfirstlane_b32 s19, v23
	global_store_b16 v10, v4, s[18:19] scale_offset
	s_wait_xcnt 0x0
	s_or_b32 exec_lo, exec_lo, s17
	s_and_saveexec_b32 s17, s8
	s_cbranch_execz .LBB925_152
.LBB925_219:
	v_sub_nc_u32_e32 v10, v38, v8
	v_readfirstlane_b32 s18, v22
	v_readfirstlane_b32 s19, v23
	global_store_b16 v10, v81, s[18:19] scale_offset
	s_wait_xcnt 0x0
	s_or_b32 exec_lo, exec_lo, s17
	s_and_saveexec_b32 s17, s7
	s_cbranch_execz .LBB925_153
.LBB925_220:
	v_sub_nc_u32_e32 v10, v44, v8
	v_readfirstlane_b32 s18, v22
	v_readfirstlane_b32 s19, v23
	global_store_b16 v10, v5, s[18:19] scale_offset
	s_wait_xcnt 0x0
	s_or_b32 exec_lo, exec_lo, s17
	s_and_saveexec_b32 s17, s6
	s_cbranch_execz .LBB925_154
.LBB925_221:
	v_sub_nc_u32_e32 v10, v48, v8
	v_readfirstlane_b32 s18, v22
	v_readfirstlane_b32 s19, v23
	global_store_b16 v10, v80, s[18:19] scale_offset
	s_wait_xcnt 0x0
	s_or_b32 exec_lo, exec_lo, s17
	s_and_saveexec_b32 s17, s5
	s_cbranch_execz .LBB925_155
.LBB925_222:
	v_sub_nc_u32_e32 v10, v26, v8
	v_readfirstlane_b32 s18, v22
	v_readfirstlane_b32 s19, v23
	global_store_b16 v10, v14, s[18:19] scale_offset
	s_wait_xcnt 0x0
	s_or_b32 exec_lo, exec_lo, s17
	s_and_saveexec_b32 s17, s4
	s_cbranch_execz .LBB925_156
.LBB925_223:
	v_sub_nc_u32_e32 v10, v30, v8
	v_readfirstlane_b32 s18, v22
	v_readfirstlane_b32 s19, v23
	global_store_b16 v10, v79, s[18:19] scale_offset
	s_wait_xcnt 0x0
	s_or_b32 exec_lo, exec_lo, s17
	s_and_saveexec_b32 s17, s3
	s_cbranch_execz .LBB925_157
.LBB925_224:
	v_sub_nc_u32_e32 v10, v34, v8
	v_readfirstlane_b32 s18, v22
	v_readfirstlane_b32 s19, v23
	global_store_b16 v10, v15, s[18:19] scale_offset
	s_wait_xcnt 0x0
	s_or_b32 exec_lo, exec_lo, s17
	s_and_saveexec_b32 s17, s2
	s_cbranch_execz .LBB925_158
.LBB925_225:
	v_sub_nc_u32_e32 v10, v40, v8
	v_readfirstlane_b32 s18, v22
	v_readfirstlane_b32 s19, v23
	global_store_b16 v10, v77, s[18:19] scale_offset
	s_wait_xcnt 0x0
	s_or_b32 exec_lo, exec_lo, s17
	s_and_saveexec_b32 s17, s1
	s_cbranch_execnz .LBB925_159
	s_branch .LBB925_160
.LBB925_226:
	v_sub_nc_u32_e32 v7, v58, v8
	s_delay_alu instid0(VALU_DEP_1)
	v_lshlrev_b32_e32 v7, 1, v7
	ds_store_b16 v7, v78
	s_or_b32 exec_lo, exec_lo, s17
	s_and_saveexec_b32 s14, s13
	s_cbranch_execz .LBB925_164
.LBB925_227:
	v_sub_nc_u32_e32 v7, v62, v8
	s_delay_alu instid0(VALU_DEP_1)
	v_lshlrev_b32_e32 v7, 1, v7
	ds_store_b16 v7, v2
	s_or_b32 exec_lo, exec_lo, s14
	s_and_saveexec_b32 s13, s12
	s_cbranch_execz .LBB925_165
.LBB925_228:
	v_sub_nc_u32_e32 v2, v60, v8
	s_delay_alu instid0(VALU_DEP_1)
	v_lshlrev_b32_e32 v2, 1, v2
	ds_store_b16 v2, v83
	s_or_b32 exec_lo, exec_lo, s13
	s_and_saveexec_b32 s12, s11
	s_cbranch_execz .LBB925_166
.LBB925_229:
	v_sub_nc_u32_e32 v2, v56, v8
	s_delay_alu instid0(VALU_DEP_1)
	v_lshlrev_b32_e32 v2, 1, v2
	ds_store_b16 v2, v3
	s_or_b32 exec_lo, exec_lo, s12
	s_and_saveexec_b32 s11, s10
	s_cbranch_execz .LBB925_167
.LBB925_230:
	v_sub_nc_u32_e32 v2, v46, v8
	s_delay_alu instid0(VALU_DEP_1)
	v_lshlrev_b32_e32 v2, 1, v2
	ds_store_b16 v2, v82
	s_or_b32 exec_lo, exec_lo, s11
	s_and_saveexec_b32 s10, s9
	s_cbranch_execz .LBB925_168
.LBB925_231:
	v_sub_nc_u32_e32 v2, v42, v8
	s_delay_alu instid0(VALU_DEP_1)
	v_lshlrev_b32_e32 v2, 1, v2
	ds_store_b16 v2, v4
	s_or_b32 exec_lo, exec_lo, s10
	s_and_saveexec_b32 s9, s8
	s_cbranch_execz .LBB925_169
.LBB925_232:
	v_sub_nc_u32_e32 v2, v38, v8
	s_delay_alu instid0(VALU_DEP_1)
	v_lshlrev_b32_e32 v2, 1, v2
	ds_store_b16 v2, v81
	s_or_b32 exec_lo, exec_lo, s9
	s_and_saveexec_b32 s8, s7
	s_cbranch_execz .LBB925_170
.LBB925_233:
	v_sub_nc_u32_e32 v2, v44, v8
	s_delay_alu instid0(VALU_DEP_1)
	v_lshlrev_b32_e32 v2, 1, v2
	ds_store_b16 v2, v5
	s_or_b32 exec_lo, exec_lo, s8
	s_and_saveexec_b32 s7, s6
	s_cbranch_execz .LBB925_171
.LBB925_234:
	v_sub_nc_u32_e32 v2, v48, v8
	s_delay_alu instid0(VALU_DEP_1)
	v_lshlrev_b32_e32 v2, 1, v2
	ds_store_b16 v2, v80
	s_or_b32 exec_lo, exec_lo, s7
	s_and_saveexec_b32 s6, s5
	s_cbranch_execz .LBB925_172
.LBB925_235:
	v_sub_nc_u32_e32 v2, v26, v8
	s_delay_alu instid0(VALU_DEP_1)
	v_lshlrev_b32_e32 v2, 1, v2
	ds_store_b16 v2, v14
	s_or_b32 exec_lo, exec_lo, s6
	s_and_saveexec_b32 s5, s4
	s_cbranch_execz .LBB925_173
.LBB925_236:
	v_sub_nc_u32_e32 v2, v30, v8
	s_delay_alu instid0(VALU_DEP_1)
	v_lshlrev_b32_e32 v2, 1, v2
	ds_store_b16 v2, v79
	s_or_b32 exec_lo, exec_lo, s5
	s_and_saveexec_b32 s4, s3
	s_cbranch_execz .LBB925_174
.LBB925_237:
	v_sub_nc_u32_e32 v2, v34, v8
	s_delay_alu instid0(VALU_DEP_1)
	v_lshlrev_b32_e32 v2, 1, v2
	ds_store_b16 v2, v15
	s_or_b32 exec_lo, exec_lo, s4
	s_and_saveexec_b32 s3, s2
	s_cbranch_execz .LBB925_175
.LBB925_238:
	v_sub_nc_u32_e32 v2, v40, v8
	s_delay_alu instid0(VALU_DEP_1)
	v_lshlrev_b32_e32 v2, 1, v2
	ds_store_b16 v2, v77
	s_or_b32 exec_lo, exec_lo, s3
	s_and_saveexec_b32 s2, s1
	s_cbranch_execnz .LBB925_176
	s_branch .LBB925_177
.LBB925_239:
	v_dual_sub_nc_u32 v11, v58, v7 :: v_dual_mov_b32 v13, 0
	v_mov_b32_e32 v12, v59
	v_readfirstlane_b32 s18, v4
	v_readfirstlane_b32 s19, v5
	global_store_b64 v11, v[12:13], s[18:19] scale_offset
	s_wait_xcnt 0x0
	s_or_b32 exec_lo, exec_lo, s17
	s_and_saveexec_b32 s17, s13
	s_cbranch_execz .LBB925_181
.LBB925_240:
	v_dual_sub_nc_u32 v11, v62, v7 :: v_dual_mov_b32 v13, 0
	v_mov_b32_e32 v12, v63
	v_readfirstlane_b32 s18, v4
	v_readfirstlane_b32 s19, v5
	global_store_b64 v11, v[12:13], s[18:19] scale_offset
	s_wait_xcnt 0x0
	s_or_b32 exec_lo, exec_lo, s17
	s_and_saveexec_b32 s17, s12
	s_cbranch_execz .LBB925_182
.LBB925_241:
	v_dual_sub_nc_u32 v11, v60, v7 :: v_dual_mov_b32 v13, 0
	v_mov_b32_e32 v12, v61
	v_readfirstlane_b32 s18, v4
	v_readfirstlane_b32 s19, v5
	global_store_b64 v11, v[12:13], s[18:19] scale_offset
	s_wait_xcnt 0x0
	s_or_b32 exec_lo, exec_lo, s17
	s_and_saveexec_b32 s17, s11
	s_cbranch_execz .LBB925_183
.LBB925_242:
	v_dual_sub_nc_u32 v11, v56, v7 :: v_dual_mov_b32 v13, 0
	v_mov_b32_e32 v12, v57
	v_readfirstlane_b32 s18, v4
	v_readfirstlane_b32 s19, v5
	global_store_b64 v11, v[12:13], s[18:19] scale_offset
	s_wait_xcnt 0x0
	s_or_b32 exec_lo, exec_lo, s17
	s_and_saveexec_b32 s17, s10
	s_cbranch_execz .LBB925_184
.LBB925_243:
	v_dual_sub_nc_u32 v11, v46, v7 :: v_dual_mov_b32 v13, 0
	v_mov_b32_e32 v12, v47
	v_readfirstlane_b32 s18, v4
	v_readfirstlane_b32 s19, v5
	global_store_b64 v11, v[12:13], s[18:19] scale_offset
	s_wait_xcnt 0x0
	s_or_b32 exec_lo, exec_lo, s17
	s_and_saveexec_b32 s17, s9
	s_cbranch_execz .LBB925_185
.LBB925_244:
	v_dual_sub_nc_u32 v11, v42, v7 :: v_dual_mov_b32 v13, 0
	v_mov_b32_e32 v12, v43
	v_readfirstlane_b32 s18, v4
	v_readfirstlane_b32 s19, v5
	global_store_b64 v11, v[12:13], s[18:19] scale_offset
	s_wait_xcnt 0x0
	s_or_b32 exec_lo, exec_lo, s17
	s_and_saveexec_b32 s17, s8
	s_cbranch_execz .LBB925_186
.LBB925_245:
	v_dual_sub_nc_u32 v11, v38, v7 :: v_dual_mov_b32 v13, 0
	v_mov_b32_e32 v12, v39
	v_readfirstlane_b32 s18, v4
	v_readfirstlane_b32 s19, v5
	global_store_b64 v11, v[12:13], s[18:19] scale_offset
	s_wait_xcnt 0x0
	s_or_b32 exec_lo, exec_lo, s17
	s_and_saveexec_b32 s17, s7
	s_cbranch_execz .LBB925_187
.LBB925_246:
	v_dual_sub_nc_u32 v11, v44, v7 :: v_dual_mov_b32 v13, 0
	v_mov_b32_e32 v12, v45
	v_readfirstlane_b32 s18, v4
	v_readfirstlane_b32 s19, v5
	global_store_b64 v11, v[12:13], s[18:19] scale_offset
	s_wait_xcnt 0x0
	s_or_b32 exec_lo, exec_lo, s17
	s_and_saveexec_b32 s17, s6
	s_cbranch_execz .LBB925_188
.LBB925_247:
	v_dual_sub_nc_u32 v11, v48, v7 :: v_dual_mov_b32 v13, 0
	v_mov_b32_e32 v12, v49
	v_readfirstlane_b32 s18, v4
	v_readfirstlane_b32 s19, v5
	global_store_b64 v11, v[12:13], s[18:19] scale_offset
	s_wait_xcnt 0x0
	s_or_b32 exec_lo, exec_lo, s17
	s_and_saveexec_b32 s17, s5
	s_cbranch_execz .LBB925_189
.LBB925_248:
	v_dual_sub_nc_u32 v11, v26, v7 :: v_dual_mov_b32 v13, 0
	v_mov_b32_e32 v12, v27
	v_readfirstlane_b32 s18, v4
	v_readfirstlane_b32 s19, v5
	global_store_b64 v11, v[12:13], s[18:19] scale_offset
	s_wait_xcnt 0x0
	s_or_b32 exec_lo, exec_lo, s17
	s_and_saveexec_b32 s17, s4
	s_cbranch_execz .LBB925_190
.LBB925_249:
	v_dual_sub_nc_u32 v11, v30, v7 :: v_dual_mov_b32 v13, 0
	v_mov_b32_e32 v12, v31
	v_readfirstlane_b32 s18, v4
	v_readfirstlane_b32 s19, v5
	global_store_b64 v11, v[12:13], s[18:19] scale_offset
	s_wait_xcnt 0x0
	s_or_b32 exec_lo, exec_lo, s17
	s_and_saveexec_b32 s17, s3
	s_cbranch_execz .LBB925_191
.LBB925_250:
	v_dual_sub_nc_u32 v11, v34, v7 :: v_dual_mov_b32 v13, 0
	v_mov_b32_e32 v12, v35
	v_readfirstlane_b32 s18, v4
	v_readfirstlane_b32 s19, v5
	global_store_b64 v11, v[12:13], s[18:19] scale_offset
	s_wait_xcnt 0x0
	s_or_b32 exec_lo, exec_lo, s17
	s_and_saveexec_b32 s17, s2
	s_cbranch_execz .LBB925_192
.LBB925_251:
	v_dual_sub_nc_u32 v11, v40, v7 :: v_dual_mov_b32 v13, 0
	v_mov_b32_e32 v12, v41
	v_readfirstlane_b32 s18, v4
	v_readfirstlane_b32 s19, v5
	global_store_b64 v11, v[12:13], s[18:19] scale_offset
	s_wait_xcnt 0x0
	s_or_b32 exec_lo, exec_lo, s17
	s_and_saveexec_b32 s17, s1
	s_cbranch_execnz .LBB925_193
	s_branch .LBB925_194
.LBB925_252:
	v_sub_nc_u32_e32 v10, v58, v7
	s_delay_alu instid0(VALU_DEP_1)
	v_lshlrev_b32_e32 v10, 2, v10
	ds_store_b32 v10, v59
	s_or_b32 exec_lo, exec_lo, s17
	s_and_saveexec_b32 s14, s13
	s_cbranch_execz .LBB925_198
.LBB925_253:
	v_sub_nc_u32_e32 v10, v62, v7
	s_delay_alu instid0(VALU_DEP_1)
	v_lshlrev_b32_e32 v10, 2, v10
	ds_store_b32 v10, v63
	s_or_b32 exec_lo, exec_lo, s14
	s_and_saveexec_b32 s13, s12
	s_cbranch_execz .LBB925_199
.LBB925_254:
	v_sub_nc_u32_e32 v10, v60, v7
	s_delay_alu instid0(VALU_DEP_1)
	v_lshlrev_b32_e32 v10, 2, v10
	ds_store_b32 v10, v61
	s_or_b32 exec_lo, exec_lo, s13
	s_and_saveexec_b32 s12, s11
	s_cbranch_execz .LBB925_200
.LBB925_255:
	v_sub_nc_u32_e32 v10, v56, v7
	s_delay_alu instid0(VALU_DEP_1)
	v_lshlrev_b32_e32 v10, 2, v10
	ds_store_b32 v10, v57
	s_or_b32 exec_lo, exec_lo, s12
	s_and_saveexec_b32 s11, s10
	s_cbranch_execz .LBB925_201
.LBB925_256:
	v_sub_nc_u32_e32 v10, v46, v7
	s_delay_alu instid0(VALU_DEP_1)
	v_lshlrev_b32_e32 v10, 2, v10
	ds_store_b32 v10, v47
	s_or_b32 exec_lo, exec_lo, s11
	s_and_saveexec_b32 s10, s9
	s_cbranch_execz .LBB925_202
.LBB925_257:
	v_sub_nc_u32_e32 v10, v42, v7
	s_delay_alu instid0(VALU_DEP_1)
	v_lshlrev_b32_e32 v10, 2, v10
	ds_store_b32 v10, v43
	s_or_b32 exec_lo, exec_lo, s10
	s_and_saveexec_b32 s9, s8
	s_cbranch_execz .LBB925_203
.LBB925_258:
	v_sub_nc_u32_e32 v10, v38, v7
	s_delay_alu instid0(VALU_DEP_1)
	v_lshlrev_b32_e32 v10, 2, v10
	ds_store_b32 v10, v39
	s_or_b32 exec_lo, exec_lo, s9
	s_and_saveexec_b32 s8, s7
	s_cbranch_execz .LBB925_204
.LBB925_259:
	v_sub_nc_u32_e32 v10, v44, v7
	s_delay_alu instid0(VALU_DEP_1)
	v_lshlrev_b32_e32 v10, 2, v10
	ds_store_b32 v10, v45
	s_or_b32 exec_lo, exec_lo, s8
	s_and_saveexec_b32 s7, s6
	s_cbranch_execz .LBB925_205
.LBB925_260:
	v_sub_nc_u32_e32 v10, v48, v7
	s_delay_alu instid0(VALU_DEP_1)
	v_lshlrev_b32_e32 v10, 2, v10
	ds_store_b32 v10, v49
	s_or_b32 exec_lo, exec_lo, s7
	s_and_saveexec_b32 s6, s5
	s_cbranch_execz .LBB925_206
.LBB925_261:
	v_sub_nc_u32_e32 v10, v26, v7
	s_delay_alu instid0(VALU_DEP_1)
	v_lshlrev_b32_e32 v10, 2, v10
	ds_store_b32 v10, v27
	s_or_b32 exec_lo, exec_lo, s6
	s_and_saveexec_b32 s5, s4
	s_cbranch_execz .LBB925_207
.LBB925_262:
	v_sub_nc_u32_e32 v10, v30, v7
	s_delay_alu instid0(VALU_DEP_1)
	v_lshlrev_b32_e32 v10, 2, v10
	ds_store_b32 v10, v31
	s_or_b32 exec_lo, exec_lo, s5
	s_and_saveexec_b32 s4, s3
	s_cbranch_execz .LBB925_208
.LBB925_263:
	v_sub_nc_u32_e32 v10, v34, v7
	s_delay_alu instid0(VALU_DEP_1)
	v_lshlrev_b32_e32 v10, 2, v10
	ds_store_b32 v10, v35
	s_or_b32 exec_lo, exec_lo, s4
	s_and_saveexec_b32 s3, s2
	s_cbranch_execz .LBB925_209
.LBB925_264:
	v_sub_nc_u32_e32 v10, v40, v7
	s_delay_alu instid0(VALU_DEP_1)
	v_lshlrev_b32_e32 v10, 2, v10
	ds_store_b32 v10, v41
	s_or_b32 exec_lo, exec_lo, s3
	s_and_saveexec_b32 s2, s1
	s_cbranch_execnz .LBB925_210
	s_branch .LBB925_211
	.section	.rodata,"a",@progbits
	.p2align	6, 0x0
	.amdhsa_kernel _ZN7rocprim17ROCPRIM_400000_NS6detail17trampoline_kernelINS0_14default_configENS1_33run_length_encode_config_selectorIN3c104HalfEjNS0_4plusIjEEEEZZNS1_33reduce_by_key_impl_wrapped_configILNS1_25lookback_scan_determinismE0ES3_S9_PKS6_NS0_17constant_iteratorIjlEEPS6_PlSH_S8_NS0_8equal_toIS6_EEEE10hipError_tPvRmT2_T3_mT4_T5_T6_T7_T8_P12ihipStream_tbENKUlT_T0_E_clISt17integral_constantIbLb0EES11_EEDaSW_SX_EUlSW_E_NS1_11comp_targetILNS1_3genE0ELNS1_11target_archE4294967295ELNS1_3gpuE0ELNS1_3repE0EEENS1_30default_config_static_selectorELNS0_4arch9wavefront6targetE0EEEvT1_
		.amdhsa_group_segment_fixed_size 15360
		.amdhsa_private_segment_fixed_size 0
		.amdhsa_kernarg_size 128
		.amdhsa_user_sgpr_count 2
		.amdhsa_user_sgpr_dispatch_ptr 0
		.amdhsa_user_sgpr_queue_ptr 0
		.amdhsa_user_sgpr_kernarg_segment_ptr 1
		.amdhsa_user_sgpr_dispatch_id 0
		.amdhsa_user_sgpr_kernarg_preload_length 0
		.amdhsa_user_sgpr_kernarg_preload_offset 0
		.amdhsa_user_sgpr_private_segment_size 0
		.amdhsa_wavefront_size32 1
		.amdhsa_uses_dynamic_stack 0
		.amdhsa_enable_private_segment 0
		.amdhsa_system_sgpr_workgroup_id_x 1
		.amdhsa_system_sgpr_workgroup_id_y 0
		.amdhsa_system_sgpr_workgroup_id_z 0
		.amdhsa_system_sgpr_workgroup_info 0
		.amdhsa_system_vgpr_workitem_id 0
		.amdhsa_next_free_vgpr 108
		.amdhsa_next_free_sgpr 44
		.amdhsa_named_barrier_count 0
		.amdhsa_reserve_vcc 1
		.amdhsa_float_round_mode_32 0
		.amdhsa_float_round_mode_16_64 0
		.amdhsa_float_denorm_mode_32 3
		.amdhsa_float_denorm_mode_16_64 3
		.amdhsa_fp16_overflow 0
		.amdhsa_memory_ordered 1
		.amdhsa_forward_progress 1
		.amdhsa_inst_pref_size 126
		.amdhsa_round_robin_scheduling 0
		.amdhsa_exception_fp_ieee_invalid_op 0
		.amdhsa_exception_fp_denorm_src 0
		.amdhsa_exception_fp_ieee_div_zero 0
		.amdhsa_exception_fp_ieee_overflow 0
		.amdhsa_exception_fp_ieee_underflow 0
		.amdhsa_exception_fp_ieee_inexact 0
		.amdhsa_exception_int_div_zero 0
	.end_amdhsa_kernel
	.section	.text._ZN7rocprim17ROCPRIM_400000_NS6detail17trampoline_kernelINS0_14default_configENS1_33run_length_encode_config_selectorIN3c104HalfEjNS0_4plusIjEEEEZZNS1_33reduce_by_key_impl_wrapped_configILNS1_25lookback_scan_determinismE0ES3_S9_PKS6_NS0_17constant_iteratorIjlEEPS6_PlSH_S8_NS0_8equal_toIS6_EEEE10hipError_tPvRmT2_T3_mT4_T5_T6_T7_T8_P12ihipStream_tbENKUlT_T0_E_clISt17integral_constantIbLb0EES11_EEDaSW_SX_EUlSW_E_NS1_11comp_targetILNS1_3genE0ELNS1_11target_archE4294967295ELNS1_3gpuE0ELNS1_3repE0EEENS1_30default_config_static_selectorELNS0_4arch9wavefront6targetE0EEEvT1_,"axG",@progbits,_ZN7rocprim17ROCPRIM_400000_NS6detail17trampoline_kernelINS0_14default_configENS1_33run_length_encode_config_selectorIN3c104HalfEjNS0_4plusIjEEEEZZNS1_33reduce_by_key_impl_wrapped_configILNS1_25lookback_scan_determinismE0ES3_S9_PKS6_NS0_17constant_iteratorIjlEEPS6_PlSH_S8_NS0_8equal_toIS6_EEEE10hipError_tPvRmT2_T3_mT4_T5_T6_T7_T8_P12ihipStream_tbENKUlT_T0_E_clISt17integral_constantIbLb0EES11_EEDaSW_SX_EUlSW_E_NS1_11comp_targetILNS1_3genE0ELNS1_11target_archE4294967295ELNS1_3gpuE0ELNS1_3repE0EEENS1_30default_config_static_selectorELNS0_4arch9wavefront6targetE0EEEvT1_,comdat
.Lfunc_end925:
	.size	_ZN7rocprim17ROCPRIM_400000_NS6detail17trampoline_kernelINS0_14default_configENS1_33run_length_encode_config_selectorIN3c104HalfEjNS0_4plusIjEEEEZZNS1_33reduce_by_key_impl_wrapped_configILNS1_25lookback_scan_determinismE0ES3_S9_PKS6_NS0_17constant_iteratorIjlEEPS6_PlSH_S8_NS0_8equal_toIS6_EEEE10hipError_tPvRmT2_T3_mT4_T5_T6_T7_T8_P12ihipStream_tbENKUlT_T0_E_clISt17integral_constantIbLb0EES11_EEDaSW_SX_EUlSW_E_NS1_11comp_targetILNS1_3genE0ELNS1_11target_archE4294967295ELNS1_3gpuE0ELNS1_3repE0EEENS1_30default_config_static_selectorELNS0_4arch9wavefront6targetE0EEEvT1_, .Lfunc_end925-_ZN7rocprim17ROCPRIM_400000_NS6detail17trampoline_kernelINS0_14default_configENS1_33run_length_encode_config_selectorIN3c104HalfEjNS0_4plusIjEEEEZZNS1_33reduce_by_key_impl_wrapped_configILNS1_25lookback_scan_determinismE0ES3_S9_PKS6_NS0_17constant_iteratorIjlEEPS6_PlSH_S8_NS0_8equal_toIS6_EEEE10hipError_tPvRmT2_T3_mT4_T5_T6_T7_T8_P12ihipStream_tbENKUlT_T0_E_clISt17integral_constantIbLb0EES11_EEDaSW_SX_EUlSW_E_NS1_11comp_targetILNS1_3genE0ELNS1_11target_archE4294967295ELNS1_3gpuE0ELNS1_3repE0EEENS1_30default_config_static_selectorELNS0_4arch9wavefront6targetE0EEEvT1_
                                        ; -- End function
	.set _ZN7rocprim17ROCPRIM_400000_NS6detail17trampoline_kernelINS0_14default_configENS1_33run_length_encode_config_selectorIN3c104HalfEjNS0_4plusIjEEEEZZNS1_33reduce_by_key_impl_wrapped_configILNS1_25lookback_scan_determinismE0ES3_S9_PKS6_NS0_17constant_iteratorIjlEEPS6_PlSH_S8_NS0_8equal_toIS6_EEEE10hipError_tPvRmT2_T3_mT4_T5_T6_T7_T8_P12ihipStream_tbENKUlT_T0_E_clISt17integral_constantIbLb0EES11_EEDaSW_SX_EUlSW_E_NS1_11comp_targetILNS1_3genE0ELNS1_11target_archE4294967295ELNS1_3gpuE0ELNS1_3repE0EEENS1_30default_config_static_selectorELNS0_4arch9wavefront6targetE0EEEvT1_.num_vgpr, 108
	.set _ZN7rocprim17ROCPRIM_400000_NS6detail17trampoline_kernelINS0_14default_configENS1_33run_length_encode_config_selectorIN3c104HalfEjNS0_4plusIjEEEEZZNS1_33reduce_by_key_impl_wrapped_configILNS1_25lookback_scan_determinismE0ES3_S9_PKS6_NS0_17constant_iteratorIjlEEPS6_PlSH_S8_NS0_8equal_toIS6_EEEE10hipError_tPvRmT2_T3_mT4_T5_T6_T7_T8_P12ihipStream_tbENKUlT_T0_E_clISt17integral_constantIbLb0EES11_EEDaSW_SX_EUlSW_E_NS1_11comp_targetILNS1_3genE0ELNS1_11target_archE4294967295ELNS1_3gpuE0ELNS1_3repE0EEENS1_30default_config_static_selectorELNS0_4arch9wavefront6targetE0EEEvT1_.num_agpr, 0
	.set _ZN7rocprim17ROCPRIM_400000_NS6detail17trampoline_kernelINS0_14default_configENS1_33run_length_encode_config_selectorIN3c104HalfEjNS0_4plusIjEEEEZZNS1_33reduce_by_key_impl_wrapped_configILNS1_25lookback_scan_determinismE0ES3_S9_PKS6_NS0_17constant_iteratorIjlEEPS6_PlSH_S8_NS0_8equal_toIS6_EEEE10hipError_tPvRmT2_T3_mT4_T5_T6_T7_T8_P12ihipStream_tbENKUlT_T0_E_clISt17integral_constantIbLb0EES11_EEDaSW_SX_EUlSW_E_NS1_11comp_targetILNS1_3genE0ELNS1_11target_archE4294967295ELNS1_3gpuE0ELNS1_3repE0EEENS1_30default_config_static_selectorELNS0_4arch9wavefront6targetE0EEEvT1_.numbered_sgpr, 44
	.set _ZN7rocprim17ROCPRIM_400000_NS6detail17trampoline_kernelINS0_14default_configENS1_33run_length_encode_config_selectorIN3c104HalfEjNS0_4plusIjEEEEZZNS1_33reduce_by_key_impl_wrapped_configILNS1_25lookback_scan_determinismE0ES3_S9_PKS6_NS0_17constant_iteratorIjlEEPS6_PlSH_S8_NS0_8equal_toIS6_EEEE10hipError_tPvRmT2_T3_mT4_T5_T6_T7_T8_P12ihipStream_tbENKUlT_T0_E_clISt17integral_constantIbLb0EES11_EEDaSW_SX_EUlSW_E_NS1_11comp_targetILNS1_3genE0ELNS1_11target_archE4294967295ELNS1_3gpuE0ELNS1_3repE0EEENS1_30default_config_static_selectorELNS0_4arch9wavefront6targetE0EEEvT1_.num_named_barrier, 0
	.set _ZN7rocprim17ROCPRIM_400000_NS6detail17trampoline_kernelINS0_14default_configENS1_33run_length_encode_config_selectorIN3c104HalfEjNS0_4plusIjEEEEZZNS1_33reduce_by_key_impl_wrapped_configILNS1_25lookback_scan_determinismE0ES3_S9_PKS6_NS0_17constant_iteratorIjlEEPS6_PlSH_S8_NS0_8equal_toIS6_EEEE10hipError_tPvRmT2_T3_mT4_T5_T6_T7_T8_P12ihipStream_tbENKUlT_T0_E_clISt17integral_constantIbLb0EES11_EEDaSW_SX_EUlSW_E_NS1_11comp_targetILNS1_3genE0ELNS1_11target_archE4294967295ELNS1_3gpuE0ELNS1_3repE0EEENS1_30default_config_static_selectorELNS0_4arch9wavefront6targetE0EEEvT1_.private_seg_size, 0
	.set _ZN7rocprim17ROCPRIM_400000_NS6detail17trampoline_kernelINS0_14default_configENS1_33run_length_encode_config_selectorIN3c104HalfEjNS0_4plusIjEEEEZZNS1_33reduce_by_key_impl_wrapped_configILNS1_25lookback_scan_determinismE0ES3_S9_PKS6_NS0_17constant_iteratorIjlEEPS6_PlSH_S8_NS0_8equal_toIS6_EEEE10hipError_tPvRmT2_T3_mT4_T5_T6_T7_T8_P12ihipStream_tbENKUlT_T0_E_clISt17integral_constantIbLb0EES11_EEDaSW_SX_EUlSW_E_NS1_11comp_targetILNS1_3genE0ELNS1_11target_archE4294967295ELNS1_3gpuE0ELNS1_3repE0EEENS1_30default_config_static_selectorELNS0_4arch9wavefront6targetE0EEEvT1_.uses_vcc, 1
	.set _ZN7rocprim17ROCPRIM_400000_NS6detail17trampoline_kernelINS0_14default_configENS1_33run_length_encode_config_selectorIN3c104HalfEjNS0_4plusIjEEEEZZNS1_33reduce_by_key_impl_wrapped_configILNS1_25lookback_scan_determinismE0ES3_S9_PKS6_NS0_17constant_iteratorIjlEEPS6_PlSH_S8_NS0_8equal_toIS6_EEEE10hipError_tPvRmT2_T3_mT4_T5_T6_T7_T8_P12ihipStream_tbENKUlT_T0_E_clISt17integral_constantIbLb0EES11_EEDaSW_SX_EUlSW_E_NS1_11comp_targetILNS1_3genE0ELNS1_11target_archE4294967295ELNS1_3gpuE0ELNS1_3repE0EEENS1_30default_config_static_selectorELNS0_4arch9wavefront6targetE0EEEvT1_.uses_flat_scratch, 0
	.set _ZN7rocprim17ROCPRIM_400000_NS6detail17trampoline_kernelINS0_14default_configENS1_33run_length_encode_config_selectorIN3c104HalfEjNS0_4plusIjEEEEZZNS1_33reduce_by_key_impl_wrapped_configILNS1_25lookback_scan_determinismE0ES3_S9_PKS6_NS0_17constant_iteratorIjlEEPS6_PlSH_S8_NS0_8equal_toIS6_EEEE10hipError_tPvRmT2_T3_mT4_T5_T6_T7_T8_P12ihipStream_tbENKUlT_T0_E_clISt17integral_constantIbLb0EES11_EEDaSW_SX_EUlSW_E_NS1_11comp_targetILNS1_3genE0ELNS1_11target_archE4294967295ELNS1_3gpuE0ELNS1_3repE0EEENS1_30default_config_static_selectorELNS0_4arch9wavefront6targetE0EEEvT1_.has_dyn_sized_stack, 0
	.set _ZN7rocprim17ROCPRIM_400000_NS6detail17trampoline_kernelINS0_14default_configENS1_33run_length_encode_config_selectorIN3c104HalfEjNS0_4plusIjEEEEZZNS1_33reduce_by_key_impl_wrapped_configILNS1_25lookback_scan_determinismE0ES3_S9_PKS6_NS0_17constant_iteratorIjlEEPS6_PlSH_S8_NS0_8equal_toIS6_EEEE10hipError_tPvRmT2_T3_mT4_T5_T6_T7_T8_P12ihipStream_tbENKUlT_T0_E_clISt17integral_constantIbLb0EES11_EEDaSW_SX_EUlSW_E_NS1_11comp_targetILNS1_3genE0ELNS1_11target_archE4294967295ELNS1_3gpuE0ELNS1_3repE0EEENS1_30default_config_static_selectorELNS0_4arch9wavefront6targetE0EEEvT1_.has_recursion, 0
	.set _ZN7rocprim17ROCPRIM_400000_NS6detail17trampoline_kernelINS0_14default_configENS1_33run_length_encode_config_selectorIN3c104HalfEjNS0_4plusIjEEEEZZNS1_33reduce_by_key_impl_wrapped_configILNS1_25lookback_scan_determinismE0ES3_S9_PKS6_NS0_17constant_iteratorIjlEEPS6_PlSH_S8_NS0_8equal_toIS6_EEEE10hipError_tPvRmT2_T3_mT4_T5_T6_T7_T8_P12ihipStream_tbENKUlT_T0_E_clISt17integral_constantIbLb0EES11_EEDaSW_SX_EUlSW_E_NS1_11comp_targetILNS1_3genE0ELNS1_11target_archE4294967295ELNS1_3gpuE0ELNS1_3repE0EEENS1_30default_config_static_selectorELNS0_4arch9wavefront6targetE0EEEvT1_.has_indirect_call, 0
	.section	.AMDGPU.csdata,"",@progbits
; Kernel info:
; codeLenInByte = 16128
; TotalNumSgprs: 46
; NumVgprs: 108
; ScratchSize: 0
; MemoryBound: 0
; FloatMode: 240
; IeeeMode: 1
; LDSByteSize: 15360 bytes/workgroup (compile time only)
; SGPRBlocks: 0
; VGPRBlocks: 6
; NumSGPRsForWavesPerEU: 46
; NumVGPRsForWavesPerEU: 108
; NamedBarCnt: 0
; Occupancy: 9
; WaveLimiterHint : 1
; COMPUTE_PGM_RSRC2:SCRATCH_EN: 0
; COMPUTE_PGM_RSRC2:USER_SGPR: 2
; COMPUTE_PGM_RSRC2:TRAP_HANDLER: 0
; COMPUTE_PGM_RSRC2:TGID_X_EN: 1
; COMPUTE_PGM_RSRC2:TGID_Y_EN: 0
; COMPUTE_PGM_RSRC2:TGID_Z_EN: 0
; COMPUTE_PGM_RSRC2:TIDIG_COMP_CNT: 0
	.section	.text._ZN7rocprim17ROCPRIM_400000_NS6detail17trampoline_kernelINS0_14default_configENS1_33run_length_encode_config_selectorIN3c104HalfEjNS0_4plusIjEEEEZZNS1_33reduce_by_key_impl_wrapped_configILNS1_25lookback_scan_determinismE0ES3_S9_PKS6_NS0_17constant_iteratorIjlEEPS6_PlSH_S8_NS0_8equal_toIS6_EEEE10hipError_tPvRmT2_T3_mT4_T5_T6_T7_T8_P12ihipStream_tbENKUlT_T0_E_clISt17integral_constantIbLb0EES11_EEDaSW_SX_EUlSW_E_NS1_11comp_targetILNS1_3genE5ELNS1_11target_archE942ELNS1_3gpuE9ELNS1_3repE0EEENS1_30default_config_static_selectorELNS0_4arch9wavefront6targetE0EEEvT1_,"axG",@progbits,_ZN7rocprim17ROCPRIM_400000_NS6detail17trampoline_kernelINS0_14default_configENS1_33run_length_encode_config_selectorIN3c104HalfEjNS0_4plusIjEEEEZZNS1_33reduce_by_key_impl_wrapped_configILNS1_25lookback_scan_determinismE0ES3_S9_PKS6_NS0_17constant_iteratorIjlEEPS6_PlSH_S8_NS0_8equal_toIS6_EEEE10hipError_tPvRmT2_T3_mT4_T5_T6_T7_T8_P12ihipStream_tbENKUlT_T0_E_clISt17integral_constantIbLb0EES11_EEDaSW_SX_EUlSW_E_NS1_11comp_targetILNS1_3genE5ELNS1_11target_archE942ELNS1_3gpuE9ELNS1_3repE0EEENS1_30default_config_static_selectorELNS0_4arch9wavefront6targetE0EEEvT1_,comdat
	.protected	_ZN7rocprim17ROCPRIM_400000_NS6detail17trampoline_kernelINS0_14default_configENS1_33run_length_encode_config_selectorIN3c104HalfEjNS0_4plusIjEEEEZZNS1_33reduce_by_key_impl_wrapped_configILNS1_25lookback_scan_determinismE0ES3_S9_PKS6_NS0_17constant_iteratorIjlEEPS6_PlSH_S8_NS0_8equal_toIS6_EEEE10hipError_tPvRmT2_T3_mT4_T5_T6_T7_T8_P12ihipStream_tbENKUlT_T0_E_clISt17integral_constantIbLb0EES11_EEDaSW_SX_EUlSW_E_NS1_11comp_targetILNS1_3genE5ELNS1_11target_archE942ELNS1_3gpuE9ELNS1_3repE0EEENS1_30default_config_static_selectorELNS0_4arch9wavefront6targetE0EEEvT1_ ; -- Begin function _ZN7rocprim17ROCPRIM_400000_NS6detail17trampoline_kernelINS0_14default_configENS1_33run_length_encode_config_selectorIN3c104HalfEjNS0_4plusIjEEEEZZNS1_33reduce_by_key_impl_wrapped_configILNS1_25lookback_scan_determinismE0ES3_S9_PKS6_NS0_17constant_iteratorIjlEEPS6_PlSH_S8_NS0_8equal_toIS6_EEEE10hipError_tPvRmT2_T3_mT4_T5_T6_T7_T8_P12ihipStream_tbENKUlT_T0_E_clISt17integral_constantIbLb0EES11_EEDaSW_SX_EUlSW_E_NS1_11comp_targetILNS1_3genE5ELNS1_11target_archE942ELNS1_3gpuE9ELNS1_3repE0EEENS1_30default_config_static_selectorELNS0_4arch9wavefront6targetE0EEEvT1_
	.globl	_ZN7rocprim17ROCPRIM_400000_NS6detail17trampoline_kernelINS0_14default_configENS1_33run_length_encode_config_selectorIN3c104HalfEjNS0_4plusIjEEEEZZNS1_33reduce_by_key_impl_wrapped_configILNS1_25lookback_scan_determinismE0ES3_S9_PKS6_NS0_17constant_iteratorIjlEEPS6_PlSH_S8_NS0_8equal_toIS6_EEEE10hipError_tPvRmT2_T3_mT4_T5_T6_T7_T8_P12ihipStream_tbENKUlT_T0_E_clISt17integral_constantIbLb0EES11_EEDaSW_SX_EUlSW_E_NS1_11comp_targetILNS1_3genE5ELNS1_11target_archE942ELNS1_3gpuE9ELNS1_3repE0EEENS1_30default_config_static_selectorELNS0_4arch9wavefront6targetE0EEEvT1_
	.p2align	8
	.type	_ZN7rocprim17ROCPRIM_400000_NS6detail17trampoline_kernelINS0_14default_configENS1_33run_length_encode_config_selectorIN3c104HalfEjNS0_4plusIjEEEEZZNS1_33reduce_by_key_impl_wrapped_configILNS1_25lookback_scan_determinismE0ES3_S9_PKS6_NS0_17constant_iteratorIjlEEPS6_PlSH_S8_NS0_8equal_toIS6_EEEE10hipError_tPvRmT2_T3_mT4_T5_T6_T7_T8_P12ihipStream_tbENKUlT_T0_E_clISt17integral_constantIbLb0EES11_EEDaSW_SX_EUlSW_E_NS1_11comp_targetILNS1_3genE5ELNS1_11target_archE942ELNS1_3gpuE9ELNS1_3repE0EEENS1_30default_config_static_selectorELNS0_4arch9wavefront6targetE0EEEvT1_,@function
_ZN7rocprim17ROCPRIM_400000_NS6detail17trampoline_kernelINS0_14default_configENS1_33run_length_encode_config_selectorIN3c104HalfEjNS0_4plusIjEEEEZZNS1_33reduce_by_key_impl_wrapped_configILNS1_25lookback_scan_determinismE0ES3_S9_PKS6_NS0_17constant_iteratorIjlEEPS6_PlSH_S8_NS0_8equal_toIS6_EEEE10hipError_tPvRmT2_T3_mT4_T5_T6_T7_T8_P12ihipStream_tbENKUlT_T0_E_clISt17integral_constantIbLb0EES11_EEDaSW_SX_EUlSW_E_NS1_11comp_targetILNS1_3genE5ELNS1_11target_archE942ELNS1_3gpuE9ELNS1_3repE0EEENS1_30default_config_static_selectorELNS0_4arch9wavefront6targetE0EEEvT1_: ; @_ZN7rocprim17ROCPRIM_400000_NS6detail17trampoline_kernelINS0_14default_configENS1_33run_length_encode_config_selectorIN3c104HalfEjNS0_4plusIjEEEEZZNS1_33reduce_by_key_impl_wrapped_configILNS1_25lookback_scan_determinismE0ES3_S9_PKS6_NS0_17constant_iteratorIjlEEPS6_PlSH_S8_NS0_8equal_toIS6_EEEE10hipError_tPvRmT2_T3_mT4_T5_T6_T7_T8_P12ihipStream_tbENKUlT_T0_E_clISt17integral_constantIbLb0EES11_EEDaSW_SX_EUlSW_E_NS1_11comp_targetILNS1_3genE5ELNS1_11target_archE942ELNS1_3gpuE9ELNS1_3repE0EEENS1_30default_config_static_selectorELNS0_4arch9wavefront6targetE0EEEvT1_
; %bb.0:
	.section	.rodata,"a",@progbits
	.p2align	6, 0x0
	.amdhsa_kernel _ZN7rocprim17ROCPRIM_400000_NS6detail17trampoline_kernelINS0_14default_configENS1_33run_length_encode_config_selectorIN3c104HalfEjNS0_4plusIjEEEEZZNS1_33reduce_by_key_impl_wrapped_configILNS1_25lookback_scan_determinismE0ES3_S9_PKS6_NS0_17constant_iteratorIjlEEPS6_PlSH_S8_NS0_8equal_toIS6_EEEE10hipError_tPvRmT2_T3_mT4_T5_T6_T7_T8_P12ihipStream_tbENKUlT_T0_E_clISt17integral_constantIbLb0EES11_EEDaSW_SX_EUlSW_E_NS1_11comp_targetILNS1_3genE5ELNS1_11target_archE942ELNS1_3gpuE9ELNS1_3repE0EEENS1_30default_config_static_selectorELNS0_4arch9wavefront6targetE0EEEvT1_
		.amdhsa_group_segment_fixed_size 0
		.amdhsa_private_segment_fixed_size 0
		.amdhsa_kernarg_size 128
		.amdhsa_user_sgpr_count 2
		.amdhsa_user_sgpr_dispatch_ptr 0
		.amdhsa_user_sgpr_queue_ptr 0
		.amdhsa_user_sgpr_kernarg_segment_ptr 1
		.amdhsa_user_sgpr_dispatch_id 0
		.amdhsa_user_sgpr_kernarg_preload_length 0
		.amdhsa_user_sgpr_kernarg_preload_offset 0
		.amdhsa_user_sgpr_private_segment_size 0
		.amdhsa_wavefront_size32 1
		.amdhsa_uses_dynamic_stack 0
		.amdhsa_enable_private_segment 0
		.amdhsa_system_sgpr_workgroup_id_x 1
		.amdhsa_system_sgpr_workgroup_id_y 0
		.amdhsa_system_sgpr_workgroup_id_z 0
		.amdhsa_system_sgpr_workgroup_info 0
		.amdhsa_system_vgpr_workitem_id 0
		.amdhsa_next_free_vgpr 1
		.amdhsa_next_free_sgpr 1
		.amdhsa_named_barrier_count 0
		.amdhsa_reserve_vcc 0
		.amdhsa_float_round_mode_32 0
		.amdhsa_float_round_mode_16_64 0
		.amdhsa_float_denorm_mode_32 3
		.amdhsa_float_denorm_mode_16_64 3
		.amdhsa_fp16_overflow 0
		.amdhsa_memory_ordered 1
		.amdhsa_forward_progress 1
		.amdhsa_inst_pref_size 0
		.amdhsa_round_robin_scheduling 0
		.amdhsa_exception_fp_ieee_invalid_op 0
		.amdhsa_exception_fp_denorm_src 0
		.amdhsa_exception_fp_ieee_div_zero 0
		.amdhsa_exception_fp_ieee_overflow 0
		.amdhsa_exception_fp_ieee_underflow 0
		.amdhsa_exception_fp_ieee_inexact 0
		.amdhsa_exception_int_div_zero 0
	.end_amdhsa_kernel
	.section	.text._ZN7rocprim17ROCPRIM_400000_NS6detail17trampoline_kernelINS0_14default_configENS1_33run_length_encode_config_selectorIN3c104HalfEjNS0_4plusIjEEEEZZNS1_33reduce_by_key_impl_wrapped_configILNS1_25lookback_scan_determinismE0ES3_S9_PKS6_NS0_17constant_iteratorIjlEEPS6_PlSH_S8_NS0_8equal_toIS6_EEEE10hipError_tPvRmT2_T3_mT4_T5_T6_T7_T8_P12ihipStream_tbENKUlT_T0_E_clISt17integral_constantIbLb0EES11_EEDaSW_SX_EUlSW_E_NS1_11comp_targetILNS1_3genE5ELNS1_11target_archE942ELNS1_3gpuE9ELNS1_3repE0EEENS1_30default_config_static_selectorELNS0_4arch9wavefront6targetE0EEEvT1_,"axG",@progbits,_ZN7rocprim17ROCPRIM_400000_NS6detail17trampoline_kernelINS0_14default_configENS1_33run_length_encode_config_selectorIN3c104HalfEjNS0_4plusIjEEEEZZNS1_33reduce_by_key_impl_wrapped_configILNS1_25lookback_scan_determinismE0ES3_S9_PKS6_NS0_17constant_iteratorIjlEEPS6_PlSH_S8_NS0_8equal_toIS6_EEEE10hipError_tPvRmT2_T3_mT4_T5_T6_T7_T8_P12ihipStream_tbENKUlT_T0_E_clISt17integral_constantIbLb0EES11_EEDaSW_SX_EUlSW_E_NS1_11comp_targetILNS1_3genE5ELNS1_11target_archE942ELNS1_3gpuE9ELNS1_3repE0EEENS1_30default_config_static_selectorELNS0_4arch9wavefront6targetE0EEEvT1_,comdat
.Lfunc_end926:
	.size	_ZN7rocprim17ROCPRIM_400000_NS6detail17trampoline_kernelINS0_14default_configENS1_33run_length_encode_config_selectorIN3c104HalfEjNS0_4plusIjEEEEZZNS1_33reduce_by_key_impl_wrapped_configILNS1_25lookback_scan_determinismE0ES3_S9_PKS6_NS0_17constant_iteratorIjlEEPS6_PlSH_S8_NS0_8equal_toIS6_EEEE10hipError_tPvRmT2_T3_mT4_T5_T6_T7_T8_P12ihipStream_tbENKUlT_T0_E_clISt17integral_constantIbLb0EES11_EEDaSW_SX_EUlSW_E_NS1_11comp_targetILNS1_3genE5ELNS1_11target_archE942ELNS1_3gpuE9ELNS1_3repE0EEENS1_30default_config_static_selectorELNS0_4arch9wavefront6targetE0EEEvT1_, .Lfunc_end926-_ZN7rocprim17ROCPRIM_400000_NS6detail17trampoline_kernelINS0_14default_configENS1_33run_length_encode_config_selectorIN3c104HalfEjNS0_4plusIjEEEEZZNS1_33reduce_by_key_impl_wrapped_configILNS1_25lookback_scan_determinismE0ES3_S9_PKS6_NS0_17constant_iteratorIjlEEPS6_PlSH_S8_NS0_8equal_toIS6_EEEE10hipError_tPvRmT2_T3_mT4_T5_T6_T7_T8_P12ihipStream_tbENKUlT_T0_E_clISt17integral_constantIbLb0EES11_EEDaSW_SX_EUlSW_E_NS1_11comp_targetILNS1_3genE5ELNS1_11target_archE942ELNS1_3gpuE9ELNS1_3repE0EEENS1_30default_config_static_selectorELNS0_4arch9wavefront6targetE0EEEvT1_
                                        ; -- End function
	.set _ZN7rocprim17ROCPRIM_400000_NS6detail17trampoline_kernelINS0_14default_configENS1_33run_length_encode_config_selectorIN3c104HalfEjNS0_4plusIjEEEEZZNS1_33reduce_by_key_impl_wrapped_configILNS1_25lookback_scan_determinismE0ES3_S9_PKS6_NS0_17constant_iteratorIjlEEPS6_PlSH_S8_NS0_8equal_toIS6_EEEE10hipError_tPvRmT2_T3_mT4_T5_T6_T7_T8_P12ihipStream_tbENKUlT_T0_E_clISt17integral_constantIbLb0EES11_EEDaSW_SX_EUlSW_E_NS1_11comp_targetILNS1_3genE5ELNS1_11target_archE942ELNS1_3gpuE9ELNS1_3repE0EEENS1_30default_config_static_selectorELNS0_4arch9wavefront6targetE0EEEvT1_.num_vgpr, 0
	.set _ZN7rocprim17ROCPRIM_400000_NS6detail17trampoline_kernelINS0_14default_configENS1_33run_length_encode_config_selectorIN3c104HalfEjNS0_4plusIjEEEEZZNS1_33reduce_by_key_impl_wrapped_configILNS1_25lookback_scan_determinismE0ES3_S9_PKS6_NS0_17constant_iteratorIjlEEPS6_PlSH_S8_NS0_8equal_toIS6_EEEE10hipError_tPvRmT2_T3_mT4_T5_T6_T7_T8_P12ihipStream_tbENKUlT_T0_E_clISt17integral_constantIbLb0EES11_EEDaSW_SX_EUlSW_E_NS1_11comp_targetILNS1_3genE5ELNS1_11target_archE942ELNS1_3gpuE9ELNS1_3repE0EEENS1_30default_config_static_selectorELNS0_4arch9wavefront6targetE0EEEvT1_.num_agpr, 0
	.set _ZN7rocprim17ROCPRIM_400000_NS6detail17trampoline_kernelINS0_14default_configENS1_33run_length_encode_config_selectorIN3c104HalfEjNS0_4plusIjEEEEZZNS1_33reduce_by_key_impl_wrapped_configILNS1_25lookback_scan_determinismE0ES3_S9_PKS6_NS0_17constant_iteratorIjlEEPS6_PlSH_S8_NS0_8equal_toIS6_EEEE10hipError_tPvRmT2_T3_mT4_T5_T6_T7_T8_P12ihipStream_tbENKUlT_T0_E_clISt17integral_constantIbLb0EES11_EEDaSW_SX_EUlSW_E_NS1_11comp_targetILNS1_3genE5ELNS1_11target_archE942ELNS1_3gpuE9ELNS1_3repE0EEENS1_30default_config_static_selectorELNS0_4arch9wavefront6targetE0EEEvT1_.numbered_sgpr, 0
	.set _ZN7rocprim17ROCPRIM_400000_NS6detail17trampoline_kernelINS0_14default_configENS1_33run_length_encode_config_selectorIN3c104HalfEjNS0_4plusIjEEEEZZNS1_33reduce_by_key_impl_wrapped_configILNS1_25lookback_scan_determinismE0ES3_S9_PKS6_NS0_17constant_iteratorIjlEEPS6_PlSH_S8_NS0_8equal_toIS6_EEEE10hipError_tPvRmT2_T3_mT4_T5_T6_T7_T8_P12ihipStream_tbENKUlT_T0_E_clISt17integral_constantIbLb0EES11_EEDaSW_SX_EUlSW_E_NS1_11comp_targetILNS1_3genE5ELNS1_11target_archE942ELNS1_3gpuE9ELNS1_3repE0EEENS1_30default_config_static_selectorELNS0_4arch9wavefront6targetE0EEEvT1_.num_named_barrier, 0
	.set _ZN7rocprim17ROCPRIM_400000_NS6detail17trampoline_kernelINS0_14default_configENS1_33run_length_encode_config_selectorIN3c104HalfEjNS0_4plusIjEEEEZZNS1_33reduce_by_key_impl_wrapped_configILNS1_25lookback_scan_determinismE0ES3_S9_PKS6_NS0_17constant_iteratorIjlEEPS6_PlSH_S8_NS0_8equal_toIS6_EEEE10hipError_tPvRmT2_T3_mT4_T5_T6_T7_T8_P12ihipStream_tbENKUlT_T0_E_clISt17integral_constantIbLb0EES11_EEDaSW_SX_EUlSW_E_NS1_11comp_targetILNS1_3genE5ELNS1_11target_archE942ELNS1_3gpuE9ELNS1_3repE0EEENS1_30default_config_static_selectorELNS0_4arch9wavefront6targetE0EEEvT1_.private_seg_size, 0
	.set _ZN7rocprim17ROCPRIM_400000_NS6detail17trampoline_kernelINS0_14default_configENS1_33run_length_encode_config_selectorIN3c104HalfEjNS0_4plusIjEEEEZZNS1_33reduce_by_key_impl_wrapped_configILNS1_25lookback_scan_determinismE0ES3_S9_PKS6_NS0_17constant_iteratorIjlEEPS6_PlSH_S8_NS0_8equal_toIS6_EEEE10hipError_tPvRmT2_T3_mT4_T5_T6_T7_T8_P12ihipStream_tbENKUlT_T0_E_clISt17integral_constantIbLb0EES11_EEDaSW_SX_EUlSW_E_NS1_11comp_targetILNS1_3genE5ELNS1_11target_archE942ELNS1_3gpuE9ELNS1_3repE0EEENS1_30default_config_static_selectorELNS0_4arch9wavefront6targetE0EEEvT1_.uses_vcc, 0
	.set _ZN7rocprim17ROCPRIM_400000_NS6detail17trampoline_kernelINS0_14default_configENS1_33run_length_encode_config_selectorIN3c104HalfEjNS0_4plusIjEEEEZZNS1_33reduce_by_key_impl_wrapped_configILNS1_25lookback_scan_determinismE0ES3_S9_PKS6_NS0_17constant_iteratorIjlEEPS6_PlSH_S8_NS0_8equal_toIS6_EEEE10hipError_tPvRmT2_T3_mT4_T5_T6_T7_T8_P12ihipStream_tbENKUlT_T0_E_clISt17integral_constantIbLb0EES11_EEDaSW_SX_EUlSW_E_NS1_11comp_targetILNS1_3genE5ELNS1_11target_archE942ELNS1_3gpuE9ELNS1_3repE0EEENS1_30default_config_static_selectorELNS0_4arch9wavefront6targetE0EEEvT1_.uses_flat_scratch, 0
	.set _ZN7rocprim17ROCPRIM_400000_NS6detail17trampoline_kernelINS0_14default_configENS1_33run_length_encode_config_selectorIN3c104HalfEjNS0_4plusIjEEEEZZNS1_33reduce_by_key_impl_wrapped_configILNS1_25lookback_scan_determinismE0ES3_S9_PKS6_NS0_17constant_iteratorIjlEEPS6_PlSH_S8_NS0_8equal_toIS6_EEEE10hipError_tPvRmT2_T3_mT4_T5_T6_T7_T8_P12ihipStream_tbENKUlT_T0_E_clISt17integral_constantIbLb0EES11_EEDaSW_SX_EUlSW_E_NS1_11comp_targetILNS1_3genE5ELNS1_11target_archE942ELNS1_3gpuE9ELNS1_3repE0EEENS1_30default_config_static_selectorELNS0_4arch9wavefront6targetE0EEEvT1_.has_dyn_sized_stack, 0
	.set _ZN7rocprim17ROCPRIM_400000_NS6detail17trampoline_kernelINS0_14default_configENS1_33run_length_encode_config_selectorIN3c104HalfEjNS0_4plusIjEEEEZZNS1_33reduce_by_key_impl_wrapped_configILNS1_25lookback_scan_determinismE0ES3_S9_PKS6_NS0_17constant_iteratorIjlEEPS6_PlSH_S8_NS0_8equal_toIS6_EEEE10hipError_tPvRmT2_T3_mT4_T5_T6_T7_T8_P12ihipStream_tbENKUlT_T0_E_clISt17integral_constantIbLb0EES11_EEDaSW_SX_EUlSW_E_NS1_11comp_targetILNS1_3genE5ELNS1_11target_archE942ELNS1_3gpuE9ELNS1_3repE0EEENS1_30default_config_static_selectorELNS0_4arch9wavefront6targetE0EEEvT1_.has_recursion, 0
	.set _ZN7rocprim17ROCPRIM_400000_NS6detail17trampoline_kernelINS0_14default_configENS1_33run_length_encode_config_selectorIN3c104HalfEjNS0_4plusIjEEEEZZNS1_33reduce_by_key_impl_wrapped_configILNS1_25lookback_scan_determinismE0ES3_S9_PKS6_NS0_17constant_iteratorIjlEEPS6_PlSH_S8_NS0_8equal_toIS6_EEEE10hipError_tPvRmT2_T3_mT4_T5_T6_T7_T8_P12ihipStream_tbENKUlT_T0_E_clISt17integral_constantIbLb0EES11_EEDaSW_SX_EUlSW_E_NS1_11comp_targetILNS1_3genE5ELNS1_11target_archE942ELNS1_3gpuE9ELNS1_3repE0EEENS1_30default_config_static_selectorELNS0_4arch9wavefront6targetE0EEEvT1_.has_indirect_call, 0
	.section	.AMDGPU.csdata,"",@progbits
; Kernel info:
; codeLenInByte = 0
; TotalNumSgprs: 0
; NumVgprs: 0
; ScratchSize: 0
; MemoryBound: 0
; FloatMode: 240
; IeeeMode: 1
; LDSByteSize: 0 bytes/workgroup (compile time only)
; SGPRBlocks: 0
; VGPRBlocks: 0
; NumSGPRsForWavesPerEU: 1
; NumVGPRsForWavesPerEU: 1
; NamedBarCnt: 0
; Occupancy: 16
; WaveLimiterHint : 0
; COMPUTE_PGM_RSRC2:SCRATCH_EN: 0
; COMPUTE_PGM_RSRC2:USER_SGPR: 2
; COMPUTE_PGM_RSRC2:TRAP_HANDLER: 0
; COMPUTE_PGM_RSRC2:TGID_X_EN: 1
; COMPUTE_PGM_RSRC2:TGID_Y_EN: 0
; COMPUTE_PGM_RSRC2:TGID_Z_EN: 0
; COMPUTE_PGM_RSRC2:TIDIG_COMP_CNT: 0
	.section	.text._ZN7rocprim17ROCPRIM_400000_NS6detail17trampoline_kernelINS0_14default_configENS1_33run_length_encode_config_selectorIN3c104HalfEjNS0_4plusIjEEEEZZNS1_33reduce_by_key_impl_wrapped_configILNS1_25lookback_scan_determinismE0ES3_S9_PKS6_NS0_17constant_iteratorIjlEEPS6_PlSH_S8_NS0_8equal_toIS6_EEEE10hipError_tPvRmT2_T3_mT4_T5_T6_T7_T8_P12ihipStream_tbENKUlT_T0_E_clISt17integral_constantIbLb0EES11_EEDaSW_SX_EUlSW_E_NS1_11comp_targetILNS1_3genE4ELNS1_11target_archE910ELNS1_3gpuE8ELNS1_3repE0EEENS1_30default_config_static_selectorELNS0_4arch9wavefront6targetE0EEEvT1_,"axG",@progbits,_ZN7rocprim17ROCPRIM_400000_NS6detail17trampoline_kernelINS0_14default_configENS1_33run_length_encode_config_selectorIN3c104HalfEjNS0_4plusIjEEEEZZNS1_33reduce_by_key_impl_wrapped_configILNS1_25lookback_scan_determinismE0ES3_S9_PKS6_NS0_17constant_iteratorIjlEEPS6_PlSH_S8_NS0_8equal_toIS6_EEEE10hipError_tPvRmT2_T3_mT4_T5_T6_T7_T8_P12ihipStream_tbENKUlT_T0_E_clISt17integral_constantIbLb0EES11_EEDaSW_SX_EUlSW_E_NS1_11comp_targetILNS1_3genE4ELNS1_11target_archE910ELNS1_3gpuE8ELNS1_3repE0EEENS1_30default_config_static_selectorELNS0_4arch9wavefront6targetE0EEEvT1_,comdat
	.protected	_ZN7rocprim17ROCPRIM_400000_NS6detail17trampoline_kernelINS0_14default_configENS1_33run_length_encode_config_selectorIN3c104HalfEjNS0_4plusIjEEEEZZNS1_33reduce_by_key_impl_wrapped_configILNS1_25lookback_scan_determinismE0ES3_S9_PKS6_NS0_17constant_iteratorIjlEEPS6_PlSH_S8_NS0_8equal_toIS6_EEEE10hipError_tPvRmT2_T3_mT4_T5_T6_T7_T8_P12ihipStream_tbENKUlT_T0_E_clISt17integral_constantIbLb0EES11_EEDaSW_SX_EUlSW_E_NS1_11comp_targetILNS1_3genE4ELNS1_11target_archE910ELNS1_3gpuE8ELNS1_3repE0EEENS1_30default_config_static_selectorELNS0_4arch9wavefront6targetE0EEEvT1_ ; -- Begin function _ZN7rocprim17ROCPRIM_400000_NS6detail17trampoline_kernelINS0_14default_configENS1_33run_length_encode_config_selectorIN3c104HalfEjNS0_4plusIjEEEEZZNS1_33reduce_by_key_impl_wrapped_configILNS1_25lookback_scan_determinismE0ES3_S9_PKS6_NS0_17constant_iteratorIjlEEPS6_PlSH_S8_NS0_8equal_toIS6_EEEE10hipError_tPvRmT2_T3_mT4_T5_T6_T7_T8_P12ihipStream_tbENKUlT_T0_E_clISt17integral_constantIbLb0EES11_EEDaSW_SX_EUlSW_E_NS1_11comp_targetILNS1_3genE4ELNS1_11target_archE910ELNS1_3gpuE8ELNS1_3repE0EEENS1_30default_config_static_selectorELNS0_4arch9wavefront6targetE0EEEvT1_
	.globl	_ZN7rocprim17ROCPRIM_400000_NS6detail17trampoline_kernelINS0_14default_configENS1_33run_length_encode_config_selectorIN3c104HalfEjNS0_4plusIjEEEEZZNS1_33reduce_by_key_impl_wrapped_configILNS1_25lookback_scan_determinismE0ES3_S9_PKS6_NS0_17constant_iteratorIjlEEPS6_PlSH_S8_NS0_8equal_toIS6_EEEE10hipError_tPvRmT2_T3_mT4_T5_T6_T7_T8_P12ihipStream_tbENKUlT_T0_E_clISt17integral_constantIbLb0EES11_EEDaSW_SX_EUlSW_E_NS1_11comp_targetILNS1_3genE4ELNS1_11target_archE910ELNS1_3gpuE8ELNS1_3repE0EEENS1_30default_config_static_selectorELNS0_4arch9wavefront6targetE0EEEvT1_
	.p2align	8
	.type	_ZN7rocprim17ROCPRIM_400000_NS6detail17trampoline_kernelINS0_14default_configENS1_33run_length_encode_config_selectorIN3c104HalfEjNS0_4plusIjEEEEZZNS1_33reduce_by_key_impl_wrapped_configILNS1_25lookback_scan_determinismE0ES3_S9_PKS6_NS0_17constant_iteratorIjlEEPS6_PlSH_S8_NS0_8equal_toIS6_EEEE10hipError_tPvRmT2_T3_mT4_T5_T6_T7_T8_P12ihipStream_tbENKUlT_T0_E_clISt17integral_constantIbLb0EES11_EEDaSW_SX_EUlSW_E_NS1_11comp_targetILNS1_3genE4ELNS1_11target_archE910ELNS1_3gpuE8ELNS1_3repE0EEENS1_30default_config_static_selectorELNS0_4arch9wavefront6targetE0EEEvT1_,@function
_ZN7rocprim17ROCPRIM_400000_NS6detail17trampoline_kernelINS0_14default_configENS1_33run_length_encode_config_selectorIN3c104HalfEjNS0_4plusIjEEEEZZNS1_33reduce_by_key_impl_wrapped_configILNS1_25lookback_scan_determinismE0ES3_S9_PKS6_NS0_17constant_iteratorIjlEEPS6_PlSH_S8_NS0_8equal_toIS6_EEEE10hipError_tPvRmT2_T3_mT4_T5_T6_T7_T8_P12ihipStream_tbENKUlT_T0_E_clISt17integral_constantIbLb0EES11_EEDaSW_SX_EUlSW_E_NS1_11comp_targetILNS1_3genE4ELNS1_11target_archE910ELNS1_3gpuE8ELNS1_3repE0EEENS1_30default_config_static_selectorELNS0_4arch9wavefront6targetE0EEEvT1_: ; @_ZN7rocprim17ROCPRIM_400000_NS6detail17trampoline_kernelINS0_14default_configENS1_33run_length_encode_config_selectorIN3c104HalfEjNS0_4plusIjEEEEZZNS1_33reduce_by_key_impl_wrapped_configILNS1_25lookback_scan_determinismE0ES3_S9_PKS6_NS0_17constant_iteratorIjlEEPS6_PlSH_S8_NS0_8equal_toIS6_EEEE10hipError_tPvRmT2_T3_mT4_T5_T6_T7_T8_P12ihipStream_tbENKUlT_T0_E_clISt17integral_constantIbLb0EES11_EEDaSW_SX_EUlSW_E_NS1_11comp_targetILNS1_3genE4ELNS1_11target_archE910ELNS1_3gpuE8ELNS1_3repE0EEENS1_30default_config_static_selectorELNS0_4arch9wavefront6targetE0EEEvT1_
; %bb.0:
	.section	.rodata,"a",@progbits
	.p2align	6, 0x0
	.amdhsa_kernel _ZN7rocprim17ROCPRIM_400000_NS6detail17trampoline_kernelINS0_14default_configENS1_33run_length_encode_config_selectorIN3c104HalfEjNS0_4plusIjEEEEZZNS1_33reduce_by_key_impl_wrapped_configILNS1_25lookback_scan_determinismE0ES3_S9_PKS6_NS0_17constant_iteratorIjlEEPS6_PlSH_S8_NS0_8equal_toIS6_EEEE10hipError_tPvRmT2_T3_mT4_T5_T6_T7_T8_P12ihipStream_tbENKUlT_T0_E_clISt17integral_constantIbLb0EES11_EEDaSW_SX_EUlSW_E_NS1_11comp_targetILNS1_3genE4ELNS1_11target_archE910ELNS1_3gpuE8ELNS1_3repE0EEENS1_30default_config_static_selectorELNS0_4arch9wavefront6targetE0EEEvT1_
		.amdhsa_group_segment_fixed_size 0
		.amdhsa_private_segment_fixed_size 0
		.amdhsa_kernarg_size 128
		.amdhsa_user_sgpr_count 2
		.amdhsa_user_sgpr_dispatch_ptr 0
		.amdhsa_user_sgpr_queue_ptr 0
		.amdhsa_user_sgpr_kernarg_segment_ptr 1
		.amdhsa_user_sgpr_dispatch_id 0
		.amdhsa_user_sgpr_kernarg_preload_length 0
		.amdhsa_user_sgpr_kernarg_preload_offset 0
		.amdhsa_user_sgpr_private_segment_size 0
		.amdhsa_wavefront_size32 1
		.amdhsa_uses_dynamic_stack 0
		.amdhsa_enable_private_segment 0
		.amdhsa_system_sgpr_workgroup_id_x 1
		.amdhsa_system_sgpr_workgroup_id_y 0
		.amdhsa_system_sgpr_workgroup_id_z 0
		.amdhsa_system_sgpr_workgroup_info 0
		.amdhsa_system_vgpr_workitem_id 0
		.amdhsa_next_free_vgpr 1
		.amdhsa_next_free_sgpr 1
		.amdhsa_named_barrier_count 0
		.amdhsa_reserve_vcc 0
		.amdhsa_float_round_mode_32 0
		.amdhsa_float_round_mode_16_64 0
		.amdhsa_float_denorm_mode_32 3
		.amdhsa_float_denorm_mode_16_64 3
		.amdhsa_fp16_overflow 0
		.amdhsa_memory_ordered 1
		.amdhsa_forward_progress 1
		.amdhsa_inst_pref_size 0
		.amdhsa_round_robin_scheduling 0
		.amdhsa_exception_fp_ieee_invalid_op 0
		.amdhsa_exception_fp_denorm_src 0
		.amdhsa_exception_fp_ieee_div_zero 0
		.amdhsa_exception_fp_ieee_overflow 0
		.amdhsa_exception_fp_ieee_underflow 0
		.amdhsa_exception_fp_ieee_inexact 0
		.amdhsa_exception_int_div_zero 0
	.end_amdhsa_kernel
	.section	.text._ZN7rocprim17ROCPRIM_400000_NS6detail17trampoline_kernelINS0_14default_configENS1_33run_length_encode_config_selectorIN3c104HalfEjNS0_4plusIjEEEEZZNS1_33reduce_by_key_impl_wrapped_configILNS1_25lookback_scan_determinismE0ES3_S9_PKS6_NS0_17constant_iteratorIjlEEPS6_PlSH_S8_NS0_8equal_toIS6_EEEE10hipError_tPvRmT2_T3_mT4_T5_T6_T7_T8_P12ihipStream_tbENKUlT_T0_E_clISt17integral_constantIbLb0EES11_EEDaSW_SX_EUlSW_E_NS1_11comp_targetILNS1_3genE4ELNS1_11target_archE910ELNS1_3gpuE8ELNS1_3repE0EEENS1_30default_config_static_selectorELNS0_4arch9wavefront6targetE0EEEvT1_,"axG",@progbits,_ZN7rocprim17ROCPRIM_400000_NS6detail17trampoline_kernelINS0_14default_configENS1_33run_length_encode_config_selectorIN3c104HalfEjNS0_4plusIjEEEEZZNS1_33reduce_by_key_impl_wrapped_configILNS1_25lookback_scan_determinismE0ES3_S9_PKS6_NS0_17constant_iteratorIjlEEPS6_PlSH_S8_NS0_8equal_toIS6_EEEE10hipError_tPvRmT2_T3_mT4_T5_T6_T7_T8_P12ihipStream_tbENKUlT_T0_E_clISt17integral_constantIbLb0EES11_EEDaSW_SX_EUlSW_E_NS1_11comp_targetILNS1_3genE4ELNS1_11target_archE910ELNS1_3gpuE8ELNS1_3repE0EEENS1_30default_config_static_selectorELNS0_4arch9wavefront6targetE0EEEvT1_,comdat
.Lfunc_end927:
	.size	_ZN7rocprim17ROCPRIM_400000_NS6detail17trampoline_kernelINS0_14default_configENS1_33run_length_encode_config_selectorIN3c104HalfEjNS0_4plusIjEEEEZZNS1_33reduce_by_key_impl_wrapped_configILNS1_25lookback_scan_determinismE0ES3_S9_PKS6_NS0_17constant_iteratorIjlEEPS6_PlSH_S8_NS0_8equal_toIS6_EEEE10hipError_tPvRmT2_T3_mT4_T5_T6_T7_T8_P12ihipStream_tbENKUlT_T0_E_clISt17integral_constantIbLb0EES11_EEDaSW_SX_EUlSW_E_NS1_11comp_targetILNS1_3genE4ELNS1_11target_archE910ELNS1_3gpuE8ELNS1_3repE0EEENS1_30default_config_static_selectorELNS0_4arch9wavefront6targetE0EEEvT1_, .Lfunc_end927-_ZN7rocprim17ROCPRIM_400000_NS6detail17trampoline_kernelINS0_14default_configENS1_33run_length_encode_config_selectorIN3c104HalfEjNS0_4plusIjEEEEZZNS1_33reduce_by_key_impl_wrapped_configILNS1_25lookback_scan_determinismE0ES3_S9_PKS6_NS0_17constant_iteratorIjlEEPS6_PlSH_S8_NS0_8equal_toIS6_EEEE10hipError_tPvRmT2_T3_mT4_T5_T6_T7_T8_P12ihipStream_tbENKUlT_T0_E_clISt17integral_constantIbLb0EES11_EEDaSW_SX_EUlSW_E_NS1_11comp_targetILNS1_3genE4ELNS1_11target_archE910ELNS1_3gpuE8ELNS1_3repE0EEENS1_30default_config_static_selectorELNS0_4arch9wavefront6targetE0EEEvT1_
                                        ; -- End function
	.set _ZN7rocprim17ROCPRIM_400000_NS6detail17trampoline_kernelINS0_14default_configENS1_33run_length_encode_config_selectorIN3c104HalfEjNS0_4plusIjEEEEZZNS1_33reduce_by_key_impl_wrapped_configILNS1_25lookback_scan_determinismE0ES3_S9_PKS6_NS0_17constant_iteratorIjlEEPS6_PlSH_S8_NS0_8equal_toIS6_EEEE10hipError_tPvRmT2_T3_mT4_T5_T6_T7_T8_P12ihipStream_tbENKUlT_T0_E_clISt17integral_constantIbLb0EES11_EEDaSW_SX_EUlSW_E_NS1_11comp_targetILNS1_3genE4ELNS1_11target_archE910ELNS1_3gpuE8ELNS1_3repE0EEENS1_30default_config_static_selectorELNS0_4arch9wavefront6targetE0EEEvT1_.num_vgpr, 0
	.set _ZN7rocprim17ROCPRIM_400000_NS6detail17trampoline_kernelINS0_14default_configENS1_33run_length_encode_config_selectorIN3c104HalfEjNS0_4plusIjEEEEZZNS1_33reduce_by_key_impl_wrapped_configILNS1_25lookback_scan_determinismE0ES3_S9_PKS6_NS0_17constant_iteratorIjlEEPS6_PlSH_S8_NS0_8equal_toIS6_EEEE10hipError_tPvRmT2_T3_mT4_T5_T6_T7_T8_P12ihipStream_tbENKUlT_T0_E_clISt17integral_constantIbLb0EES11_EEDaSW_SX_EUlSW_E_NS1_11comp_targetILNS1_3genE4ELNS1_11target_archE910ELNS1_3gpuE8ELNS1_3repE0EEENS1_30default_config_static_selectorELNS0_4arch9wavefront6targetE0EEEvT1_.num_agpr, 0
	.set _ZN7rocprim17ROCPRIM_400000_NS6detail17trampoline_kernelINS0_14default_configENS1_33run_length_encode_config_selectorIN3c104HalfEjNS0_4plusIjEEEEZZNS1_33reduce_by_key_impl_wrapped_configILNS1_25lookback_scan_determinismE0ES3_S9_PKS6_NS0_17constant_iteratorIjlEEPS6_PlSH_S8_NS0_8equal_toIS6_EEEE10hipError_tPvRmT2_T3_mT4_T5_T6_T7_T8_P12ihipStream_tbENKUlT_T0_E_clISt17integral_constantIbLb0EES11_EEDaSW_SX_EUlSW_E_NS1_11comp_targetILNS1_3genE4ELNS1_11target_archE910ELNS1_3gpuE8ELNS1_3repE0EEENS1_30default_config_static_selectorELNS0_4arch9wavefront6targetE0EEEvT1_.numbered_sgpr, 0
	.set _ZN7rocprim17ROCPRIM_400000_NS6detail17trampoline_kernelINS0_14default_configENS1_33run_length_encode_config_selectorIN3c104HalfEjNS0_4plusIjEEEEZZNS1_33reduce_by_key_impl_wrapped_configILNS1_25lookback_scan_determinismE0ES3_S9_PKS6_NS0_17constant_iteratorIjlEEPS6_PlSH_S8_NS0_8equal_toIS6_EEEE10hipError_tPvRmT2_T3_mT4_T5_T6_T7_T8_P12ihipStream_tbENKUlT_T0_E_clISt17integral_constantIbLb0EES11_EEDaSW_SX_EUlSW_E_NS1_11comp_targetILNS1_3genE4ELNS1_11target_archE910ELNS1_3gpuE8ELNS1_3repE0EEENS1_30default_config_static_selectorELNS0_4arch9wavefront6targetE0EEEvT1_.num_named_barrier, 0
	.set _ZN7rocprim17ROCPRIM_400000_NS6detail17trampoline_kernelINS0_14default_configENS1_33run_length_encode_config_selectorIN3c104HalfEjNS0_4plusIjEEEEZZNS1_33reduce_by_key_impl_wrapped_configILNS1_25lookback_scan_determinismE0ES3_S9_PKS6_NS0_17constant_iteratorIjlEEPS6_PlSH_S8_NS0_8equal_toIS6_EEEE10hipError_tPvRmT2_T3_mT4_T5_T6_T7_T8_P12ihipStream_tbENKUlT_T0_E_clISt17integral_constantIbLb0EES11_EEDaSW_SX_EUlSW_E_NS1_11comp_targetILNS1_3genE4ELNS1_11target_archE910ELNS1_3gpuE8ELNS1_3repE0EEENS1_30default_config_static_selectorELNS0_4arch9wavefront6targetE0EEEvT1_.private_seg_size, 0
	.set _ZN7rocprim17ROCPRIM_400000_NS6detail17trampoline_kernelINS0_14default_configENS1_33run_length_encode_config_selectorIN3c104HalfEjNS0_4plusIjEEEEZZNS1_33reduce_by_key_impl_wrapped_configILNS1_25lookback_scan_determinismE0ES3_S9_PKS6_NS0_17constant_iteratorIjlEEPS6_PlSH_S8_NS0_8equal_toIS6_EEEE10hipError_tPvRmT2_T3_mT4_T5_T6_T7_T8_P12ihipStream_tbENKUlT_T0_E_clISt17integral_constantIbLb0EES11_EEDaSW_SX_EUlSW_E_NS1_11comp_targetILNS1_3genE4ELNS1_11target_archE910ELNS1_3gpuE8ELNS1_3repE0EEENS1_30default_config_static_selectorELNS0_4arch9wavefront6targetE0EEEvT1_.uses_vcc, 0
	.set _ZN7rocprim17ROCPRIM_400000_NS6detail17trampoline_kernelINS0_14default_configENS1_33run_length_encode_config_selectorIN3c104HalfEjNS0_4plusIjEEEEZZNS1_33reduce_by_key_impl_wrapped_configILNS1_25lookback_scan_determinismE0ES3_S9_PKS6_NS0_17constant_iteratorIjlEEPS6_PlSH_S8_NS0_8equal_toIS6_EEEE10hipError_tPvRmT2_T3_mT4_T5_T6_T7_T8_P12ihipStream_tbENKUlT_T0_E_clISt17integral_constantIbLb0EES11_EEDaSW_SX_EUlSW_E_NS1_11comp_targetILNS1_3genE4ELNS1_11target_archE910ELNS1_3gpuE8ELNS1_3repE0EEENS1_30default_config_static_selectorELNS0_4arch9wavefront6targetE0EEEvT1_.uses_flat_scratch, 0
	.set _ZN7rocprim17ROCPRIM_400000_NS6detail17trampoline_kernelINS0_14default_configENS1_33run_length_encode_config_selectorIN3c104HalfEjNS0_4plusIjEEEEZZNS1_33reduce_by_key_impl_wrapped_configILNS1_25lookback_scan_determinismE0ES3_S9_PKS6_NS0_17constant_iteratorIjlEEPS6_PlSH_S8_NS0_8equal_toIS6_EEEE10hipError_tPvRmT2_T3_mT4_T5_T6_T7_T8_P12ihipStream_tbENKUlT_T0_E_clISt17integral_constantIbLb0EES11_EEDaSW_SX_EUlSW_E_NS1_11comp_targetILNS1_3genE4ELNS1_11target_archE910ELNS1_3gpuE8ELNS1_3repE0EEENS1_30default_config_static_selectorELNS0_4arch9wavefront6targetE0EEEvT1_.has_dyn_sized_stack, 0
	.set _ZN7rocprim17ROCPRIM_400000_NS6detail17trampoline_kernelINS0_14default_configENS1_33run_length_encode_config_selectorIN3c104HalfEjNS0_4plusIjEEEEZZNS1_33reduce_by_key_impl_wrapped_configILNS1_25lookback_scan_determinismE0ES3_S9_PKS6_NS0_17constant_iteratorIjlEEPS6_PlSH_S8_NS0_8equal_toIS6_EEEE10hipError_tPvRmT2_T3_mT4_T5_T6_T7_T8_P12ihipStream_tbENKUlT_T0_E_clISt17integral_constantIbLb0EES11_EEDaSW_SX_EUlSW_E_NS1_11comp_targetILNS1_3genE4ELNS1_11target_archE910ELNS1_3gpuE8ELNS1_3repE0EEENS1_30default_config_static_selectorELNS0_4arch9wavefront6targetE0EEEvT1_.has_recursion, 0
	.set _ZN7rocprim17ROCPRIM_400000_NS6detail17trampoline_kernelINS0_14default_configENS1_33run_length_encode_config_selectorIN3c104HalfEjNS0_4plusIjEEEEZZNS1_33reduce_by_key_impl_wrapped_configILNS1_25lookback_scan_determinismE0ES3_S9_PKS6_NS0_17constant_iteratorIjlEEPS6_PlSH_S8_NS0_8equal_toIS6_EEEE10hipError_tPvRmT2_T3_mT4_T5_T6_T7_T8_P12ihipStream_tbENKUlT_T0_E_clISt17integral_constantIbLb0EES11_EEDaSW_SX_EUlSW_E_NS1_11comp_targetILNS1_3genE4ELNS1_11target_archE910ELNS1_3gpuE8ELNS1_3repE0EEENS1_30default_config_static_selectorELNS0_4arch9wavefront6targetE0EEEvT1_.has_indirect_call, 0
	.section	.AMDGPU.csdata,"",@progbits
; Kernel info:
; codeLenInByte = 0
; TotalNumSgprs: 0
; NumVgprs: 0
; ScratchSize: 0
; MemoryBound: 0
; FloatMode: 240
; IeeeMode: 1
; LDSByteSize: 0 bytes/workgroup (compile time only)
; SGPRBlocks: 0
; VGPRBlocks: 0
; NumSGPRsForWavesPerEU: 1
; NumVGPRsForWavesPerEU: 1
; NamedBarCnt: 0
; Occupancy: 16
; WaveLimiterHint : 0
; COMPUTE_PGM_RSRC2:SCRATCH_EN: 0
; COMPUTE_PGM_RSRC2:USER_SGPR: 2
; COMPUTE_PGM_RSRC2:TRAP_HANDLER: 0
; COMPUTE_PGM_RSRC2:TGID_X_EN: 1
; COMPUTE_PGM_RSRC2:TGID_Y_EN: 0
; COMPUTE_PGM_RSRC2:TGID_Z_EN: 0
; COMPUTE_PGM_RSRC2:TIDIG_COMP_CNT: 0
	.section	.text._ZN7rocprim17ROCPRIM_400000_NS6detail17trampoline_kernelINS0_14default_configENS1_33run_length_encode_config_selectorIN3c104HalfEjNS0_4plusIjEEEEZZNS1_33reduce_by_key_impl_wrapped_configILNS1_25lookback_scan_determinismE0ES3_S9_PKS6_NS0_17constant_iteratorIjlEEPS6_PlSH_S8_NS0_8equal_toIS6_EEEE10hipError_tPvRmT2_T3_mT4_T5_T6_T7_T8_P12ihipStream_tbENKUlT_T0_E_clISt17integral_constantIbLb0EES11_EEDaSW_SX_EUlSW_E_NS1_11comp_targetILNS1_3genE3ELNS1_11target_archE908ELNS1_3gpuE7ELNS1_3repE0EEENS1_30default_config_static_selectorELNS0_4arch9wavefront6targetE0EEEvT1_,"axG",@progbits,_ZN7rocprim17ROCPRIM_400000_NS6detail17trampoline_kernelINS0_14default_configENS1_33run_length_encode_config_selectorIN3c104HalfEjNS0_4plusIjEEEEZZNS1_33reduce_by_key_impl_wrapped_configILNS1_25lookback_scan_determinismE0ES3_S9_PKS6_NS0_17constant_iteratorIjlEEPS6_PlSH_S8_NS0_8equal_toIS6_EEEE10hipError_tPvRmT2_T3_mT4_T5_T6_T7_T8_P12ihipStream_tbENKUlT_T0_E_clISt17integral_constantIbLb0EES11_EEDaSW_SX_EUlSW_E_NS1_11comp_targetILNS1_3genE3ELNS1_11target_archE908ELNS1_3gpuE7ELNS1_3repE0EEENS1_30default_config_static_selectorELNS0_4arch9wavefront6targetE0EEEvT1_,comdat
	.protected	_ZN7rocprim17ROCPRIM_400000_NS6detail17trampoline_kernelINS0_14default_configENS1_33run_length_encode_config_selectorIN3c104HalfEjNS0_4plusIjEEEEZZNS1_33reduce_by_key_impl_wrapped_configILNS1_25lookback_scan_determinismE0ES3_S9_PKS6_NS0_17constant_iteratorIjlEEPS6_PlSH_S8_NS0_8equal_toIS6_EEEE10hipError_tPvRmT2_T3_mT4_T5_T6_T7_T8_P12ihipStream_tbENKUlT_T0_E_clISt17integral_constantIbLb0EES11_EEDaSW_SX_EUlSW_E_NS1_11comp_targetILNS1_3genE3ELNS1_11target_archE908ELNS1_3gpuE7ELNS1_3repE0EEENS1_30default_config_static_selectorELNS0_4arch9wavefront6targetE0EEEvT1_ ; -- Begin function _ZN7rocprim17ROCPRIM_400000_NS6detail17trampoline_kernelINS0_14default_configENS1_33run_length_encode_config_selectorIN3c104HalfEjNS0_4plusIjEEEEZZNS1_33reduce_by_key_impl_wrapped_configILNS1_25lookback_scan_determinismE0ES3_S9_PKS6_NS0_17constant_iteratorIjlEEPS6_PlSH_S8_NS0_8equal_toIS6_EEEE10hipError_tPvRmT2_T3_mT4_T5_T6_T7_T8_P12ihipStream_tbENKUlT_T0_E_clISt17integral_constantIbLb0EES11_EEDaSW_SX_EUlSW_E_NS1_11comp_targetILNS1_3genE3ELNS1_11target_archE908ELNS1_3gpuE7ELNS1_3repE0EEENS1_30default_config_static_selectorELNS0_4arch9wavefront6targetE0EEEvT1_
	.globl	_ZN7rocprim17ROCPRIM_400000_NS6detail17trampoline_kernelINS0_14default_configENS1_33run_length_encode_config_selectorIN3c104HalfEjNS0_4plusIjEEEEZZNS1_33reduce_by_key_impl_wrapped_configILNS1_25lookback_scan_determinismE0ES3_S9_PKS6_NS0_17constant_iteratorIjlEEPS6_PlSH_S8_NS0_8equal_toIS6_EEEE10hipError_tPvRmT2_T3_mT4_T5_T6_T7_T8_P12ihipStream_tbENKUlT_T0_E_clISt17integral_constantIbLb0EES11_EEDaSW_SX_EUlSW_E_NS1_11comp_targetILNS1_3genE3ELNS1_11target_archE908ELNS1_3gpuE7ELNS1_3repE0EEENS1_30default_config_static_selectorELNS0_4arch9wavefront6targetE0EEEvT1_
	.p2align	8
	.type	_ZN7rocprim17ROCPRIM_400000_NS6detail17trampoline_kernelINS0_14default_configENS1_33run_length_encode_config_selectorIN3c104HalfEjNS0_4plusIjEEEEZZNS1_33reduce_by_key_impl_wrapped_configILNS1_25lookback_scan_determinismE0ES3_S9_PKS6_NS0_17constant_iteratorIjlEEPS6_PlSH_S8_NS0_8equal_toIS6_EEEE10hipError_tPvRmT2_T3_mT4_T5_T6_T7_T8_P12ihipStream_tbENKUlT_T0_E_clISt17integral_constantIbLb0EES11_EEDaSW_SX_EUlSW_E_NS1_11comp_targetILNS1_3genE3ELNS1_11target_archE908ELNS1_3gpuE7ELNS1_3repE0EEENS1_30default_config_static_selectorELNS0_4arch9wavefront6targetE0EEEvT1_,@function
_ZN7rocprim17ROCPRIM_400000_NS6detail17trampoline_kernelINS0_14default_configENS1_33run_length_encode_config_selectorIN3c104HalfEjNS0_4plusIjEEEEZZNS1_33reduce_by_key_impl_wrapped_configILNS1_25lookback_scan_determinismE0ES3_S9_PKS6_NS0_17constant_iteratorIjlEEPS6_PlSH_S8_NS0_8equal_toIS6_EEEE10hipError_tPvRmT2_T3_mT4_T5_T6_T7_T8_P12ihipStream_tbENKUlT_T0_E_clISt17integral_constantIbLb0EES11_EEDaSW_SX_EUlSW_E_NS1_11comp_targetILNS1_3genE3ELNS1_11target_archE908ELNS1_3gpuE7ELNS1_3repE0EEENS1_30default_config_static_selectorELNS0_4arch9wavefront6targetE0EEEvT1_: ; @_ZN7rocprim17ROCPRIM_400000_NS6detail17trampoline_kernelINS0_14default_configENS1_33run_length_encode_config_selectorIN3c104HalfEjNS0_4plusIjEEEEZZNS1_33reduce_by_key_impl_wrapped_configILNS1_25lookback_scan_determinismE0ES3_S9_PKS6_NS0_17constant_iteratorIjlEEPS6_PlSH_S8_NS0_8equal_toIS6_EEEE10hipError_tPvRmT2_T3_mT4_T5_T6_T7_T8_P12ihipStream_tbENKUlT_T0_E_clISt17integral_constantIbLb0EES11_EEDaSW_SX_EUlSW_E_NS1_11comp_targetILNS1_3genE3ELNS1_11target_archE908ELNS1_3gpuE7ELNS1_3repE0EEENS1_30default_config_static_selectorELNS0_4arch9wavefront6targetE0EEEvT1_
; %bb.0:
	.section	.rodata,"a",@progbits
	.p2align	6, 0x0
	.amdhsa_kernel _ZN7rocprim17ROCPRIM_400000_NS6detail17trampoline_kernelINS0_14default_configENS1_33run_length_encode_config_selectorIN3c104HalfEjNS0_4plusIjEEEEZZNS1_33reduce_by_key_impl_wrapped_configILNS1_25lookback_scan_determinismE0ES3_S9_PKS6_NS0_17constant_iteratorIjlEEPS6_PlSH_S8_NS0_8equal_toIS6_EEEE10hipError_tPvRmT2_T3_mT4_T5_T6_T7_T8_P12ihipStream_tbENKUlT_T0_E_clISt17integral_constantIbLb0EES11_EEDaSW_SX_EUlSW_E_NS1_11comp_targetILNS1_3genE3ELNS1_11target_archE908ELNS1_3gpuE7ELNS1_3repE0EEENS1_30default_config_static_selectorELNS0_4arch9wavefront6targetE0EEEvT1_
		.amdhsa_group_segment_fixed_size 0
		.amdhsa_private_segment_fixed_size 0
		.amdhsa_kernarg_size 128
		.amdhsa_user_sgpr_count 2
		.amdhsa_user_sgpr_dispatch_ptr 0
		.amdhsa_user_sgpr_queue_ptr 0
		.amdhsa_user_sgpr_kernarg_segment_ptr 1
		.amdhsa_user_sgpr_dispatch_id 0
		.amdhsa_user_sgpr_kernarg_preload_length 0
		.amdhsa_user_sgpr_kernarg_preload_offset 0
		.amdhsa_user_sgpr_private_segment_size 0
		.amdhsa_wavefront_size32 1
		.amdhsa_uses_dynamic_stack 0
		.amdhsa_enable_private_segment 0
		.amdhsa_system_sgpr_workgroup_id_x 1
		.amdhsa_system_sgpr_workgroup_id_y 0
		.amdhsa_system_sgpr_workgroup_id_z 0
		.amdhsa_system_sgpr_workgroup_info 0
		.amdhsa_system_vgpr_workitem_id 0
		.amdhsa_next_free_vgpr 1
		.amdhsa_next_free_sgpr 1
		.amdhsa_named_barrier_count 0
		.amdhsa_reserve_vcc 0
		.amdhsa_float_round_mode_32 0
		.amdhsa_float_round_mode_16_64 0
		.amdhsa_float_denorm_mode_32 3
		.amdhsa_float_denorm_mode_16_64 3
		.amdhsa_fp16_overflow 0
		.amdhsa_memory_ordered 1
		.amdhsa_forward_progress 1
		.amdhsa_inst_pref_size 0
		.amdhsa_round_robin_scheduling 0
		.amdhsa_exception_fp_ieee_invalid_op 0
		.amdhsa_exception_fp_denorm_src 0
		.amdhsa_exception_fp_ieee_div_zero 0
		.amdhsa_exception_fp_ieee_overflow 0
		.amdhsa_exception_fp_ieee_underflow 0
		.amdhsa_exception_fp_ieee_inexact 0
		.amdhsa_exception_int_div_zero 0
	.end_amdhsa_kernel
	.section	.text._ZN7rocprim17ROCPRIM_400000_NS6detail17trampoline_kernelINS0_14default_configENS1_33run_length_encode_config_selectorIN3c104HalfEjNS0_4plusIjEEEEZZNS1_33reduce_by_key_impl_wrapped_configILNS1_25lookback_scan_determinismE0ES3_S9_PKS6_NS0_17constant_iteratorIjlEEPS6_PlSH_S8_NS0_8equal_toIS6_EEEE10hipError_tPvRmT2_T3_mT4_T5_T6_T7_T8_P12ihipStream_tbENKUlT_T0_E_clISt17integral_constantIbLb0EES11_EEDaSW_SX_EUlSW_E_NS1_11comp_targetILNS1_3genE3ELNS1_11target_archE908ELNS1_3gpuE7ELNS1_3repE0EEENS1_30default_config_static_selectorELNS0_4arch9wavefront6targetE0EEEvT1_,"axG",@progbits,_ZN7rocprim17ROCPRIM_400000_NS6detail17trampoline_kernelINS0_14default_configENS1_33run_length_encode_config_selectorIN3c104HalfEjNS0_4plusIjEEEEZZNS1_33reduce_by_key_impl_wrapped_configILNS1_25lookback_scan_determinismE0ES3_S9_PKS6_NS0_17constant_iteratorIjlEEPS6_PlSH_S8_NS0_8equal_toIS6_EEEE10hipError_tPvRmT2_T3_mT4_T5_T6_T7_T8_P12ihipStream_tbENKUlT_T0_E_clISt17integral_constantIbLb0EES11_EEDaSW_SX_EUlSW_E_NS1_11comp_targetILNS1_3genE3ELNS1_11target_archE908ELNS1_3gpuE7ELNS1_3repE0EEENS1_30default_config_static_selectorELNS0_4arch9wavefront6targetE0EEEvT1_,comdat
.Lfunc_end928:
	.size	_ZN7rocprim17ROCPRIM_400000_NS6detail17trampoline_kernelINS0_14default_configENS1_33run_length_encode_config_selectorIN3c104HalfEjNS0_4plusIjEEEEZZNS1_33reduce_by_key_impl_wrapped_configILNS1_25lookback_scan_determinismE0ES3_S9_PKS6_NS0_17constant_iteratorIjlEEPS6_PlSH_S8_NS0_8equal_toIS6_EEEE10hipError_tPvRmT2_T3_mT4_T5_T6_T7_T8_P12ihipStream_tbENKUlT_T0_E_clISt17integral_constantIbLb0EES11_EEDaSW_SX_EUlSW_E_NS1_11comp_targetILNS1_3genE3ELNS1_11target_archE908ELNS1_3gpuE7ELNS1_3repE0EEENS1_30default_config_static_selectorELNS0_4arch9wavefront6targetE0EEEvT1_, .Lfunc_end928-_ZN7rocprim17ROCPRIM_400000_NS6detail17trampoline_kernelINS0_14default_configENS1_33run_length_encode_config_selectorIN3c104HalfEjNS0_4plusIjEEEEZZNS1_33reduce_by_key_impl_wrapped_configILNS1_25lookback_scan_determinismE0ES3_S9_PKS6_NS0_17constant_iteratorIjlEEPS6_PlSH_S8_NS0_8equal_toIS6_EEEE10hipError_tPvRmT2_T3_mT4_T5_T6_T7_T8_P12ihipStream_tbENKUlT_T0_E_clISt17integral_constantIbLb0EES11_EEDaSW_SX_EUlSW_E_NS1_11comp_targetILNS1_3genE3ELNS1_11target_archE908ELNS1_3gpuE7ELNS1_3repE0EEENS1_30default_config_static_selectorELNS0_4arch9wavefront6targetE0EEEvT1_
                                        ; -- End function
	.set _ZN7rocprim17ROCPRIM_400000_NS6detail17trampoline_kernelINS0_14default_configENS1_33run_length_encode_config_selectorIN3c104HalfEjNS0_4plusIjEEEEZZNS1_33reduce_by_key_impl_wrapped_configILNS1_25lookback_scan_determinismE0ES3_S9_PKS6_NS0_17constant_iteratorIjlEEPS6_PlSH_S8_NS0_8equal_toIS6_EEEE10hipError_tPvRmT2_T3_mT4_T5_T6_T7_T8_P12ihipStream_tbENKUlT_T0_E_clISt17integral_constantIbLb0EES11_EEDaSW_SX_EUlSW_E_NS1_11comp_targetILNS1_3genE3ELNS1_11target_archE908ELNS1_3gpuE7ELNS1_3repE0EEENS1_30default_config_static_selectorELNS0_4arch9wavefront6targetE0EEEvT1_.num_vgpr, 0
	.set _ZN7rocprim17ROCPRIM_400000_NS6detail17trampoline_kernelINS0_14default_configENS1_33run_length_encode_config_selectorIN3c104HalfEjNS0_4plusIjEEEEZZNS1_33reduce_by_key_impl_wrapped_configILNS1_25lookback_scan_determinismE0ES3_S9_PKS6_NS0_17constant_iteratorIjlEEPS6_PlSH_S8_NS0_8equal_toIS6_EEEE10hipError_tPvRmT2_T3_mT4_T5_T6_T7_T8_P12ihipStream_tbENKUlT_T0_E_clISt17integral_constantIbLb0EES11_EEDaSW_SX_EUlSW_E_NS1_11comp_targetILNS1_3genE3ELNS1_11target_archE908ELNS1_3gpuE7ELNS1_3repE0EEENS1_30default_config_static_selectorELNS0_4arch9wavefront6targetE0EEEvT1_.num_agpr, 0
	.set _ZN7rocprim17ROCPRIM_400000_NS6detail17trampoline_kernelINS0_14default_configENS1_33run_length_encode_config_selectorIN3c104HalfEjNS0_4plusIjEEEEZZNS1_33reduce_by_key_impl_wrapped_configILNS1_25lookback_scan_determinismE0ES3_S9_PKS6_NS0_17constant_iteratorIjlEEPS6_PlSH_S8_NS0_8equal_toIS6_EEEE10hipError_tPvRmT2_T3_mT4_T5_T6_T7_T8_P12ihipStream_tbENKUlT_T0_E_clISt17integral_constantIbLb0EES11_EEDaSW_SX_EUlSW_E_NS1_11comp_targetILNS1_3genE3ELNS1_11target_archE908ELNS1_3gpuE7ELNS1_3repE0EEENS1_30default_config_static_selectorELNS0_4arch9wavefront6targetE0EEEvT1_.numbered_sgpr, 0
	.set _ZN7rocprim17ROCPRIM_400000_NS6detail17trampoline_kernelINS0_14default_configENS1_33run_length_encode_config_selectorIN3c104HalfEjNS0_4plusIjEEEEZZNS1_33reduce_by_key_impl_wrapped_configILNS1_25lookback_scan_determinismE0ES3_S9_PKS6_NS0_17constant_iteratorIjlEEPS6_PlSH_S8_NS0_8equal_toIS6_EEEE10hipError_tPvRmT2_T3_mT4_T5_T6_T7_T8_P12ihipStream_tbENKUlT_T0_E_clISt17integral_constantIbLb0EES11_EEDaSW_SX_EUlSW_E_NS1_11comp_targetILNS1_3genE3ELNS1_11target_archE908ELNS1_3gpuE7ELNS1_3repE0EEENS1_30default_config_static_selectorELNS0_4arch9wavefront6targetE0EEEvT1_.num_named_barrier, 0
	.set _ZN7rocprim17ROCPRIM_400000_NS6detail17trampoline_kernelINS0_14default_configENS1_33run_length_encode_config_selectorIN3c104HalfEjNS0_4plusIjEEEEZZNS1_33reduce_by_key_impl_wrapped_configILNS1_25lookback_scan_determinismE0ES3_S9_PKS6_NS0_17constant_iteratorIjlEEPS6_PlSH_S8_NS0_8equal_toIS6_EEEE10hipError_tPvRmT2_T3_mT4_T5_T6_T7_T8_P12ihipStream_tbENKUlT_T0_E_clISt17integral_constantIbLb0EES11_EEDaSW_SX_EUlSW_E_NS1_11comp_targetILNS1_3genE3ELNS1_11target_archE908ELNS1_3gpuE7ELNS1_3repE0EEENS1_30default_config_static_selectorELNS0_4arch9wavefront6targetE0EEEvT1_.private_seg_size, 0
	.set _ZN7rocprim17ROCPRIM_400000_NS6detail17trampoline_kernelINS0_14default_configENS1_33run_length_encode_config_selectorIN3c104HalfEjNS0_4plusIjEEEEZZNS1_33reduce_by_key_impl_wrapped_configILNS1_25lookback_scan_determinismE0ES3_S9_PKS6_NS0_17constant_iteratorIjlEEPS6_PlSH_S8_NS0_8equal_toIS6_EEEE10hipError_tPvRmT2_T3_mT4_T5_T6_T7_T8_P12ihipStream_tbENKUlT_T0_E_clISt17integral_constantIbLb0EES11_EEDaSW_SX_EUlSW_E_NS1_11comp_targetILNS1_3genE3ELNS1_11target_archE908ELNS1_3gpuE7ELNS1_3repE0EEENS1_30default_config_static_selectorELNS0_4arch9wavefront6targetE0EEEvT1_.uses_vcc, 0
	.set _ZN7rocprim17ROCPRIM_400000_NS6detail17trampoline_kernelINS0_14default_configENS1_33run_length_encode_config_selectorIN3c104HalfEjNS0_4plusIjEEEEZZNS1_33reduce_by_key_impl_wrapped_configILNS1_25lookback_scan_determinismE0ES3_S9_PKS6_NS0_17constant_iteratorIjlEEPS6_PlSH_S8_NS0_8equal_toIS6_EEEE10hipError_tPvRmT2_T3_mT4_T5_T6_T7_T8_P12ihipStream_tbENKUlT_T0_E_clISt17integral_constantIbLb0EES11_EEDaSW_SX_EUlSW_E_NS1_11comp_targetILNS1_3genE3ELNS1_11target_archE908ELNS1_3gpuE7ELNS1_3repE0EEENS1_30default_config_static_selectorELNS0_4arch9wavefront6targetE0EEEvT1_.uses_flat_scratch, 0
	.set _ZN7rocprim17ROCPRIM_400000_NS6detail17trampoline_kernelINS0_14default_configENS1_33run_length_encode_config_selectorIN3c104HalfEjNS0_4plusIjEEEEZZNS1_33reduce_by_key_impl_wrapped_configILNS1_25lookback_scan_determinismE0ES3_S9_PKS6_NS0_17constant_iteratorIjlEEPS6_PlSH_S8_NS0_8equal_toIS6_EEEE10hipError_tPvRmT2_T3_mT4_T5_T6_T7_T8_P12ihipStream_tbENKUlT_T0_E_clISt17integral_constantIbLb0EES11_EEDaSW_SX_EUlSW_E_NS1_11comp_targetILNS1_3genE3ELNS1_11target_archE908ELNS1_3gpuE7ELNS1_3repE0EEENS1_30default_config_static_selectorELNS0_4arch9wavefront6targetE0EEEvT1_.has_dyn_sized_stack, 0
	.set _ZN7rocprim17ROCPRIM_400000_NS6detail17trampoline_kernelINS0_14default_configENS1_33run_length_encode_config_selectorIN3c104HalfEjNS0_4plusIjEEEEZZNS1_33reduce_by_key_impl_wrapped_configILNS1_25lookback_scan_determinismE0ES3_S9_PKS6_NS0_17constant_iteratorIjlEEPS6_PlSH_S8_NS0_8equal_toIS6_EEEE10hipError_tPvRmT2_T3_mT4_T5_T6_T7_T8_P12ihipStream_tbENKUlT_T0_E_clISt17integral_constantIbLb0EES11_EEDaSW_SX_EUlSW_E_NS1_11comp_targetILNS1_3genE3ELNS1_11target_archE908ELNS1_3gpuE7ELNS1_3repE0EEENS1_30default_config_static_selectorELNS0_4arch9wavefront6targetE0EEEvT1_.has_recursion, 0
	.set _ZN7rocprim17ROCPRIM_400000_NS6detail17trampoline_kernelINS0_14default_configENS1_33run_length_encode_config_selectorIN3c104HalfEjNS0_4plusIjEEEEZZNS1_33reduce_by_key_impl_wrapped_configILNS1_25lookback_scan_determinismE0ES3_S9_PKS6_NS0_17constant_iteratorIjlEEPS6_PlSH_S8_NS0_8equal_toIS6_EEEE10hipError_tPvRmT2_T3_mT4_T5_T6_T7_T8_P12ihipStream_tbENKUlT_T0_E_clISt17integral_constantIbLb0EES11_EEDaSW_SX_EUlSW_E_NS1_11comp_targetILNS1_3genE3ELNS1_11target_archE908ELNS1_3gpuE7ELNS1_3repE0EEENS1_30default_config_static_selectorELNS0_4arch9wavefront6targetE0EEEvT1_.has_indirect_call, 0
	.section	.AMDGPU.csdata,"",@progbits
; Kernel info:
; codeLenInByte = 0
; TotalNumSgprs: 0
; NumVgprs: 0
; ScratchSize: 0
; MemoryBound: 0
; FloatMode: 240
; IeeeMode: 1
; LDSByteSize: 0 bytes/workgroup (compile time only)
; SGPRBlocks: 0
; VGPRBlocks: 0
; NumSGPRsForWavesPerEU: 1
; NumVGPRsForWavesPerEU: 1
; NamedBarCnt: 0
; Occupancy: 16
; WaveLimiterHint : 0
; COMPUTE_PGM_RSRC2:SCRATCH_EN: 0
; COMPUTE_PGM_RSRC2:USER_SGPR: 2
; COMPUTE_PGM_RSRC2:TRAP_HANDLER: 0
; COMPUTE_PGM_RSRC2:TGID_X_EN: 1
; COMPUTE_PGM_RSRC2:TGID_Y_EN: 0
; COMPUTE_PGM_RSRC2:TGID_Z_EN: 0
; COMPUTE_PGM_RSRC2:TIDIG_COMP_CNT: 0
	.section	.text._ZN7rocprim17ROCPRIM_400000_NS6detail17trampoline_kernelINS0_14default_configENS1_33run_length_encode_config_selectorIN3c104HalfEjNS0_4plusIjEEEEZZNS1_33reduce_by_key_impl_wrapped_configILNS1_25lookback_scan_determinismE0ES3_S9_PKS6_NS0_17constant_iteratorIjlEEPS6_PlSH_S8_NS0_8equal_toIS6_EEEE10hipError_tPvRmT2_T3_mT4_T5_T6_T7_T8_P12ihipStream_tbENKUlT_T0_E_clISt17integral_constantIbLb0EES11_EEDaSW_SX_EUlSW_E_NS1_11comp_targetILNS1_3genE2ELNS1_11target_archE906ELNS1_3gpuE6ELNS1_3repE0EEENS1_30default_config_static_selectorELNS0_4arch9wavefront6targetE0EEEvT1_,"axG",@progbits,_ZN7rocprim17ROCPRIM_400000_NS6detail17trampoline_kernelINS0_14default_configENS1_33run_length_encode_config_selectorIN3c104HalfEjNS0_4plusIjEEEEZZNS1_33reduce_by_key_impl_wrapped_configILNS1_25lookback_scan_determinismE0ES3_S9_PKS6_NS0_17constant_iteratorIjlEEPS6_PlSH_S8_NS0_8equal_toIS6_EEEE10hipError_tPvRmT2_T3_mT4_T5_T6_T7_T8_P12ihipStream_tbENKUlT_T0_E_clISt17integral_constantIbLb0EES11_EEDaSW_SX_EUlSW_E_NS1_11comp_targetILNS1_3genE2ELNS1_11target_archE906ELNS1_3gpuE6ELNS1_3repE0EEENS1_30default_config_static_selectorELNS0_4arch9wavefront6targetE0EEEvT1_,comdat
	.protected	_ZN7rocprim17ROCPRIM_400000_NS6detail17trampoline_kernelINS0_14default_configENS1_33run_length_encode_config_selectorIN3c104HalfEjNS0_4plusIjEEEEZZNS1_33reduce_by_key_impl_wrapped_configILNS1_25lookback_scan_determinismE0ES3_S9_PKS6_NS0_17constant_iteratorIjlEEPS6_PlSH_S8_NS0_8equal_toIS6_EEEE10hipError_tPvRmT2_T3_mT4_T5_T6_T7_T8_P12ihipStream_tbENKUlT_T0_E_clISt17integral_constantIbLb0EES11_EEDaSW_SX_EUlSW_E_NS1_11comp_targetILNS1_3genE2ELNS1_11target_archE906ELNS1_3gpuE6ELNS1_3repE0EEENS1_30default_config_static_selectorELNS0_4arch9wavefront6targetE0EEEvT1_ ; -- Begin function _ZN7rocprim17ROCPRIM_400000_NS6detail17trampoline_kernelINS0_14default_configENS1_33run_length_encode_config_selectorIN3c104HalfEjNS0_4plusIjEEEEZZNS1_33reduce_by_key_impl_wrapped_configILNS1_25lookback_scan_determinismE0ES3_S9_PKS6_NS0_17constant_iteratorIjlEEPS6_PlSH_S8_NS0_8equal_toIS6_EEEE10hipError_tPvRmT2_T3_mT4_T5_T6_T7_T8_P12ihipStream_tbENKUlT_T0_E_clISt17integral_constantIbLb0EES11_EEDaSW_SX_EUlSW_E_NS1_11comp_targetILNS1_3genE2ELNS1_11target_archE906ELNS1_3gpuE6ELNS1_3repE0EEENS1_30default_config_static_selectorELNS0_4arch9wavefront6targetE0EEEvT1_
	.globl	_ZN7rocprim17ROCPRIM_400000_NS6detail17trampoline_kernelINS0_14default_configENS1_33run_length_encode_config_selectorIN3c104HalfEjNS0_4plusIjEEEEZZNS1_33reduce_by_key_impl_wrapped_configILNS1_25lookback_scan_determinismE0ES3_S9_PKS6_NS0_17constant_iteratorIjlEEPS6_PlSH_S8_NS0_8equal_toIS6_EEEE10hipError_tPvRmT2_T3_mT4_T5_T6_T7_T8_P12ihipStream_tbENKUlT_T0_E_clISt17integral_constantIbLb0EES11_EEDaSW_SX_EUlSW_E_NS1_11comp_targetILNS1_3genE2ELNS1_11target_archE906ELNS1_3gpuE6ELNS1_3repE0EEENS1_30default_config_static_selectorELNS0_4arch9wavefront6targetE0EEEvT1_
	.p2align	8
	.type	_ZN7rocprim17ROCPRIM_400000_NS6detail17trampoline_kernelINS0_14default_configENS1_33run_length_encode_config_selectorIN3c104HalfEjNS0_4plusIjEEEEZZNS1_33reduce_by_key_impl_wrapped_configILNS1_25lookback_scan_determinismE0ES3_S9_PKS6_NS0_17constant_iteratorIjlEEPS6_PlSH_S8_NS0_8equal_toIS6_EEEE10hipError_tPvRmT2_T3_mT4_T5_T6_T7_T8_P12ihipStream_tbENKUlT_T0_E_clISt17integral_constantIbLb0EES11_EEDaSW_SX_EUlSW_E_NS1_11comp_targetILNS1_3genE2ELNS1_11target_archE906ELNS1_3gpuE6ELNS1_3repE0EEENS1_30default_config_static_selectorELNS0_4arch9wavefront6targetE0EEEvT1_,@function
_ZN7rocprim17ROCPRIM_400000_NS6detail17trampoline_kernelINS0_14default_configENS1_33run_length_encode_config_selectorIN3c104HalfEjNS0_4plusIjEEEEZZNS1_33reduce_by_key_impl_wrapped_configILNS1_25lookback_scan_determinismE0ES3_S9_PKS6_NS0_17constant_iteratorIjlEEPS6_PlSH_S8_NS0_8equal_toIS6_EEEE10hipError_tPvRmT2_T3_mT4_T5_T6_T7_T8_P12ihipStream_tbENKUlT_T0_E_clISt17integral_constantIbLb0EES11_EEDaSW_SX_EUlSW_E_NS1_11comp_targetILNS1_3genE2ELNS1_11target_archE906ELNS1_3gpuE6ELNS1_3repE0EEENS1_30default_config_static_selectorELNS0_4arch9wavefront6targetE0EEEvT1_: ; @_ZN7rocprim17ROCPRIM_400000_NS6detail17trampoline_kernelINS0_14default_configENS1_33run_length_encode_config_selectorIN3c104HalfEjNS0_4plusIjEEEEZZNS1_33reduce_by_key_impl_wrapped_configILNS1_25lookback_scan_determinismE0ES3_S9_PKS6_NS0_17constant_iteratorIjlEEPS6_PlSH_S8_NS0_8equal_toIS6_EEEE10hipError_tPvRmT2_T3_mT4_T5_T6_T7_T8_P12ihipStream_tbENKUlT_T0_E_clISt17integral_constantIbLb0EES11_EEDaSW_SX_EUlSW_E_NS1_11comp_targetILNS1_3genE2ELNS1_11target_archE906ELNS1_3gpuE6ELNS1_3repE0EEENS1_30default_config_static_selectorELNS0_4arch9wavefront6targetE0EEEvT1_
; %bb.0:
	.section	.rodata,"a",@progbits
	.p2align	6, 0x0
	.amdhsa_kernel _ZN7rocprim17ROCPRIM_400000_NS6detail17trampoline_kernelINS0_14default_configENS1_33run_length_encode_config_selectorIN3c104HalfEjNS0_4plusIjEEEEZZNS1_33reduce_by_key_impl_wrapped_configILNS1_25lookback_scan_determinismE0ES3_S9_PKS6_NS0_17constant_iteratorIjlEEPS6_PlSH_S8_NS0_8equal_toIS6_EEEE10hipError_tPvRmT2_T3_mT4_T5_T6_T7_T8_P12ihipStream_tbENKUlT_T0_E_clISt17integral_constantIbLb0EES11_EEDaSW_SX_EUlSW_E_NS1_11comp_targetILNS1_3genE2ELNS1_11target_archE906ELNS1_3gpuE6ELNS1_3repE0EEENS1_30default_config_static_selectorELNS0_4arch9wavefront6targetE0EEEvT1_
		.amdhsa_group_segment_fixed_size 0
		.amdhsa_private_segment_fixed_size 0
		.amdhsa_kernarg_size 128
		.amdhsa_user_sgpr_count 2
		.amdhsa_user_sgpr_dispatch_ptr 0
		.amdhsa_user_sgpr_queue_ptr 0
		.amdhsa_user_sgpr_kernarg_segment_ptr 1
		.amdhsa_user_sgpr_dispatch_id 0
		.amdhsa_user_sgpr_kernarg_preload_length 0
		.amdhsa_user_sgpr_kernarg_preload_offset 0
		.amdhsa_user_sgpr_private_segment_size 0
		.amdhsa_wavefront_size32 1
		.amdhsa_uses_dynamic_stack 0
		.amdhsa_enable_private_segment 0
		.amdhsa_system_sgpr_workgroup_id_x 1
		.amdhsa_system_sgpr_workgroup_id_y 0
		.amdhsa_system_sgpr_workgroup_id_z 0
		.amdhsa_system_sgpr_workgroup_info 0
		.amdhsa_system_vgpr_workitem_id 0
		.amdhsa_next_free_vgpr 1
		.amdhsa_next_free_sgpr 1
		.amdhsa_named_barrier_count 0
		.amdhsa_reserve_vcc 0
		.amdhsa_float_round_mode_32 0
		.amdhsa_float_round_mode_16_64 0
		.amdhsa_float_denorm_mode_32 3
		.amdhsa_float_denorm_mode_16_64 3
		.amdhsa_fp16_overflow 0
		.amdhsa_memory_ordered 1
		.amdhsa_forward_progress 1
		.amdhsa_inst_pref_size 0
		.amdhsa_round_robin_scheduling 0
		.amdhsa_exception_fp_ieee_invalid_op 0
		.amdhsa_exception_fp_denorm_src 0
		.amdhsa_exception_fp_ieee_div_zero 0
		.amdhsa_exception_fp_ieee_overflow 0
		.amdhsa_exception_fp_ieee_underflow 0
		.amdhsa_exception_fp_ieee_inexact 0
		.amdhsa_exception_int_div_zero 0
	.end_amdhsa_kernel
	.section	.text._ZN7rocprim17ROCPRIM_400000_NS6detail17trampoline_kernelINS0_14default_configENS1_33run_length_encode_config_selectorIN3c104HalfEjNS0_4plusIjEEEEZZNS1_33reduce_by_key_impl_wrapped_configILNS1_25lookback_scan_determinismE0ES3_S9_PKS6_NS0_17constant_iteratorIjlEEPS6_PlSH_S8_NS0_8equal_toIS6_EEEE10hipError_tPvRmT2_T3_mT4_T5_T6_T7_T8_P12ihipStream_tbENKUlT_T0_E_clISt17integral_constantIbLb0EES11_EEDaSW_SX_EUlSW_E_NS1_11comp_targetILNS1_3genE2ELNS1_11target_archE906ELNS1_3gpuE6ELNS1_3repE0EEENS1_30default_config_static_selectorELNS0_4arch9wavefront6targetE0EEEvT1_,"axG",@progbits,_ZN7rocprim17ROCPRIM_400000_NS6detail17trampoline_kernelINS0_14default_configENS1_33run_length_encode_config_selectorIN3c104HalfEjNS0_4plusIjEEEEZZNS1_33reduce_by_key_impl_wrapped_configILNS1_25lookback_scan_determinismE0ES3_S9_PKS6_NS0_17constant_iteratorIjlEEPS6_PlSH_S8_NS0_8equal_toIS6_EEEE10hipError_tPvRmT2_T3_mT4_T5_T6_T7_T8_P12ihipStream_tbENKUlT_T0_E_clISt17integral_constantIbLb0EES11_EEDaSW_SX_EUlSW_E_NS1_11comp_targetILNS1_3genE2ELNS1_11target_archE906ELNS1_3gpuE6ELNS1_3repE0EEENS1_30default_config_static_selectorELNS0_4arch9wavefront6targetE0EEEvT1_,comdat
.Lfunc_end929:
	.size	_ZN7rocprim17ROCPRIM_400000_NS6detail17trampoline_kernelINS0_14default_configENS1_33run_length_encode_config_selectorIN3c104HalfEjNS0_4plusIjEEEEZZNS1_33reduce_by_key_impl_wrapped_configILNS1_25lookback_scan_determinismE0ES3_S9_PKS6_NS0_17constant_iteratorIjlEEPS6_PlSH_S8_NS0_8equal_toIS6_EEEE10hipError_tPvRmT2_T3_mT4_T5_T6_T7_T8_P12ihipStream_tbENKUlT_T0_E_clISt17integral_constantIbLb0EES11_EEDaSW_SX_EUlSW_E_NS1_11comp_targetILNS1_3genE2ELNS1_11target_archE906ELNS1_3gpuE6ELNS1_3repE0EEENS1_30default_config_static_selectorELNS0_4arch9wavefront6targetE0EEEvT1_, .Lfunc_end929-_ZN7rocprim17ROCPRIM_400000_NS6detail17trampoline_kernelINS0_14default_configENS1_33run_length_encode_config_selectorIN3c104HalfEjNS0_4plusIjEEEEZZNS1_33reduce_by_key_impl_wrapped_configILNS1_25lookback_scan_determinismE0ES3_S9_PKS6_NS0_17constant_iteratorIjlEEPS6_PlSH_S8_NS0_8equal_toIS6_EEEE10hipError_tPvRmT2_T3_mT4_T5_T6_T7_T8_P12ihipStream_tbENKUlT_T0_E_clISt17integral_constantIbLb0EES11_EEDaSW_SX_EUlSW_E_NS1_11comp_targetILNS1_3genE2ELNS1_11target_archE906ELNS1_3gpuE6ELNS1_3repE0EEENS1_30default_config_static_selectorELNS0_4arch9wavefront6targetE0EEEvT1_
                                        ; -- End function
	.set _ZN7rocprim17ROCPRIM_400000_NS6detail17trampoline_kernelINS0_14default_configENS1_33run_length_encode_config_selectorIN3c104HalfEjNS0_4plusIjEEEEZZNS1_33reduce_by_key_impl_wrapped_configILNS1_25lookback_scan_determinismE0ES3_S9_PKS6_NS0_17constant_iteratorIjlEEPS6_PlSH_S8_NS0_8equal_toIS6_EEEE10hipError_tPvRmT2_T3_mT4_T5_T6_T7_T8_P12ihipStream_tbENKUlT_T0_E_clISt17integral_constantIbLb0EES11_EEDaSW_SX_EUlSW_E_NS1_11comp_targetILNS1_3genE2ELNS1_11target_archE906ELNS1_3gpuE6ELNS1_3repE0EEENS1_30default_config_static_selectorELNS0_4arch9wavefront6targetE0EEEvT1_.num_vgpr, 0
	.set _ZN7rocprim17ROCPRIM_400000_NS6detail17trampoline_kernelINS0_14default_configENS1_33run_length_encode_config_selectorIN3c104HalfEjNS0_4plusIjEEEEZZNS1_33reduce_by_key_impl_wrapped_configILNS1_25lookback_scan_determinismE0ES3_S9_PKS6_NS0_17constant_iteratorIjlEEPS6_PlSH_S8_NS0_8equal_toIS6_EEEE10hipError_tPvRmT2_T3_mT4_T5_T6_T7_T8_P12ihipStream_tbENKUlT_T0_E_clISt17integral_constantIbLb0EES11_EEDaSW_SX_EUlSW_E_NS1_11comp_targetILNS1_3genE2ELNS1_11target_archE906ELNS1_3gpuE6ELNS1_3repE0EEENS1_30default_config_static_selectorELNS0_4arch9wavefront6targetE0EEEvT1_.num_agpr, 0
	.set _ZN7rocprim17ROCPRIM_400000_NS6detail17trampoline_kernelINS0_14default_configENS1_33run_length_encode_config_selectorIN3c104HalfEjNS0_4plusIjEEEEZZNS1_33reduce_by_key_impl_wrapped_configILNS1_25lookback_scan_determinismE0ES3_S9_PKS6_NS0_17constant_iteratorIjlEEPS6_PlSH_S8_NS0_8equal_toIS6_EEEE10hipError_tPvRmT2_T3_mT4_T5_T6_T7_T8_P12ihipStream_tbENKUlT_T0_E_clISt17integral_constantIbLb0EES11_EEDaSW_SX_EUlSW_E_NS1_11comp_targetILNS1_3genE2ELNS1_11target_archE906ELNS1_3gpuE6ELNS1_3repE0EEENS1_30default_config_static_selectorELNS0_4arch9wavefront6targetE0EEEvT1_.numbered_sgpr, 0
	.set _ZN7rocprim17ROCPRIM_400000_NS6detail17trampoline_kernelINS0_14default_configENS1_33run_length_encode_config_selectorIN3c104HalfEjNS0_4plusIjEEEEZZNS1_33reduce_by_key_impl_wrapped_configILNS1_25lookback_scan_determinismE0ES3_S9_PKS6_NS0_17constant_iteratorIjlEEPS6_PlSH_S8_NS0_8equal_toIS6_EEEE10hipError_tPvRmT2_T3_mT4_T5_T6_T7_T8_P12ihipStream_tbENKUlT_T0_E_clISt17integral_constantIbLb0EES11_EEDaSW_SX_EUlSW_E_NS1_11comp_targetILNS1_3genE2ELNS1_11target_archE906ELNS1_3gpuE6ELNS1_3repE0EEENS1_30default_config_static_selectorELNS0_4arch9wavefront6targetE0EEEvT1_.num_named_barrier, 0
	.set _ZN7rocprim17ROCPRIM_400000_NS6detail17trampoline_kernelINS0_14default_configENS1_33run_length_encode_config_selectorIN3c104HalfEjNS0_4plusIjEEEEZZNS1_33reduce_by_key_impl_wrapped_configILNS1_25lookback_scan_determinismE0ES3_S9_PKS6_NS0_17constant_iteratorIjlEEPS6_PlSH_S8_NS0_8equal_toIS6_EEEE10hipError_tPvRmT2_T3_mT4_T5_T6_T7_T8_P12ihipStream_tbENKUlT_T0_E_clISt17integral_constantIbLb0EES11_EEDaSW_SX_EUlSW_E_NS1_11comp_targetILNS1_3genE2ELNS1_11target_archE906ELNS1_3gpuE6ELNS1_3repE0EEENS1_30default_config_static_selectorELNS0_4arch9wavefront6targetE0EEEvT1_.private_seg_size, 0
	.set _ZN7rocprim17ROCPRIM_400000_NS6detail17trampoline_kernelINS0_14default_configENS1_33run_length_encode_config_selectorIN3c104HalfEjNS0_4plusIjEEEEZZNS1_33reduce_by_key_impl_wrapped_configILNS1_25lookback_scan_determinismE0ES3_S9_PKS6_NS0_17constant_iteratorIjlEEPS6_PlSH_S8_NS0_8equal_toIS6_EEEE10hipError_tPvRmT2_T3_mT4_T5_T6_T7_T8_P12ihipStream_tbENKUlT_T0_E_clISt17integral_constantIbLb0EES11_EEDaSW_SX_EUlSW_E_NS1_11comp_targetILNS1_3genE2ELNS1_11target_archE906ELNS1_3gpuE6ELNS1_3repE0EEENS1_30default_config_static_selectorELNS0_4arch9wavefront6targetE0EEEvT1_.uses_vcc, 0
	.set _ZN7rocprim17ROCPRIM_400000_NS6detail17trampoline_kernelINS0_14default_configENS1_33run_length_encode_config_selectorIN3c104HalfEjNS0_4plusIjEEEEZZNS1_33reduce_by_key_impl_wrapped_configILNS1_25lookback_scan_determinismE0ES3_S9_PKS6_NS0_17constant_iteratorIjlEEPS6_PlSH_S8_NS0_8equal_toIS6_EEEE10hipError_tPvRmT2_T3_mT4_T5_T6_T7_T8_P12ihipStream_tbENKUlT_T0_E_clISt17integral_constantIbLb0EES11_EEDaSW_SX_EUlSW_E_NS1_11comp_targetILNS1_3genE2ELNS1_11target_archE906ELNS1_3gpuE6ELNS1_3repE0EEENS1_30default_config_static_selectorELNS0_4arch9wavefront6targetE0EEEvT1_.uses_flat_scratch, 0
	.set _ZN7rocprim17ROCPRIM_400000_NS6detail17trampoline_kernelINS0_14default_configENS1_33run_length_encode_config_selectorIN3c104HalfEjNS0_4plusIjEEEEZZNS1_33reduce_by_key_impl_wrapped_configILNS1_25lookback_scan_determinismE0ES3_S9_PKS6_NS0_17constant_iteratorIjlEEPS6_PlSH_S8_NS0_8equal_toIS6_EEEE10hipError_tPvRmT2_T3_mT4_T5_T6_T7_T8_P12ihipStream_tbENKUlT_T0_E_clISt17integral_constantIbLb0EES11_EEDaSW_SX_EUlSW_E_NS1_11comp_targetILNS1_3genE2ELNS1_11target_archE906ELNS1_3gpuE6ELNS1_3repE0EEENS1_30default_config_static_selectorELNS0_4arch9wavefront6targetE0EEEvT1_.has_dyn_sized_stack, 0
	.set _ZN7rocprim17ROCPRIM_400000_NS6detail17trampoline_kernelINS0_14default_configENS1_33run_length_encode_config_selectorIN3c104HalfEjNS0_4plusIjEEEEZZNS1_33reduce_by_key_impl_wrapped_configILNS1_25lookback_scan_determinismE0ES3_S9_PKS6_NS0_17constant_iteratorIjlEEPS6_PlSH_S8_NS0_8equal_toIS6_EEEE10hipError_tPvRmT2_T3_mT4_T5_T6_T7_T8_P12ihipStream_tbENKUlT_T0_E_clISt17integral_constantIbLb0EES11_EEDaSW_SX_EUlSW_E_NS1_11comp_targetILNS1_3genE2ELNS1_11target_archE906ELNS1_3gpuE6ELNS1_3repE0EEENS1_30default_config_static_selectorELNS0_4arch9wavefront6targetE0EEEvT1_.has_recursion, 0
	.set _ZN7rocprim17ROCPRIM_400000_NS6detail17trampoline_kernelINS0_14default_configENS1_33run_length_encode_config_selectorIN3c104HalfEjNS0_4plusIjEEEEZZNS1_33reduce_by_key_impl_wrapped_configILNS1_25lookback_scan_determinismE0ES3_S9_PKS6_NS0_17constant_iteratorIjlEEPS6_PlSH_S8_NS0_8equal_toIS6_EEEE10hipError_tPvRmT2_T3_mT4_T5_T6_T7_T8_P12ihipStream_tbENKUlT_T0_E_clISt17integral_constantIbLb0EES11_EEDaSW_SX_EUlSW_E_NS1_11comp_targetILNS1_3genE2ELNS1_11target_archE906ELNS1_3gpuE6ELNS1_3repE0EEENS1_30default_config_static_selectorELNS0_4arch9wavefront6targetE0EEEvT1_.has_indirect_call, 0
	.section	.AMDGPU.csdata,"",@progbits
; Kernel info:
; codeLenInByte = 0
; TotalNumSgprs: 0
; NumVgprs: 0
; ScratchSize: 0
; MemoryBound: 0
; FloatMode: 240
; IeeeMode: 1
; LDSByteSize: 0 bytes/workgroup (compile time only)
; SGPRBlocks: 0
; VGPRBlocks: 0
; NumSGPRsForWavesPerEU: 1
; NumVGPRsForWavesPerEU: 1
; NamedBarCnt: 0
; Occupancy: 16
; WaveLimiterHint : 0
; COMPUTE_PGM_RSRC2:SCRATCH_EN: 0
; COMPUTE_PGM_RSRC2:USER_SGPR: 2
; COMPUTE_PGM_RSRC2:TRAP_HANDLER: 0
; COMPUTE_PGM_RSRC2:TGID_X_EN: 1
; COMPUTE_PGM_RSRC2:TGID_Y_EN: 0
; COMPUTE_PGM_RSRC2:TGID_Z_EN: 0
; COMPUTE_PGM_RSRC2:TIDIG_COMP_CNT: 0
	.section	.text._ZN7rocprim17ROCPRIM_400000_NS6detail17trampoline_kernelINS0_14default_configENS1_33run_length_encode_config_selectorIN3c104HalfEjNS0_4plusIjEEEEZZNS1_33reduce_by_key_impl_wrapped_configILNS1_25lookback_scan_determinismE0ES3_S9_PKS6_NS0_17constant_iteratorIjlEEPS6_PlSH_S8_NS0_8equal_toIS6_EEEE10hipError_tPvRmT2_T3_mT4_T5_T6_T7_T8_P12ihipStream_tbENKUlT_T0_E_clISt17integral_constantIbLb0EES11_EEDaSW_SX_EUlSW_E_NS1_11comp_targetILNS1_3genE10ELNS1_11target_archE1201ELNS1_3gpuE5ELNS1_3repE0EEENS1_30default_config_static_selectorELNS0_4arch9wavefront6targetE0EEEvT1_,"axG",@progbits,_ZN7rocprim17ROCPRIM_400000_NS6detail17trampoline_kernelINS0_14default_configENS1_33run_length_encode_config_selectorIN3c104HalfEjNS0_4plusIjEEEEZZNS1_33reduce_by_key_impl_wrapped_configILNS1_25lookback_scan_determinismE0ES3_S9_PKS6_NS0_17constant_iteratorIjlEEPS6_PlSH_S8_NS0_8equal_toIS6_EEEE10hipError_tPvRmT2_T3_mT4_T5_T6_T7_T8_P12ihipStream_tbENKUlT_T0_E_clISt17integral_constantIbLb0EES11_EEDaSW_SX_EUlSW_E_NS1_11comp_targetILNS1_3genE10ELNS1_11target_archE1201ELNS1_3gpuE5ELNS1_3repE0EEENS1_30default_config_static_selectorELNS0_4arch9wavefront6targetE0EEEvT1_,comdat
	.protected	_ZN7rocprim17ROCPRIM_400000_NS6detail17trampoline_kernelINS0_14default_configENS1_33run_length_encode_config_selectorIN3c104HalfEjNS0_4plusIjEEEEZZNS1_33reduce_by_key_impl_wrapped_configILNS1_25lookback_scan_determinismE0ES3_S9_PKS6_NS0_17constant_iteratorIjlEEPS6_PlSH_S8_NS0_8equal_toIS6_EEEE10hipError_tPvRmT2_T3_mT4_T5_T6_T7_T8_P12ihipStream_tbENKUlT_T0_E_clISt17integral_constantIbLb0EES11_EEDaSW_SX_EUlSW_E_NS1_11comp_targetILNS1_3genE10ELNS1_11target_archE1201ELNS1_3gpuE5ELNS1_3repE0EEENS1_30default_config_static_selectorELNS0_4arch9wavefront6targetE0EEEvT1_ ; -- Begin function _ZN7rocprim17ROCPRIM_400000_NS6detail17trampoline_kernelINS0_14default_configENS1_33run_length_encode_config_selectorIN3c104HalfEjNS0_4plusIjEEEEZZNS1_33reduce_by_key_impl_wrapped_configILNS1_25lookback_scan_determinismE0ES3_S9_PKS6_NS0_17constant_iteratorIjlEEPS6_PlSH_S8_NS0_8equal_toIS6_EEEE10hipError_tPvRmT2_T3_mT4_T5_T6_T7_T8_P12ihipStream_tbENKUlT_T0_E_clISt17integral_constantIbLb0EES11_EEDaSW_SX_EUlSW_E_NS1_11comp_targetILNS1_3genE10ELNS1_11target_archE1201ELNS1_3gpuE5ELNS1_3repE0EEENS1_30default_config_static_selectorELNS0_4arch9wavefront6targetE0EEEvT1_
	.globl	_ZN7rocprim17ROCPRIM_400000_NS6detail17trampoline_kernelINS0_14default_configENS1_33run_length_encode_config_selectorIN3c104HalfEjNS0_4plusIjEEEEZZNS1_33reduce_by_key_impl_wrapped_configILNS1_25lookback_scan_determinismE0ES3_S9_PKS6_NS0_17constant_iteratorIjlEEPS6_PlSH_S8_NS0_8equal_toIS6_EEEE10hipError_tPvRmT2_T3_mT4_T5_T6_T7_T8_P12ihipStream_tbENKUlT_T0_E_clISt17integral_constantIbLb0EES11_EEDaSW_SX_EUlSW_E_NS1_11comp_targetILNS1_3genE10ELNS1_11target_archE1201ELNS1_3gpuE5ELNS1_3repE0EEENS1_30default_config_static_selectorELNS0_4arch9wavefront6targetE0EEEvT1_
	.p2align	8
	.type	_ZN7rocprim17ROCPRIM_400000_NS6detail17trampoline_kernelINS0_14default_configENS1_33run_length_encode_config_selectorIN3c104HalfEjNS0_4plusIjEEEEZZNS1_33reduce_by_key_impl_wrapped_configILNS1_25lookback_scan_determinismE0ES3_S9_PKS6_NS0_17constant_iteratorIjlEEPS6_PlSH_S8_NS0_8equal_toIS6_EEEE10hipError_tPvRmT2_T3_mT4_T5_T6_T7_T8_P12ihipStream_tbENKUlT_T0_E_clISt17integral_constantIbLb0EES11_EEDaSW_SX_EUlSW_E_NS1_11comp_targetILNS1_3genE10ELNS1_11target_archE1201ELNS1_3gpuE5ELNS1_3repE0EEENS1_30default_config_static_selectorELNS0_4arch9wavefront6targetE0EEEvT1_,@function
_ZN7rocprim17ROCPRIM_400000_NS6detail17trampoline_kernelINS0_14default_configENS1_33run_length_encode_config_selectorIN3c104HalfEjNS0_4plusIjEEEEZZNS1_33reduce_by_key_impl_wrapped_configILNS1_25lookback_scan_determinismE0ES3_S9_PKS6_NS0_17constant_iteratorIjlEEPS6_PlSH_S8_NS0_8equal_toIS6_EEEE10hipError_tPvRmT2_T3_mT4_T5_T6_T7_T8_P12ihipStream_tbENKUlT_T0_E_clISt17integral_constantIbLb0EES11_EEDaSW_SX_EUlSW_E_NS1_11comp_targetILNS1_3genE10ELNS1_11target_archE1201ELNS1_3gpuE5ELNS1_3repE0EEENS1_30default_config_static_selectorELNS0_4arch9wavefront6targetE0EEEvT1_: ; @_ZN7rocprim17ROCPRIM_400000_NS6detail17trampoline_kernelINS0_14default_configENS1_33run_length_encode_config_selectorIN3c104HalfEjNS0_4plusIjEEEEZZNS1_33reduce_by_key_impl_wrapped_configILNS1_25lookback_scan_determinismE0ES3_S9_PKS6_NS0_17constant_iteratorIjlEEPS6_PlSH_S8_NS0_8equal_toIS6_EEEE10hipError_tPvRmT2_T3_mT4_T5_T6_T7_T8_P12ihipStream_tbENKUlT_T0_E_clISt17integral_constantIbLb0EES11_EEDaSW_SX_EUlSW_E_NS1_11comp_targetILNS1_3genE10ELNS1_11target_archE1201ELNS1_3gpuE5ELNS1_3repE0EEENS1_30default_config_static_selectorELNS0_4arch9wavefront6targetE0EEEvT1_
; %bb.0:
	.section	.rodata,"a",@progbits
	.p2align	6, 0x0
	.amdhsa_kernel _ZN7rocprim17ROCPRIM_400000_NS6detail17trampoline_kernelINS0_14default_configENS1_33run_length_encode_config_selectorIN3c104HalfEjNS0_4plusIjEEEEZZNS1_33reduce_by_key_impl_wrapped_configILNS1_25lookback_scan_determinismE0ES3_S9_PKS6_NS0_17constant_iteratorIjlEEPS6_PlSH_S8_NS0_8equal_toIS6_EEEE10hipError_tPvRmT2_T3_mT4_T5_T6_T7_T8_P12ihipStream_tbENKUlT_T0_E_clISt17integral_constantIbLb0EES11_EEDaSW_SX_EUlSW_E_NS1_11comp_targetILNS1_3genE10ELNS1_11target_archE1201ELNS1_3gpuE5ELNS1_3repE0EEENS1_30default_config_static_selectorELNS0_4arch9wavefront6targetE0EEEvT1_
		.amdhsa_group_segment_fixed_size 0
		.amdhsa_private_segment_fixed_size 0
		.amdhsa_kernarg_size 128
		.amdhsa_user_sgpr_count 2
		.amdhsa_user_sgpr_dispatch_ptr 0
		.amdhsa_user_sgpr_queue_ptr 0
		.amdhsa_user_sgpr_kernarg_segment_ptr 1
		.amdhsa_user_sgpr_dispatch_id 0
		.amdhsa_user_sgpr_kernarg_preload_length 0
		.amdhsa_user_sgpr_kernarg_preload_offset 0
		.amdhsa_user_sgpr_private_segment_size 0
		.amdhsa_wavefront_size32 1
		.amdhsa_uses_dynamic_stack 0
		.amdhsa_enable_private_segment 0
		.amdhsa_system_sgpr_workgroup_id_x 1
		.amdhsa_system_sgpr_workgroup_id_y 0
		.amdhsa_system_sgpr_workgroup_id_z 0
		.amdhsa_system_sgpr_workgroup_info 0
		.amdhsa_system_vgpr_workitem_id 0
		.amdhsa_next_free_vgpr 1
		.amdhsa_next_free_sgpr 1
		.amdhsa_named_barrier_count 0
		.amdhsa_reserve_vcc 0
		.amdhsa_float_round_mode_32 0
		.amdhsa_float_round_mode_16_64 0
		.amdhsa_float_denorm_mode_32 3
		.amdhsa_float_denorm_mode_16_64 3
		.amdhsa_fp16_overflow 0
		.amdhsa_memory_ordered 1
		.amdhsa_forward_progress 1
		.amdhsa_inst_pref_size 0
		.amdhsa_round_robin_scheduling 0
		.amdhsa_exception_fp_ieee_invalid_op 0
		.amdhsa_exception_fp_denorm_src 0
		.amdhsa_exception_fp_ieee_div_zero 0
		.amdhsa_exception_fp_ieee_overflow 0
		.amdhsa_exception_fp_ieee_underflow 0
		.amdhsa_exception_fp_ieee_inexact 0
		.amdhsa_exception_int_div_zero 0
	.end_amdhsa_kernel
	.section	.text._ZN7rocprim17ROCPRIM_400000_NS6detail17trampoline_kernelINS0_14default_configENS1_33run_length_encode_config_selectorIN3c104HalfEjNS0_4plusIjEEEEZZNS1_33reduce_by_key_impl_wrapped_configILNS1_25lookback_scan_determinismE0ES3_S9_PKS6_NS0_17constant_iteratorIjlEEPS6_PlSH_S8_NS0_8equal_toIS6_EEEE10hipError_tPvRmT2_T3_mT4_T5_T6_T7_T8_P12ihipStream_tbENKUlT_T0_E_clISt17integral_constantIbLb0EES11_EEDaSW_SX_EUlSW_E_NS1_11comp_targetILNS1_3genE10ELNS1_11target_archE1201ELNS1_3gpuE5ELNS1_3repE0EEENS1_30default_config_static_selectorELNS0_4arch9wavefront6targetE0EEEvT1_,"axG",@progbits,_ZN7rocprim17ROCPRIM_400000_NS6detail17trampoline_kernelINS0_14default_configENS1_33run_length_encode_config_selectorIN3c104HalfEjNS0_4plusIjEEEEZZNS1_33reduce_by_key_impl_wrapped_configILNS1_25lookback_scan_determinismE0ES3_S9_PKS6_NS0_17constant_iteratorIjlEEPS6_PlSH_S8_NS0_8equal_toIS6_EEEE10hipError_tPvRmT2_T3_mT4_T5_T6_T7_T8_P12ihipStream_tbENKUlT_T0_E_clISt17integral_constantIbLb0EES11_EEDaSW_SX_EUlSW_E_NS1_11comp_targetILNS1_3genE10ELNS1_11target_archE1201ELNS1_3gpuE5ELNS1_3repE0EEENS1_30default_config_static_selectorELNS0_4arch9wavefront6targetE0EEEvT1_,comdat
.Lfunc_end930:
	.size	_ZN7rocprim17ROCPRIM_400000_NS6detail17trampoline_kernelINS0_14default_configENS1_33run_length_encode_config_selectorIN3c104HalfEjNS0_4plusIjEEEEZZNS1_33reduce_by_key_impl_wrapped_configILNS1_25lookback_scan_determinismE0ES3_S9_PKS6_NS0_17constant_iteratorIjlEEPS6_PlSH_S8_NS0_8equal_toIS6_EEEE10hipError_tPvRmT2_T3_mT4_T5_T6_T7_T8_P12ihipStream_tbENKUlT_T0_E_clISt17integral_constantIbLb0EES11_EEDaSW_SX_EUlSW_E_NS1_11comp_targetILNS1_3genE10ELNS1_11target_archE1201ELNS1_3gpuE5ELNS1_3repE0EEENS1_30default_config_static_selectorELNS0_4arch9wavefront6targetE0EEEvT1_, .Lfunc_end930-_ZN7rocprim17ROCPRIM_400000_NS6detail17trampoline_kernelINS0_14default_configENS1_33run_length_encode_config_selectorIN3c104HalfEjNS0_4plusIjEEEEZZNS1_33reduce_by_key_impl_wrapped_configILNS1_25lookback_scan_determinismE0ES3_S9_PKS6_NS0_17constant_iteratorIjlEEPS6_PlSH_S8_NS0_8equal_toIS6_EEEE10hipError_tPvRmT2_T3_mT4_T5_T6_T7_T8_P12ihipStream_tbENKUlT_T0_E_clISt17integral_constantIbLb0EES11_EEDaSW_SX_EUlSW_E_NS1_11comp_targetILNS1_3genE10ELNS1_11target_archE1201ELNS1_3gpuE5ELNS1_3repE0EEENS1_30default_config_static_selectorELNS0_4arch9wavefront6targetE0EEEvT1_
                                        ; -- End function
	.set _ZN7rocprim17ROCPRIM_400000_NS6detail17trampoline_kernelINS0_14default_configENS1_33run_length_encode_config_selectorIN3c104HalfEjNS0_4plusIjEEEEZZNS1_33reduce_by_key_impl_wrapped_configILNS1_25lookback_scan_determinismE0ES3_S9_PKS6_NS0_17constant_iteratorIjlEEPS6_PlSH_S8_NS0_8equal_toIS6_EEEE10hipError_tPvRmT2_T3_mT4_T5_T6_T7_T8_P12ihipStream_tbENKUlT_T0_E_clISt17integral_constantIbLb0EES11_EEDaSW_SX_EUlSW_E_NS1_11comp_targetILNS1_3genE10ELNS1_11target_archE1201ELNS1_3gpuE5ELNS1_3repE0EEENS1_30default_config_static_selectorELNS0_4arch9wavefront6targetE0EEEvT1_.num_vgpr, 0
	.set _ZN7rocprim17ROCPRIM_400000_NS6detail17trampoline_kernelINS0_14default_configENS1_33run_length_encode_config_selectorIN3c104HalfEjNS0_4plusIjEEEEZZNS1_33reduce_by_key_impl_wrapped_configILNS1_25lookback_scan_determinismE0ES3_S9_PKS6_NS0_17constant_iteratorIjlEEPS6_PlSH_S8_NS0_8equal_toIS6_EEEE10hipError_tPvRmT2_T3_mT4_T5_T6_T7_T8_P12ihipStream_tbENKUlT_T0_E_clISt17integral_constantIbLb0EES11_EEDaSW_SX_EUlSW_E_NS1_11comp_targetILNS1_3genE10ELNS1_11target_archE1201ELNS1_3gpuE5ELNS1_3repE0EEENS1_30default_config_static_selectorELNS0_4arch9wavefront6targetE0EEEvT1_.num_agpr, 0
	.set _ZN7rocprim17ROCPRIM_400000_NS6detail17trampoline_kernelINS0_14default_configENS1_33run_length_encode_config_selectorIN3c104HalfEjNS0_4plusIjEEEEZZNS1_33reduce_by_key_impl_wrapped_configILNS1_25lookback_scan_determinismE0ES3_S9_PKS6_NS0_17constant_iteratorIjlEEPS6_PlSH_S8_NS0_8equal_toIS6_EEEE10hipError_tPvRmT2_T3_mT4_T5_T6_T7_T8_P12ihipStream_tbENKUlT_T0_E_clISt17integral_constantIbLb0EES11_EEDaSW_SX_EUlSW_E_NS1_11comp_targetILNS1_3genE10ELNS1_11target_archE1201ELNS1_3gpuE5ELNS1_3repE0EEENS1_30default_config_static_selectorELNS0_4arch9wavefront6targetE0EEEvT1_.numbered_sgpr, 0
	.set _ZN7rocprim17ROCPRIM_400000_NS6detail17trampoline_kernelINS0_14default_configENS1_33run_length_encode_config_selectorIN3c104HalfEjNS0_4plusIjEEEEZZNS1_33reduce_by_key_impl_wrapped_configILNS1_25lookback_scan_determinismE0ES3_S9_PKS6_NS0_17constant_iteratorIjlEEPS6_PlSH_S8_NS0_8equal_toIS6_EEEE10hipError_tPvRmT2_T3_mT4_T5_T6_T7_T8_P12ihipStream_tbENKUlT_T0_E_clISt17integral_constantIbLb0EES11_EEDaSW_SX_EUlSW_E_NS1_11comp_targetILNS1_3genE10ELNS1_11target_archE1201ELNS1_3gpuE5ELNS1_3repE0EEENS1_30default_config_static_selectorELNS0_4arch9wavefront6targetE0EEEvT1_.num_named_barrier, 0
	.set _ZN7rocprim17ROCPRIM_400000_NS6detail17trampoline_kernelINS0_14default_configENS1_33run_length_encode_config_selectorIN3c104HalfEjNS0_4plusIjEEEEZZNS1_33reduce_by_key_impl_wrapped_configILNS1_25lookback_scan_determinismE0ES3_S9_PKS6_NS0_17constant_iteratorIjlEEPS6_PlSH_S8_NS0_8equal_toIS6_EEEE10hipError_tPvRmT2_T3_mT4_T5_T6_T7_T8_P12ihipStream_tbENKUlT_T0_E_clISt17integral_constantIbLb0EES11_EEDaSW_SX_EUlSW_E_NS1_11comp_targetILNS1_3genE10ELNS1_11target_archE1201ELNS1_3gpuE5ELNS1_3repE0EEENS1_30default_config_static_selectorELNS0_4arch9wavefront6targetE0EEEvT1_.private_seg_size, 0
	.set _ZN7rocprim17ROCPRIM_400000_NS6detail17trampoline_kernelINS0_14default_configENS1_33run_length_encode_config_selectorIN3c104HalfEjNS0_4plusIjEEEEZZNS1_33reduce_by_key_impl_wrapped_configILNS1_25lookback_scan_determinismE0ES3_S9_PKS6_NS0_17constant_iteratorIjlEEPS6_PlSH_S8_NS0_8equal_toIS6_EEEE10hipError_tPvRmT2_T3_mT4_T5_T6_T7_T8_P12ihipStream_tbENKUlT_T0_E_clISt17integral_constantIbLb0EES11_EEDaSW_SX_EUlSW_E_NS1_11comp_targetILNS1_3genE10ELNS1_11target_archE1201ELNS1_3gpuE5ELNS1_3repE0EEENS1_30default_config_static_selectorELNS0_4arch9wavefront6targetE0EEEvT1_.uses_vcc, 0
	.set _ZN7rocprim17ROCPRIM_400000_NS6detail17trampoline_kernelINS0_14default_configENS1_33run_length_encode_config_selectorIN3c104HalfEjNS0_4plusIjEEEEZZNS1_33reduce_by_key_impl_wrapped_configILNS1_25lookback_scan_determinismE0ES3_S9_PKS6_NS0_17constant_iteratorIjlEEPS6_PlSH_S8_NS0_8equal_toIS6_EEEE10hipError_tPvRmT2_T3_mT4_T5_T6_T7_T8_P12ihipStream_tbENKUlT_T0_E_clISt17integral_constantIbLb0EES11_EEDaSW_SX_EUlSW_E_NS1_11comp_targetILNS1_3genE10ELNS1_11target_archE1201ELNS1_3gpuE5ELNS1_3repE0EEENS1_30default_config_static_selectorELNS0_4arch9wavefront6targetE0EEEvT1_.uses_flat_scratch, 0
	.set _ZN7rocprim17ROCPRIM_400000_NS6detail17trampoline_kernelINS0_14default_configENS1_33run_length_encode_config_selectorIN3c104HalfEjNS0_4plusIjEEEEZZNS1_33reduce_by_key_impl_wrapped_configILNS1_25lookback_scan_determinismE0ES3_S9_PKS6_NS0_17constant_iteratorIjlEEPS6_PlSH_S8_NS0_8equal_toIS6_EEEE10hipError_tPvRmT2_T3_mT4_T5_T6_T7_T8_P12ihipStream_tbENKUlT_T0_E_clISt17integral_constantIbLb0EES11_EEDaSW_SX_EUlSW_E_NS1_11comp_targetILNS1_3genE10ELNS1_11target_archE1201ELNS1_3gpuE5ELNS1_3repE0EEENS1_30default_config_static_selectorELNS0_4arch9wavefront6targetE0EEEvT1_.has_dyn_sized_stack, 0
	.set _ZN7rocprim17ROCPRIM_400000_NS6detail17trampoline_kernelINS0_14default_configENS1_33run_length_encode_config_selectorIN3c104HalfEjNS0_4plusIjEEEEZZNS1_33reduce_by_key_impl_wrapped_configILNS1_25lookback_scan_determinismE0ES3_S9_PKS6_NS0_17constant_iteratorIjlEEPS6_PlSH_S8_NS0_8equal_toIS6_EEEE10hipError_tPvRmT2_T3_mT4_T5_T6_T7_T8_P12ihipStream_tbENKUlT_T0_E_clISt17integral_constantIbLb0EES11_EEDaSW_SX_EUlSW_E_NS1_11comp_targetILNS1_3genE10ELNS1_11target_archE1201ELNS1_3gpuE5ELNS1_3repE0EEENS1_30default_config_static_selectorELNS0_4arch9wavefront6targetE0EEEvT1_.has_recursion, 0
	.set _ZN7rocprim17ROCPRIM_400000_NS6detail17trampoline_kernelINS0_14default_configENS1_33run_length_encode_config_selectorIN3c104HalfEjNS0_4plusIjEEEEZZNS1_33reduce_by_key_impl_wrapped_configILNS1_25lookback_scan_determinismE0ES3_S9_PKS6_NS0_17constant_iteratorIjlEEPS6_PlSH_S8_NS0_8equal_toIS6_EEEE10hipError_tPvRmT2_T3_mT4_T5_T6_T7_T8_P12ihipStream_tbENKUlT_T0_E_clISt17integral_constantIbLb0EES11_EEDaSW_SX_EUlSW_E_NS1_11comp_targetILNS1_3genE10ELNS1_11target_archE1201ELNS1_3gpuE5ELNS1_3repE0EEENS1_30default_config_static_selectorELNS0_4arch9wavefront6targetE0EEEvT1_.has_indirect_call, 0
	.section	.AMDGPU.csdata,"",@progbits
; Kernel info:
; codeLenInByte = 0
; TotalNumSgprs: 0
; NumVgprs: 0
; ScratchSize: 0
; MemoryBound: 0
; FloatMode: 240
; IeeeMode: 1
; LDSByteSize: 0 bytes/workgroup (compile time only)
; SGPRBlocks: 0
; VGPRBlocks: 0
; NumSGPRsForWavesPerEU: 1
; NumVGPRsForWavesPerEU: 1
; NamedBarCnt: 0
; Occupancy: 16
; WaveLimiterHint : 0
; COMPUTE_PGM_RSRC2:SCRATCH_EN: 0
; COMPUTE_PGM_RSRC2:USER_SGPR: 2
; COMPUTE_PGM_RSRC2:TRAP_HANDLER: 0
; COMPUTE_PGM_RSRC2:TGID_X_EN: 1
; COMPUTE_PGM_RSRC2:TGID_Y_EN: 0
; COMPUTE_PGM_RSRC2:TGID_Z_EN: 0
; COMPUTE_PGM_RSRC2:TIDIG_COMP_CNT: 0
	.section	.text._ZN7rocprim17ROCPRIM_400000_NS6detail17trampoline_kernelINS0_14default_configENS1_33run_length_encode_config_selectorIN3c104HalfEjNS0_4plusIjEEEEZZNS1_33reduce_by_key_impl_wrapped_configILNS1_25lookback_scan_determinismE0ES3_S9_PKS6_NS0_17constant_iteratorIjlEEPS6_PlSH_S8_NS0_8equal_toIS6_EEEE10hipError_tPvRmT2_T3_mT4_T5_T6_T7_T8_P12ihipStream_tbENKUlT_T0_E_clISt17integral_constantIbLb0EES11_EEDaSW_SX_EUlSW_E_NS1_11comp_targetILNS1_3genE10ELNS1_11target_archE1200ELNS1_3gpuE4ELNS1_3repE0EEENS1_30default_config_static_selectorELNS0_4arch9wavefront6targetE0EEEvT1_,"axG",@progbits,_ZN7rocprim17ROCPRIM_400000_NS6detail17trampoline_kernelINS0_14default_configENS1_33run_length_encode_config_selectorIN3c104HalfEjNS0_4plusIjEEEEZZNS1_33reduce_by_key_impl_wrapped_configILNS1_25lookback_scan_determinismE0ES3_S9_PKS6_NS0_17constant_iteratorIjlEEPS6_PlSH_S8_NS0_8equal_toIS6_EEEE10hipError_tPvRmT2_T3_mT4_T5_T6_T7_T8_P12ihipStream_tbENKUlT_T0_E_clISt17integral_constantIbLb0EES11_EEDaSW_SX_EUlSW_E_NS1_11comp_targetILNS1_3genE10ELNS1_11target_archE1200ELNS1_3gpuE4ELNS1_3repE0EEENS1_30default_config_static_selectorELNS0_4arch9wavefront6targetE0EEEvT1_,comdat
	.protected	_ZN7rocprim17ROCPRIM_400000_NS6detail17trampoline_kernelINS0_14default_configENS1_33run_length_encode_config_selectorIN3c104HalfEjNS0_4plusIjEEEEZZNS1_33reduce_by_key_impl_wrapped_configILNS1_25lookback_scan_determinismE0ES3_S9_PKS6_NS0_17constant_iteratorIjlEEPS6_PlSH_S8_NS0_8equal_toIS6_EEEE10hipError_tPvRmT2_T3_mT4_T5_T6_T7_T8_P12ihipStream_tbENKUlT_T0_E_clISt17integral_constantIbLb0EES11_EEDaSW_SX_EUlSW_E_NS1_11comp_targetILNS1_3genE10ELNS1_11target_archE1200ELNS1_3gpuE4ELNS1_3repE0EEENS1_30default_config_static_selectorELNS0_4arch9wavefront6targetE0EEEvT1_ ; -- Begin function _ZN7rocprim17ROCPRIM_400000_NS6detail17trampoline_kernelINS0_14default_configENS1_33run_length_encode_config_selectorIN3c104HalfEjNS0_4plusIjEEEEZZNS1_33reduce_by_key_impl_wrapped_configILNS1_25lookback_scan_determinismE0ES3_S9_PKS6_NS0_17constant_iteratorIjlEEPS6_PlSH_S8_NS0_8equal_toIS6_EEEE10hipError_tPvRmT2_T3_mT4_T5_T6_T7_T8_P12ihipStream_tbENKUlT_T0_E_clISt17integral_constantIbLb0EES11_EEDaSW_SX_EUlSW_E_NS1_11comp_targetILNS1_3genE10ELNS1_11target_archE1200ELNS1_3gpuE4ELNS1_3repE0EEENS1_30default_config_static_selectorELNS0_4arch9wavefront6targetE0EEEvT1_
	.globl	_ZN7rocprim17ROCPRIM_400000_NS6detail17trampoline_kernelINS0_14default_configENS1_33run_length_encode_config_selectorIN3c104HalfEjNS0_4plusIjEEEEZZNS1_33reduce_by_key_impl_wrapped_configILNS1_25lookback_scan_determinismE0ES3_S9_PKS6_NS0_17constant_iteratorIjlEEPS6_PlSH_S8_NS0_8equal_toIS6_EEEE10hipError_tPvRmT2_T3_mT4_T5_T6_T7_T8_P12ihipStream_tbENKUlT_T0_E_clISt17integral_constantIbLb0EES11_EEDaSW_SX_EUlSW_E_NS1_11comp_targetILNS1_3genE10ELNS1_11target_archE1200ELNS1_3gpuE4ELNS1_3repE0EEENS1_30default_config_static_selectorELNS0_4arch9wavefront6targetE0EEEvT1_
	.p2align	8
	.type	_ZN7rocprim17ROCPRIM_400000_NS6detail17trampoline_kernelINS0_14default_configENS1_33run_length_encode_config_selectorIN3c104HalfEjNS0_4plusIjEEEEZZNS1_33reduce_by_key_impl_wrapped_configILNS1_25lookback_scan_determinismE0ES3_S9_PKS6_NS0_17constant_iteratorIjlEEPS6_PlSH_S8_NS0_8equal_toIS6_EEEE10hipError_tPvRmT2_T3_mT4_T5_T6_T7_T8_P12ihipStream_tbENKUlT_T0_E_clISt17integral_constantIbLb0EES11_EEDaSW_SX_EUlSW_E_NS1_11comp_targetILNS1_3genE10ELNS1_11target_archE1200ELNS1_3gpuE4ELNS1_3repE0EEENS1_30default_config_static_selectorELNS0_4arch9wavefront6targetE0EEEvT1_,@function
_ZN7rocprim17ROCPRIM_400000_NS6detail17trampoline_kernelINS0_14default_configENS1_33run_length_encode_config_selectorIN3c104HalfEjNS0_4plusIjEEEEZZNS1_33reduce_by_key_impl_wrapped_configILNS1_25lookback_scan_determinismE0ES3_S9_PKS6_NS0_17constant_iteratorIjlEEPS6_PlSH_S8_NS0_8equal_toIS6_EEEE10hipError_tPvRmT2_T3_mT4_T5_T6_T7_T8_P12ihipStream_tbENKUlT_T0_E_clISt17integral_constantIbLb0EES11_EEDaSW_SX_EUlSW_E_NS1_11comp_targetILNS1_3genE10ELNS1_11target_archE1200ELNS1_3gpuE4ELNS1_3repE0EEENS1_30default_config_static_selectorELNS0_4arch9wavefront6targetE0EEEvT1_: ; @_ZN7rocprim17ROCPRIM_400000_NS6detail17trampoline_kernelINS0_14default_configENS1_33run_length_encode_config_selectorIN3c104HalfEjNS0_4plusIjEEEEZZNS1_33reduce_by_key_impl_wrapped_configILNS1_25lookback_scan_determinismE0ES3_S9_PKS6_NS0_17constant_iteratorIjlEEPS6_PlSH_S8_NS0_8equal_toIS6_EEEE10hipError_tPvRmT2_T3_mT4_T5_T6_T7_T8_P12ihipStream_tbENKUlT_T0_E_clISt17integral_constantIbLb0EES11_EEDaSW_SX_EUlSW_E_NS1_11comp_targetILNS1_3genE10ELNS1_11target_archE1200ELNS1_3gpuE4ELNS1_3repE0EEENS1_30default_config_static_selectorELNS0_4arch9wavefront6targetE0EEEvT1_
; %bb.0:
	.section	.rodata,"a",@progbits
	.p2align	6, 0x0
	.amdhsa_kernel _ZN7rocprim17ROCPRIM_400000_NS6detail17trampoline_kernelINS0_14default_configENS1_33run_length_encode_config_selectorIN3c104HalfEjNS0_4plusIjEEEEZZNS1_33reduce_by_key_impl_wrapped_configILNS1_25lookback_scan_determinismE0ES3_S9_PKS6_NS0_17constant_iteratorIjlEEPS6_PlSH_S8_NS0_8equal_toIS6_EEEE10hipError_tPvRmT2_T3_mT4_T5_T6_T7_T8_P12ihipStream_tbENKUlT_T0_E_clISt17integral_constantIbLb0EES11_EEDaSW_SX_EUlSW_E_NS1_11comp_targetILNS1_3genE10ELNS1_11target_archE1200ELNS1_3gpuE4ELNS1_3repE0EEENS1_30default_config_static_selectorELNS0_4arch9wavefront6targetE0EEEvT1_
		.amdhsa_group_segment_fixed_size 0
		.amdhsa_private_segment_fixed_size 0
		.amdhsa_kernarg_size 128
		.amdhsa_user_sgpr_count 2
		.amdhsa_user_sgpr_dispatch_ptr 0
		.amdhsa_user_sgpr_queue_ptr 0
		.amdhsa_user_sgpr_kernarg_segment_ptr 1
		.amdhsa_user_sgpr_dispatch_id 0
		.amdhsa_user_sgpr_kernarg_preload_length 0
		.amdhsa_user_sgpr_kernarg_preload_offset 0
		.amdhsa_user_sgpr_private_segment_size 0
		.amdhsa_wavefront_size32 1
		.amdhsa_uses_dynamic_stack 0
		.amdhsa_enable_private_segment 0
		.amdhsa_system_sgpr_workgroup_id_x 1
		.amdhsa_system_sgpr_workgroup_id_y 0
		.amdhsa_system_sgpr_workgroup_id_z 0
		.amdhsa_system_sgpr_workgroup_info 0
		.amdhsa_system_vgpr_workitem_id 0
		.amdhsa_next_free_vgpr 1
		.amdhsa_next_free_sgpr 1
		.amdhsa_named_barrier_count 0
		.amdhsa_reserve_vcc 0
		.amdhsa_float_round_mode_32 0
		.amdhsa_float_round_mode_16_64 0
		.amdhsa_float_denorm_mode_32 3
		.amdhsa_float_denorm_mode_16_64 3
		.amdhsa_fp16_overflow 0
		.amdhsa_memory_ordered 1
		.amdhsa_forward_progress 1
		.amdhsa_inst_pref_size 0
		.amdhsa_round_robin_scheduling 0
		.amdhsa_exception_fp_ieee_invalid_op 0
		.amdhsa_exception_fp_denorm_src 0
		.amdhsa_exception_fp_ieee_div_zero 0
		.amdhsa_exception_fp_ieee_overflow 0
		.amdhsa_exception_fp_ieee_underflow 0
		.amdhsa_exception_fp_ieee_inexact 0
		.amdhsa_exception_int_div_zero 0
	.end_amdhsa_kernel
	.section	.text._ZN7rocprim17ROCPRIM_400000_NS6detail17trampoline_kernelINS0_14default_configENS1_33run_length_encode_config_selectorIN3c104HalfEjNS0_4plusIjEEEEZZNS1_33reduce_by_key_impl_wrapped_configILNS1_25lookback_scan_determinismE0ES3_S9_PKS6_NS0_17constant_iteratorIjlEEPS6_PlSH_S8_NS0_8equal_toIS6_EEEE10hipError_tPvRmT2_T3_mT4_T5_T6_T7_T8_P12ihipStream_tbENKUlT_T0_E_clISt17integral_constantIbLb0EES11_EEDaSW_SX_EUlSW_E_NS1_11comp_targetILNS1_3genE10ELNS1_11target_archE1200ELNS1_3gpuE4ELNS1_3repE0EEENS1_30default_config_static_selectorELNS0_4arch9wavefront6targetE0EEEvT1_,"axG",@progbits,_ZN7rocprim17ROCPRIM_400000_NS6detail17trampoline_kernelINS0_14default_configENS1_33run_length_encode_config_selectorIN3c104HalfEjNS0_4plusIjEEEEZZNS1_33reduce_by_key_impl_wrapped_configILNS1_25lookback_scan_determinismE0ES3_S9_PKS6_NS0_17constant_iteratorIjlEEPS6_PlSH_S8_NS0_8equal_toIS6_EEEE10hipError_tPvRmT2_T3_mT4_T5_T6_T7_T8_P12ihipStream_tbENKUlT_T0_E_clISt17integral_constantIbLb0EES11_EEDaSW_SX_EUlSW_E_NS1_11comp_targetILNS1_3genE10ELNS1_11target_archE1200ELNS1_3gpuE4ELNS1_3repE0EEENS1_30default_config_static_selectorELNS0_4arch9wavefront6targetE0EEEvT1_,comdat
.Lfunc_end931:
	.size	_ZN7rocprim17ROCPRIM_400000_NS6detail17trampoline_kernelINS0_14default_configENS1_33run_length_encode_config_selectorIN3c104HalfEjNS0_4plusIjEEEEZZNS1_33reduce_by_key_impl_wrapped_configILNS1_25lookback_scan_determinismE0ES3_S9_PKS6_NS0_17constant_iteratorIjlEEPS6_PlSH_S8_NS0_8equal_toIS6_EEEE10hipError_tPvRmT2_T3_mT4_T5_T6_T7_T8_P12ihipStream_tbENKUlT_T0_E_clISt17integral_constantIbLb0EES11_EEDaSW_SX_EUlSW_E_NS1_11comp_targetILNS1_3genE10ELNS1_11target_archE1200ELNS1_3gpuE4ELNS1_3repE0EEENS1_30default_config_static_selectorELNS0_4arch9wavefront6targetE0EEEvT1_, .Lfunc_end931-_ZN7rocprim17ROCPRIM_400000_NS6detail17trampoline_kernelINS0_14default_configENS1_33run_length_encode_config_selectorIN3c104HalfEjNS0_4plusIjEEEEZZNS1_33reduce_by_key_impl_wrapped_configILNS1_25lookback_scan_determinismE0ES3_S9_PKS6_NS0_17constant_iteratorIjlEEPS6_PlSH_S8_NS0_8equal_toIS6_EEEE10hipError_tPvRmT2_T3_mT4_T5_T6_T7_T8_P12ihipStream_tbENKUlT_T0_E_clISt17integral_constantIbLb0EES11_EEDaSW_SX_EUlSW_E_NS1_11comp_targetILNS1_3genE10ELNS1_11target_archE1200ELNS1_3gpuE4ELNS1_3repE0EEENS1_30default_config_static_selectorELNS0_4arch9wavefront6targetE0EEEvT1_
                                        ; -- End function
	.set _ZN7rocprim17ROCPRIM_400000_NS6detail17trampoline_kernelINS0_14default_configENS1_33run_length_encode_config_selectorIN3c104HalfEjNS0_4plusIjEEEEZZNS1_33reduce_by_key_impl_wrapped_configILNS1_25lookback_scan_determinismE0ES3_S9_PKS6_NS0_17constant_iteratorIjlEEPS6_PlSH_S8_NS0_8equal_toIS6_EEEE10hipError_tPvRmT2_T3_mT4_T5_T6_T7_T8_P12ihipStream_tbENKUlT_T0_E_clISt17integral_constantIbLb0EES11_EEDaSW_SX_EUlSW_E_NS1_11comp_targetILNS1_3genE10ELNS1_11target_archE1200ELNS1_3gpuE4ELNS1_3repE0EEENS1_30default_config_static_selectorELNS0_4arch9wavefront6targetE0EEEvT1_.num_vgpr, 0
	.set _ZN7rocprim17ROCPRIM_400000_NS6detail17trampoline_kernelINS0_14default_configENS1_33run_length_encode_config_selectorIN3c104HalfEjNS0_4plusIjEEEEZZNS1_33reduce_by_key_impl_wrapped_configILNS1_25lookback_scan_determinismE0ES3_S9_PKS6_NS0_17constant_iteratorIjlEEPS6_PlSH_S8_NS0_8equal_toIS6_EEEE10hipError_tPvRmT2_T3_mT4_T5_T6_T7_T8_P12ihipStream_tbENKUlT_T0_E_clISt17integral_constantIbLb0EES11_EEDaSW_SX_EUlSW_E_NS1_11comp_targetILNS1_3genE10ELNS1_11target_archE1200ELNS1_3gpuE4ELNS1_3repE0EEENS1_30default_config_static_selectorELNS0_4arch9wavefront6targetE0EEEvT1_.num_agpr, 0
	.set _ZN7rocprim17ROCPRIM_400000_NS6detail17trampoline_kernelINS0_14default_configENS1_33run_length_encode_config_selectorIN3c104HalfEjNS0_4plusIjEEEEZZNS1_33reduce_by_key_impl_wrapped_configILNS1_25lookback_scan_determinismE0ES3_S9_PKS6_NS0_17constant_iteratorIjlEEPS6_PlSH_S8_NS0_8equal_toIS6_EEEE10hipError_tPvRmT2_T3_mT4_T5_T6_T7_T8_P12ihipStream_tbENKUlT_T0_E_clISt17integral_constantIbLb0EES11_EEDaSW_SX_EUlSW_E_NS1_11comp_targetILNS1_3genE10ELNS1_11target_archE1200ELNS1_3gpuE4ELNS1_3repE0EEENS1_30default_config_static_selectorELNS0_4arch9wavefront6targetE0EEEvT1_.numbered_sgpr, 0
	.set _ZN7rocprim17ROCPRIM_400000_NS6detail17trampoline_kernelINS0_14default_configENS1_33run_length_encode_config_selectorIN3c104HalfEjNS0_4plusIjEEEEZZNS1_33reduce_by_key_impl_wrapped_configILNS1_25lookback_scan_determinismE0ES3_S9_PKS6_NS0_17constant_iteratorIjlEEPS6_PlSH_S8_NS0_8equal_toIS6_EEEE10hipError_tPvRmT2_T3_mT4_T5_T6_T7_T8_P12ihipStream_tbENKUlT_T0_E_clISt17integral_constantIbLb0EES11_EEDaSW_SX_EUlSW_E_NS1_11comp_targetILNS1_3genE10ELNS1_11target_archE1200ELNS1_3gpuE4ELNS1_3repE0EEENS1_30default_config_static_selectorELNS0_4arch9wavefront6targetE0EEEvT1_.num_named_barrier, 0
	.set _ZN7rocprim17ROCPRIM_400000_NS6detail17trampoline_kernelINS0_14default_configENS1_33run_length_encode_config_selectorIN3c104HalfEjNS0_4plusIjEEEEZZNS1_33reduce_by_key_impl_wrapped_configILNS1_25lookback_scan_determinismE0ES3_S9_PKS6_NS0_17constant_iteratorIjlEEPS6_PlSH_S8_NS0_8equal_toIS6_EEEE10hipError_tPvRmT2_T3_mT4_T5_T6_T7_T8_P12ihipStream_tbENKUlT_T0_E_clISt17integral_constantIbLb0EES11_EEDaSW_SX_EUlSW_E_NS1_11comp_targetILNS1_3genE10ELNS1_11target_archE1200ELNS1_3gpuE4ELNS1_3repE0EEENS1_30default_config_static_selectorELNS0_4arch9wavefront6targetE0EEEvT1_.private_seg_size, 0
	.set _ZN7rocprim17ROCPRIM_400000_NS6detail17trampoline_kernelINS0_14default_configENS1_33run_length_encode_config_selectorIN3c104HalfEjNS0_4plusIjEEEEZZNS1_33reduce_by_key_impl_wrapped_configILNS1_25lookback_scan_determinismE0ES3_S9_PKS6_NS0_17constant_iteratorIjlEEPS6_PlSH_S8_NS0_8equal_toIS6_EEEE10hipError_tPvRmT2_T3_mT4_T5_T6_T7_T8_P12ihipStream_tbENKUlT_T0_E_clISt17integral_constantIbLb0EES11_EEDaSW_SX_EUlSW_E_NS1_11comp_targetILNS1_3genE10ELNS1_11target_archE1200ELNS1_3gpuE4ELNS1_3repE0EEENS1_30default_config_static_selectorELNS0_4arch9wavefront6targetE0EEEvT1_.uses_vcc, 0
	.set _ZN7rocprim17ROCPRIM_400000_NS6detail17trampoline_kernelINS0_14default_configENS1_33run_length_encode_config_selectorIN3c104HalfEjNS0_4plusIjEEEEZZNS1_33reduce_by_key_impl_wrapped_configILNS1_25lookback_scan_determinismE0ES3_S9_PKS6_NS0_17constant_iteratorIjlEEPS6_PlSH_S8_NS0_8equal_toIS6_EEEE10hipError_tPvRmT2_T3_mT4_T5_T6_T7_T8_P12ihipStream_tbENKUlT_T0_E_clISt17integral_constantIbLb0EES11_EEDaSW_SX_EUlSW_E_NS1_11comp_targetILNS1_3genE10ELNS1_11target_archE1200ELNS1_3gpuE4ELNS1_3repE0EEENS1_30default_config_static_selectorELNS0_4arch9wavefront6targetE0EEEvT1_.uses_flat_scratch, 0
	.set _ZN7rocprim17ROCPRIM_400000_NS6detail17trampoline_kernelINS0_14default_configENS1_33run_length_encode_config_selectorIN3c104HalfEjNS0_4plusIjEEEEZZNS1_33reduce_by_key_impl_wrapped_configILNS1_25lookback_scan_determinismE0ES3_S9_PKS6_NS0_17constant_iteratorIjlEEPS6_PlSH_S8_NS0_8equal_toIS6_EEEE10hipError_tPvRmT2_T3_mT4_T5_T6_T7_T8_P12ihipStream_tbENKUlT_T0_E_clISt17integral_constantIbLb0EES11_EEDaSW_SX_EUlSW_E_NS1_11comp_targetILNS1_3genE10ELNS1_11target_archE1200ELNS1_3gpuE4ELNS1_3repE0EEENS1_30default_config_static_selectorELNS0_4arch9wavefront6targetE0EEEvT1_.has_dyn_sized_stack, 0
	.set _ZN7rocprim17ROCPRIM_400000_NS6detail17trampoline_kernelINS0_14default_configENS1_33run_length_encode_config_selectorIN3c104HalfEjNS0_4plusIjEEEEZZNS1_33reduce_by_key_impl_wrapped_configILNS1_25lookback_scan_determinismE0ES3_S9_PKS6_NS0_17constant_iteratorIjlEEPS6_PlSH_S8_NS0_8equal_toIS6_EEEE10hipError_tPvRmT2_T3_mT4_T5_T6_T7_T8_P12ihipStream_tbENKUlT_T0_E_clISt17integral_constantIbLb0EES11_EEDaSW_SX_EUlSW_E_NS1_11comp_targetILNS1_3genE10ELNS1_11target_archE1200ELNS1_3gpuE4ELNS1_3repE0EEENS1_30default_config_static_selectorELNS0_4arch9wavefront6targetE0EEEvT1_.has_recursion, 0
	.set _ZN7rocprim17ROCPRIM_400000_NS6detail17trampoline_kernelINS0_14default_configENS1_33run_length_encode_config_selectorIN3c104HalfEjNS0_4plusIjEEEEZZNS1_33reduce_by_key_impl_wrapped_configILNS1_25lookback_scan_determinismE0ES3_S9_PKS6_NS0_17constant_iteratorIjlEEPS6_PlSH_S8_NS0_8equal_toIS6_EEEE10hipError_tPvRmT2_T3_mT4_T5_T6_T7_T8_P12ihipStream_tbENKUlT_T0_E_clISt17integral_constantIbLb0EES11_EEDaSW_SX_EUlSW_E_NS1_11comp_targetILNS1_3genE10ELNS1_11target_archE1200ELNS1_3gpuE4ELNS1_3repE0EEENS1_30default_config_static_selectorELNS0_4arch9wavefront6targetE0EEEvT1_.has_indirect_call, 0
	.section	.AMDGPU.csdata,"",@progbits
; Kernel info:
; codeLenInByte = 0
; TotalNumSgprs: 0
; NumVgprs: 0
; ScratchSize: 0
; MemoryBound: 0
; FloatMode: 240
; IeeeMode: 1
; LDSByteSize: 0 bytes/workgroup (compile time only)
; SGPRBlocks: 0
; VGPRBlocks: 0
; NumSGPRsForWavesPerEU: 1
; NumVGPRsForWavesPerEU: 1
; NamedBarCnt: 0
; Occupancy: 16
; WaveLimiterHint : 0
; COMPUTE_PGM_RSRC2:SCRATCH_EN: 0
; COMPUTE_PGM_RSRC2:USER_SGPR: 2
; COMPUTE_PGM_RSRC2:TRAP_HANDLER: 0
; COMPUTE_PGM_RSRC2:TGID_X_EN: 1
; COMPUTE_PGM_RSRC2:TGID_Y_EN: 0
; COMPUTE_PGM_RSRC2:TGID_Z_EN: 0
; COMPUTE_PGM_RSRC2:TIDIG_COMP_CNT: 0
	.section	.text._ZN7rocprim17ROCPRIM_400000_NS6detail17trampoline_kernelINS0_14default_configENS1_33run_length_encode_config_selectorIN3c104HalfEjNS0_4plusIjEEEEZZNS1_33reduce_by_key_impl_wrapped_configILNS1_25lookback_scan_determinismE0ES3_S9_PKS6_NS0_17constant_iteratorIjlEEPS6_PlSH_S8_NS0_8equal_toIS6_EEEE10hipError_tPvRmT2_T3_mT4_T5_T6_T7_T8_P12ihipStream_tbENKUlT_T0_E_clISt17integral_constantIbLb0EES11_EEDaSW_SX_EUlSW_E_NS1_11comp_targetILNS1_3genE9ELNS1_11target_archE1100ELNS1_3gpuE3ELNS1_3repE0EEENS1_30default_config_static_selectorELNS0_4arch9wavefront6targetE0EEEvT1_,"axG",@progbits,_ZN7rocprim17ROCPRIM_400000_NS6detail17trampoline_kernelINS0_14default_configENS1_33run_length_encode_config_selectorIN3c104HalfEjNS0_4plusIjEEEEZZNS1_33reduce_by_key_impl_wrapped_configILNS1_25lookback_scan_determinismE0ES3_S9_PKS6_NS0_17constant_iteratorIjlEEPS6_PlSH_S8_NS0_8equal_toIS6_EEEE10hipError_tPvRmT2_T3_mT4_T5_T6_T7_T8_P12ihipStream_tbENKUlT_T0_E_clISt17integral_constantIbLb0EES11_EEDaSW_SX_EUlSW_E_NS1_11comp_targetILNS1_3genE9ELNS1_11target_archE1100ELNS1_3gpuE3ELNS1_3repE0EEENS1_30default_config_static_selectorELNS0_4arch9wavefront6targetE0EEEvT1_,comdat
	.protected	_ZN7rocprim17ROCPRIM_400000_NS6detail17trampoline_kernelINS0_14default_configENS1_33run_length_encode_config_selectorIN3c104HalfEjNS0_4plusIjEEEEZZNS1_33reduce_by_key_impl_wrapped_configILNS1_25lookback_scan_determinismE0ES3_S9_PKS6_NS0_17constant_iteratorIjlEEPS6_PlSH_S8_NS0_8equal_toIS6_EEEE10hipError_tPvRmT2_T3_mT4_T5_T6_T7_T8_P12ihipStream_tbENKUlT_T0_E_clISt17integral_constantIbLb0EES11_EEDaSW_SX_EUlSW_E_NS1_11comp_targetILNS1_3genE9ELNS1_11target_archE1100ELNS1_3gpuE3ELNS1_3repE0EEENS1_30default_config_static_selectorELNS0_4arch9wavefront6targetE0EEEvT1_ ; -- Begin function _ZN7rocprim17ROCPRIM_400000_NS6detail17trampoline_kernelINS0_14default_configENS1_33run_length_encode_config_selectorIN3c104HalfEjNS0_4plusIjEEEEZZNS1_33reduce_by_key_impl_wrapped_configILNS1_25lookback_scan_determinismE0ES3_S9_PKS6_NS0_17constant_iteratorIjlEEPS6_PlSH_S8_NS0_8equal_toIS6_EEEE10hipError_tPvRmT2_T3_mT4_T5_T6_T7_T8_P12ihipStream_tbENKUlT_T0_E_clISt17integral_constantIbLb0EES11_EEDaSW_SX_EUlSW_E_NS1_11comp_targetILNS1_3genE9ELNS1_11target_archE1100ELNS1_3gpuE3ELNS1_3repE0EEENS1_30default_config_static_selectorELNS0_4arch9wavefront6targetE0EEEvT1_
	.globl	_ZN7rocprim17ROCPRIM_400000_NS6detail17trampoline_kernelINS0_14default_configENS1_33run_length_encode_config_selectorIN3c104HalfEjNS0_4plusIjEEEEZZNS1_33reduce_by_key_impl_wrapped_configILNS1_25lookback_scan_determinismE0ES3_S9_PKS6_NS0_17constant_iteratorIjlEEPS6_PlSH_S8_NS0_8equal_toIS6_EEEE10hipError_tPvRmT2_T3_mT4_T5_T6_T7_T8_P12ihipStream_tbENKUlT_T0_E_clISt17integral_constantIbLb0EES11_EEDaSW_SX_EUlSW_E_NS1_11comp_targetILNS1_3genE9ELNS1_11target_archE1100ELNS1_3gpuE3ELNS1_3repE0EEENS1_30default_config_static_selectorELNS0_4arch9wavefront6targetE0EEEvT1_
	.p2align	8
	.type	_ZN7rocprim17ROCPRIM_400000_NS6detail17trampoline_kernelINS0_14default_configENS1_33run_length_encode_config_selectorIN3c104HalfEjNS0_4plusIjEEEEZZNS1_33reduce_by_key_impl_wrapped_configILNS1_25lookback_scan_determinismE0ES3_S9_PKS6_NS0_17constant_iteratorIjlEEPS6_PlSH_S8_NS0_8equal_toIS6_EEEE10hipError_tPvRmT2_T3_mT4_T5_T6_T7_T8_P12ihipStream_tbENKUlT_T0_E_clISt17integral_constantIbLb0EES11_EEDaSW_SX_EUlSW_E_NS1_11comp_targetILNS1_3genE9ELNS1_11target_archE1100ELNS1_3gpuE3ELNS1_3repE0EEENS1_30default_config_static_selectorELNS0_4arch9wavefront6targetE0EEEvT1_,@function
_ZN7rocprim17ROCPRIM_400000_NS6detail17trampoline_kernelINS0_14default_configENS1_33run_length_encode_config_selectorIN3c104HalfEjNS0_4plusIjEEEEZZNS1_33reduce_by_key_impl_wrapped_configILNS1_25lookback_scan_determinismE0ES3_S9_PKS6_NS0_17constant_iteratorIjlEEPS6_PlSH_S8_NS0_8equal_toIS6_EEEE10hipError_tPvRmT2_T3_mT4_T5_T6_T7_T8_P12ihipStream_tbENKUlT_T0_E_clISt17integral_constantIbLb0EES11_EEDaSW_SX_EUlSW_E_NS1_11comp_targetILNS1_3genE9ELNS1_11target_archE1100ELNS1_3gpuE3ELNS1_3repE0EEENS1_30default_config_static_selectorELNS0_4arch9wavefront6targetE0EEEvT1_: ; @_ZN7rocprim17ROCPRIM_400000_NS6detail17trampoline_kernelINS0_14default_configENS1_33run_length_encode_config_selectorIN3c104HalfEjNS0_4plusIjEEEEZZNS1_33reduce_by_key_impl_wrapped_configILNS1_25lookback_scan_determinismE0ES3_S9_PKS6_NS0_17constant_iteratorIjlEEPS6_PlSH_S8_NS0_8equal_toIS6_EEEE10hipError_tPvRmT2_T3_mT4_T5_T6_T7_T8_P12ihipStream_tbENKUlT_T0_E_clISt17integral_constantIbLb0EES11_EEDaSW_SX_EUlSW_E_NS1_11comp_targetILNS1_3genE9ELNS1_11target_archE1100ELNS1_3gpuE3ELNS1_3repE0EEENS1_30default_config_static_selectorELNS0_4arch9wavefront6targetE0EEEvT1_
; %bb.0:
	.section	.rodata,"a",@progbits
	.p2align	6, 0x0
	.amdhsa_kernel _ZN7rocprim17ROCPRIM_400000_NS6detail17trampoline_kernelINS0_14default_configENS1_33run_length_encode_config_selectorIN3c104HalfEjNS0_4plusIjEEEEZZNS1_33reduce_by_key_impl_wrapped_configILNS1_25lookback_scan_determinismE0ES3_S9_PKS6_NS0_17constant_iteratorIjlEEPS6_PlSH_S8_NS0_8equal_toIS6_EEEE10hipError_tPvRmT2_T3_mT4_T5_T6_T7_T8_P12ihipStream_tbENKUlT_T0_E_clISt17integral_constantIbLb0EES11_EEDaSW_SX_EUlSW_E_NS1_11comp_targetILNS1_3genE9ELNS1_11target_archE1100ELNS1_3gpuE3ELNS1_3repE0EEENS1_30default_config_static_selectorELNS0_4arch9wavefront6targetE0EEEvT1_
		.amdhsa_group_segment_fixed_size 0
		.amdhsa_private_segment_fixed_size 0
		.amdhsa_kernarg_size 128
		.amdhsa_user_sgpr_count 2
		.amdhsa_user_sgpr_dispatch_ptr 0
		.amdhsa_user_sgpr_queue_ptr 0
		.amdhsa_user_sgpr_kernarg_segment_ptr 1
		.amdhsa_user_sgpr_dispatch_id 0
		.amdhsa_user_sgpr_kernarg_preload_length 0
		.amdhsa_user_sgpr_kernarg_preload_offset 0
		.amdhsa_user_sgpr_private_segment_size 0
		.amdhsa_wavefront_size32 1
		.amdhsa_uses_dynamic_stack 0
		.amdhsa_enable_private_segment 0
		.amdhsa_system_sgpr_workgroup_id_x 1
		.amdhsa_system_sgpr_workgroup_id_y 0
		.amdhsa_system_sgpr_workgroup_id_z 0
		.amdhsa_system_sgpr_workgroup_info 0
		.amdhsa_system_vgpr_workitem_id 0
		.amdhsa_next_free_vgpr 1
		.amdhsa_next_free_sgpr 1
		.amdhsa_named_barrier_count 0
		.amdhsa_reserve_vcc 0
		.amdhsa_float_round_mode_32 0
		.amdhsa_float_round_mode_16_64 0
		.amdhsa_float_denorm_mode_32 3
		.amdhsa_float_denorm_mode_16_64 3
		.amdhsa_fp16_overflow 0
		.amdhsa_memory_ordered 1
		.amdhsa_forward_progress 1
		.amdhsa_inst_pref_size 0
		.amdhsa_round_robin_scheduling 0
		.amdhsa_exception_fp_ieee_invalid_op 0
		.amdhsa_exception_fp_denorm_src 0
		.amdhsa_exception_fp_ieee_div_zero 0
		.amdhsa_exception_fp_ieee_overflow 0
		.amdhsa_exception_fp_ieee_underflow 0
		.amdhsa_exception_fp_ieee_inexact 0
		.amdhsa_exception_int_div_zero 0
	.end_amdhsa_kernel
	.section	.text._ZN7rocprim17ROCPRIM_400000_NS6detail17trampoline_kernelINS0_14default_configENS1_33run_length_encode_config_selectorIN3c104HalfEjNS0_4plusIjEEEEZZNS1_33reduce_by_key_impl_wrapped_configILNS1_25lookback_scan_determinismE0ES3_S9_PKS6_NS0_17constant_iteratorIjlEEPS6_PlSH_S8_NS0_8equal_toIS6_EEEE10hipError_tPvRmT2_T3_mT4_T5_T6_T7_T8_P12ihipStream_tbENKUlT_T0_E_clISt17integral_constantIbLb0EES11_EEDaSW_SX_EUlSW_E_NS1_11comp_targetILNS1_3genE9ELNS1_11target_archE1100ELNS1_3gpuE3ELNS1_3repE0EEENS1_30default_config_static_selectorELNS0_4arch9wavefront6targetE0EEEvT1_,"axG",@progbits,_ZN7rocprim17ROCPRIM_400000_NS6detail17trampoline_kernelINS0_14default_configENS1_33run_length_encode_config_selectorIN3c104HalfEjNS0_4plusIjEEEEZZNS1_33reduce_by_key_impl_wrapped_configILNS1_25lookback_scan_determinismE0ES3_S9_PKS6_NS0_17constant_iteratorIjlEEPS6_PlSH_S8_NS0_8equal_toIS6_EEEE10hipError_tPvRmT2_T3_mT4_T5_T6_T7_T8_P12ihipStream_tbENKUlT_T0_E_clISt17integral_constantIbLb0EES11_EEDaSW_SX_EUlSW_E_NS1_11comp_targetILNS1_3genE9ELNS1_11target_archE1100ELNS1_3gpuE3ELNS1_3repE0EEENS1_30default_config_static_selectorELNS0_4arch9wavefront6targetE0EEEvT1_,comdat
.Lfunc_end932:
	.size	_ZN7rocprim17ROCPRIM_400000_NS6detail17trampoline_kernelINS0_14default_configENS1_33run_length_encode_config_selectorIN3c104HalfEjNS0_4plusIjEEEEZZNS1_33reduce_by_key_impl_wrapped_configILNS1_25lookback_scan_determinismE0ES3_S9_PKS6_NS0_17constant_iteratorIjlEEPS6_PlSH_S8_NS0_8equal_toIS6_EEEE10hipError_tPvRmT2_T3_mT4_T5_T6_T7_T8_P12ihipStream_tbENKUlT_T0_E_clISt17integral_constantIbLb0EES11_EEDaSW_SX_EUlSW_E_NS1_11comp_targetILNS1_3genE9ELNS1_11target_archE1100ELNS1_3gpuE3ELNS1_3repE0EEENS1_30default_config_static_selectorELNS0_4arch9wavefront6targetE0EEEvT1_, .Lfunc_end932-_ZN7rocprim17ROCPRIM_400000_NS6detail17trampoline_kernelINS0_14default_configENS1_33run_length_encode_config_selectorIN3c104HalfEjNS0_4plusIjEEEEZZNS1_33reduce_by_key_impl_wrapped_configILNS1_25lookback_scan_determinismE0ES3_S9_PKS6_NS0_17constant_iteratorIjlEEPS6_PlSH_S8_NS0_8equal_toIS6_EEEE10hipError_tPvRmT2_T3_mT4_T5_T6_T7_T8_P12ihipStream_tbENKUlT_T0_E_clISt17integral_constantIbLb0EES11_EEDaSW_SX_EUlSW_E_NS1_11comp_targetILNS1_3genE9ELNS1_11target_archE1100ELNS1_3gpuE3ELNS1_3repE0EEENS1_30default_config_static_selectorELNS0_4arch9wavefront6targetE0EEEvT1_
                                        ; -- End function
	.set _ZN7rocprim17ROCPRIM_400000_NS6detail17trampoline_kernelINS0_14default_configENS1_33run_length_encode_config_selectorIN3c104HalfEjNS0_4plusIjEEEEZZNS1_33reduce_by_key_impl_wrapped_configILNS1_25lookback_scan_determinismE0ES3_S9_PKS6_NS0_17constant_iteratorIjlEEPS6_PlSH_S8_NS0_8equal_toIS6_EEEE10hipError_tPvRmT2_T3_mT4_T5_T6_T7_T8_P12ihipStream_tbENKUlT_T0_E_clISt17integral_constantIbLb0EES11_EEDaSW_SX_EUlSW_E_NS1_11comp_targetILNS1_3genE9ELNS1_11target_archE1100ELNS1_3gpuE3ELNS1_3repE0EEENS1_30default_config_static_selectorELNS0_4arch9wavefront6targetE0EEEvT1_.num_vgpr, 0
	.set _ZN7rocprim17ROCPRIM_400000_NS6detail17trampoline_kernelINS0_14default_configENS1_33run_length_encode_config_selectorIN3c104HalfEjNS0_4plusIjEEEEZZNS1_33reduce_by_key_impl_wrapped_configILNS1_25lookback_scan_determinismE0ES3_S9_PKS6_NS0_17constant_iteratorIjlEEPS6_PlSH_S8_NS0_8equal_toIS6_EEEE10hipError_tPvRmT2_T3_mT4_T5_T6_T7_T8_P12ihipStream_tbENKUlT_T0_E_clISt17integral_constantIbLb0EES11_EEDaSW_SX_EUlSW_E_NS1_11comp_targetILNS1_3genE9ELNS1_11target_archE1100ELNS1_3gpuE3ELNS1_3repE0EEENS1_30default_config_static_selectorELNS0_4arch9wavefront6targetE0EEEvT1_.num_agpr, 0
	.set _ZN7rocprim17ROCPRIM_400000_NS6detail17trampoline_kernelINS0_14default_configENS1_33run_length_encode_config_selectorIN3c104HalfEjNS0_4plusIjEEEEZZNS1_33reduce_by_key_impl_wrapped_configILNS1_25lookback_scan_determinismE0ES3_S9_PKS6_NS0_17constant_iteratorIjlEEPS6_PlSH_S8_NS0_8equal_toIS6_EEEE10hipError_tPvRmT2_T3_mT4_T5_T6_T7_T8_P12ihipStream_tbENKUlT_T0_E_clISt17integral_constantIbLb0EES11_EEDaSW_SX_EUlSW_E_NS1_11comp_targetILNS1_3genE9ELNS1_11target_archE1100ELNS1_3gpuE3ELNS1_3repE0EEENS1_30default_config_static_selectorELNS0_4arch9wavefront6targetE0EEEvT1_.numbered_sgpr, 0
	.set _ZN7rocprim17ROCPRIM_400000_NS6detail17trampoline_kernelINS0_14default_configENS1_33run_length_encode_config_selectorIN3c104HalfEjNS0_4plusIjEEEEZZNS1_33reduce_by_key_impl_wrapped_configILNS1_25lookback_scan_determinismE0ES3_S9_PKS6_NS0_17constant_iteratorIjlEEPS6_PlSH_S8_NS0_8equal_toIS6_EEEE10hipError_tPvRmT2_T3_mT4_T5_T6_T7_T8_P12ihipStream_tbENKUlT_T0_E_clISt17integral_constantIbLb0EES11_EEDaSW_SX_EUlSW_E_NS1_11comp_targetILNS1_3genE9ELNS1_11target_archE1100ELNS1_3gpuE3ELNS1_3repE0EEENS1_30default_config_static_selectorELNS0_4arch9wavefront6targetE0EEEvT1_.num_named_barrier, 0
	.set _ZN7rocprim17ROCPRIM_400000_NS6detail17trampoline_kernelINS0_14default_configENS1_33run_length_encode_config_selectorIN3c104HalfEjNS0_4plusIjEEEEZZNS1_33reduce_by_key_impl_wrapped_configILNS1_25lookback_scan_determinismE0ES3_S9_PKS6_NS0_17constant_iteratorIjlEEPS6_PlSH_S8_NS0_8equal_toIS6_EEEE10hipError_tPvRmT2_T3_mT4_T5_T6_T7_T8_P12ihipStream_tbENKUlT_T0_E_clISt17integral_constantIbLb0EES11_EEDaSW_SX_EUlSW_E_NS1_11comp_targetILNS1_3genE9ELNS1_11target_archE1100ELNS1_3gpuE3ELNS1_3repE0EEENS1_30default_config_static_selectorELNS0_4arch9wavefront6targetE0EEEvT1_.private_seg_size, 0
	.set _ZN7rocprim17ROCPRIM_400000_NS6detail17trampoline_kernelINS0_14default_configENS1_33run_length_encode_config_selectorIN3c104HalfEjNS0_4plusIjEEEEZZNS1_33reduce_by_key_impl_wrapped_configILNS1_25lookback_scan_determinismE0ES3_S9_PKS6_NS0_17constant_iteratorIjlEEPS6_PlSH_S8_NS0_8equal_toIS6_EEEE10hipError_tPvRmT2_T3_mT4_T5_T6_T7_T8_P12ihipStream_tbENKUlT_T0_E_clISt17integral_constantIbLb0EES11_EEDaSW_SX_EUlSW_E_NS1_11comp_targetILNS1_3genE9ELNS1_11target_archE1100ELNS1_3gpuE3ELNS1_3repE0EEENS1_30default_config_static_selectorELNS0_4arch9wavefront6targetE0EEEvT1_.uses_vcc, 0
	.set _ZN7rocprim17ROCPRIM_400000_NS6detail17trampoline_kernelINS0_14default_configENS1_33run_length_encode_config_selectorIN3c104HalfEjNS0_4plusIjEEEEZZNS1_33reduce_by_key_impl_wrapped_configILNS1_25lookback_scan_determinismE0ES3_S9_PKS6_NS0_17constant_iteratorIjlEEPS6_PlSH_S8_NS0_8equal_toIS6_EEEE10hipError_tPvRmT2_T3_mT4_T5_T6_T7_T8_P12ihipStream_tbENKUlT_T0_E_clISt17integral_constantIbLb0EES11_EEDaSW_SX_EUlSW_E_NS1_11comp_targetILNS1_3genE9ELNS1_11target_archE1100ELNS1_3gpuE3ELNS1_3repE0EEENS1_30default_config_static_selectorELNS0_4arch9wavefront6targetE0EEEvT1_.uses_flat_scratch, 0
	.set _ZN7rocprim17ROCPRIM_400000_NS6detail17trampoline_kernelINS0_14default_configENS1_33run_length_encode_config_selectorIN3c104HalfEjNS0_4plusIjEEEEZZNS1_33reduce_by_key_impl_wrapped_configILNS1_25lookback_scan_determinismE0ES3_S9_PKS6_NS0_17constant_iteratorIjlEEPS6_PlSH_S8_NS0_8equal_toIS6_EEEE10hipError_tPvRmT2_T3_mT4_T5_T6_T7_T8_P12ihipStream_tbENKUlT_T0_E_clISt17integral_constantIbLb0EES11_EEDaSW_SX_EUlSW_E_NS1_11comp_targetILNS1_3genE9ELNS1_11target_archE1100ELNS1_3gpuE3ELNS1_3repE0EEENS1_30default_config_static_selectorELNS0_4arch9wavefront6targetE0EEEvT1_.has_dyn_sized_stack, 0
	.set _ZN7rocprim17ROCPRIM_400000_NS6detail17trampoline_kernelINS0_14default_configENS1_33run_length_encode_config_selectorIN3c104HalfEjNS0_4plusIjEEEEZZNS1_33reduce_by_key_impl_wrapped_configILNS1_25lookback_scan_determinismE0ES3_S9_PKS6_NS0_17constant_iteratorIjlEEPS6_PlSH_S8_NS0_8equal_toIS6_EEEE10hipError_tPvRmT2_T3_mT4_T5_T6_T7_T8_P12ihipStream_tbENKUlT_T0_E_clISt17integral_constantIbLb0EES11_EEDaSW_SX_EUlSW_E_NS1_11comp_targetILNS1_3genE9ELNS1_11target_archE1100ELNS1_3gpuE3ELNS1_3repE0EEENS1_30default_config_static_selectorELNS0_4arch9wavefront6targetE0EEEvT1_.has_recursion, 0
	.set _ZN7rocprim17ROCPRIM_400000_NS6detail17trampoline_kernelINS0_14default_configENS1_33run_length_encode_config_selectorIN3c104HalfEjNS0_4plusIjEEEEZZNS1_33reduce_by_key_impl_wrapped_configILNS1_25lookback_scan_determinismE0ES3_S9_PKS6_NS0_17constant_iteratorIjlEEPS6_PlSH_S8_NS0_8equal_toIS6_EEEE10hipError_tPvRmT2_T3_mT4_T5_T6_T7_T8_P12ihipStream_tbENKUlT_T0_E_clISt17integral_constantIbLb0EES11_EEDaSW_SX_EUlSW_E_NS1_11comp_targetILNS1_3genE9ELNS1_11target_archE1100ELNS1_3gpuE3ELNS1_3repE0EEENS1_30default_config_static_selectorELNS0_4arch9wavefront6targetE0EEEvT1_.has_indirect_call, 0
	.section	.AMDGPU.csdata,"",@progbits
; Kernel info:
; codeLenInByte = 0
; TotalNumSgprs: 0
; NumVgprs: 0
; ScratchSize: 0
; MemoryBound: 0
; FloatMode: 240
; IeeeMode: 1
; LDSByteSize: 0 bytes/workgroup (compile time only)
; SGPRBlocks: 0
; VGPRBlocks: 0
; NumSGPRsForWavesPerEU: 1
; NumVGPRsForWavesPerEU: 1
; NamedBarCnt: 0
; Occupancy: 16
; WaveLimiterHint : 0
; COMPUTE_PGM_RSRC2:SCRATCH_EN: 0
; COMPUTE_PGM_RSRC2:USER_SGPR: 2
; COMPUTE_PGM_RSRC2:TRAP_HANDLER: 0
; COMPUTE_PGM_RSRC2:TGID_X_EN: 1
; COMPUTE_PGM_RSRC2:TGID_Y_EN: 0
; COMPUTE_PGM_RSRC2:TGID_Z_EN: 0
; COMPUTE_PGM_RSRC2:TIDIG_COMP_CNT: 0
	.section	.text._ZN7rocprim17ROCPRIM_400000_NS6detail17trampoline_kernelINS0_14default_configENS1_33run_length_encode_config_selectorIN3c104HalfEjNS0_4plusIjEEEEZZNS1_33reduce_by_key_impl_wrapped_configILNS1_25lookback_scan_determinismE0ES3_S9_PKS6_NS0_17constant_iteratorIjlEEPS6_PlSH_S8_NS0_8equal_toIS6_EEEE10hipError_tPvRmT2_T3_mT4_T5_T6_T7_T8_P12ihipStream_tbENKUlT_T0_E_clISt17integral_constantIbLb0EES11_EEDaSW_SX_EUlSW_E_NS1_11comp_targetILNS1_3genE8ELNS1_11target_archE1030ELNS1_3gpuE2ELNS1_3repE0EEENS1_30default_config_static_selectorELNS0_4arch9wavefront6targetE0EEEvT1_,"axG",@progbits,_ZN7rocprim17ROCPRIM_400000_NS6detail17trampoline_kernelINS0_14default_configENS1_33run_length_encode_config_selectorIN3c104HalfEjNS0_4plusIjEEEEZZNS1_33reduce_by_key_impl_wrapped_configILNS1_25lookback_scan_determinismE0ES3_S9_PKS6_NS0_17constant_iteratorIjlEEPS6_PlSH_S8_NS0_8equal_toIS6_EEEE10hipError_tPvRmT2_T3_mT4_T5_T6_T7_T8_P12ihipStream_tbENKUlT_T0_E_clISt17integral_constantIbLb0EES11_EEDaSW_SX_EUlSW_E_NS1_11comp_targetILNS1_3genE8ELNS1_11target_archE1030ELNS1_3gpuE2ELNS1_3repE0EEENS1_30default_config_static_selectorELNS0_4arch9wavefront6targetE0EEEvT1_,comdat
	.protected	_ZN7rocprim17ROCPRIM_400000_NS6detail17trampoline_kernelINS0_14default_configENS1_33run_length_encode_config_selectorIN3c104HalfEjNS0_4plusIjEEEEZZNS1_33reduce_by_key_impl_wrapped_configILNS1_25lookback_scan_determinismE0ES3_S9_PKS6_NS0_17constant_iteratorIjlEEPS6_PlSH_S8_NS0_8equal_toIS6_EEEE10hipError_tPvRmT2_T3_mT4_T5_T6_T7_T8_P12ihipStream_tbENKUlT_T0_E_clISt17integral_constantIbLb0EES11_EEDaSW_SX_EUlSW_E_NS1_11comp_targetILNS1_3genE8ELNS1_11target_archE1030ELNS1_3gpuE2ELNS1_3repE0EEENS1_30default_config_static_selectorELNS0_4arch9wavefront6targetE0EEEvT1_ ; -- Begin function _ZN7rocprim17ROCPRIM_400000_NS6detail17trampoline_kernelINS0_14default_configENS1_33run_length_encode_config_selectorIN3c104HalfEjNS0_4plusIjEEEEZZNS1_33reduce_by_key_impl_wrapped_configILNS1_25lookback_scan_determinismE0ES3_S9_PKS6_NS0_17constant_iteratorIjlEEPS6_PlSH_S8_NS0_8equal_toIS6_EEEE10hipError_tPvRmT2_T3_mT4_T5_T6_T7_T8_P12ihipStream_tbENKUlT_T0_E_clISt17integral_constantIbLb0EES11_EEDaSW_SX_EUlSW_E_NS1_11comp_targetILNS1_3genE8ELNS1_11target_archE1030ELNS1_3gpuE2ELNS1_3repE0EEENS1_30default_config_static_selectorELNS0_4arch9wavefront6targetE0EEEvT1_
	.globl	_ZN7rocprim17ROCPRIM_400000_NS6detail17trampoline_kernelINS0_14default_configENS1_33run_length_encode_config_selectorIN3c104HalfEjNS0_4plusIjEEEEZZNS1_33reduce_by_key_impl_wrapped_configILNS1_25lookback_scan_determinismE0ES3_S9_PKS6_NS0_17constant_iteratorIjlEEPS6_PlSH_S8_NS0_8equal_toIS6_EEEE10hipError_tPvRmT2_T3_mT4_T5_T6_T7_T8_P12ihipStream_tbENKUlT_T0_E_clISt17integral_constantIbLb0EES11_EEDaSW_SX_EUlSW_E_NS1_11comp_targetILNS1_3genE8ELNS1_11target_archE1030ELNS1_3gpuE2ELNS1_3repE0EEENS1_30default_config_static_selectorELNS0_4arch9wavefront6targetE0EEEvT1_
	.p2align	8
	.type	_ZN7rocprim17ROCPRIM_400000_NS6detail17trampoline_kernelINS0_14default_configENS1_33run_length_encode_config_selectorIN3c104HalfEjNS0_4plusIjEEEEZZNS1_33reduce_by_key_impl_wrapped_configILNS1_25lookback_scan_determinismE0ES3_S9_PKS6_NS0_17constant_iteratorIjlEEPS6_PlSH_S8_NS0_8equal_toIS6_EEEE10hipError_tPvRmT2_T3_mT4_T5_T6_T7_T8_P12ihipStream_tbENKUlT_T0_E_clISt17integral_constantIbLb0EES11_EEDaSW_SX_EUlSW_E_NS1_11comp_targetILNS1_3genE8ELNS1_11target_archE1030ELNS1_3gpuE2ELNS1_3repE0EEENS1_30default_config_static_selectorELNS0_4arch9wavefront6targetE0EEEvT1_,@function
_ZN7rocprim17ROCPRIM_400000_NS6detail17trampoline_kernelINS0_14default_configENS1_33run_length_encode_config_selectorIN3c104HalfEjNS0_4plusIjEEEEZZNS1_33reduce_by_key_impl_wrapped_configILNS1_25lookback_scan_determinismE0ES3_S9_PKS6_NS0_17constant_iteratorIjlEEPS6_PlSH_S8_NS0_8equal_toIS6_EEEE10hipError_tPvRmT2_T3_mT4_T5_T6_T7_T8_P12ihipStream_tbENKUlT_T0_E_clISt17integral_constantIbLb0EES11_EEDaSW_SX_EUlSW_E_NS1_11comp_targetILNS1_3genE8ELNS1_11target_archE1030ELNS1_3gpuE2ELNS1_3repE0EEENS1_30default_config_static_selectorELNS0_4arch9wavefront6targetE0EEEvT1_: ; @_ZN7rocprim17ROCPRIM_400000_NS6detail17trampoline_kernelINS0_14default_configENS1_33run_length_encode_config_selectorIN3c104HalfEjNS0_4plusIjEEEEZZNS1_33reduce_by_key_impl_wrapped_configILNS1_25lookback_scan_determinismE0ES3_S9_PKS6_NS0_17constant_iteratorIjlEEPS6_PlSH_S8_NS0_8equal_toIS6_EEEE10hipError_tPvRmT2_T3_mT4_T5_T6_T7_T8_P12ihipStream_tbENKUlT_T0_E_clISt17integral_constantIbLb0EES11_EEDaSW_SX_EUlSW_E_NS1_11comp_targetILNS1_3genE8ELNS1_11target_archE1030ELNS1_3gpuE2ELNS1_3repE0EEENS1_30default_config_static_selectorELNS0_4arch9wavefront6targetE0EEEvT1_
; %bb.0:
	.section	.rodata,"a",@progbits
	.p2align	6, 0x0
	.amdhsa_kernel _ZN7rocprim17ROCPRIM_400000_NS6detail17trampoline_kernelINS0_14default_configENS1_33run_length_encode_config_selectorIN3c104HalfEjNS0_4plusIjEEEEZZNS1_33reduce_by_key_impl_wrapped_configILNS1_25lookback_scan_determinismE0ES3_S9_PKS6_NS0_17constant_iteratorIjlEEPS6_PlSH_S8_NS0_8equal_toIS6_EEEE10hipError_tPvRmT2_T3_mT4_T5_T6_T7_T8_P12ihipStream_tbENKUlT_T0_E_clISt17integral_constantIbLb0EES11_EEDaSW_SX_EUlSW_E_NS1_11comp_targetILNS1_3genE8ELNS1_11target_archE1030ELNS1_3gpuE2ELNS1_3repE0EEENS1_30default_config_static_selectorELNS0_4arch9wavefront6targetE0EEEvT1_
		.amdhsa_group_segment_fixed_size 0
		.amdhsa_private_segment_fixed_size 0
		.amdhsa_kernarg_size 128
		.amdhsa_user_sgpr_count 2
		.amdhsa_user_sgpr_dispatch_ptr 0
		.amdhsa_user_sgpr_queue_ptr 0
		.amdhsa_user_sgpr_kernarg_segment_ptr 1
		.amdhsa_user_sgpr_dispatch_id 0
		.amdhsa_user_sgpr_kernarg_preload_length 0
		.amdhsa_user_sgpr_kernarg_preload_offset 0
		.amdhsa_user_sgpr_private_segment_size 0
		.amdhsa_wavefront_size32 1
		.amdhsa_uses_dynamic_stack 0
		.amdhsa_enable_private_segment 0
		.amdhsa_system_sgpr_workgroup_id_x 1
		.amdhsa_system_sgpr_workgroup_id_y 0
		.amdhsa_system_sgpr_workgroup_id_z 0
		.amdhsa_system_sgpr_workgroup_info 0
		.amdhsa_system_vgpr_workitem_id 0
		.amdhsa_next_free_vgpr 1
		.amdhsa_next_free_sgpr 1
		.amdhsa_named_barrier_count 0
		.amdhsa_reserve_vcc 0
		.amdhsa_float_round_mode_32 0
		.amdhsa_float_round_mode_16_64 0
		.amdhsa_float_denorm_mode_32 3
		.amdhsa_float_denorm_mode_16_64 3
		.amdhsa_fp16_overflow 0
		.amdhsa_memory_ordered 1
		.amdhsa_forward_progress 1
		.amdhsa_inst_pref_size 0
		.amdhsa_round_robin_scheduling 0
		.amdhsa_exception_fp_ieee_invalid_op 0
		.amdhsa_exception_fp_denorm_src 0
		.amdhsa_exception_fp_ieee_div_zero 0
		.amdhsa_exception_fp_ieee_overflow 0
		.amdhsa_exception_fp_ieee_underflow 0
		.amdhsa_exception_fp_ieee_inexact 0
		.amdhsa_exception_int_div_zero 0
	.end_amdhsa_kernel
	.section	.text._ZN7rocprim17ROCPRIM_400000_NS6detail17trampoline_kernelINS0_14default_configENS1_33run_length_encode_config_selectorIN3c104HalfEjNS0_4plusIjEEEEZZNS1_33reduce_by_key_impl_wrapped_configILNS1_25lookback_scan_determinismE0ES3_S9_PKS6_NS0_17constant_iteratorIjlEEPS6_PlSH_S8_NS0_8equal_toIS6_EEEE10hipError_tPvRmT2_T3_mT4_T5_T6_T7_T8_P12ihipStream_tbENKUlT_T0_E_clISt17integral_constantIbLb0EES11_EEDaSW_SX_EUlSW_E_NS1_11comp_targetILNS1_3genE8ELNS1_11target_archE1030ELNS1_3gpuE2ELNS1_3repE0EEENS1_30default_config_static_selectorELNS0_4arch9wavefront6targetE0EEEvT1_,"axG",@progbits,_ZN7rocprim17ROCPRIM_400000_NS6detail17trampoline_kernelINS0_14default_configENS1_33run_length_encode_config_selectorIN3c104HalfEjNS0_4plusIjEEEEZZNS1_33reduce_by_key_impl_wrapped_configILNS1_25lookback_scan_determinismE0ES3_S9_PKS6_NS0_17constant_iteratorIjlEEPS6_PlSH_S8_NS0_8equal_toIS6_EEEE10hipError_tPvRmT2_T3_mT4_T5_T6_T7_T8_P12ihipStream_tbENKUlT_T0_E_clISt17integral_constantIbLb0EES11_EEDaSW_SX_EUlSW_E_NS1_11comp_targetILNS1_3genE8ELNS1_11target_archE1030ELNS1_3gpuE2ELNS1_3repE0EEENS1_30default_config_static_selectorELNS0_4arch9wavefront6targetE0EEEvT1_,comdat
.Lfunc_end933:
	.size	_ZN7rocprim17ROCPRIM_400000_NS6detail17trampoline_kernelINS0_14default_configENS1_33run_length_encode_config_selectorIN3c104HalfEjNS0_4plusIjEEEEZZNS1_33reduce_by_key_impl_wrapped_configILNS1_25lookback_scan_determinismE0ES3_S9_PKS6_NS0_17constant_iteratorIjlEEPS6_PlSH_S8_NS0_8equal_toIS6_EEEE10hipError_tPvRmT2_T3_mT4_T5_T6_T7_T8_P12ihipStream_tbENKUlT_T0_E_clISt17integral_constantIbLb0EES11_EEDaSW_SX_EUlSW_E_NS1_11comp_targetILNS1_3genE8ELNS1_11target_archE1030ELNS1_3gpuE2ELNS1_3repE0EEENS1_30default_config_static_selectorELNS0_4arch9wavefront6targetE0EEEvT1_, .Lfunc_end933-_ZN7rocprim17ROCPRIM_400000_NS6detail17trampoline_kernelINS0_14default_configENS1_33run_length_encode_config_selectorIN3c104HalfEjNS0_4plusIjEEEEZZNS1_33reduce_by_key_impl_wrapped_configILNS1_25lookback_scan_determinismE0ES3_S9_PKS6_NS0_17constant_iteratorIjlEEPS6_PlSH_S8_NS0_8equal_toIS6_EEEE10hipError_tPvRmT2_T3_mT4_T5_T6_T7_T8_P12ihipStream_tbENKUlT_T0_E_clISt17integral_constantIbLb0EES11_EEDaSW_SX_EUlSW_E_NS1_11comp_targetILNS1_3genE8ELNS1_11target_archE1030ELNS1_3gpuE2ELNS1_3repE0EEENS1_30default_config_static_selectorELNS0_4arch9wavefront6targetE0EEEvT1_
                                        ; -- End function
	.set _ZN7rocprim17ROCPRIM_400000_NS6detail17trampoline_kernelINS0_14default_configENS1_33run_length_encode_config_selectorIN3c104HalfEjNS0_4plusIjEEEEZZNS1_33reduce_by_key_impl_wrapped_configILNS1_25lookback_scan_determinismE0ES3_S9_PKS6_NS0_17constant_iteratorIjlEEPS6_PlSH_S8_NS0_8equal_toIS6_EEEE10hipError_tPvRmT2_T3_mT4_T5_T6_T7_T8_P12ihipStream_tbENKUlT_T0_E_clISt17integral_constantIbLb0EES11_EEDaSW_SX_EUlSW_E_NS1_11comp_targetILNS1_3genE8ELNS1_11target_archE1030ELNS1_3gpuE2ELNS1_3repE0EEENS1_30default_config_static_selectorELNS0_4arch9wavefront6targetE0EEEvT1_.num_vgpr, 0
	.set _ZN7rocprim17ROCPRIM_400000_NS6detail17trampoline_kernelINS0_14default_configENS1_33run_length_encode_config_selectorIN3c104HalfEjNS0_4plusIjEEEEZZNS1_33reduce_by_key_impl_wrapped_configILNS1_25lookback_scan_determinismE0ES3_S9_PKS6_NS0_17constant_iteratorIjlEEPS6_PlSH_S8_NS0_8equal_toIS6_EEEE10hipError_tPvRmT2_T3_mT4_T5_T6_T7_T8_P12ihipStream_tbENKUlT_T0_E_clISt17integral_constantIbLb0EES11_EEDaSW_SX_EUlSW_E_NS1_11comp_targetILNS1_3genE8ELNS1_11target_archE1030ELNS1_3gpuE2ELNS1_3repE0EEENS1_30default_config_static_selectorELNS0_4arch9wavefront6targetE0EEEvT1_.num_agpr, 0
	.set _ZN7rocprim17ROCPRIM_400000_NS6detail17trampoline_kernelINS0_14default_configENS1_33run_length_encode_config_selectorIN3c104HalfEjNS0_4plusIjEEEEZZNS1_33reduce_by_key_impl_wrapped_configILNS1_25lookback_scan_determinismE0ES3_S9_PKS6_NS0_17constant_iteratorIjlEEPS6_PlSH_S8_NS0_8equal_toIS6_EEEE10hipError_tPvRmT2_T3_mT4_T5_T6_T7_T8_P12ihipStream_tbENKUlT_T0_E_clISt17integral_constantIbLb0EES11_EEDaSW_SX_EUlSW_E_NS1_11comp_targetILNS1_3genE8ELNS1_11target_archE1030ELNS1_3gpuE2ELNS1_3repE0EEENS1_30default_config_static_selectorELNS0_4arch9wavefront6targetE0EEEvT1_.numbered_sgpr, 0
	.set _ZN7rocprim17ROCPRIM_400000_NS6detail17trampoline_kernelINS0_14default_configENS1_33run_length_encode_config_selectorIN3c104HalfEjNS0_4plusIjEEEEZZNS1_33reduce_by_key_impl_wrapped_configILNS1_25lookback_scan_determinismE0ES3_S9_PKS6_NS0_17constant_iteratorIjlEEPS6_PlSH_S8_NS0_8equal_toIS6_EEEE10hipError_tPvRmT2_T3_mT4_T5_T6_T7_T8_P12ihipStream_tbENKUlT_T0_E_clISt17integral_constantIbLb0EES11_EEDaSW_SX_EUlSW_E_NS1_11comp_targetILNS1_3genE8ELNS1_11target_archE1030ELNS1_3gpuE2ELNS1_3repE0EEENS1_30default_config_static_selectorELNS0_4arch9wavefront6targetE0EEEvT1_.num_named_barrier, 0
	.set _ZN7rocprim17ROCPRIM_400000_NS6detail17trampoline_kernelINS0_14default_configENS1_33run_length_encode_config_selectorIN3c104HalfEjNS0_4plusIjEEEEZZNS1_33reduce_by_key_impl_wrapped_configILNS1_25lookback_scan_determinismE0ES3_S9_PKS6_NS0_17constant_iteratorIjlEEPS6_PlSH_S8_NS0_8equal_toIS6_EEEE10hipError_tPvRmT2_T3_mT4_T5_T6_T7_T8_P12ihipStream_tbENKUlT_T0_E_clISt17integral_constantIbLb0EES11_EEDaSW_SX_EUlSW_E_NS1_11comp_targetILNS1_3genE8ELNS1_11target_archE1030ELNS1_3gpuE2ELNS1_3repE0EEENS1_30default_config_static_selectorELNS0_4arch9wavefront6targetE0EEEvT1_.private_seg_size, 0
	.set _ZN7rocprim17ROCPRIM_400000_NS6detail17trampoline_kernelINS0_14default_configENS1_33run_length_encode_config_selectorIN3c104HalfEjNS0_4plusIjEEEEZZNS1_33reduce_by_key_impl_wrapped_configILNS1_25lookback_scan_determinismE0ES3_S9_PKS6_NS0_17constant_iteratorIjlEEPS6_PlSH_S8_NS0_8equal_toIS6_EEEE10hipError_tPvRmT2_T3_mT4_T5_T6_T7_T8_P12ihipStream_tbENKUlT_T0_E_clISt17integral_constantIbLb0EES11_EEDaSW_SX_EUlSW_E_NS1_11comp_targetILNS1_3genE8ELNS1_11target_archE1030ELNS1_3gpuE2ELNS1_3repE0EEENS1_30default_config_static_selectorELNS0_4arch9wavefront6targetE0EEEvT1_.uses_vcc, 0
	.set _ZN7rocprim17ROCPRIM_400000_NS6detail17trampoline_kernelINS0_14default_configENS1_33run_length_encode_config_selectorIN3c104HalfEjNS0_4plusIjEEEEZZNS1_33reduce_by_key_impl_wrapped_configILNS1_25lookback_scan_determinismE0ES3_S9_PKS6_NS0_17constant_iteratorIjlEEPS6_PlSH_S8_NS0_8equal_toIS6_EEEE10hipError_tPvRmT2_T3_mT4_T5_T6_T7_T8_P12ihipStream_tbENKUlT_T0_E_clISt17integral_constantIbLb0EES11_EEDaSW_SX_EUlSW_E_NS1_11comp_targetILNS1_3genE8ELNS1_11target_archE1030ELNS1_3gpuE2ELNS1_3repE0EEENS1_30default_config_static_selectorELNS0_4arch9wavefront6targetE0EEEvT1_.uses_flat_scratch, 0
	.set _ZN7rocprim17ROCPRIM_400000_NS6detail17trampoline_kernelINS0_14default_configENS1_33run_length_encode_config_selectorIN3c104HalfEjNS0_4plusIjEEEEZZNS1_33reduce_by_key_impl_wrapped_configILNS1_25lookback_scan_determinismE0ES3_S9_PKS6_NS0_17constant_iteratorIjlEEPS6_PlSH_S8_NS0_8equal_toIS6_EEEE10hipError_tPvRmT2_T3_mT4_T5_T6_T7_T8_P12ihipStream_tbENKUlT_T0_E_clISt17integral_constantIbLb0EES11_EEDaSW_SX_EUlSW_E_NS1_11comp_targetILNS1_3genE8ELNS1_11target_archE1030ELNS1_3gpuE2ELNS1_3repE0EEENS1_30default_config_static_selectorELNS0_4arch9wavefront6targetE0EEEvT1_.has_dyn_sized_stack, 0
	.set _ZN7rocprim17ROCPRIM_400000_NS6detail17trampoline_kernelINS0_14default_configENS1_33run_length_encode_config_selectorIN3c104HalfEjNS0_4plusIjEEEEZZNS1_33reduce_by_key_impl_wrapped_configILNS1_25lookback_scan_determinismE0ES3_S9_PKS6_NS0_17constant_iteratorIjlEEPS6_PlSH_S8_NS0_8equal_toIS6_EEEE10hipError_tPvRmT2_T3_mT4_T5_T6_T7_T8_P12ihipStream_tbENKUlT_T0_E_clISt17integral_constantIbLb0EES11_EEDaSW_SX_EUlSW_E_NS1_11comp_targetILNS1_3genE8ELNS1_11target_archE1030ELNS1_3gpuE2ELNS1_3repE0EEENS1_30default_config_static_selectorELNS0_4arch9wavefront6targetE0EEEvT1_.has_recursion, 0
	.set _ZN7rocprim17ROCPRIM_400000_NS6detail17trampoline_kernelINS0_14default_configENS1_33run_length_encode_config_selectorIN3c104HalfEjNS0_4plusIjEEEEZZNS1_33reduce_by_key_impl_wrapped_configILNS1_25lookback_scan_determinismE0ES3_S9_PKS6_NS0_17constant_iteratorIjlEEPS6_PlSH_S8_NS0_8equal_toIS6_EEEE10hipError_tPvRmT2_T3_mT4_T5_T6_T7_T8_P12ihipStream_tbENKUlT_T0_E_clISt17integral_constantIbLb0EES11_EEDaSW_SX_EUlSW_E_NS1_11comp_targetILNS1_3genE8ELNS1_11target_archE1030ELNS1_3gpuE2ELNS1_3repE0EEENS1_30default_config_static_selectorELNS0_4arch9wavefront6targetE0EEEvT1_.has_indirect_call, 0
	.section	.AMDGPU.csdata,"",@progbits
; Kernel info:
; codeLenInByte = 0
; TotalNumSgprs: 0
; NumVgprs: 0
; ScratchSize: 0
; MemoryBound: 0
; FloatMode: 240
; IeeeMode: 1
; LDSByteSize: 0 bytes/workgroup (compile time only)
; SGPRBlocks: 0
; VGPRBlocks: 0
; NumSGPRsForWavesPerEU: 1
; NumVGPRsForWavesPerEU: 1
; NamedBarCnt: 0
; Occupancy: 16
; WaveLimiterHint : 0
; COMPUTE_PGM_RSRC2:SCRATCH_EN: 0
; COMPUTE_PGM_RSRC2:USER_SGPR: 2
; COMPUTE_PGM_RSRC2:TRAP_HANDLER: 0
; COMPUTE_PGM_RSRC2:TGID_X_EN: 1
; COMPUTE_PGM_RSRC2:TGID_Y_EN: 0
; COMPUTE_PGM_RSRC2:TGID_Z_EN: 0
; COMPUTE_PGM_RSRC2:TIDIG_COMP_CNT: 0
	.section	.text._ZN7rocprim17ROCPRIM_400000_NS6detail17trampoline_kernelINS0_14default_configENS1_33run_length_encode_config_selectorIN3c104HalfEjNS0_4plusIjEEEEZZNS1_33reduce_by_key_impl_wrapped_configILNS1_25lookback_scan_determinismE0ES3_S9_PKS6_NS0_17constant_iteratorIjlEEPS6_PlSH_S8_NS0_8equal_toIS6_EEEE10hipError_tPvRmT2_T3_mT4_T5_T6_T7_T8_P12ihipStream_tbENKUlT_T0_E_clISt17integral_constantIbLb1EES11_EEDaSW_SX_EUlSW_E_NS1_11comp_targetILNS1_3genE0ELNS1_11target_archE4294967295ELNS1_3gpuE0ELNS1_3repE0EEENS1_30default_config_static_selectorELNS0_4arch9wavefront6targetE0EEEvT1_,"axG",@progbits,_ZN7rocprim17ROCPRIM_400000_NS6detail17trampoline_kernelINS0_14default_configENS1_33run_length_encode_config_selectorIN3c104HalfEjNS0_4plusIjEEEEZZNS1_33reduce_by_key_impl_wrapped_configILNS1_25lookback_scan_determinismE0ES3_S9_PKS6_NS0_17constant_iteratorIjlEEPS6_PlSH_S8_NS0_8equal_toIS6_EEEE10hipError_tPvRmT2_T3_mT4_T5_T6_T7_T8_P12ihipStream_tbENKUlT_T0_E_clISt17integral_constantIbLb1EES11_EEDaSW_SX_EUlSW_E_NS1_11comp_targetILNS1_3genE0ELNS1_11target_archE4294967295ELNS1_3gpuE0ELNS1_3repE0EEENS1_30default_config_static_selectorELNS0_4arch9wavefront6targetE0EEEvT1_,comdat
	.protected	_ZN7rocprim17ROCPRIM_400000_NS6detail17trampoline_kernelINS0_14default_configENS1_33run_length_encode_config_selectorIN3c104HalfEjNS0_4plusIjEEEEZZNS1_33reduce_by_key_impl_wrapped_configILNS1_25lookback_scan_determinismE0ES3_S9_PKS6_NS0_17constant_iteratorIjlEEPS6_PlSH_S8_NS0_8equal_toIS6_EEEE10hipError_tPvRmT2_T3_mT4_T5_T6_T7_T8_P12ihipStream_tbENKUlT_T0_E_clISt17integral_constantIbLb1EES11_EEDaSW_SX_EUlSW_E_NS1_11comp_targetILNS1_3genE0ELNS1_11target_archE4294967295ELNS1_3gpuE0ELNS1_3repE0EEENS1_30default_config_static_selectorELNS0_4arch9wavefront6targetE0EEEvT1_ ; -- Begin function _ZN7rocprim17ROCPRIM_400000_NS6detail17trampoline_kernelINS0_14default_configENS1_33run_length_encode_config_selectorIN3c104HalfEjNS0_4plusIjEEEEZZNS1_33reduce_by_key_impl_wrapped_configILNS1_25lookback_scan_determinismE0ES3_S9_PKS6_NS0_17constant_iteratorIjlEEPS6_PlSH_S8_NS0_8equal_toIS6_EEEE10hipError_tPvRmT2_T3_mT4_T5_T6_T7_T8_P12ihipStream_tbENKUlT_T0_E_clISt17integral_constantIbLb1EES11_EEDaSW_SX_EUlSW_E_NS1_11comp_targetILNS1_3genE0ELNS1_11target_archE4294967295ELNS1_3gpuE0ELNS1_3repE0EEENS1_30default_config_static_selectorELNS0_4arch9wavefront6targetE0EEEvT1_
	.globl	_ZN7rocprim17ROCPRIM_400000_NS6detail17trampoline_kernelINS0_14default_configENS1_33run_length_encode_config_selectorIN3c104HalfEjNS0_4plusIjEEEEZZNS1_33reduce_by_key_impl_wrapped_configILNS1_25lookback_scan_determinismE0ES3_S9_PKS6_NS0_17constant_iteratorIjlEEPS6_PlSH_S8_NS0_8equal_toIS6_EEEE10hipError_tPvRmT2_T3_mT4_T5_T6_T7_T8_P12ihipStream_tbENKUlT_T0_E_clISt17integral_constantIbLb1EES11_EEDaSW_SX_EUlSW_E_NS1_11comp_targetILNS1_3genE0ELNS1_11target_archE4294967295ELNS1_3gpuE0ELNS1_3repE0EEENS1_30default_config_static_selectorELNS0_4arch9wavefront6targetE0EEEvT1_
	.p2align	8
	.type	_ZN7rocprim17ROCPRIM_400000_NS6detail17trampoline_kernelINS0_14default_configENS1_33run_length_encode_config_selectorIN3c104HalfEjNS0_4plusIjEEEEZZNS1_33reduce_by_key_impl_wrapped_configILNS1_25lookback_scan_determinismE0ES3_S9_PKS6_NS0_17constant_iteratorIjlEEPS6_PlSH_S8_NS0_8equal_toIS6_EEEE10hipError_tPvRmT2_T3_mT4_T5_T6_T7_T8_P12ihipStream_tbENKUlT_T0_E_clISt17integral_constantIbLb1EES11_EEDaSW_SX_EUlSW_E_NS1_11comp_targetILNS1_3genE0ELNS1_11target_archE4294967295ELNS1_3gpuE0ELNS1_3repE0EEENS1_30default_config_static_selectorELNS0_4arch9wavefront6targetE0EEEvT1_,@function
_ZN7rocprim17ROCPRIM_400000_NS6detail17trampoline_kernelINS0_14default_configENS1_33run_length_encode_config_selectorIN3c104HalfEjNS0_4plusIjEEEEZZNS1_33reduce_by_key_impl_wrapped_configILNS1_25lookback_scan_determinismE0ES3_S9_PKS6_NS0_17constant_iteratorIjlEEPS6_PlSH_S8_NS0_8equal_toIS6_EEEE10hipError_tPvRmT2_T3_mT4_T5_T6_T7_T8_P12ihipStream_tbENKUlT_T0_E_clISt17integral_constantIbLb1EES11_EEDaSW_SX_EUlSW_E_NS1_11comp_targetILNS1_3genE0ELNS1_11target_archE4294967295ELNS1_3gpuE0ELNS1_3repE0EEENS1_30default_config_static_selectorELNS0_4arch9wavefront6targetE0EEEvT1_: ; @_ZN7rocprim17ROCPRIM_400000_NS6detail17trampoline_kernelINS0_14default_configENS1_33run_length_encode_config_selectorIN3c104HalfEjNS0_4plusIjEEEEZZNS1_33reduce_by_key_impl_wrapped_configILNS1_25lookback_scan_determinismE0ES3_S9_PKS6_NS0_17constant_iteratorIjlEEPS6_PlSH_S8_NS0_8equal_toIS6_EEEE10hipError_tPvRmT2_T3_mT4_T5_T6_T7_T8_P12ihipStream_tbENKUlT_T0_E_clISt17integral_constantIbLb1EES11_EEDaSW_SX_EUlSW_E_NS1_11comp_targetILNS1_3genE0ELNS1_11target_archE4294967295ELNS1_3gpuE0ELNS1_3repE0EEENS1_30default_config_static_selectorELNS0_4arch9wavefront6targetE0EEEvT1_
; %bb.0:
	s_endpgm
	.section	.rodata,"a",@progbits
	.p2align	6, 0x0
	.amdhsa_kernel _ZN7rocprim17ROCPRIM_400000_NS6detail17trampoline_kernelINS0_14default_configENS1_33run_length_encode_config_selectorIN3c104HalfEjNS0_4plusIjEEEEZZNS1_33reduce_by_key_impl_wrapped_configILNS1_25lookback_scan_determinismE0ES3_S9_PKS6_NS0_17constant_iteratorIjlEEPS6_PlSH_S8_NS0_8equal_toIS6_EEEE10hipError_tPvRmT2_T3_mT4_T5_T6_T7_T8_P12ihipStream_tbENKUlT_T0_E_clISt17integral_constantIbLb1EES11_EEDaSW_SX_EUlSW_E_NS1_11comp_targetILNS1_3genE0ELNS1_11target_archE4294967295ELNS1_3gpuE0ELNS1_3repE0EEENS1_30default_config_static_selectorELNS0_4arch9wavefront6targetE0EEEvT1_
		.amdhsa_group_segment_fixed_size 0
		.amdhsa_private_segment_fixed_size 0
		.amdhsa_kernarg_size 128
		.amdhsa_user_sgpr_count 2
		.amdhsa_user_sgpr_dispatch_ptr 0
		.amdhsa_user_sgpr_queue_ptr 0
		.amdhsa_user_sgpr_kernarg_segment_ptr 1
		.amdhsa_user_sgpr_dispatch_id 0
		.amdhsa_user_sgpr_kernarg_preload_length 0
		.amdhsa_user_sgpr_kernarg_preload_offset 0
		.amdhsa_user_sgpr_private_segment_size 0
		.amdhsa_wavefront_size32 1
		.amdhsa_uses_dynamic_stack 0
		.amdhsa_enable_private_segment 0
		.amdhsa_system_sgpr_workgroup_id_x 1
		.amdhsa_system_sgpr_workgroup_id_y 0
		.amdhsa_system_sgpr_workgroup_id_z 0
		.amdhsa_system_sgpr_workgroup_info 0
		.amdhsa_system_vgpr_workitem_id 0
		.amdhsa_next_free_vgpr 1
		.amdhsa_next_free_sgpr 1
		.amdhsa_named_barrier_count 0
		.amdhsa_reserve_vcc 0
		.amdhsa_float_round_mode_32 0
		.amdhsa_float_round_mode_16_64 0
		.amdhsa_float_denorm_mode_32 3
		.amdhsa_float_denorm_mode_16_64 3
		.amdhsa_fp16_overflow 0
		.amdhsa_memory_ordered 1
		.amdhsa_forward_progress 1
		.amdhsa_inst_pref_size 1
		.amdhsa_round_robin_scheduling 0
		.amdhsa_exception_fp_ieee_invalid_op 0
		.amdhsa_exception_fp_denorm_src 0
		.amdhsa_exception_fp_ieee_div_zero 0
		.amdhsa_exception_fp_ieee_overflow 0
		.amdhsa_exception_fp_ieee_underflow 0
		.amdhsa_exception_fp_ieee_inexact 0
		.amdhsa_exception_int_div_zero 0
	.end_amdhsa_kernel
	.section	.text._ZN7rocprim17ROCPRIM_400000_NS6detail17trampoline_kernelINS0_14default_configENS1_33run_length_encode_config_selectorIN3c104HalfEjNS0_4plusIjEEEEZZNS1_33reduce_by_key_impl_wrapped_configILNS1_25lookback_scan_determinismE0ES3_S9_PKS6_NS0_17constant_iteratorIjlEEPS6_PlSH_S8_NS0_8equal_toIS6_EEEE10hipError_tPvRmT2_T3_mT4_T5_T6_T7_T8_P12ihipStream_tbENKUlT_T0_E_clISt17integral_constantIbLb1EES11_EEDaSW_SX_EUlSW_E_NS1_11comp_targetILNS1_3genE0ELNS1_11target_archE4294967295ELNS1_3gpuE0ELNS1_3repE0EEENS1_30default_config_static_selectorELNS0_4arch9wavefront6targetE0EEEvT1_,"axG",@progbits,_ZN7rocprim17ROCPRIM_400000_NS6detail17trampoline_kernelINS0_14default_configENS1_33run_length_encode_config_selectorIN3c104HalfEjNS0_4plusIjEEEEZZNS1_33reduce_by_key_impl_wrapped_configILNS1_25lookback_scan_determinismE0ES3_S9_PKS6_NS0_17constant_iteratorIjlEEPS6_PlSH_S8_NS0_8equal_toIS6_EEEE10hipError_tPvRmT2_T3_mT4_T5_T6_T7_T8_P12ihipStream_tbENKUlT_T0_E_clISt17integral_constantIbLb1EES11_EEDaSW_SX_EUlSW_E_NS1_11comp_targetILNS1_3genE0ELNS1_11target_archE4294967295ELNS1_3gpuE0ELNS1_3repE0EEENS1_30default_config_static_selectorELNS0_4arch9wavefront6targetE0EEEvT1_,comdat
.Lfunc_end934:
	.size	_ZN7rocprim17ROCPRIM_400000_NS6detail17trampoline_kernelINS0_14default_configENS1_33run_length_encode_config_selectorIN3c104HalfEjNS0_4plusIjEEEEZZNS1_33reduce_by_key_impl_wrapped_configILNS1_25lookback_scan_determinismE0ES3_S9_PKS6_NS0_17constant_iteratorIjlEEPS6_PlSH_S8_NS0_8equal_toIS6_EEEE10hipError_tPvRmT2_T3_mT4_T5_T6_T7_T8_P12ihipStream_tbENKUlT_T0_E_clISt17integral_constantIbLb1EES11_EEDaSW_SX_EUlSW_E_NS1_11comp_targetILNS1_3genE0ELNS1_11target_archE4294967295ELNS1_3gpuE0ELNS1_3repE0EEENS1_30default_config_static_selectorELNS0_4arch9wavefront6targetE0EEEvT1_, .Lfunc_end934-_ZN7rocprim17ROCPRIM_400000_NS6detail17trampoline_kernelINS0_14default_configENS1_33run_length_encode_config_selectorIN3c104HalfEjNS0_4plusIjEEEEZZNS1_33reduce_by_key_impl_wrapped_configILNS1_25lookback_scan_determinismE0ES3_S9_PKS6_NS0_17constant_iteratorIjlEEPS6_PlSH_S8_NS0_8equal_toIS6_EEEE10hipError_tPvRmT2_T3_mT4_T5_T6_T7_T8_P12ihipStream_tbENKUlT_T0_E_clISt17integral_constantIbLb1EES11_EEDaSW_SX_EUlSW_E_NS1_11comp_targetILNS1_3genE0ELNS1_11target_archE4294967295ELNS1_3gpuE0ELNS1_3repE0EEENS1_30default_config_static_selectorELNS0_4arch9wavefront6targetE0EEEvT1_
                                        ; -- End function
	.set _ZN7rocprim17ROCPRIM_400000_NS6detail17trampoline_kernelINS0_14default_configENS1_33run_length_encode_config_selectorIN3c104HalfEjNS0_4plusIjEEEEZZNS1_33reduce_by_key_impl_wrapped_configILNS1_25lookback_scan_determinismE0ES3_S9_PKS6_NS0_17constant_iteratorIjlEEPS6_PlSH_S8_NS0_8equal_toIS6_EEEE10hipError_tPvRmT2_T3_mT4_T5_T6_T7_T8_P12ihipStream_tbENKUlT_T0_E_clISt17integral_constantIbLb1EES11_EEDaSW_SX_EUlSW_E_NS1_11comp_targetILNS1_3genE0ELNS1_11target_archE4294967295ELNS1_3gpuE0ELNS1_3repE0EEENS1_30default_config_static_selectorELNS0_4arch9wavefront6targetE0EEEvT1_.num_vgpr, 0
	.set _ZN7rocprim17ROCPRIM_400000_NS6detail17trampoline_kernelINS0_14default_configENS1_33run_length_encode_config_selectorIN3c104HalfEjNS0_4plusIjEEEEZZNS1_33reduce_by_key_impl_wrapped_configILNS1_25lookback_scan_determinismE0ES3_S9_PKS6_NS0_17constant_iteratorIjlEEPS6_PlSH_S8_NS0_8equal_toIS6_EEEE10hipError_tPvRmT2_T3_mT4_T5_T6_T7_T8_P12ihipStream_tbENKUlT_T0_E_clISt17integral_constantIbLb1EES11_EEDaSW_SX_EUlSW_E_NS1_11comp_targetILNS1_3genE0ELNS1_11target_archE4294967295ELNS1_3gpuE0ELNS1_3repE0EEENS1_30default_config_static_selectorELNS0_4arch9wavefront6targetE0EEEvT1_.num_agpr, 0
	.set _ZN7rocprim17ROCPRIM_400000_NS6detail17trampoline_kernelINS0_14default_configENS1_33run_length_encode_config_selectorIN3c104HalfEjNS0_4plusIjEEEEZZNS1_33reduce_by_key_impl_wrapped_configILNS1_25lookback_scan_determinismE0ES3_S9_PKS6_NS0_17constant_iteratorIjlEEPS6_PlSH_S8_NS0_8equal_toIS6_EEEE10hipError_tPvRmT2_T3_mT4_T5_T6_T7_T8_P12ihipStream_tbENKUlT_T0_E_clISt17integral_constantIbLb1EES11_EEDaSW_SX_EUlSW_E_NS1_11comp_targetILNS1_3genE0ELNS1_11target_archE4294967295ELNS1_3gpuE0ELNS1_3repE0EEENS1_30default_config_static_selectorELNS0_4arch9wavefront6targetE0EEEvT1_.numbered_sgpr, 0
	.set _ZN7rocprim17ROCPRIM_400000_NS6detail17trampoline_kernelINS0_14default_configENS1_33run_length_encode_config_selectorIN3c104HalfEjNS0_4plusIjEEEEZZNS1_33reduce_by_key_impl_wrapped_configILNS1_25lookback_scan_determinismE0ES3_S9_PKS6_NS0_17constant_iteratorIjlEEPS6_PlSH_S8_NS0_8equal_toIS6_EEEE10hipError_tPvRmT2_T3_mT4_T5_T6_T7_T8_P12ihipStream_tbENKUlT_T0_E_clISt17integral_constantIbLb1EES11_EEDaSW_SX_EUlSW_E_NS1_11comp_targetILNS1_3genE0ELNS1_11target_archE4294967295ELNS1_3gpuE0ELNS1_3repE0EEENS1_30default_config_static_selectorELNS0_4arch9wavefront6targetE0EEEvT1_.num_named_barrier, 0
	.set _ZN7rocprim17ROCPRIM_400000_NS6detail17trampoline_kernelINS0_14default_configENS1_33run_length_encode_config_selectorIN3c104HalfEjNS0_4plusIjEEEEZZNS1_33reduce_by_key_impl_wrapped_configILNS1_25lookback_scan_determinismE0ES3_S9_PKS6_NS0_17constant_iteratorIjlEEPS6_PlSH_S8_NS0_8equal_toIS6_EEEE10hipError_tPvRmT2_T3_mT4_T5_T6_T7_T8_P12ihipStream_tbENKUlT_T0_E_clISt17integral_constantIbLb1EES11_EEDaSW_SX_EUlSW_E_NS1_11comp_targetILNS1_3genE0ELNS1_11target_archE4294967295ELNS1_3gpuE0ELNS1_3repE0EEENS1_30default_config_static_selectorELNS0_4arch9wavefront6targetE0EEEvT1_.private_seg_size, 0
	.set _ZN7rocprim17ROCPRIM_400000_NS6detail17trampoline_kernelINS0_14default_configENS1_33run_length_encode_config_selectorIN3c104HalfEjNS0_4plusIjEEEEZZNS1_33reduce_by_key_impl_wrapped_configILNS1_25lookback_scan_determinismE0ES3_S9_PKS6_NS0_17constant_iteratorIjlEEPS6_PlSH_S8_NS0_8equal_toIS6_EEEE10hipError_tPvRmT2_T3_mT4_T5_T6_T7_T8_P12ihipStream_tbENKUlT_T0_E_clISt17integral_constantIbLb1EES11_EEDaSW_SX_EUlSW_E_NS1_11comp_targetILNS1_3genE0ELNS1_11target_archE4294967295ELNS1_3gpuE0ELNS1_3repE0EEENS1_30default_config_static_selectorELNS0_4arch9wavefront6targetE0EEEvT1_.uses_vcc, 0
	.set _ZN7rocprim17ROCPRIM_400000_NS6detail17trampoline_kernelINS0_14default_configENS1_33run_length_encode_config_selectorIN3c104HalfEjNS0_4plusIjEEEEZZNS1_33reduce_by_key_impl_wrapped_configILNS1_25lookback_scan_determinismE0ES3_S9_PKS6_NS0_17constant_iteratorIjlEEPS6_PlSH_S8_NS0_8equal_toIS6_EEEE10hipError_tPvRmT2_T3_mT4_T5_T6_T7_T8_P12ihipStream_tbENKUlT_T0_E_clISt17integral_constantIbLb1EES11_EEDaSW_SX_EUlSW_E_NS1_11comp_targetILNS1_3genE0ELNS1_11target_archE4294967295ELNS1_3gpuE0ELNS1_3repE0EEENS1_30default_config_static_selectorELNS0_4arch9wavefront6targetE0EEEvT1_.uses_flat_scratch, 0
	.set _ZN7rocprim17ROCPRIM_400000_NS6detail17trampoline_kernelINS0_14default_configENS1_33run_length_encode_config_selectorIN3c104HalfEjNS0_4plusIjEEEEZZNS1_33reduce_by_key_impl_wrapped_configILNS1_25lookback_scan_determinismE0ES3_S9_PKS6_NS0_17constant_iteratorIjlEEPS6_PlSH_S8_NS0_8equal_toIS6_EEEE10hipError_tPvRmT2_T3_mT4_T5_T6_T7_T8_P12ihipStream_tbENKUlT_T0_E_clISt17integral_constantIbLb1EES11_EEDaSW_SX_EUlSW_E_NS1_11comp_targetILNS1_3genE0ELNS1_11target_archE4294967295ELNS1_3gpuE0ELNS1_3repE0EEENS1_30default_config_static_selectorELNS0_4arch9wavefront6targetE0EEEvT1_.has_dyn_sized_stack, 0
	.set _ZN7rocprim17ROCPRIM_400000_NS6detail17trampoline_kernelINS0_14default_configENS1_33run_length_encode_config_selectorIN3c104HalfEjNS0_4plusIjEEEEZZNS1_33reduce_by_key_impl_wrapped_configILNS1_25lookback_scan_determinismE0ES3_S9_PKS6_NS0_17constant_iteratorIjlEEPS6_PlSH_S8_NS0_8equal_toIS6_EEEE10hipError_tPvRmT2_T3_mT4_T5_T6_T7_T8_P12ihipStream_tbENKUlT_T0_E_clISt17integral_constantIbLb1EES11_EEDaSW_SX_EUlSW_E_NS1_11comp_targetILNS1_3genE0ELNS1_11target_archE4294967295ELNS1_3gpuE0ELNS1_3repE0EEENS1_30default_config_static_selectorELNS0_4arch9wavefront6targetE0EEEvT1_.has_recursion, 0
	.set _ZN7rocprim17ROCPRIM_400000_NS6detail17trampoline_kernelINS0_14default_configENS1_33run_length_encode_config_selectorIN3c104HalfEjNS0_4plusIjEEEEZZNS1_33reduce_by_key_impl_wrapped_configILNS1_25lookback_scan_determinismE0ES3_S9_PKS6_NS0_17constant_iteratorIjlEEPS6_PlSH_S8_NS0_8equal_toIS6_EEEE10hipError_tPvRmT2_T3_mT4_T5_T6_T7_T8_P12ihipStream_tbENKUlT_T0_E_clISt17integral_constantIbLb1EES11_EEDaSW_SX_EUlSW_E_NS1_11comp_targetILNS1_3genE0ELNS1_11target_archE4294967295ELNS1_3gpuE0ELNS1_3repE0EEENS1_30default_config_static_selectorELNS0_4arch9wavefront6targetE0EEEvT1_.has_indirect_call, 0
	.section	.AMDGPU.csdata,"",@progbits
; Kernel info:
; codeLenInByte = 4
; TotalNumSgprs: 0
; NumVgprs: 0
; ScratchSize: 0
; MemoryBound: 0
; FloatMode: 240
; IeeeMode: 1
; LDSByteSize: 0 bytes/workgroup (compile time only)
; SGPRBlocks: 0
; VGPRBlocks: 0
; NumSGPRsForWavesPerEU: 1
; NumVGPRsForWavesPerEU: 1
; NamedBarCnt: 0
; Occupancy: 16
; WaveLimiterHint : 0
; COMPUTE_PGM_RSRC2:SCRATCH_EN: 0
; COMPUTE_PGM_RSRC2:USER_SGPR: 2
; COMPUTE_PGM_RSRC2:TRAP_HANDLER: 0
; COMPUTE_PGM_RSRC2:TGID_X_EN: 1
; COMPUTE_PGM_RSRC2:TGID_Y_EN: 0
; COMPUTE_PGM_RSRC2:TGID_Z_EN: 0
; COMPUTE_PGM_RSRC2:TIDIG_COMP_CNT: 0
	.section	.text._ZN7rocprim17ROCPRIM_400000_NS6detail17trampoline_kernelINS0_14default_configENS1_33run_length_encode_config_selectorIN3c104HalfEjNS0_4plusIjEEEEZZNS1_33reduce_by_key_impl_wrapped_configILNS1_25lookback_scan_determinismE0ES3_S9_PKS6_NS0_17constant_iteratorIjlEEPS6_PlSH_S8_NS0_8equal_toIS6_EEEE10hipError_tPvRmT2_T3_mT4_T5_T6_T7_T8_P12ihipStream_tbENKUlT_T0_E_clISt17integral_constantIbLb1EES11_EEDaSW_SX_EUlSW_E_NS1_11comp_targetILNS1_3genE5ELNS1_11target_archE942ELNS1_3gpuE9ELNS1_3repE0EEENS1_30default_config_static_selectorELNS0_4arch9wavefront6targetE0EEEvT1_,"axG",@progbits,_ZN7rocprim17ROCPRIM_400000_NS6detail17trampoline_kernelINS0_14default_configENS1_33run_length_encode_config_selectorIN3c104HalfEjNS0_4plusIjEEEEZZNS1_33reduce_by_key_impl_wrapped_configILNS1_25lookback_scan_determinismE0ES3_S9_PKS6_NS0_17constant_iteratorIjlEEPS6_PlSH_S8_NS0_8equal_toIS6_EEEE10hipError_tPvRmT2_T3_mT4_T5_T6_T7_T8_P12ihipStream_tbENKUlT_T0_E_clISt17integral_constantIbLb1EES11_EEDaSW_SX_EUlSW_E_NS1_11comp_targetILNS1_3genE5ELNS1_11target_archE942ELNS1_3gpuE9ELNS1_3repE0EEENS1_30default_config_static_selectorELNS0_4arch9wavefront6targetE0EEEvT1_,comdat
	.protected	_ZN7rocprim17ROCPRIM_400000_NS6detail17trampoline_kernelINS0_14default_configENS1_33run_length_encode_config_selectorIN3c104HalfEjNS0_4plusIjEEEEZZNS1_33reduce_by_key_impl_wrapped_configILNS1_25lookback_scan_determinismE0ES3_S9_PKS6_NS0_17constant_iteratorIjlEEPS6_PlSH_S8_NS0_8equal_toIS6_EEEE10hipError_tPvRmT2_T3_mT4_T5_T6_T7_T8_P12ihipStream_tbENKUlT_T0_E_clISt17integral_constantIbLb1EES11_EEDaSW_SX_EUlSW_E_NS1_11comp_targetILNS1_3genE5ELNS1_11target_archE942ELNS1_3gpuE9ELNS1_3repE0EEENS1_30default_config_static_selectorELNS0_4arch9wavefront6targetE0EEEvT1_ ; -- Begin function _ZN7rocprim17ROCPRIM_400000_NS6detail17trampoline_kernelINS0_14default_configENS1_33run_length_encode_config_selectorIN3c104HalfEjNS0_4plusIjEEEEZZNS1_33reduce_by_key_impl_wrapped_configILNS1_25lookback_scan_determinismE0ES3_S9_PKS6_NS0_17constant_iteratorIjlEEPS6_PlSH_S8_NS0_8equal_toIS6_EEEE10hipError_tPvRmT2_T3_mT4_T5_T6_T7_T8_P12ihipStream_tbENKUlT_T0_E_clISt17integral_constantIbLb1EES11_EEDaSW_SX_EUlSW_E_NS1_11comp_targetILNS1_3genE5ELNS1_11target_archE942ELNS1_3gpuE9ELNS1_3repE0EEENS1_30default_config_static_selectorELNS0_4arch9wavefront6targetE0EEEvT1_
	.globl	_ZN7rocprim17ROCPRIM_400000_NS6detail17trampoline_kernelINS0_14default_configENS1_33run_length_encode_config_selectorIN3c104HalfEjNS0_4plusIjEEEEZZNS1_33reduce_by_key_impl_wrapped_configILNS1_25lookback_scan_determinismE0ES3_S9_PKS6_NS0_17constant_iteratorIjlEEPS6_PlSH_S8_NS0_8equal_toIS6_EEEE10hipError_tPvRmT2_T3_mT4_T5_T6_T7_T8_P12ihipStream_tbENKUlT_T0_E_clISt17integral_constantIbLb1EES11_EEDaSW_SX_EUlSW_E_NS1_11comp_targetILNS1_3genE5ELNS1_11target_archE942ELNS1_3gpuE9ELNS1_3repE0EEENS1_30default_config_static_selectorELNS0_4arch9wavefront6targetE0EEEvT1_
	.p2align	8
	.type	_ZN7rocprim17ROCPRIM_400000_NS6detail17trampoline_kernelINS0_14default_configENS1_33run_length_encode_config_selectorIN3c104HalfEjNS0_4plusIjEEEEZZNS1_33reduce_by_key_impl_wrapped_configILNS1_25lookback_scan_determinismE0ES3_S9_PKS6_NS0_17constant_iteratorIjlEEPS6_PlSH_S8_NS0_8equal_toIS6_EEEE10hipError_tPvRmT2_T3_mT4_T5_T6_T7_T8_P12ihipStream_tbENKUlT_T0_E_clISt17integral_constantIbLb1EES11_EEDaSW_SX_EUlSW_E_NS1_11comp_targetILNS1_3genE5ELNS1_11target_archE942ELNS1_3gpuE9ELNS1_3repE0EEENS1_30default_config_static_selectorELNS0_4arch9wavefront6targetE0EEEvT1_,@function
_ZN7rocprim17ROCPRIM_400000_NS6detail17trampoline_kernelINS0_14default_configENS1_33run_length_encode_config_selectorIN3c104HalfEjNS0_4plusIjEEEEZZNS1_33reduce_by_key_impl_wrapped_configILNS1_25lookback_scan_determinismE0ES3_S9_PKS6_NS0_17constant_iteratorIjlEEPS6_PlSH_S8_NS0_8equal_toIS6_EEEE10hipError_tPvRmT2_T3_mT4_T5_T6_T7_T8_P12ihipStream_tbENKUlT_T0_E_clISt17integral_constantIbLb1EES11_EEDaSW_SX_EUlSW_E_NS1_11comp_targetILNS1_3genE5ELNS1_11target_archE942ELNS1_3gpuE9ELNS1_3repE0EEENS1_30default_config_static_selectorELNS0_4arch9wavefront6targetE0EEEvT1_: ; @_ZN7rocprim17ROCPRIM_400000_NS6detail17trampoline_kernelINS0_14default_configENS1_33run_length_encode_config_selectorIN3c104HalfEjNS0_4plusIjEEEEZZNS1_33reduce_by_key_impl_wrapped_configILNS1_25lookback_scan_determinismE0ES3_S9_PKS6_NS0_17constant_iteratorIjlEEPS6_PlSH_S8_NS0_8equal_toIS6_EEEE10hipError_tPvRmT2_T3_mT4_T5_T6_T7_T8_P12ihipStream_tbENKUlT_T0_E_clISt17integral_constantIbLb1EES11_EEDaSW_SX_EUlSW_E_NS1_11comp_targetILNS1_3genE5ELNS1_11target_archE942ELNS1_3gpuE9ELNS1_3repE0EEENS1_30default_config_static_selectorELNS0_4arch9wavefront6targetE0EEEvT1_
; %bb.0:
	.section	.rodata,"a",@progbits
	.p2align	6, 0x0
	.amdhsa_kernel _ZN7rocprim17ROCPRIM_400000_NS6detail17trampoline_kernelINS0_14default_configENS1_33run_length_encode_config_selectorIN3c104HalfEjNS0_4plusIjEEEEZZNS1_33reduce_by_key_impl_wrapped_configILNS1_25lookback_scan_determinismE0ES3_S9_PKS6_NS0_17constant_iteratorIjlEEPS6_PlSH_S8_NS0_8equal_toIS6_EEEE10hipError_tPvRmT2_T3_mT4_T5_T6_T7_T8_P12ihipStream_tbENKUlT_T0_E_clISt17integral_constantIbLb1EES11_EEDaSW_SX_EUlSW_E_NS1_11comp_targetILNS1_3genE5ELNS1_11target_archE942ELNS1_3gpuE9ELNS1_3repE0EEENS1_30default_config_static_selectorELNS0_4arch9wavefront6targetE0EEEvT1_
		.amdhsa_group_segment_fixed_size 0
		.amdhsa_private_segment_fixed_size 0
		.amdhsa_kernarg_size 128
		.amdhsa_user_sgpr_count 2
		.amdhsa_user_sgpr_dispatch_ptr 0
		.amdhsa_user_sgpr_queue_ptr 0
		.amdhsa_user_sgpr_kernarg_segment_ptr 1
		.amdhsa_user_sgpr_dispatch_id 0
		.amdhsa_user_sgpr_kernarg_preload_length 0
		.amdhsa_user_sgpr_kernarg_preload_offset 0
		.amdhsa_user_sgpr_private_segment_size 0
		.amdhsa_wavefront_size32 1
		.amdhsa_uses_dynamic_stack 0
		.amdhsa_enable_private_segment 0
		.amdhsa_system_sgpr_workgroup_id_x 1
		.amdhsa_system_sgpr_workgroup_id_y 0
		.amdhsa_system_sgpr_workgroup_id_z 0
		.amdhsa_system_sgpr_workgroup_info 0
		.amdhsa_system_vgpr_workitem_id 0
		.amdhsa_next_free_vgpr 1
		.amdhsa_next_free_sgpr 1
		.amdhsa_named_barrier_count 0
		.amdhsa_reserve_vcc 0
		.amdhsa_float_round_mode_32 0
		.amdhsa_float_round_mode_16_64 0
		.amdhsa_float_denorm_mode_32 3
		.amdhsa_float_denorm_mode_16_64 3
		.amdhsa_fp16_overflow 0
		.amdhsa_memory_ordered 1
		.amdhsa_forward_progress 1
		.amdhsa_inst_pref_size 0
		.amdhsa_round_robin_scheduling 0
		.amdhsa_exception_fp_ieee_invalid_op 0
		.amdhsa_exception_fp_denorm_src 0
		.amdhsa_exception_fp_ieee_div_zero 0
		.amdhsa_exception_fp_ieee_overflow 0
		.amdhsa_exception_fp_ieee_underflow 0
		.amdhsa_exception_fp_ieee_inexact 0
		.amdhsa_exception_int_div_zero 0
	.end_amdhsa_kernel
	.section	.text._ZN7rocprim17ROCPRIM_400000_NS6detail17trampoline_kernelINS0_14default_configENS1_33run_length_encode_config_selectorIN3c104HalfEjNS0_4plusIjEEEEZZNS1_33reduce_by_key_impl_wrapped_configILNS1_25lookback_scan_determinismE0ES3_S9_PKS6_NS0_17constant_iteratorIjlEEPS6_PlSH_S8_NS0_8equal_toIS6_EEEE10hipError_tPvRmT2_T3_mT4_T5_T6_T7_T8_P12ihipStream_tbENKUlT_T0_E_clISt17integral_constantIbLb1EES11_EEDaSW_SX_EUlSW_E_NS1_11comp_targetILNS1_3genE5ELNS1_11target_archE942ELNS1_3gpuE9ELNS1_3repE0EEENS1_30default_config_static_selectorELNS0_4arch9wavefront6targetE0EEEvT1_,"axG",@progbits,_ZN7rocprim17ROCPRIM_400000_NS6detail17trampoline_kernelINS0_14default_configENS1_33run_length_encode_config_selectorIN3c104HalfEjNS0_4plusIjEEEEZZNS1_33reduce_by_key_impl_wrapped_configILNS1_25lookback_scan_determinismE0ES3_S9_PKS6_NS0_17constant_iteratorIjlEEPS6_PlSH_S8_NS0_8equal_toIS6_EEEE10hipError_tPvRmT2_T3_mT4_T5_T6_T7_T8_P12ihipStream_tbENKUlT_T0_E_clISt17integral_constantIbLb1EES11_EEDaSW_SX_EUlSW_E_NS1_11comp_targetILNS1_3genE5ELNS1_11target_archE942ELNS1_3gpuE9ELNS1_3repE0EEENS1_30default_config_static_selectorELNS0_4arch9wavefront6targetE0EEEvT1_,comdat
.Lfunc_end935:
	.size	_ZN7rocprim17ROCPRIM_400000_NS6detail17trampoline_kernelINS0_14default_configENS1_33run_length_encode_config_selectorIN3c104HalfEjNS0_4plusIjEEEEZZNS1_33reduce_by_key_impl_wrapped_configILNS1_25lookback_scan_determinismE0ES3_S9_PKS6_NS0_17constant_iteratorIjlEEPS6_PlSH_S8_NS0_8equal_toIS6_EEEE10hipError_tPvRmT2_T3_mT4_T5_T6_T7_T8_P12ihipStream_tbENKUlT_T0_E_clISt17integral_constantIbLb1EES11_EEDaSW_SX_EUlSW_E_NS1_11comp_targetILNS1_3genE5ELNS1_11target_archE942ELNS1_3gpuE9ELNS1_3repE0EEENS1_30default_config_static_selectorELNS0_4arch9wavefront6targetE0EEEvT1_, .Lfunc_end935-_ZN7rocprim17ROCPRIM_400000_NS6detail17trampoline_kernelINS0_14default_configENS1_33run_length_encode_config_selectorIN3c104HalfEjNS0_4plusIjEEEEZZNS1_33reduce_by_key_impl_wrapped_configILNS1_25lookback_scan_determinismE0ES3_S9_PKS6_NS0_17constant_iteratorIjlEEPS6_PlSH_S8_NS0_8equal_toIS6_EEEE10hipError_tPvRmT2_T3_mT4_T5_T6_T7_T8_P12ihipStream_tbENKUlT_T0_E_clISt17integral_constantIbLb1EES11_EEDaSW_SX_EUlSW_E_NS1_11comp_targetILNS1_3genE5ELNS1_11target_archE942ELNS1_3gpuE9ELNS1_3repE0EEENS1_30default_config_static_selectorELNS0_4arch9wavefront6targetE0EEEvT1_
                                        ; -- End function
	.set _ZN7rocprim17ROCPRIM_400000_NS6detail17trampoline_kernelINS0_14default_configENS1_33run_length_encode_config_selectorIN3c104HalfEjNS0_4plusIjEEEEZZNS1_33reduce_by_key_impl_wrapped_configILNS1_25lookback_scan_determinismE0ES3_S9_PKS6_NS0_17constant_iteratorIjlEEPS6_PlSH_S8_NS0_8equal_toIS6_EEEE10hipError_tPvRmT2_T3_mT4_T5_T6_T7_T8_P12ihipStream_tbENKUlT_T0_E_clISt17integral_constantIbLb1EES11_EEDaSW_SX_EUlSW_E_NS1_11comp_targetILNS1_3genE5ELNS1_11target_archE942ELNS1_3gpuE9ELNS1_3repE0EEENS1_30default_config_static_selectorELNS0_4arch9wavefront6targetE0EEEvT1_.num_vgpr, 0
	.set _ZN7rocprim17ROCPRIM_400000_NS6detail17trampoline_kernelINS0_14default_configENS1_33run_length_encode_config_selectorIN3c104HalfEjNS0_4plusIjEEEEZZNS1_33reduce_by_key_impl_wrapped_configILNS1_25lookback_scan_determinismE0ES3_S9_PKS6_NS0_17constant_iteratorIjlEEPS6_PlSH_S8_NS0_8equal_toIS6_EEEE10hipError_tPvRmT2_T3_mT4_T5_T6_T7_T8_P12ihipStream_tbENKUlT_T0_E_clISt17integral_constantIbLb1EES11_EEDaSW_SX_EUlSW_E_NS1_11comp_targetILNS1_3genE5ELNS1_11target_archE942ELNS1_3gpuE9ELNS1_3repE0EEENS1_30default_config_static_selectorELNS0_4arch9wavefront6targetE0EEEvT1_.num_agpr, 0
	.set _ZN7rocprim17ROCPRIM_400000_NS6detail17trampoline_kernelINS0_14default_configENS1_33run_length_encode_config_selectorIN3c104HalfEjNS0_4plusIjEEEEZZNS1_33reduce_by_key_impl_wrapped_configILNS1_25lookback_scan_determinismE0ES3_S9_PKS6_NS0_17constant_iteratorIjlEEPS6_PlSH_S8_NS0_8equal_toIS6_EEEE10hipError_tPvRmT2_T3_mT4_T5_T6_T7_T8_P12ihipStream_tbENKUlT_T0_E_clISt17integral_constantIbLb1EES11_EEDaSW_SX_EUlSW_E_NS1_11comp_targetILNS1_3genE5ELNS1_11target_archE942ELNS1_3gpuE9ELNS1_3repE0EEENS1_30default_config_static_selectorELNS0_4arch9wavefront6targetE0EEEvT1_.numbered_sgpr, 0
	.set _ZN7rocprim17ROCPRIM_400000_NS6detail17trampoline_kernelINS0_14default_configENS1_33run_length_encode_config_selectorIN3c104HalfEjNS0_4plusIjEEEEZZNS1_33reduce_by_key_impl_wrapped_configILNS1_25lookback_scan_determinismE0ES3_S9_PKS6_NS0_17constant_iteratorIjlEEPS6_PlSH_S8_NS0_8equal_toIS6_EEEE10hipError_tPvRmT2_T3_mT4_T5_T6_T7_T8_P12ihipStream_tbENKUlT_T0_E_clISt17integral_constantIbLb1EES11_EEDaSW_SX_EUlSW_E_NS1_11comp_targetILNS1_3genE5ELNS1_11target_archE942ELNS1_3gpuE9ELNS1_3repE0EEENS1_30default_config_static_selectorELNS0_4arch9wavefront6targetE0EEEvT1_.num_named_barrier, 0
	.set _ZN7rocprim17ROCPRIM_400000_NS6detail17trampoline_kernelINS0_14default_configENS1_33run_length_encode_config_selectorIN3c104HalfEjNS0_4plusIjEEEEZZNS1_33reduce_by_key_impl_wrapped_configILNS1_25lookback_scan_determinismE0ES3_S9_PKS6_NS0_17constant_iteratorIjlEEPS6_PlSH_S8_NS0_8equal_toIS6_EEEE10hipError_tPvRmT2_T3_mT4_T5_T6_T7_T8_P12ihipStream_tbENKUlT_T0_E_clISt17integral_constantIbLb1EES11_EEDaSW_SX_EUlSW_E_NS1_11comp_targetILNS1_3genE5ELNS1_11target_archE942ELNS1_3gpuE9ELNS1_3repE0EEENS1_30default_config_static_selectorELNS0_4arch9wavefront6targetE0EEEvT1_.private_seg_size, 0
	.set _ZN7rocprim17ROCPRIM_400000_NS6detail17trampoline_kernelINS0_14default_configENS1_33run_length_encode_config_selectorIN3c104HalfEjNS0_4plusIjEEEEZZNS1_33reduce_by_key_impl_wrapped_configILNS1_25lookback_scan_determinismE0ES3_S9_PKS6_NS0_17constant_iteratorIjlEEPS6_PlSH_S8_NS0_8equal_toIS6_EEEE10hipError_tPvRmT2_T3_mT4_T5_T6_T7_T8_P12ihipStream_tbENKUlT_T0_E_clISt17integral_constantIbLb1EES11_EEDaSW_SX_EUlSW_E_NS1_11comp_targetILNS1_3genE5ELNS1_11target_archE942ELNS1_3gpuE9ELNS1_3repE0EEENS1_30default_config_static_selectorELNS0_4arch9wavefront6targetE0EEEvT1_.uses_vcc, 0
	.set _ZN7rocprim17ROCPRIM_400000_NS6detail17trampoline_kernelINS0_14default_configENS1_33run_length_encode_config_selectorIN3c104HalfEjNS0_4plusIjEEEEZZNS1_33reduce_by_key_impl_wrapped_configILNS1_25lookback_scan_determinismE0ES3_S9_PKS6_NS0_17constant_iteratorIjlEEPS6_PlSH_S8_NS0_8equal_toIS6_EEEE10hipError_tPvRmT2_T3_mT4_T5_T6_T7_T8_P12ihipStream_tbENKUlT_T0_E_clISt17integral_constantIbLb1EES11_EEDaSW_SX_EUlSW_E_NS1_11comp_targetILNS1_3genE5ELNS1_11target_archE942ELNS1_3gpuE9ELNS1_3repE0EEENS1_30default_config_static_selectorELNS0_4arch9wavefront6targetE0EEEvT1_.uses_flat_scratch, 0
	.set _ZN7rocprim17ROCPRIM_400000_NS6detail17trampoline_kernelINS0_14default_configENS1_33run_length_encode_config_selectorIN3c104HalfEjNS0_4plusIjEEEEZZNS1_33reduce_by_key_impl_wrapped_configILNS1_25lookback_scan_determinismE0ES3_S9_PKS6_NS0_17constant_iteratorIjlEEPS6_PlSH_S8_NS0_8equal_toIS6_EEEE10hipError_tPvRmT2_T3_mT4_T5_T6_T7_T8_P12ihipStream_tbENKUlT_T0_E_clISt17integral_constantIbLb1EES11_EEDaSW_SX_EUlSW_E_NS1_11comp_targetILNS1_3genE5ELNS1_11target_archE942ELNS1_3gpuE9ELNS1_3repE0EEENS1_30default_config_static_selectorELNS0_4arch9wavefront6targetE0EEEvT1_.has_dyn_sized_stack, 0
	.set _ZN7rocprim17ROCPRIM_400000_NS6detail17trampoline_kernelINS0_14default_configENS1_33run_length_encode_config_selectorIN3c104HalfEjNS0_4plusIjEEEEZZNS1_33reduce_by_key_impl_wrapped_configILNS1_25lookback_scan_determinismE0ES3_S9_PKS6_NS0_17constant_iteratorIjlEEPS6_PlSH_S8_NS0_8equal_toIS6_EEEE10hipError_tPvRmT2_T3_mT4_T5_T6_T7_T8_P12ihipStream_tbENKUlT_T0_E_clISt17integral_constantIbLb1EES11_EEDaSW_SX_EUlSW_E_NS1_11comp_targetILNS1_3genE5ELNS1_11target_archE942ELNS1_3gpuE9ELNS1_3repE0EEENS1_30default_config_static_selectorELNS0_4arch9wavefront6targetE0EEEvT1_.has_recursion, 0
	.set _ZN7rocprim17ROCPRIM_400000_NS6detail17trampoline_kernelINS0_14default_configENS1_33run_length_encode_config_selectorIN3c104HalfEjNS0_4plusIjEEEEZZNS1_33reduce_by_key_impl_wrapped_configILNS1_25lookback_scan_determinismE0ES3_S9_PKS6_NS0_17constant_iteratorIjlEEPS6_PlSH_S8_NS0_8equal_toIS6_EEEE10hipError_tPvRmT2_T3_mT4_T5_T6_T7_T8_P12ihipStream_tbENKUlT_T0_E_clISt17integral_constantIbLb1EES11_EEDaSW_SX_EUlSW_E_NS1_11comp_targetILNS1_3genE5ELNS1_11target_archE942ELNS1_3gpuE9ELNS1_3repE0EEENS1_30default_config_static_selectorELNS0_4arch9wavefront6targetE0EEEvT1_.has_indirect_call, 0
	.section	.AMDGPU.csdata,"",@progbits
; Kernel info:
; codeLenInByte = 0
; TotalNumSgprs: 0
; NumVgprs: 0
; ScratchSize: 0
; MemoryBound: 0
; FloatMode: 240
; IeeeMode: 1
; LDSByteSize: 0 bytes/workgroup (compile time only)
; SGPRBlocks: 0
; VGPRBlocks: 0
; NumSGPRsForWavesPerEU: 1
; NumVGPRsForWavesPerEU: 1
; NamedBarCnt: 0
; Occupancy: 16
; WaveLimiterHint : 0
; COMPUTE_PGM_RSRC2:SCRATCH_EN: 0
; COMPUTE_PGM_RSRC2:USER_SGPR: 2
; COMPUTE_PGM_RSRC2:TRAP_HANDLER: 0
; COMPUTE_PGM_RSRC2:TGID_X_EN: 1
; COMPUTE_PGM_RSRC2:TGID_Y_EN: 0
; COMPUTE_PGM_RSRC2:TGID_Z_EN: 0
; COMPUTE_PGM_RSRC2:TIDIG_COMP_CNT: 0
	.section	.text._ZN7rocprim17ROCPRIM_400000_NS6detail17trampoline_kernelINS0_14default_configENS1_33run_length_encode_config_selectorIN3c104HalfEjNS0_4plusIjEEEEZZNS1_33reduce_by_key_impl_wrapped_configILNS1_25lookback_scan_determinismE0ES3_S9_PKS6_NS0_17constant_iteratorIjlEEPS6_PlSH_S8_NS0_8equal_toIS6_EEEE10hipError_tPvRmT2_T3_mT4_T5_T6_T7_T8_P12ihipStream_tbENKUlT_T0_E_clISt17integral_constantIbLb1EES11_EEDaSW_SX_EUlSW_E_NS1_11comp_targetILNS1_3genE4ELNS1_11target_archE910ELNS1_3gpuE8ELNS1_3repE0EEENS1_30default_config_static_selectorELNS0_4arch9wavefront6targetE0EEEvT1_,"axG",@progbits,_ZN7rocprim17ROCPRIM_400000_NS6detail17trampoline_kernelINS0_14default_configENS1_33run_length_encode_config_selectorIN3c104HalfEjNS0_4plusIjEEEEZZNS1_33reduce_by_key_impl_wrapped_configILNS1_25lookback_scan_determinismE0ES3_S9_PKS6_NS0_17constant_iteratorIjlEEPS6_PlSH_S8_NS0_8equal_toIS6_EEEE10hipError_tPvRmT2_T3_mT4_T5_T6_T7_T8_P12ihipStream_tbENKUlT_T0_E_clISt17integral_constantIbLb1EES11_EEDaSW_SX_EUlSW_E_NS1_11comp_targetILNS1_3genE4ELNS1_11target_archE910ELNS1_3gpuE8ELNS1_3repE0EEENS1_30default_config_static_selectorELNS0_4arch9wavefront6targetE0EEEvT1_,comdat
	.protected	_ZN7rocprim17ROCPRIM_400000_NS6detail17trampoline_kernelINS0_14default_configENS1_33run_length_encode_config_selectorIN3c104HalfEjNS0_4plusIjEEEEZZNS1_33reduce_by_key_impl_wrapped_configILNS1_25lookback_scan_determinismE0ES3_S9_PKS6_NS0_17constant_iteratorIjlEEPS6_PlSH_S8_NS0_8equal_toIS6_EEEE10hipError_tPvRmT2_T3_mT4_T5_T6_T7_T8_P12ihipStream_tbENKUlT_T0_E_clISt17integral_constantIbLb1EES11_EEDaSW_SX_EUlSW_E_NS1_11comp_targetILNS1_3genE4ELNS1_11target_archE910ELNS1_3gpuE8ELNS1_3repE0EEENS1_30default_config_static_selectorELNS0_4arch9wavefront6targetE0EEEvT1_ ; -- Begin function _ZN7rocprim17ROCPRIM_400000_NS6detail17trampoline_kernelINS0_14default_configENS1_33run_length_encode_config_selectorIN3c104HalfEjNS0_4plusIjEEEEZZNS1_33reduce_by_key_impl_wrapped_configILNS1_25lookback_scan_determinismE0ES3_S9_PKS6_NS0_17constant_iteratorIjlEEPS6_PlSH_S8_NS0_8equal_toIS6_EEEE10hipError_tPvRmT2_T3_mT4_T5_T6_T7_T8_P12ihipStream_tbENKUlT_T0_E_clISt17integral_constantIbLb1EES11_EEDaSW_SX_EUlSW_E_NS1_11comp_targetILNS1_3genE4ELNS1_11target_archE910ELNS1_3gpuE8ELNS1_3repE0EEENS1_30default_config_static_selectorELNS0_4arch9wavefront6targetE0EEEvT1_
	.globl	_ZN7rocprim17ROCPRIM_400000_NS6detail17trampoline_kernelINS0_14default_configENS1_33run_length_encode_config_selectorIN3c104HalfEjNS0_4plusIjEEEEZZNS1_33reduce_by_key_impl_wrapped_configILNS1_25lookback_scan_determinismE0ES3_S9_PKS6_NS0_17constant_iteratorIjlEEPS6_PlSH_S8_NS0_8equal_toIS6_EEEE10hipError_tPvRmT2_T3_mT4_T5_T6_T7_T8_P12ihipStream_tbENKUlT_T0_E_clISt17integral_constantIbLb1EES11_EEDaSW_SX_EUlSW_E_NS1_11comp_targetILNS1_3genE4ELNS1_11target_archE910ELNS1_3gpuE8ELNS1_3repE0EEENS1_30default_config_static_selectorELNS0_4arch9wavefront6targetE0EEEvT1_
	.p2align	8
	.type	_ZN7rocprim17ROCPRIM_400000_NS6detail17trampoline_kernelINS0_14default_configENS1_33run_length_encode_config_selectorIN3c104HalfEjNS0_4plusIjEEEEZZNS1_33reduce_by_key_impl_wrapped_configILNS1_25lookback_scan_determinismE0ES3_S9_PKS6_NS0_17constant_iteratorIjlEEPS6_PlSH_S8_NS0_8equal_toIS6_EEEE10hipError_tPvRmT2_T3_mT4_T5_T6_T7_T8_P12ihipStream_tbENKUlT_T0_E_clISt17integral_constantIbLb1EES11_EEDaSW_SX_EUlSW_E_NS1_11comp_targetILNS1_3genE4ELNS1_11target_archE910ELNS1_3gpuE8ELNS1_3repE0EEENS1_30default_config_static_selectorELNS0_4arch9wavefront6targetE0EEEvT1_,@function
_ZN7rocprim17ROCPRIM_400000_NS6detail17trampoline_kernelINS0_14default_configENS1_33run_length_encode_config_selectorIN3c104HalfEjNS0_4plusIjEEEEZZNS1_33reduce_by_key_impl_wrapped_configILNS1_25lookback_scan_determinismE0ES3_S9_PKS6_NS0_17constant_iteratorIjlEEPS6_PlSH_S8_NS0_8equal_toIS6_EEEE10hipError_tPvRmT2_T3_mT4_T5_T6_T7_T8_P12ihipStream_tbENKUlT_T0_E_clISt17integral_constantIbLb1EES11_EEDaSW_SX_EUlSW_E_NS1_11comp_targetILNS1_3genE4ELNS1_11target_archE910ELNS1_3gpuE8ELNS1_3repE0EEENS1_30default_config_static_selectorELNS0_4arch9wavefront6targetE0EEEvT1_: ; @_ZN7rocprim17ROCPRIM_400000_NS6detail17trampoline_kernelINS0_14default_configENS1_33run_length_encode_config_selectorIN3c104HalfEjNS0_4plusIjEEEEZZNS1_33reduce_by_key_impl_wrapped_configILNS1_25lookback_scan_determinismE0ES3_S9_PKS6_NS0_17constant_iteratorIjlEEPS6_PlSH_S8_NS0_8equal_toIS6_EEEE10hipError_tPvRmT2_T3_mT4_T5_T6_T7_T8_P12ihipStream_tbENKUlT_T0_E_clISt17integral_constantIbLb1EES11_EEDaSW_SX_EUlSW_E_NS1_11comp_targetILNS1_3genE4ELNS1_11target_archE910ELNS1_3gpuE8ELNS1_3repE0EEENS1_30default_config_static_selectorELNS0_4arch9wavefront6targetE0EEEvT1_
; %bb.0:
	.section	.rodata,"a",@progbits
	.p2align	6, 0x0
	.amdhsa_kernel _ZN7rocprim17ROCPRIM_400000_NS6detail17trampoline_kernelINS0_14default_configENS1_33run_length_encode_config_selectorIN3c104HalfEjNS0_4plusIjEEEEZZNS1_33reduce_by_key_impl_wrapped_configILNS1_25lookback_scan_determinismE0ES3_S9_PKS6_NS0_17constant_iteratorIjlEEPS6_PlSH_S8_NS0_8equal_toIS6_EEEE10hipError_tPvRmT2_T3_mT4_T5_T6_T7_T8_P12ihipStream_tbENKUlT_T0_E_clISt17integral_constantIbLb1EES11_EEDaSW_SX_EUlSW_E_NS1_11comp_targetILNS1_3genE4ELNS1_11target_archE910ELNS1_3gpuE8ELNS1_3repE0EEENS1_30default_config_static_selectorELNS0_4arch9wavefront6targetE0EEEvT1_
		.amdhsa_group_segment_fixed_size 0
		.amdhsa_private_segment_fixed_size 0
		.amdhsa_kernarg_size 128
		.amdhsa_user_sgpr_count 2
		.amdhsa_user_sgpr_dispatch_ptr 0
		.amdhsa_user_sgpr_queue_ptr 0
		.amdhsa_user_sgpr_kernarg_segment_ptr 1
		.amdhsa_user_sgpr_dispatch_id 0
		.amdhsa_user_sgpr_kernarg_preload_length 0
		.amdhsa_user_sgpr_kernarg_preload_offset 0
		.amdhsa_user_sgpr_private_segment_size 0
		.amdhsa_wavefront_size32 1
		.amdhsa_uses_dynamic_stack 0
		.amdhsa_enable_private_segment 0
		.amdhsa_system_sgpr_workgroup_id_x 1
		.amdhsa_system_sgpr_workgroup_id_y 0
		.amdhsa_system_sgpr_workgroup_id_z 0
		.amdhsa_system_sgpr_workgroup_info 0
		.amdhsa_system_vgpr_workitem_id 0
		.amdhsa_next_free_vgpr 1
		.amdhsa_next_free_sgpr 1
		.amdhsa_named_barrier_count 0
		.amdhsa_reserve_vcc 0
		.amdhsa_float_round_mode_32 0
		.amdhsa_float_round_mode_16_64 0
		.amdhsa_float_denorm_mode_32 3
		.amdhsa_float_denorm_mode_16_64 3
		.amdhsa_fp16_overflow 0
		.amdhsa_memory_ordered 1
		.amdhsa_forward_progress 1
		.amdhsa_inst_pref_size 0
		.amdhsa_round_robin_scheduling 0
		.amdhsa_exception_fp_ieee_invalid_op 0
		.amdhsa_exception_fp_denorm_src 0
		.amdhsa_exception_fp_ieee_div_zero 0
		.amdhsa_exception_fp_ieee_overflow 0
		.amdhsa_exception_fp_ieee_underflow 0
		.amdhsa_exception_fp_ieee_inexact 0
		.amdhsa_exception_int_div_zero 0
	.end_amdhsa_kernel
	.section	.text._ZN7rocprim17ROCPRIM_400000_NS6detail17trampoline_kernelINS0_14default_configENS1_33run_length_encode_config_selectorIN3c104HalfEjNS0_4plusIjEEEEZZNS1_33reduce_by_key_impl_wrapped_configILNS1_25lookback_scan_determinismE0ES3_S9_PKS6_NS0_17constant_iteratorIjlEEPS6_PlSH_S8_NS0_8equal_toIS6_EEEE10hipError_tPvRmT2_T3_mT4_T5_T6_T7_T8_P12ihipStream_tbENKUlT_T0_E_clISt17integral_constantIbLb1EES11_EEDaSW_SX_EUlSW_E_NS1_11comp_targetILNS1_3genE4ELNS1_11target_archE910ELNS1_3gpuE8ELNS1_3repE0EEENS1_30default_config_static_selectorELNS0_4arch9wavefront6targetE0EEEvT1_,"axG",@progbits,_ZN7rocprim17ROCPRIM_400000_NS6detail17trampoline_kernelINS0_14default_configENS1_33run_length_encode_config_selectorIN3c104HalfEjNS0_4plusIjEEEEZZNS1_33reduce_by_key_impl_wrapped_configILNS1_25lookback_scan_determinismE0ES3_S9_PKS6_NS0_17constant_iteratorIjlEEPS6_PlSH_S8_NS0_8equal_toIS6_EEEE10hipError_tPvRmT2_T3_mT4_T5_T6_T7_T8_P12ihipStream_tbENKUlT_T0_E_clISt17integral_constantIbLb1EES11_EEDaSW_SX_EUlSW_E_NS1_11comp_targetILNS1_3genE4ELNS1_11target_archE910ELNS1_3gpuE8ELNS1_3repE0EEENS1_30default_config_static_selectorELNS0_4arch9wavefront6targetE0EEEvT1_,comdat
.Lfunc_end936:
	.size	_ZN7rocprim17ROCPRIM_400000_NS6detail17trampoline_kernelINS0_14default_configENS1_33run_length_encode_config_selectorIN3c104HalfEjNS0_4plusIjEEEEZZNS1_33reduce_by_key_impl_wrapped_configILNS1_25lookback_scan_determinismE0ES3_S9_PKS6_NS0_17constant_iteratorIjlEEPS6_PlSH_S8_NS0_8equal_toIS6_EEEE10hipError_tPvRmT2_T3_mT4_T5_T6_T7_T8_P12ihipStream_tbENKUlT_T0_E_clISt17integral_constantIbLb1EES11_EEDaSW_SX_EUlSW_E_NS1_11comp_targetILNS1_3genE4ELNS1_11target_archE910ELNS1_3gpuE8ELNS1_3repE0EEENS1_30default_config_static_selectorELNS0_4arch9wavefront6targetE0EEEvT1_, .Lfunc_end936-_ZN7rocprim17ROCPRIM_400000_NS6detail17trampoline_kernelINS0_14default_configENS1_33run_length_encode_config_selectorIN3c104HalfEjNS0_4plusIjEEEEZZNS1_33reduce_by_key_impl_wrapped_configILNS1_25lookback_scan_determinismE0ES3_S9_PKS6_NS0_17constant_iteratorIjlEEPS6_PlSH_S8_NS0_8equal_toIS6_EEEE10hipError_tPvRmT2_T3_mT4_T5_T6_T7_T8_P12ihipStream_tbENKUlT_T0_E_clISt17integral_constantIbLb1EES11_EEDaSW_SX_EUlSW_E_NS1_11comp_targetILNS1_3genE4ELNS1_11target_archE910ELNS1_3gpuE8ELNS1_3repE0EEENS1_30default_config_static_selectorELNS0_4arch9wavefront6targetE0EEEvT1_
                                        ; -- End function
	.set _ZN7rocprim17ROCPRIM_400000_NS6detail17trampoline_kernelINS0_14default_configENS1_33run_length_encode_config_selectorIN3c104HalfEjNS0_4plusIjEEEEZZNS1_33reduce_by_key_impl_wrapped_configILNS1_25lookback_scan_determinismE0ES3_S9_PKS6_NS0_17constant_iteratorIjlEEPS6_PlSH_S8_NS0_8equal_toIS6_EEEE10hipError_tPvRmT2_T3_mT4_T5_T6_T7_T8_P12ihipStream_tbENKUlT_T0_E_clISt17integral_constantIbLb1EES11_EEDaSW_SX_EUlSW_E_NS1_11comp_targetILNS1_3genE4ELNS1_11target_archE910ELNS1_3gpuE8ELNS1_3repE0EEENS1_30default_config_static_selectorELNS0_4arch9wavefront6targetE0EEEvT1_.num_vgpr, 0
	.set _ZN7rocprim17ROCPRIM_400000_NS6detail17trampoline_kernelINS0_14default_configENS1_33run_length_encode_config_selectorIN3c104HalfEjNS0_4plusIjEEEEZZNS1_33reduce_by_key_impl_wrapped_configILNS1_25lookback_scan_determinismE0ES3_S9_PKS6_NS0_17constant_iteratorIjlEEPS6_PlSH_S8_NS0_8equal_toIS6_EEEE10hipError_tPvRmT2_T3_mT4_T5_T6_T7_T8_P12ihipStream_tbENKUlT_T0_E_clISt17integral_constantIbLb1EES11_EEDaSW_SX_EUlSW_E_NS1_11comp_targetILNS1_3genE4ELNS1_11target_archE910ELNS1_3gpuE8ELNS1_3repE0EEENS1_30default_config_static_selectorELNS0_4arch9wavefront6targetE0EEEvT1_.num_agpr, 0
	.set _ZN7rocprim17ROCPRIM_400000_NS6detail17trampoline_kernelINS0_14default_configENS1_33run_length_encode_config_selectorIN3c104HalfEjNS0_4plusIjEEEEZZNS1_33reduce_by_key_impl_wrapped_configILNS1_25lookback_scan_determinismE0ES3_S9_PKS6_NS0_17constant_iteratorIjlEEPS6_PlSH_S8_NS0_8equal_toIS6_EEEE10hipError_tPvRmT2_T3_mT4_T5_T6_T7_T8_P12ihipStream_tbENKUlT_T0_E_clISt17integral_constantIbLb1EES11_EEDaSW_SX_EUlSW_E_NS1_11comp_targetILNS1_3genE4ELNS1_11target_archE910ELNS1_3gpuE8ELNS1_3repE0EEENS1_30default_config_static_selectorELNS0_4arch9wavefront6targetE0EEEvT1_.numbered_sgpr, 0
	.set _ZN7rocprim17ROCPRIM_400000_NS6detail17trampoline_kernelINS0_14default_configENS1_33run_length_encode_config_selectorIN3c104HalfEjNS0_4plusIjEEEEZZNS1_33reduce_by_key_impl_wrapped_configILNS1_25lookback_scan_determinismE0ES3_S9_PKS6_NS0_17constant_iteratorIjlEEPS6_PlSH_S8_NS0_8equal_toIS6_EEEE10hipError_tPvRmT2_T3_mT4_T5_T6_T7_T8_P12ihipStream_tbENKUlT_T0_E_clISt17integral_constantIbLb1EES11_EEDaSW_SX_EUlSW_E_NS1_11comp_targetILNS1_3genE4ELNS1_11target_archE910ELNS1_3gpuE8ELNS1_3repE0EEENS1_30default_config_static_selectorELNS0_4arch9wavefront6targetE0EEEvT1_.num_named_barrier, 0
	.set _ZN7rocprim17ROCPRIM_400000_NS6detail17trampoline_kernelINS0_14default_configENS1_33run_length_encode_config_selectorIN3c104HalfEjNS0_4plusIjEEEEZZNS1_33reduce_by_key_impl_wrapped_configILNS1_25lookback_scan_determinismE0ES3_S9_PKS6_NS0_17constant_iteratorIjlEEPS6_PlSH_S8_NS0_8equal_toIS6_EEEE10hipError_tPvRmT2_T3_mT4_T5_T6_T7_T8_P12ihipStream_tbENKUlT_T0_E_clISt17integral_constantIbLb1EES11_EEDaSW_SX_EUlSW_E_NS1_11comp_targetILNS1_3genE4ELNS1_11target_archE910ELNS1_3gpuE8ELNS1_3repE0EEENS1_30default_config_static_selectorELNS0_4arch9wavefront6targetE0EEEvT1_.private_seg_size, 0
	.set _ZN7rocprim17ROCPRIM_400000_NS6detail17trampoline_kernelINS0_14default_configENS1_33run_length_encode_config_selectorIN3c104HalfEjNS0_4plusIjEEEEZZNS1_33reduce_by_key_impl_wrapped_configILNS1_25lookback_scan_determinismE0ES3_S9_PKS6_NS0_17constant_iteratorIjlEEPS6_PlSH_S8_NS0_8equal_toIS6_EEEE10hipError_tPvRmT2_T3_mT4_T5_T6_T7_T8_P12ihipStream_tbENKUlT_T0_E_clISt17integral_constantIbLb1EES11_EEDaSW_SX_EUlSW_E_NS1_11comp_targetILNS1_3genE4ELNS1_11target_archE910ELNS1_3gpuE8ELNS1_3repE0EEENS1_30default_config_static_selectorELNS0_4arch9wavefront6targetE0EEEvT1_.uses_vcc, 0
	.set _ZN7rocprim17ROCPRIM_400000_NS6detail17trampoline_kernelINS0_14default_configENS1_33run_length_encode_config_selectorIN3c104HalfEjNS0_4plusIjEEEEZZNS1_33reduce_by_key_impl_wrapped_configILNS1_25lookback_scan_determinismE0ES3_S9_PKS6_NS0_17constant_iteratorIjlEEPS6_PlSH_S8_NS0_8equal_toIS6_EEEE10hipError_tPvRmT2_T3_mT4_T5_T6_T7_T8_P12ihipStream_tbENKUlT_T0_E_clISt17integral_constantIbLb1EES11_EEDaSW_SX_EUlSW_E_NS1_11comp_targetILNS1_3genE4ELNS1_11target_archE910ELNS1_3gpuE8ELNS1_3repE0EEENS1_30default_config_static_selectorELNS0_4arch9wavefront6targetE0EEEvT1_.uses_flat_scratch, 0
	.set _ZN7rocprim17ROCPRIM_400000_NS6detail17trampoline_kernelINS0_14default_configENS1_33run_length_encode_config_selectorIN3c104HalfEjNS0_4plusIjEEEEZZNS1_33reduce_by_key_impl_wrapped_configILNS1_25lookback_scan_determinismE0ES3_S9_PKS6_NS0_17constant_iteratorIjlEEPS6_PlSH_S8_NS0_8equal_toIS6_EEEE10hipError_tPvRmT2_T3_mT4_T5_T6_T7_T8_P12ihipStream_tbENKUlT_T0_E_clISt17integral_constantIbLb1EES11_EEDaSW_SX_EUlSW_E_NS1_11comp_targetILNS1_3genE4ELNS1_11target_archE910ELNS1_3gpuE8ELNS1_3repE0EEENS1_30default_config_static_selectorELNS0_4arch9wavefront6targetE0EEEvT1_.has_dyn_sized_stack, 0
	.set _ZN7rocprim17ROCPRIM_400000_NS6detail17trampoline_kernelINS0_14default_configENS1_33run_length_encode_config_selectorIN3c104HalfEjNS0_4plusIjEEEEZZNS1_33reduce_by_key_impl_wrapped_configILNS1_25lookback_scan_determinismE0ES3_S9_PKS6_NS0_17constant_iteratorIjlEEPS6_PlSH_S8_NS0_8equal_toIS6_EEEE10hipError_tPvRmT2_T3_mT4_T5_T6_T7_T8_P12ihipStream_tbENKUlT_T0_E_clISt17integral_constantIbLb1EES11_EEDaSW_SX_EUlSW_E_NS1_11comp_targetILNS1_3genE4ELNS1_11target_archE910ELNS1_3gpuE8ELNS1_3repE0EEENS1_30default_config_static_selectorELNS0_4arch9wavefront6targetE0EEEvT1_.has_recursion, 0
	.set _ZN7rocprim17ROCPRIM_400000_NS6detail17trampoline_kernelINS0_14default_configENS1_33run_length_encode_config_selectorIN3c104HalfEjNS0_4plusIjEEEEZZNS1_33reduce_by_key_impl_wrapped_configILNS1_25lookback_scan_determinismE0ES3_S9_PKS6_NS0_17constant_iteratorIjlEEPS6_PlSH_S8_NS0_8equal_toIS6_EEEE10hipError_tPvRmT2_T3_mT4_T5_T6_T7_T8_P12ihipStream_tbENKUlT_T0_E_clISt17integral_constantIbLb1EES11_EEDaSW_SX_EUlSW_E_NS1_11comp_targetILNS1_3genE4ELNS1_11target_archE910ELNS1_3gpuE8ELNS1_3repE0EEENS1_30default_config_static_selectorELNS0_4arch9wavefront6targetE0EEEvT1_.has_indirect_call, 0
	.section	.AMDGPU.csdata,"",@progbits
; Kernel info:
; codeLenInByte = 0
; TotalNumSgprs: 0
; NumVgprs: 0
; ScratchSize: 0
; MemoryBound: 0
; FloatMode: 240
; IeeeMode: 1
; LDSByteSize: 0 bytes/workgroup (compile time only)
; SGPRBlocks: 0
; VGPRBlocks: 0
; NumSGPRsForWavesPerEU: 1
; NumVGPRsForWavesPerEU: 1
; NamedBarCnt: 0
; Occupancy: 16
; WaveLimiterHint : 0
; COMPUTE_PGM_RSRC2:SCRATCH_EN: 0
; COMPUTE_PGM_RSRC2:USER_SGPR: 2
; COMPUTE_PGM_RSRC2:TRAP_HANDLER: 0
; COMPUTE_PGM_RSRC2:TGID_X_EN: 1
; COMPUTE_PGM_RSRC2:TGID_Y_EN: 0
; COMPUTE_PGM_RSRC2:TGID_Z_EN: 0
; COMPUTE_PGM_RSRC2:TIDIG_COMP_CNT: 0
	.section	.text._ZN7rocprim17ROCPRIM_400000_NS6detail17trampoline_kernelINS0_14default_configENS1_33run_length_encode_config_selectorIN3c104HalfEjNS0_4plusIjEEEEZZNS1_33reduce_by_key_impl_wrapped_configILNS1_25lookback_scan_determinismE0ES3_S9_PKS6_NS0_17constant_iteratorIjlEEPS6_PlSH_S8_NS0_8equal_toIS6_EEEE10hipError_tPvRmT2_T3_mT4_T5_T6_T7_T8_P12ihipStream_tbENKUlT_T0_E_clISt17integral_constantIbLb1EES11_EEDaSW_SX_EUlSW_E_NS1_11comp_targetILNS1_3genE3ELNS1_11target_archE908ELNS1_3gpuE7ELNS1_3repE0EEENS1_30default_config_static_selectorELNS0_4arch9wavefront6targetE0EEEvT1_,"axG",@progbits,_ZN7rocprim17ROCPRIM_400000_NS6detail17trampoline_kernelINS0_14default_configENS1_33run_length_encode_config_selectorIN3c104HalfEjNS0_4plusIjEEEEZZNS1_33reduce_by_key_impl_wrapped_configILNS1_25lookback_scan_determinismE0ES3_S9_PKS6_NS0_17constant_iteratorIjlEEPS6_PlSH_S8_NS0_8equal_toIS6_EEEE10hipError_tPvRmT2_T3_mT4_T5_T6_T7_T8_P12ihipStream_tbENKUlT_T0_E_clISt17integral_constantIbLb1EES11_EEDaSW_SX_EUlSW_E_NS1_11comp_targetILNS1_3genE3ELNS1_11target_archE908ELNS1_3gpuE7ELNS1_3repE0EEENS1_30default_config_static_selectorELNS0_4arch9wavefront6targetE0EEEvT1_,comdat
	.protected	_ZN7rocprim17ROCPRIM_400000_NS6detail17trampoline_kernelINS0_14default_configENS1_33run_length_encode_config_selectorIN3c104HalfEjNS0_4plusIjEEEEZZNS1_33reduce_by_key_impl_wrapped_configILNS1_25lookback_scan_determinismE0ES3_S9_PKS6_NS0_17constant_iteratorIjlEEPS6_PlSH_S8_NS0_8equal_toIS6_EEEE10hipError_tPvRmT2_T3_mT4_T5_T6_T7_T8_P12ihipStream_tbENKUlT_T0_E_clISt17integral_constantIbLb1EES11_EEDaSW_SX_EUlSW_E_NS1_11comp_targetILNS1_3genE3ELNS1_11target_archE908ELNS1_3gpuE7ELNS1_3repE0EEENS1_30default_config_static_selectorELNS0_4arch9wavefront6targetE0EEEvT1_ ; -- Begin function _ZN7rocprim17ROCPRIM_400000_NS6detail17trampoline_kernelINS0_14default_configENS1_33run_length_encode_config_selectorIN3c104HalfEjNS0_4plusIjEEEEZZNS1_33reduce_by_key_impl_wrapped_configILNS1_25lookback_scan_determinismE0ES3_S9_PKS6_NS0_17constant_iteratorIjlEEPS6_PlSH_S8_NS0_8equal_toIS6_EEEE10hipError_tPvRmT2_T3_mT4_T5_T6_T7_T8_P12ihipStream_tbENKUlT_T0_E_clISt17integral_constantIbLb1EES11_EEDaSW_SX_EUlSW_E_NS1_11comp_targetILNS1_3genE3ELNS1_11target_archE908ELNS1_3gpuE7ELNS1_3repE0EEENS1_30default_config_static_selectorELNS0_4arch9wavefront6targetE0EEEvT1_
	.globl	_ZN7rocprim17ROCPRIM_400000_NS6detail17trampoline_kernelINS0_14default_configENS1_33run_length_encode_config_selectorIN3c104HalfEjNS0_4plusIjEEEEZZNS1_33reduce_by_key_impl_wrapped_configILNS1_25lookback_scan_determinismE0ES3_S9_PKS6_NS0_17constant_iteratorIjlEEPS6_PlSH_S8_NS0_8equal_toIS6_EEEE10hipError_tPvRmT2_T3_mT4_T5_T6_T7_T8_P12ihipStream_tbENKUlT_T0_E_clISt17integral_constantIbLb1EES11_EEDaSW_SX_EUlSW_E_NS1_11comp_targetILNS1_3genE3ELNS1_11target_archE908ELNS1_3gpuE7ELNS1_3repE0EEENS1_30default_config_static_selectorELNS0_4arch9wavefront6targetE0EEEvT1_
	.p2align	8
	.type	_ZN7rocprim17ROCPRIM_400000_NS6detail17trampoline_kernelINS0_14default_configENS1_33run_length_encode_config_selectorIN3c104HalfEjNS0_4plusIjEEEEZZNS1_33reduce_by_key_impl_wrapped_configILNS1_25lookback_scan_determinismE0ES3_S9_PKS6_NS0_17constant_iteratorIjlEEPS6_PlSH_S8_NS0_8equal_toIS6_EEEE10hipError_tPvRmT2_T3_mT4_T5_T6_T7_T8_P12ihipStream_tbENKUlT_T0_E_clISt17integral_constantIbLb1EES11_EEDaSW_SX_EUlSW_E_NS1_11comp_targetILNS1_3genE3ELNS1_11target_archE908ELNS1_3gpuE7ELNS1_3repE0EEENS1_30default_config_static_selectorELNS0_4arch9wavefront6targetE0EEEvT1_,@function
_ZN7rocprim17ROCPRIM_400000_NS6detail17trampoline_kernelINS0_14default_configENS1_33run_length_encode_config_selectorIN3c104HalfEjNS0_4plusIjEEEEZZNS1_33reduce_by_key_impl_wrapped_configILNS1_25lookback_scan_determinismE0ES3_S9_PKS6_NS0_17constant_iteratorIjlEEPS6_PlSH_S8_NS0_8equal_toIS6_EEEE10hipError_tPvRmT2_T3_mT4_T5_T6_T7_T8_P12ihipStream_tbENKUlT_T0_E_clISt17integral_constantIbLb1EES11_EEDaSW_SX_EUlSW_E_NS1_11comp_targetILNS1_3genE3ELNS1_11target_archE908ELNS1_3gpuE7ELNS1_3repE0EEENS1_30default_config_static_selectorELNS0_4arch9wavefront6targetE0EEEvT1_: ; @_ZN7rocprim17ROCPRIM_400000_NS6detail17trampoline_kernelINS0_14default_configENS1_33run_length_encode_config_selectorIN3c104HalfEjNS0_4plusIjEEEEZZNS1_33reduce_by_key_impl_wrapped_configILNS1_25lookback_scan_determinismE0ES3_S9_PKS6_NS0_17constant_iteratorIjlEEPS6_PlSH_S8_NS0_8equal_toIS6_EEEE10hipError_tPvRmT2_T3_mT4_T5_T6_T7_T8_P12ihipStream_tbENKUlT_T0_E_clISt17integral_constantIbLb1EES11_EEDaSW_SX_EUlSW_E_NS1_11comp_targetILNS1_3genE3ELNS1_11target_archE908ELNS1_3gpuE7ELNS1_3repE0EEENS1_30default_config_static_selectorELNS0_4arch9wavefront6targetE0EEEvT1_
; %bb.0:
	.section	.rodata,"a",@progbits
	.p2align	6, 0x0
	.amdhsa_kernel _ZN7rocprim17ROCPRIM_400000_NS6detail17trampoline_kernelINS0_14default_configENS1_33run_length_encode_config_selectorIN3c104HalfEjNS0_4plusIjEEEEZZNS1_33reduce_by_key_impl_wrapped_configILNS1_25lookback_scan_determinismE0ES3_S9_PKS6_NS0_17constant_iteratorIjlEEPS6_PlSH_S8_NS0_8equal_toIS6_EEEE10hipError_tPvRmT2_T3_mT4_T5_T6_T7_T8_P12ihipStream_tbENKUlT_T0_E_clISt17integral_constantIbLb1EES11_EEDaSW_SX_EUlSW_E_NS1_11comp_targetILNS1_3genE3ELNS1_11target_archE908ELNS1_3gpuE7ELNS1_3repE0EEENS1_30default_config_static_selectorELNS0_4arch9wavefront6targetE0EEEvT1_
		.amdhsa_group_segment_fixed_size 0
		.amdhsa_private_segment_fixed_size 0
		.amdhsa_kernarg_size 128
		.amdhsa_user_sgpr_count 2
		.amdhsa_user_sgpr_dispatch_ptr 0
		.amdhsa_user_sgpr_queue_ptr 0
		.amdhsa_user_sgpr_kernarg_segment_ptr 1
		.amdhsa_user_sgpr_dispatch_id 0
		.amdhsa_user_sgpr_kernarg_preload_length 0
		.amdhsa_user_sgpr_kernarg_preload_offset 0
		.amdhsa_user_sgpr_private_segment_size 0
		.amdhsa_wavefront_size32 1
		.amdhsa_uses_dynamic_stack 0
		.amdhsa_enable_private_segment 0
		.amdhsa_system_sgpr_workgroup_id_x 1
		.amdhsa_system_sgpr_workgroup_id_y 0
		.amdhsa_system_sgpr_workgroup_id_z 0
		.amdhsa_system_sgpr_workgroup_info 0
		.amdhsa_system_vgpr_workitem_id 0
		.amdhsa_next_free_vgpr 1
		.amdhsa_next_free_sgpr 1
		.amdhsa_named_barrier_count 0
		.amdhsa_reserve_vcc 0
		.amdhsa_float_round_mode_32 0
		.amdhsa_float_round_mode_16_64 0
		.amdhsa_float_denorm_mode_32 3
		.amdhsa_float_denorm_mode_16_64 3
		.amdhsa_fp16_overflow 0
		.amdhsa_memory_ordered 1
		.amdhsa_forward_progress 1
		.amdhsa_inst_pref_size 0
		.amdhsa_round_robin_scheduling 0
		.amdhsa_exception_fp_ieee_invalid_op 0
		.amdhsa_exception_fp_denorm_src 0
		.amdhsa_exception_fp_ieee_div_zero 0
		.amdhsa_exception_fp_ieee_overflow 0
		.amdhsa_exception_fp_ieee_underflow 0
		.amdhsa_exception_fp_ieee_inexact 0
		.amdhsa_exception_int_div_zero 0
	.end_amdhsa_kernel
	.section	.text._ZN7rocprim17ROCPRIM_400000_NS6detail17trampoline_kernelINS0_14default_configENS1_33run_length_encode_config_selectorIN3c104HalfEjNS0_4plusIjEEEEZZNS1_33reduce_by_key_impl_wrapped_configILNS1_25lookback_scan_determinismE0ES3_S9_PKS6_NS0_17constant_iteratorIjlEEPS6_PlSH_S8_NS0_8equal_toIS6_EEEE10hipError_tPvRmT2_T3_mT4_T5_T6_T7_T8_P12ihipStream_tbENKUlT_T0_E_clISt17integral_constantIbLb1EES11_EEDaSW_SX_EUlSW_E_NS1_11comp_targetILNS1_3genE3ELNS1_11target_archE908ELNS1_3gpuE7ELNS1_3repE0EEENS1_30default_config_static_selectorELNS0_4arch9wavefront6targetE0EEEvT1_,"axG",@progbits,_ZN7rocprim17ROCPRIM_400000_NS6detail17trampoline_kernelINS0_14default_configENS1_33run_length_encode_config_selectorIN3c104HalfEjNS0_4plusIjEEEEZZNS1_33reduce_by_key_impl_wrapped_configILNS1_25lookback_scan_determinismE0ES3_S9_PKS6_NS0_17constant_iteratorIjlEEPS6_PlSH_S8_NS0_8equal_toIS6_EEEE10hipError_tPvRmT2_T3_mT4_T5_T6_T7_T8_P12ihipStream_tbENKUlT_T0_E_clISt17integral_constantIbLb1EES11_EEDaSW_SX_EUlSW_E_NS1_11comp_targetILNS1_3genE3ELNS1_11target_archE908ELNS1_3gpuE7ELNS1_3repE0EEENS1_30default_config_static_selectorELNS0_4arch9wavefront6targetE0EEEvT1_,comdat
.Lfunc_end937:
	.size	_ZN7rocprim17ROCPRIM_400000_NS6detail17trampoline_kernelINS0_14default_configENS1_33run_length_encode_config_selectorIN3c104HalfEjNS0_4plusIjEEEEZZNS1_33reduce_by_key_impl_wrapped_configILNS1_25lookback_scan_determinismE0ES3_S9_PKS6_NS0_17constant_iteratorIjlEEPS6_PlSH_S8_NS0_8equal_toIS6_EEEE10hipError_tPvRmT2_T3_mT4_T5_T6_T7_T8_P12ihipStream_tbENKUlT_T0_E_clISt17integral_constantIbLb1EES11_EEDaSW_SX_EUlSW_E_NS1_11comp_targetILNS1_3genE3ELNS1_11target_archE908ELNS1_3gpuE7ELNS1_3repE0EEENS1_30default_config_static_selectorELNS0_4arch9wavefront6targetE0EEEvT1_, .Lfunc_end937-_ZN7rocprim17ROCPRIM_400000_NS6detail17trampoline_kernelINS0_14default_configENS1_33run_length_encode_config_selectorIN3c104HalfEjNS0_4plusIjEEEEZZNS1_33reduce_by_key_impl_wrapped_configILNS1_25lookback_scan_determinismE0ES3_S9_PKS6_NS0_17constant_iteratorIjlEEPS6_PlSH_S8_NS0_8equal_toIS6_EEEE10hipError_tPvRmT2_T3_mT4_T5_T6_T7_T8_P12ihipStream_tbENKUlT_T0_E_clISt17integral_constantIbLb1EES11_EEDaSW_SX_EUlSW_E_NS1_11comp_targetILNS1_3genE3ELNS1_11target_archE908ELNS1_3gpuE7ELNS1_3repE0EEENS1_30default_config_static_selectorELNS0_4arch9wavefront6targetE0EEEvT1_
                                        ; -- End function
	.set _ZN7rocprim17ROCPRIM_400000_NS6detail17trampoline_kernelINS0_14default_configENS1_33run_length_encode_config_selectorIN3c104HalfEjNS0_4plusIjEEEEZZNS1_33reduce_by_key_impl_wrapped_configILNS1_25lookback_scan_determinismE0ES3_S9_PKS6_NS0_17constant_iteratorIjlEEPS6_PlSH_S8_NS0_8equal_toIS6_EEEE10hipError_tPvRmT2_T3_mT4_T5_T6_T7_T8_P12ihipStream_tbENKUlT_T0_E_clISt17integral_constantIbLb1EES11_EEDaSW_SX_EUlSW_E_NS1_11comp_targetILNS1_3genE3ELNS1_11target_archE908ELNS1_3gpuE7ELNS1_3repE0EEENS1_30default_config_static_selectorELNS0_4arch9wavefront6targetE0EEEvT1_.num_vgpr, 0
	.set _ZN7rocprim17ROCPRIM_400000_NS6detail17trampoline_kernelINS0_14default_configENS1_33run_length_encode_config_selectorIN3c104HalfEjNS0_4plusIjEEEEZZNS1_33reduce_by_key_impl_wrapped_configILNS1_25lookback_scan_determinismE0ES3_S9_PKS6_NS0_17constant_iteratorIjlEEPS6_PlSH_S8_NS0_8equal_toIS6_EEEE10hipError_tPvRmT2_T3_mT4_T5_T6_T7_T8_P12ihipStream_tbENKUlT_T0_E_clISt17integral_constantIbLb1EES11_EEDaSW_SX_EUlSW_E_NS1_11comp_targetILNS1_3genE3ELNS1_11target_archE908ELNS1_3gpuE7ELNS1_3repE0EEENS1_30default_config_static_selectorELNS0_4arch9wavefront6targetE0EEEvT1_.num_agpr, 0
	.set _ZN7rocprim17ROCPRIM_400000_NS6detail17trampoline_kernelINS0_14default_configENS1_33run_length_encode_config_selectorIN3c104HalfEjNS0_4plusIjEEEEZZNS1_33reduce_by_key_impl_wrapped_configILNS1_25lookback_scan_determinismE0ES3_S9_PKS6_NS0_17constant_iteratorIjlEEPS6_PlSH_S8_NS0_8equal_toIS6_EEEE10hipError_tPvRmT2_T3_mT4_T5_T6_T7_T8_P12ihipStream_tbENKUlT_T0_E_clISt17integral_constantIbLb1EES11_EEDaSW_SX_EUlSW_E_NS1_11comp_targetILNS1_3genE3ELNS1_11target_archE908ELNS1_3gpuE7ELNS1_3repE0EEENS1_30default_config_static_selectorELNS0_4arch9wavefront6targetE0EEEvT1_.numbered_sgpr, 0
	.set _ZN7rocprim17ROCPRIM_400000_NS6detail17trampoline_kernelINS0_14default_configENS1_33run_length_encode_config_selectorIN3c104HalfEjNS0_4plusIjEEEEZZNS1_33reduce_by_key_impl_wrapped_configILNS1_25lookback_scan_determinismE0ES3_S9_PKS6_NS0_17constant_iteratorIjlEEPS6_PlSH_S8_NS0_8equal_toIS6_EEEE10hipError_tPvRmT2_T3_mT4_T5_T6_T7_T8_P12ihipStream_tbENKUlT_T0_E_clISt17integral_constantIbLb1EES11_EEDaSW_SX_EUlSW_E_NS1_11comp_targetILNS1_3genE3ELNS1_11target_archE908ELNS1_3gpuE7ELNS1_3repE0EEENS1_30default_config_static_selectorELNS0_4arch9wavefront6targetE0EEEvT1_.num_named_barrier, 0
	.set _ZN7rocprim17ROCPRIM_400000_NS6detail17trampoline_kernelINS0_14default_configENS1_33run_length_encode_config_selectorIN3c104HalfEjNS0_4plusIjEEEEZZNS1_33reduce_by_key_impl_wrapped_configILNS1_25lookback_scan_determinismE0ES3_S9_PKS6_NS0_17constant_iteratorIjlEEPS6_PlSH_S8_NS0_8equal_toIS6_EEEE10hipError_tPvRmT2_T3_mT4_T5_T6_T7_T8_P12ihipStream_tbENKUlT_T0_E_clISt17integral_constantIbLb1EES11_EEDaSW_SX_EUlSW_E_NS1_11comp_targetILNS1_3genE3ELNS1_11target_archE908ELNS1_3gpuE7ELNS1_3repE0EEENS1_30default_config_static_selectorELNS0_4arch9wavefront6targetE0EEEvT1_.private_seg_size, 0
	.set _ZN7rocprim17ROCPRIM_400000_NS6detail17trampoline_kernelINS0_14default_configENS1_33run_length_encode_config_selectorIN3c104HalfEjNS0_4plusIjEEEEZZNS1_33reduce_by_key_impl_wrapped_configILNS1_25lookback_scan_determinismE0ES3_S9_PKS6_NS0_17constant_iteratorIjlEEPS6_PlSH_S8_NS0_8equal_toIS6_EEEE10hipError_tPvRmT2_T3_mT4_T5_T6_T7_T8_P12ihipStream_tbENKUlT_T0_E_clISt17integral_constantIbLb1EES11_EEDaSW_SX_EUlSW_E_NS1_11comp_targetILNS1_3genE3ELNS1_11target_archE908ELNS1_3gpuE7ELNS1_3repE0EEENS1_30default_config_static_selectorELNS0_4arch9wavefront6targetE0EEEvT1_.uses_vcc, 0
	.set _ZN7rocprim17ROCPRIM_400000_NS6detail17trampoline_kernelINS0_14default_configENS1_33run_length_encode_config_selectorIN3c104HalfEjNS0_4plusIjEEEEZZNS1_33reduce_by_key_impl_wrapped_configILNS1_25lookback_scan_determinismE0ES3_S9_PKS6_NS0_17constant_iteratorIjlEEPS6_PlSH_S8_NS0_8equal_toIS6_EEEE10hipError_tPvRmT2_T3_mT4_T5_T6_T7_T8_P12ihipStream_tbENKUlT_T0_E_clISt17integral_constantIbLb1EES11_EEDaSW_SX_EUlSW_E_NS1_11comp_targetILNS1_3genE3ELNS1_11target_archE908ELNS1_3gpuE7ELNS1_3repE0EEENS1_30default_config_static_selectorELNS0_4arch9wavefront6targetE0EEEvT1_.uses_flat_scratch, 0
	.set _ZN7rocprim17ROCPRIM_400000_NS6detail17trampoline_kernelINS0_14default_configENS1_33run_length_encode_config_selectorIN3c104HalfEjNS0_4plusIjEEEEZZNS1_33reduce_by_key_impl_wrapped_configILNS1_25lookback_scan_determinismE0ES3_S9_PKS6_NS0_17constant_iteratorIjlEEPS6_PlSH_S8_NS0_8equal_toIS6_EEEE10hipError_tPvRmT2_T3_mT4_T5_T6_T7_T8_P12ihipStream_tbENKUlT_T0_E_clISt17integral_constantIbLb1EES11_EEDaSW_SX_EUlSW_E_NS1_11comp_targetILNS1_3genE3ELNS1_11target_archE908ELNS1_3gpuE7ELNS1_3repE0EEENS1_30default_config_static_selectorELNS0_4arch9wavefront6targetE0EEEvT1_.has_dyn_sized_stack, 0
	.set _ZN7rocprim17ROCPRIM_400000_NS6detail17trampoline_kernelINS0_14default_configENS1_33run_length_encode_config_selectorIN3c104HalfEjNS0_4plusIjEEEEZZNS1_33reduce_by_key_impl_wrapped_configILNS1_25lookback_scan_determinismE0ES3_S9_PKS6_NS0_17constant_iteratorIjlEEPS6_PlSH_S8_NS0_8equal_toIS6_EEEE10hipError_tPvRmT2_T3_mT4_T5_T6_T7_T8_P12ihipStream_tbENKUlT_T0_E_clISt17integral_constantIbLb1EES11_EEDaSW_SX_EUlSW_E_NS1_11comp_targetILNS1_3genE3ELNS1_11target_archE908ELNS1_3gpuE7ELNS1_3repE0EEENS1_30default_config_static_selectorELNS0_4arch9wavefront6targetE0EEEvT1_.has_recursion, 0
	.set _ZN7rocprim17ROCPRIM_400000_NS6detail17trampoline_kernelINS0_14default_configENS1_33run_length_encode_config_selectorIN3c104HalfEjNS0_4plusIjEEEEZZNS1_33reduce_by_key_impl_wrapped_configILNS1_25lookback_scan_determinismE0ES3_S9_PKS6_NS0_17constant_iteratorIjlEEPS6_PlSH_S8_NS0_8equal_toIS6_EEEE10hipError_tPvRmT2_T3_mT4_T5_T6_T7_T8_P12ihipStream_tbENKUlT_T0_E_clISt17integral_constantIbLb1EES11_EEDaSW_SX_EUlSW_E_NS1_11comp_targetILNS1_3genE3ELNS1_11target_archE908ELNS1_3gpuE7ELNS1_3repE0EEENS1_30default_config_static_selectorELNS0_4arch9wavefront6targetE0EEEvT1_.has_indirect_call, 0
	.section	.AMDGPU.csdata,"",@progbits
; Kernel info:
; codeLenInByte = 0
; TotalNumSgprs: 0
; NumVgprs: 0
; ScratchSize: 0
; MemoryBound: 0
; FloatMode: 240
; IeeeMode: 1
; LDSByteSize: 0 bytes/workgroup (compile time only)
; SGPRBlocks: 0
; VGPRBlocks: 0
; NumSGPRsForWavesPerEU: 1
; NumVGPRsForWavesPerEU: 1
; NamedBarCnt: 0
; Occupancy: 16
; WaveLimiterHint : 0
; COMPUTE_PGM_RSRC2:SCRATCH_EN: 0
; COMPUTE_PGM_RSRC2:USER_SGPR: 2
; COMPUTE_PGM_RSRC2:TRAP_HANDLER: 0
; COMPUTE_PGM_RSRC2:TGID_X_EN: 1
; COMPUTE_PGM_RSRC2:TGID_Y_EN: 0
; COMPUTE_PGM_RSRC2:TGID_Z_EN: 0
; COMPUTE_PGM_RSRC2:TIDIG_COMP_CNT: 0
	.section	.text._ZN7rocprim17ROCPRIM_400000_NS6detail17trampoline_kernelINS0_14default_configENS1_33run_length_encode_config_selectorIN3c104HalfEjNS0_4plusIjEEEEZZNS1_33reduce_by_key_impl_wrapped_configILNS1_25lookback_scan_determinismE0ES3_S9_PKS6_NS0_17constant_iteratorIjlEEPS6_PlSH_S8_NS0_8equal_toIS6_EEEE10hipError_tPvRmT2_T3_mT4_T5_T6_T7_T8_P12ihipStream_tbENKUlT_T0_E_clISt17integral_constantIbLb1EES11_EEDaSW_SX_EUlSW_E_NS1_11comp_targetILNS1_3genE2ELNS1_11target_archE906ELNS1_3gpuE6ELNS1_3repE0EEENS1_30default_config_static_selectorELNS0_4arch9wavefront6targetE0EEEvT1_,"axG",@progbits,_ZN7rocprim17ROCPRIM_400000_NS6detail17trampoline_kernelINS0_14default_configENS1_33run_length_encode_config_selectorIN3c104HalfEjNS0_4plusIjEEEEZZNS1_33reduce_by_key_impl_wrapped_configILNS1_25lookback_scan_determinismE0ES3_S9_PKS6_NS0_17constant_iteratorIjlEEPS6_PlSH_S8_NS0_8equal_toIS6_EEEE10hipError_tPvRmT2_T3_mT4_T5_T6_T7_T8_P12ihipStream_tbENKUlT_T0_E_clISt17integral_constantIbLb1EES11_EEDaSW_SX_EUlSW_E_NS1_11comp_targetILNS1_3genE2ELNS1_11target_archE906ELNS1_3gpuE6ELNS1_3repE0EEENS1_30default_config_static_selectorELNS0_4arch9wavefront6targetE0EEEvT1_,comdat
	.protected	_ZN7rocprim17ROCPRIM_400000_NS6detail17trampoline_kernelINS0_14default_configENS1_33run_length_encode_config_selectorIN3c104HalfEjNS0_4plusIjEEEEZZNS1_33reduce_by_key_impl_wrapped_configILNS1_25lookback_scan_determinismE0ES3_S9_PKS6_NS0_17constant_iteratorIjlEEPS6_PlSH_S8_NS0_8equal_toIS6_EEEE10hipError_tPvRmT2_T3_mT4_T5_T6_T7_T8_P12ihipStream_tbENKUlT_T0_E_clISt17integral_constantIbLb1EES11_EEDaSW_SX_EUlSW_E_NS1_11comp_targetILNS1_3genE2ELNS1_11target_archE906ELNS1_3gpuE6ELNS1_3repE0EEENS1_30default_config_static_selectorELNS0_4arch9wavefront6targetE0EEEvT1_ ; -- Begin function _ZN7rocprim17ROCPRIM_400000_NS6detail17trampoline_kernelINS0_14default_configENS1_33run_length_encode_config_selectorIN3c104HalfEjNS0_4plusIjEEEEZZNS1_33reduce_by_key_impl_wrapped_configILNS1_25lookback_scan_determinismE0ES3_S9_PKS6_NS0_17constant_iteratorIjlEEPS6_PlSH_S8_NS0_8equal_toIS6_EEEE10hipError_tPvRmT2_T3_mT4_T5_T6_T7_T8_P12ihipStream_tbENKUlT_T0_E_clISt17integral_constantIbLb1EES11_EEDaSW_SX_EUlSW_E_NS1_11comp_targetILNS1_3genE2ELNS1_11target_archE906ELNS1_3gpuE6ELNS1_3repE0EEENS1_30default_config_static_selectorELNS0_4arch9wavefront6targetE0EEEvT1_
	.globl	_ZN7rocprim17ROCPRIM_400000_NS6detail17trampoline_kernelINS0_14default_configENS1_33run_length_encode_config_selectorIN3c104HalfEjNS0_4plusIjEEEEZZNS1_33reduce_by_key_impl_wrapped_configILNS1_25lookback_scan_determinismE0ES3_S9_PKS6_NS0_17constant_iteratorIjlEEPS6_PlSH_S8_NS0_8equal_toIS6_EEEE10hipError_tPvRmT2_T3_mT4_T5_T6_T7_T8_P12ihipStream_tbENKUlT_T0_E_clISt17integral_constantIbLb1EES11_EEDaSW_SX_EUlSW_E_NS1_11comp_targetILNS1_3genE2ELNS1_11target_archE906ELNS1_3gpuE6ELNS1_3repE0EEENS1_30default_config_static_selectorELNS0_4arch9wavefront6targetE0EEEvT1_
	.p2align	8
	.type	_ZN7rocprim17ROCPRIM_400000_NS6detail17trampoline_kernelINS0_14default_configENS1_33run_length_encode_config_selectorIN3c104HalfEjNS0_4plusIjEEEEZZNS1_33reduce_by_key_impl_wrapped_configILNS1_25lookback_scan_determinismE0ES3_S9_PKS6_NS0_17constant_iteratorIjlEEPS6_PlSH_S8_NS0_8equal_toIS6_EEEE10hipError_tPvRmT2_T3_mT4_T5_T6_T7_T8_P12ihipStream_tbENKUlT_T0_E_clISt17integral_constantIbLb1EES11_EEDaSW_SX_EUlSW_E_NS1_11comp_targetILNS1_3genE2ELNS1_11target_archE906ELNS1_3gpuE6ELNS1_3repE0EEENS1_30default_config_static_selectorELNS0_4arch9wavefront6targetE0EEEvT1_,@function
_ZN7rocprim17ROCPRIM_400000_NS6detail17trampoline_kernelINS0_14default_configENS1_33run_length_encode_config_selectorIN3c104HalfEjNS0_4plusIjEEEEZZNS1_33reduce_by_key_impl_wrapped_configILNS1_25lookback_scan_determinismE0ES3_S9_PKS6_NS0_17constant_iteratorIjlEEPS6_PlSH_S8_NS0_8equal_toIS6_EEEE10hipError_tPvRmT2_T3_mT4_T5_T6_T7_T8_P12ihipStream_tbENKUlT_T0_E_clISt17integral_constantIbLb1EES11_EEDaSW_SX_EUlSW_E_NS1_11comp_targetILNS1_3genE2ELNS1_11target_archE906ELNS1_3gpuE6ELNS1_3repE0EEENS1_30default_config_static_selectorELNS0_4arch9wavefront6targetE0EEEvT1_: ; @_ZN7rocprim17ROCPRIM_400000_NS6detail17trampoline_kernelINS0_14default_configENS1_33run_length_encode_config_selectorIN3c104HalfEjNS0_4plusIjEEEEZZNS1_33reduce_by_key_impl_wrapped_configILNS1_25lookback_scan_determinismE0ES3_S9_PKS6_NS0_17constant_iteratorIjlEEPS6_PlSH_S8_NS0_8equal_toIS6_EEEE10hipError_tPvRmT2_T3_mT4_T5_T6_T7_T8_P12ihipStream_tbENKUlT_T0_E_clISt17integral_constantIbLb1EES11_EEDaSW_SX_EUlSW_E_NS1_11comp_targetILNS1_3genE2ELNS1_11target_archE906ELNS1_3gpuE6ELNS1_3repE0EEENS1_30default_config_static_selectorELNS0_4arch9wavefront6targetE0EEEvT1_
; %bb.0:
	.section	.rodata,"a",@progbits
	.p2align	6, 0x0
	.amdhsa_kernel _ZN7rocprim17ROCPRIM_400000_NS6detail17trampoline_kernelINS0_14default_configENS1_33run_length_encode_config_selectorIN3c104HalfEjNS0_4plusIjEEEEZZNS1_33reduce_by_key_impl_wrapped_configILNS1_25lookback_scan_determinismE0ES3_S9_PKS6_NS0_17constant_iteratorIjlEEPS6_PlSH_S8_NS0_8equal_toIS6_EEEE10hipError_tPvRmT2_T3_mT4_T5_T6_T7_T8_P12ihipStream_tbENKUlT_T0_E_clISt17integral_constantIbLb1EES11_EEDaSW_SX_EUlSW_E_NS1_11comp_targetILNS1_3genE2ELNS1_11target_archE906ELNS1_3gpuE6ELNS1_3repE0EEENS1_30default_config_static_selectorELNS0_4arch9wavefront6targetE0EEEvT1_
		.amdhsa_group_segment_fixed_size 0
		.amdhsa_private_segment_fixed_size 0
		.amdhsa_kernarg_size 128
		.amdhsa_user_sgpr_count 2
		.amdhsa_user_sgpr_dispatch_ptr 0
		.amdhsa_user_sgpr_queue_ptr 0
		.amdhsa_user_sgpr_kernarg_segment_ptr 1
		.amdhsa_user_sgpr_dispatch_id 0
		.amdhsa_user_sgpr_kernarg_preload_length 0
		.amdhsa_user_sgpr_kernarg_preload_offset 0
		.amdhsa_user_sgpr_private_segment_size 0
		.amdhsa_wavefront_size32 1
		.amdhsa_uses_dynamic_stack 0
		.amdhsa_enable_private_segment 0
		.amdhsa_system_sgpr_workgroup_id_x 1
		.amdhsa_system_sgpr_workgroup_id_y 0
		.amdhsa_system_sgpr_workgroup_id_z 0
		.amdhsa_system_sgpr_workgroup_info 0
		.amdhsa_system_vgpr_workitem_id 0
		.amdhsa_next_free_vgpr 1
		.amdhsa_next_free_sgpr 1
		.amdhsa_named_barrier_count 0
		.amdhsa_reserve_vcc 0
		.amdhsa_float_round_mode_32 0
		.amdhsa_float_round_mode_16_64 0
		.amdhsa_float_denorm_mode_32 3
		.amdhsa_float_denorm_mode_16_64 3
		.amdhsa_fp16_overflow 0
		.amdhsa_memory_ordered 1
		.amdhsa_forward_progress 1
		.amdhsa_inst_pref_size 0
		.amdhsa_round_robin_scheduling 0
		.amdhsa_exception_fp_ieee_invalid_op 0
		.amdhsa_exception_fp_denorm_src 0
		.amdhsa_exception_fp_ieee_div_zero 0
		.amdhsa_exception_fp_ieee_overflow 0
		.amdhsa_exception_fp_ieee_underflow 0
		.amdhsa_exception_fp_ieee_inexact 0
		.amdhsa_exception_int_div_zero 0
	.end_amdhsa_kernel
	.section	.text._ZN7rocprim17ROCPRIM_400000_NS6detail17trampoline_kernelINS0_14default_configENS1_33run_length_encode_config_selectorIN3c104HalfEjNS0_4plusIjEEEEZZNS1_33reduce_by_key_impl_wrapped_configILNS1_25lookback_scan_determinismE0ES3_S9_PKS6_NS0_17constant_iteratorIjlEEPS6_PlSH_S8_NS0_8equal_toIS6_EEEE10hipError_tPvRmT2_T3_mT4_T5_T6_T7_T8_P12ihipStream_tbENKUlT_T0_E_clISt17integral_constantIbLb1EES11_EEDaSW_SX_EUlSW_E_NS1_11comp_targetILNS1_3genE2ELNS1_11target_archE906ELNS1_3gpuE6ELNS1_3repE0EEENS1_30default_config_static_selectorELNS0_4arch9wavefront6targetE0EEEvT1_,"axG",@progbits,_ZN7rocprim17ROCPRIM_400000_NS6detail17trampoline_kernelINS0_14default_configENS1_33run_length_encode_config_selectorIN3c104HalfEjNS0_4plusIjEEEEZZNS1_33reduce_by_key_impl_wrapped_configILNS1_25lookback_scan_determinismE0ES3_S9_PKS6_NS0_17constant_iteratorIjlEEPS6_PlSH_S8_NS0_8equal_toIS6_EEEE10hipError_tPvRmT2_T3_mT4_T5_T6_T7_T8_P12ihipStream_tbENKUlT_T0_E_clISt17integral_constantIbLb1EES11_EEDaSW_SX_EUlSW_E_NS1_11comp_targetILNS1_3genE2ELNS1_11target_archE906ELNS1_3gpuE6ELNS1_3repE0EEENS1_30default_config_static_selectorELNS0_4arch9wavefront6targetE0EEEvT1_,comdat
.Lfunc_end938:
	.size	_ZN7rocprim17ROCPRIM_400000_NS6detail17trampoline_kernelINS0_14default_configENS1_33run_length_encode_config_selectorIN3c104HalfEjNS0_4plusIjEEEEZZNS1_33reduce_by_key_impl_wrapped_configILNS1_25lookback_scan_determinismE0ES3_S9_PKS6_NS0_17constant_iteratorIjlEEPS6_PlSH_S8_NS0_8equal_toIS6_EEEE10hipError_tPvRmT2_T3_mT4_T5_T6_T7_T8_P12ihipStream_tbENKUlT_T0_E_clISt17integral_constantIbLb1EES11_EEDaSW_SX_EUlSW_E_NS1_11comp_targetILNS1_3genE2ELNS1_11target_archE906ELNS1_3gpuE6ELNS1_3repE0EEENS1_30default_config_static_selectorELNS0_4arch9wavefront6targetE0EEEvT1_, .Lfunc_end938-_ZN7rocprim17ROCPRIM_400000_NS6detail17trampoline_kernelINS0_14default_configENS1_33run_length_encode_config_selectorIN3c104HalfEjNS0_4plusIjEEEEZZNS1_33reduce_by_key_impl_wrapped_configILNS1_25lookback_scan_determinismE0ES3_S9_PKS6_NS0_17constant_iteratorIjlEEPS6_PlSH_S8_NS0_8equal_toIS6_EEEE10hipError_tPvRmT2_T3_mT4_T5_T6_T7_T8_P12ihipStream_tbENKUlT_T0_E_clISt17integral_constantIbLb1EES11_EEDaSW_SX_EUlSW_E_NS1_11comp_targetILNS1_3genE2ELNS1_11target_archE906ELNS1_3gpuE6ELNS1_3repE0EEENS1_30default_config_static_selectorELNS0_4arch9wavefront6targetE0EEEvT1_
                                        ; -- End function
	.set _ZN7rocprim17ROCPRIM_400000_NS6detail17trampoline_kernelINS0_14default_configENS1_33run_length_encode_config_selectorIN3c104HalfEjNS0_4plusIjEEEEZZNS1_33reduce_by_key_impl_wrapped_configILNS1_25lookback_scan_determinismE0ES3_S9_PKS6_NS0_17constant_iteratorIjlEEPS6_PlSH_S8_NS0_8equal_toIS6_EEEE10hipError_tPvRmT2_T3_mT4_T5_T6_T7_T8_P12ihipStream_tbENKUlT_T0_E_clISt17integral_constantIbLb1EES11_EEDaSW_SX_EUlSW_E_NS1_11comp_targetILNS1_3genE2ELNS1_11target_archE906ELNS1_3gpuE6ELNS1_3repE0EEENS1_30default_config_static_selectorELNS0_4arch9wavefront6targetE0EEEvT1_.num_vgpr, 0
	.set _ZN7rocprim17ROCPRIM_400000_NS6detail17trampoline_kernelINS0_14default_configENS1_33run_length_encode_config_selectorIN3c104HalfEjNS0_4plusIjEEEEZZNS1_33reduce_by_key_impl_wrapped_configILNS1_25lookback_scan_determinismE0ES3_S9_PKS6_NS0_17constant_iteratorIjlEEPS6_PlSH_S8_NS0_8equal_toIS6_EEEE10hipError_tPvRmT2_T3_mT4_T5_T6_T7_T8_P12ihipStream_tbENKUlT_T0_E_clISt17integral_constantIbLb1EES11_EEDaSW_SX_EUlSW_E_NS1_11comp_targetILNS1_3genE2ELNS1_11target_archE906ELNS1_3gpuE6ELNS1_3repE0EEENS1_30default_config_static_selectorELNS0_4arch9wavefront6targetE0EEEvT1_.num_agpr, 0
	.set _ZN7rocprim17ROCPRIM_400000_NS6detail17trampoline_kernelINS0_14default_configENS1_33run_length_encode_config_selectorIN3c104HalfEjNS0_4plusIjEEEEZZNS1_33reduce_by_key_impl_wrapped_configILNS1_25lookback_scan_determinismE0ES3_S9_PKS6_NS0_17constant_iteratorIjlEEPS6_PlSH_S8_NS0_8equal_toIS6_EEEE10hipError_tPvRmT2_T3_mT4_T5_T6_T7_T8_P12ihipStream_tbENKUlT_T0_E_clISt17integral_constantIbLb1EES11_EEDaSW_SX_EUlSW_E_NS1_11comp_targetILNS1_3genE2ELNS1_11target_archE906ELNS1_3gpuE6ELNS1_3repE0EEENS1_30default_config_static_selectorELNS0_4arch9wavefront6targetE0EEEvT1_.numbered_sgpr, 0
	.set _ZN7rocprim17ROCPRIM_400000_NS6detail17trampoline_kernelINS0_14default_configENS1_33run_length_encode_config_selectorIN3c104HalfEjNS0_4plusIjEEEEZZNS1_33reduce_by_key_impl_wrapped_configILNS1_25lookback_scan_determinismE0ES3_S9_PKS6_NS0_17constant_iteratorIjlEEPS6_PlSH_S8_NS0_8equal_toIS6_EEEE10hipError_tPvRmT2_T3_mT4_T5_T6_T7_T8_P12ihipStream_tbENKUlT_T0_E_clISt17integral_constantIbLb1EES11_EEDaSW_SX_EUlSW_E_NS1_11comp_targetILNS1_3genE2ELNS1_11target_archE906ELNS1_3gpuE6ELNS1_3repE0EEENS1_30default_config_static_selectorELNS0_4arch9wavefront6targetE0EEEvT1_.num_named_barrier, 0
	.set _ZN7rocprim17ROCPRIM_400000_NS6detail17trampoline_kernelINS0_14default_configENS1_33run_length_encode_config_selectorIN3c104HalfEjNS0_4plusIjEEEEZZNS1_33reduce_by_key_impl_wrapped_configILNS1_25lookback_scan_determinismE0ES3_S9_PKS6_NS0_17constant_iteratorIjlEEPS6_PlSH_S8_NS0_8equal_toIS6_EEEE10hipError_tPvRmT2_T3_mT4_T5_T6_T7_T8_P12ihipStream_tbENKUlT_T0_E_clISt17integral_constantIbLb1EES11_EEDaSW_SX_EUlSW_E_NS1_11comp_targetILNS1_3genE2ELNS1_11target_archE906ELNS1_3gpuE6ELNS1_3repE0EEENS1_30default_config_static_selectorELNS0_4arch9wavefront6targetE0EEEvT1_.private_seg_size, 0
	.set _ZN7rocprim17ROCPRIM_400000_NS6detail17trampoline_kernelINS0_14default_configENS1_33run_length_encode_config_selectorIN3c104HalfEjNS0_4plusIjEEEEZZNS1_33reduce_by_key_impl_wrapped_configILNS1_25lookback_scan_determinismE0ES3_S9_PKS6_NS0_17constant_iteratorIjlEEPS6_PlSH_S8_NS0_8equal_toIS6_EEEE10hipError_tPvRmT2_T3_mT4_T5_T6_T7_T8_P12ihipStream_tbENKUlT_T0_E_clISt17integral_constantIbLb1EES11_EEDaSW_SX_EUlSW_E_NS1_11comp_targetILNS1_3genE2ELNS1_11target_archE906ELNS1_3gpuE6ELNS1_3repE0EEENS1_30default_config_static_selectorELNS0_4arch9wavefront6targetE0EEEvT1_.uses_vcc, 0
	.set _ZN7rocprim17ROCPRIM_400000_NS6detail17trampoline_kernelINS0_14default_configENS1_33run_length_encode_config_selectorIN3c104HalfEjNS0_4plusIjEEEEZZNS1_33reduce_by_key_impl_wrapped_configILNS1_25lookback_scan_determinismE0ES3_S9_PKS6_NS0_17constant_iteratorIjlEEPS6_PlSH_S8_NS0_8equal_toIS6_EEEE10hipError_tPvRmT2_T3_mT4_T5_T6_T7_T8_P12ihipStream_tbENKUlT_T0_E_clISt17integral_constantIbLb1EES11_EEDaSW_SX_EUlSW_E_NS1_11comp_targetILNS1_3genE2ELNS1_11target_archE906ELNS1_3gpuE6ELNS1_3repE0EEENS1_30default_config_static_selectorELNS0_4arch9wavefront6targetE0EEEvT1_.uses_flat_scratch, 0
	.set _ZN7rocprim17ROCPRIM_400000_NS6detail17trampoline_kernelINS0_14default_configENS1_33run_length_encode_config_selectorIN3c104HalfEjNS0_4plusIjEEEEZZNS1_33reduce_by_key_impl_wrapped_configILNS1_25lookback_scan_determinismE0ES3_S9_PKS6_NS0_17constant_iteratorIjlEEPS6_PlSH_S8_NS0_8equal_toIS6_EEEE10hipError_tPvRmT2_T3_mT4_T5_T6_T7_T8_P12ihipStream_tbENKUlT_T0_E_clISt17integral_constantIbLb1EES11_EEDaSW_SX_EUlSW_E_NS1_11comp_targetILNS1_3genE2ELNS1_11target_archE906ELNS1_3gpuE6ELNS1_3repE0EEENS1_30default_config_static_selectorELNS0_4arch9wavefront6targetE0EEEvT1_.has_dyn_sized_stack, 0
	.set _ZN7rocprim17ROCPRIM_400000_NS6detail17trampoline_kernelINS0_14default_configENS1_33run_length_encode_config_selectorIN3c104HalfEjNS0_4plusIjEEEEZZNS1_33reduce_by_key_impl_wrapped_configILNS1_25lookback_scan_determinismE0ES3_S9_PKS6_NS0_17constant_iteratorIjlEEPS6_PlSH_S8_NS0_8equal_toIS6_EEEE10hipError_tPvRmT2_T3_mT4_T5_T6_T7_T8_P12ihipStream_tbENKUlT_T0_E_clISt17integral_constantIbLb1EES11_EEDaSW_SX_EUlSW_E_NS1_11comp_targetILNS1_3genE2ELNS1_11target_archE906ELNS1_3gpuE6ELNS1_3repE0EEENS1_30default_config_static_selectorELNS0_4arch9wavefront6targetE0EEEvT1_.has_recursion, 0
	.set _ZN7rocprim17ROCPRIM_400000_NS6detail17trampoline_kernelINS0_14default_configENS1_33run_length_encode_config_selectorIN3c104HalfEjNS0_4plusIjEEEEZZNS1_33reduce_by_key_impl_wrapped_configILNS1_25lookback_scan_determinismE0ES3_S9_PKS6_NS0_17constant_iteratorIjlEEPS6_PlSH_S8_NS0_8equal_toIS6_EEEE10hipError_tPvRmT2_T3_mT4_T5_T6_T7_T8_P12ihipStream_tbENKUlT_T0_E_clISt17integral_constantIbLb1EES11_EEDaSW_SX_EUlSW_E_NS1_11comp_targetILNS1_3genE2ELNS1_11target_archE906ELNS1_3gpuE6ELNS1_3repE0EEENS1_30default_config_static_selectorELNS0_4arch9wavefront6targetE0EEEvT1_.has_indirect_call, 0
	.section	.AMDGPU.csdata,"",@progbits
; Kernel info:
; codeLenInByte = 0
; TotalNumSgprs: 0
; NumVgprs: 0
; ScratchSize: 0
; MemoryBound: 0
; FloatMode: 240
; IeeeMode: 1
; LDSByteSize: 0 bytes/workgroup (compile time only)
; SGPRBlocks: 0
; VGPRBlocks: 0
; NumSGPRsForWavesPerEU: 1
; NumVGPRsForWavesPerEU: 1
; NamedBarCnt: 0
; Occupancy: 16
; WaveLimiterHint : 0
; COMPUTE_PGM_RSRC2:SCRATCH_EN: 0
; COMPUTE_PGM_RSRC2:USER_SGPR: 2
; COMPUTE_PGM_RSRC2:TRAP_HANDLER: 0
; COMPUTE_PGM_RSRC2:TGID_X_EN: 1
; COMPUTE_PGM_RSRC2:TGID_Y_EN: 0
; COMPUTE_PGM_RSRC2:TGID_Z_EN: 0
; COMPUTE_PGM_RSRC2:TIDIG_COMP_CNT: 0
	.section	.text._ZN7rocprim17ROCPRIM_400000_NS6detail17trampoline_kernelINS0_14default_configENS1_33run_length_encode_config_selectorIN3c104HalfEjNS0_4plusIjEEEEZZNS1_33reduce_by_key_impl_wrapped_configILNS1_25lookback_scan_determinismE0ES3_S9_PKS6_NS0_17constant_iteratorIjlEEPS6_PlSH_S8_NS0_8equal_toIS6_EEEE10hipError_tPvRmT2_T3_mT4_T5_T6_T7_T8_P12ihipStream_tbENKUlT_T0_E_clISt17integral_constantIbLb1EES11_EEDaSW_SX_EUlSW_E_NS1_11comp_targetILNS1_3genE10ELNS1_11target_archE1201ELNS1_3gpuE5ELNS1_3repE0EEENS1_30default_config_static_selectorELNS0_4arch9wavefront6targetE0EEEvT1_,"axG",@progbits,_ZN7rocprim17ROCPRIM_400000_NS6detail17trampoline_kernelINS0_14default_configENS1_33run_length_encode_config_selectorIN3c104HalfEjNS0_4plusIjEEEEZZNS1_33reduce_by_key_impl_wrapped_configILNS1_25lookback_scan_determinismE0ES3_S9_PKS6_NS0_17constant_iteratorIjlEEPS6_PlSH_S8_NS0_8equal_toIS6_EEEE10hipError_tPvRmT2_T3_mT4_T5_T6_T7_T8_P12ihipStream_tbENKUlT_T0_E_clISt17integral_constantIbLb1EES11_EEDaSW_SX_EUlSW_E_NS1_11comp_targetILNS1_3genE10ELNS1_11target_archE1201ELNS1_3gpuE5ELNS1_3repE0EEENS1_30default_config_static_selectorELNS0_4arch9wavefront6targetE0EEEvT1_,comdat
	.protected	_ZN7rocprim17ROCPRIM_400000_NS6detail17trampoline_kernelINS0_14default_configENS1_33run_length_encode_config_selectorIN3c104HalfEjNS0_4plusIjEEEEZZNS1_33reduce_by_key_impl_wrapped_configILNS1_25lookback_scan_determinismE0ES3_S9_PKS6_NS0_17constant_iteratorIjlEEPS6_PlSH_S8_NS0_8equal_toIS6_EEEE10hipError_tPvRmT2_T3_mT4_T5_T6_T7_T8_P12ihipStream_tbENKUlT_T0_E_clISt17integral_constantIbLb1EES11_EEDaSW_SX_EUlSW_E_NS1_11comp_targetILNS1_3genE10ELNS1_11target_archE1201ELNS1_3gpuE5ELNS1_3repE0EEENS1_30default_config_static_selectorELNS0_4arch9wavefront6targetE0EEEvT1_ ; -- Begin function _ZN7rocprim17ROCPRIM_400000_NS6detail17trampoline_kernelINS0_14default_configENS1_33run_length_encode_config_selectorIN3c104HalfEjNS0_4plusIjEEEEZZNS1_33reduce_by_key_impl_wrapped_configILNS1_25lookback_scan_determinismE0ES3_S9_PKS6_NS0_17constant_iteratorIjlEEPS6_PlSH_S8_NS0_8equal_toIS6_EEEE10hipError_tPvRmT2_T3_mT4_T5_T6_T7_T8_P12ihipStream_tbENKUlT_T0_E_clISt17integral_constantIbLb1EES11_EEDaSW_SX_EUlSW_E_NS1_11comp_targetILNS1_3genE10ELNS1_11target_archE1201ELNS1_3gpuE5ELNS1_3repE0EEENS1_30default_config_static_selectorELNS0_4arch9wavefront6targetE0EEEvT1_
	.globl	_ZN7rocprim17ROCPRIM_400000_NS6detail17trampoline_kernelINS0_14default_configENS1_33run_length_encode_config_selectorIN3c104HalfEjNS0_4plusIjEEEEZZNS1_33reduce_by_key_impl_wrapped_configILNS1_25lookback_scan_determinismE0ES3_S9_PKS6_NS0_17constant_iteratorIjlEEPS6_PlSH_S8_NS0_8equal_toIS6_EEEE10hipError_tPvRmT2_T3_mT4_T5_T6_T7_T8_P12ihipStream_tbENKUlT_T0_E_clISt17integral_constantIbLb1EES11_EEDaSW_SX_EUlSW_E_NS1_11comp_targetILNS1_3genE10ELNS1_11target_archE1201ELNS1_3gpuE5ELNS1_3repE0EEENS1_30default_config_static_selectorELNS0_4arch9wavefront6targetE0EEEvT1_
	.p2align	8
	.type	_ZN7rocprim17ROCPRIM_400000_NS6detail17trampoline_kernelINS0_14default_configENS1_33run_length_encode_config_selectorIN3c104HalfEjNS0_4plusIjEEEEZZNS1_33reduce_by_key_impl_wrapped_configILNS1_25lookback_scan_determinismE0ES3_S9_PKS6_NS0_17constant_iteratorIjlEEPS6_PlSH_S8_NS0_8equal_toIS6_EEEE10hipError_tPvRmT2_T3_mT4_T5_T6_T7_T8_P12ihipStream_tbENKUlT_T0_E_clISt17integral_constantIbLb1EES11_EEDaSW_SX_EUlSW_E_NS1_11comp_targetILNS1_3genE10ELNS1_11target_archE1201ELNS1_3gpuE5ELNS1_3repE0EEENS1_30default_config_static_selectorELNS0_4arch9wavefront6targetE0EEEvT1_,@function
_ZN7rocprim17ROCPRIM_400000_NS6detail17trampoline_kernelINS0_14default_configENS1_33run_length_encode_config_selectorIN3c104HalfEjNS0_4plusIjEEEEZZNS1_33reduce_by_key_impl_wrapped_configILNS1_25lookback_scan_determinismE0ES3_S9_PKS6_NS0_17constant_iteratorIjlEEPS6_PlSH_S8_NS0_8equal_toIS6_EEEE10hipError_tPvRmT2_T3_mT4_T5_T6_T7_T8_P12ihipStream_tbENKUlT_T0_E_clISt17integral_constantIbLb1EES11_EEDaSW_SX_EUlSW_E_NS1_11comp_targetILNS1_3genE10ELNS1_11target_archE1201ELNS1_3gpuE5ELNS1_3repE0EEENS1_30default_config_static_selectorELNS0_4arch9wavefront6targetE0EEEvT1_: ; @_ZN7rocprim17ROCPRIM_400000_NS6detail17trampoline_kernelINS0_14default_configENS1_33run_length_encode_config_selectorIN3c104HalfEjNS0_4plusIjEEEEZZNS1_33reduce_by_key_impl_wrapped_configILNS1_25lookback_scan_determinismE0ES3_S9_PKS6_NS0_17constant_iteratorIjlEEPS6_PlSH_S8_NS0_8equal_toIS6_EEEE10hipError_tPvRmT2_T3_mT4_T5_T6_T7_T8_P12ihipStream_tbENKUlT_T0_E_clISt17integral_constantIbLb1EES11_EEDaSW_SX_EUlSW_E_NS1_11comp_targetILNS1_3genE10ELNS1_11target_archE1201ELNS1_3gpuE5ELNS1_3repE0EEENS1_30default_config_static_selectorELNS0_4arch9wavefront6targetE0EEEvT1_
; %bb.0:
	.section	.rodata,"a",@progbits
	.p2align	6, 0x0
	.amdhsa_kernel _ZN7rocprim17ROCPRIM_400000_NS6detail17trampoline_kernelINS0_14default_configENS1_33run_length_encode_config_selectorIN3c104HalfEjNS0_4plusIjEEEEZZNS1_33reduce_by_key_impl_wrapped_configILNS1_25lookback_scan_determinismE0ES3_S9_PKS6_NS0_17constant_iteratorIjlEEPS6_PlSH_S8_NS0_8equal_toIS6_EEEE10hipError_tPvRmT2_T3_mT4_T5_T6_T7_T8_P12ihipStream_tbENKUlT_T0_E_clISt17integral_constantIbLb1EES11_EEDaSW_SX_EUlSW_E_NS1_11comp_targetILNS1_3genE10ELNS1_11target_archE1201ELNS1_3gpuE5ELNS1_3repE0EEENS1_30default_config_static_selectorELNS0_4arch9wavefront6targetE0EEEvT1_
		.amdhsa_group_segment_fixed_size 0
		.amdhsa_private_segment_fixed_size 0
		.amdhsa_kernarg_size 128
		.amdhsa_user_sgpr_count 2
		.amdhsa_user_sgpr_dispatch_ptr 0
		.amdhsa_user_sgpr_queue_ptr 0
		.amdhsa_user_sgpr_kernarg_segment_ptr 1
		.amdhsa_user_sgpr_dispatch_id 0
		.amdhsa_user_sgpr_kernarg_preload_length 0
		.amdhsa_user_sgpr_kernarg_preload_offset 0
		.amdhsa_user_sgpr_private_segment_size 0
		.amdhsa_wavefront_size32 1
		.amdhsa_uses_dynamic_stack 0
		.amdhsa_enable_private_segment 0
		.amdhsa_system_sgpr_workgroup_id_x 1
		.amdhsa_system_sgpr_workgroup_id_y 0
		.amdhsa_system_sgpr_workgroup_id_z 0
		.amdhsa_system_sgpr_workgroup_info 0
		.amdhsa_system_vgpr_workitem_id 0
		.amdhsa_next_free_vgpr 1
		.amdhsa_next_free_sgpr 1
		.amdhsa_named_barrier_count 0
		.amdhsa_reserve_vcc 0
		.amdhsa_float_round_mode_32 0
		.amdhsa_float_round_mode_16_64 0
		.amdhsa_float_denorm_mode_32 3
		.amdhsa_float_denorm_mode_16_64 3
		.amdhsa_fp16_overflow 0
		.amdhsa_memory_ordered 1
		.amdhsa_forward_progress 1
		.amdhsa_inst_pref_size 0
		.amdhsa_round_robin_scheduling 0
		.amdhsa_exception_fp_ieee_invalid_op 0
		.amdhsa_exception_fp_denorm_src 0
		.amdhsa_exception_fp_ieee_div_zero 0
		.amdhsa_exception_fp_ieee_overflow 0
		.amdhsa_exception_fp_ieee_underflow 0
		.amdhsa_exception_fp_ieee_inexact 0
		.amdhsa_exception_int_div_zero 0
	.end_amdhsa_kernel
	.section	.text._ZN7rocprim17ROCPRIM_400000_NS6detail17trampoline_kernelINS0_14default_configENS1_33run_length_encode_config_selectorIN3c104HalfEjNS0_4plusIjEEEEZZNS1_33reduce_by_key_impl_wrapped_configILNS1_25lookback_scan_determinismE0ES3_S9_PKS6_NS0_17constant_iteratorIjlEEPS6_PlSH_S8_NS0_8equal_toIS6_EEEE10hipError_tPvRmT2_T3_mT4_T5_T6_T7_T8_P12ihipStream_tbENKUlT_T0_E_clISt17integral_constantIbLb1EES11_EEDaSW_SX_EUlSW_E_NS1_11comp_targetILNS1_3genE10ELNS1_11target_archE1201ELNS1_3gpuE5ELNS1_3repE0EEENS1_30default_config_static_selectorELNS0_4arch9wavefront6targetE0EEEvT1_,"axG",@progbits,_ZN7rocprim17ROCPRIM_400000_NS6detail17trampoline_kernelINS0_14default_configENS1_33run_length_encode_config_selectorIN3c104HalfEjNS0_4plusIjEEEEZZNS1_33reduce_by_key_impl_wrapped_configILNS1_25lookback_scan_determinismE0ES3_S9_PKS6_NS0_17constant_iteratorIjlEEPS6_PlSH_S8_NS0_8equal_toIS6_EEEE10hipError_tPvRmT2_T3_mT4_T5_T6_T7_T8_P12ihipStream_tbENKUlT_T0_E_clISt17integral_constantIbLb1EES11_EEDaSW_SX_EUlSW_E_NS1_11comp_targetILNS1_3genE10ELNS1_11target_archE1201ELNS1_3gpuE5ELNS1_3repE0EEENS1_30default_config_static_selectorELNS0_4arch9wavefront6targetE0EEEvT1_,comdat
.Lfunc_end939:
	.size	_ZN7rocprim17ROCPRIM_400000_NS6detail17trampoline_kernelINS0_14default_configENS1_33run_length_encode_config_selectorIN3c104HalfEjNS0_4plusIjEEEEZZNS1_33reduce_by_key_impl_wrapped_configILNS1_25lookback_scan_determinismE0ES3_S9_PKS6_NS0_17constant_iteratorIjlEEPS6_PlSH_S8_NS0_8equal_toIS6_EEEE10hipError_tPvRmT2_T3_mT4_T5_T6_T7_T8_P12ihipStream_tbENKUlT_T0_E_clISt17integral_constantIbLb1EES11_EEDaSW_SX_EUlSW_E_NS1_11comp_targetILNS1_3genE10ELNS1_11target_archE1201ELNS1_3gpuE5ELNS1_3repE0EEENS1_30default_config_static_selectorELNS0_4arch9wavefront6targetE0EEEvT1_, .Lfunc_end939-_ZN7rocprim17ROCPRIM_400000_NS6detail17trampoline_kernelINS0_14default_configENS1_33run_length_encode_config_selectorIN3c104HalfEjNS0_4plusIjEEEEZZNS1_33reduce_by_key_impl_wrapped_configILNS1_25lookback_scan_determinismE0ES3_S9_PKS6_NS0_17constant_iteratorIjlEEPS6_PlSH_S8_NS0_8equal_toIS6_EEEE10hipError_tPvRmT2_T3_mT4_T5_T6_T7_T8_P12ihipStream_tbENKUlT_T0_E_clISt17integral_constantIbLb1EES11_EEDaSW_SX_EUlSW_E_NS1_11comp_targetILNS1_3genE10ELNS1_11target_archE1201ELNS1_3gpuE5ELNS1_3repE0EEENS1_30default_config_static_selectorELNS0_4arch9wavefront6targetE0EEEvT1_
                                        ; -- End function
	.set _ZN7rocprim17ROCPRIM_400000_NS6detail17trampoline_kernelINS0_14default_configENS1_33run_length_encode_config_selectorIN3c104HalfEjNS0_4plusIjEEEEZZNS1_33reduce_by_key_impl_wrapped_configILNS1_25lookback_scan_determinismE0ES3_S9_PKS6_NS0_17constant_iteratorIjlEEPS6_PlSH_S8_NS0_8equal_toIS6_EEEE10hipError_tPvRmT2_T3_mT4_T5_T6_T7_T8_P12ihipStream_tbENKUlT_T0_E_clISt17integral_constantIbLb1EES11_EEDaSW_SX_EUlSW_E_NS1_11comp_targetILNS1_3genE10ELNS1_11target_archE1201ELNS1_3gpuE5ELNS1_3repE0EEENS1_30default_config_static_selectorELNS0_4arch9wavefront6targetE0EEEvT1_.num_vgpr, 0
	.set _ZN7rocprim17ROCPRIM_400000_NS6detail17trampoline_kernelINS0_14default_configENS1_33run_length_encode_config_selectorIN3c104HalfEjNS0_4plusIjEEEEZZNS1_33reduce_by_key_impl_wrapped_configILNS1_25lookback_scan_determinismE0ES3_S9_PKS6_NS0_17constant_iteratorIjlEEPS6_PlSH_S8_NS0_8equal_toIS6_EEEE10hipError_tPvRmT2_T3_mT4_T5_T6_T7_T8_P12ihipStream_tbENKUlT_T0_E_clISt17integral_constantIbLb1EES11_EEDaSW_SX_EUlSW_E_NS1_11comp_targetILNS1_3genE10ELNS1_11target_archE1201ELNS1_3gpuE5ELNS1_3repE0EEENS1_30default_config_static_selectorELNS0_4arch9wavefront6targetE0EEEvT1_.num_agpr, 0
	.set _ZN7rocprim17ROCPRIM_400000_NS6detail17trampoline_kernelINS0_14default_configENS1_33run_length_encode_config_selectorIN3c104HalfEjNS0_4plusIjEEEEZZNS1_33reduce_by_key_impl_wrapped_configILNS1_25lookback_scan_determinismE0ES3_S9_PKS6_NS0_17constant_iteratorIjlEEPS6_PlSH_S8_NS0_8equal_toIS6_EEEE10hipError_tPvRmT2_T3_mT4_T5_T6_T7_T8_P12ihipStream_tbENKUlT_T0_E_clISt17integral_constantIbLb1EES11_EEDaSW_SX_EUlSW_E_NS1_11comp_targetILNS1_3genE10ELNS1_11target_archE1201ELNS1_3gpuE5ELNS1_3repE0EEENS1_30default_config_static_selectorELNS0_4arch9wavefront6targetE0EEEvT1_.numbered_sgpr, 0
	.set _ZN7rocprim17ROCPRIM_400000_NS6detail17trampoline_kernelINS0_14default_configENS1_33run_length_encode_config_selectorIN3c104HalfEjNS0_4plusIjEEEEZZNS1_33reduce_by_key_impl_wrapped_configILNS1_25lookback_scan_determinismE0ES3_S9_PKS6_NS0_17constant_iteratorIjlEEPS6_PlSH_S8_NS0_8equal_toIS6_EEEE10hipError_tPvRmT2_T3_mT4_T5_T6_T7_T8_P12ihipStream_tbENKUlT_T0_E_clISt17integral_constantIbLb1EES11_EEDaSW_SX_EUlSW_E_NS1_11comp_targetILNS1_3genE10ELNS1_11target_archE1201ELNS1_3gpuE5ELNS1_3repE0EEENS1_30default_config_static_selectorELNS0_4arch9wavefront6targetE0EEEvT1_.num_named_barrier, 0
	.set _ZN7rocprim17ROCPRIM_400000_NS6detail17trampoline_kernelINS0_14default_configENS1_33run_length_encode_config_selectorIN3c104HalfEjNS0_4plusIjEEEEZZNS1_33reduce_by_key_impl_wrapped_configILNS1_25lookback_scan_determinismE0ES3_S9_PKS6_NS0_17constant_iteratorIjlEEPS6_PlSH_S8_NS0_8equal_toIS6_EEEE10hipError_tPvRmT2_T3_mT4_T5_T6_T7_T8_P12ihipStream_tbENKUlT_T0_E_clISt17integral_constantIbLb1EES11_EEDaSW_SX_EUlSW_E_NS1_11comp_targetILNS1_3genE10ELNS1_11target_archE1201ELNS1_3gpuE5ELNS1_3repE0EEENS1_30default_config_static_selectorELNS0_4arch9wavefront6targetE0EEEvT1_.private_seg_size, 0
	.set _ZN7rocprim17ROCPRIM_400000_NS6detail17trampoline_kernelINS0_14default_configENS1_33run_length_encode_config_selectorIN3c104HalfEjNS0_4plusIjEEEEZZNS1_33reduce_by_key_impl_wrapped_configILNS1_25lookback_scan_determinismE0ES3_S9_PKS6_NS0_17constant_iteratorIjlEEPS6_PlSH_S8_NS0_8equal_toIS6_EEEE10hipError_tPvRmT2_T3_mT4_T5_T6_T7_T8_P12ihipStream_tbENKUlT_T0_E_clISt17integral_constantIbLb1EES11_EEDaSW_SX_EUlSW_E_NS1_11comp_targetILNS1_3genE10ELNS1_11target_archE1201ELNS1_3gpuE5ELNS1_3repE0EEENS1_30default_config_static_selectorELNS0_4arch9wavefront6targetE0EEEvT1_.uses_vcc, 0
	.set _ZN7rocprim17ROCPRIM_400000_NS6detail17trampoline_kernelINS0_14default_configENS1_33run_length_encode_config_selectorIN3c104HalfEjNS0_4plusIjEEEEZZNS1_33reduce_by_key_impl_wrapped_configILNS1_25lookback_scan_determinismE0ES3_S9_PKS6_NS0_17constant_iteratorIjlEEPS6_PlSH_S8_NS0_8equal_toIS6_EEEE10hipError_tPvRmT2_T3_mT4_T5_T6_T7_T8_P12ihipStream_tbENKUlT_T0_E_clISt17integral_constantIbLb1EES11_EEDaSW_SX_EUlSW_E_NS1_11comp_targetILNS1_3genE10ELNS1_11target_archE1201ELNS1_3gpuE5ELNS1_3repE0EEENS1_30default_config_static_selectorELNS0_4arch9wavefront6targetE0EEEvT1_.uses_flat_scratch, 0
	.set _ZN7rocprim17ROCPRIM_400000_NS6detail17trampoline_kernelINS0_14default_configENS1_33run_length_encode_config_selectorIN3c104HalfEjNS0_4plusIjEEEEZZNS1_33reduce_by_key_impl_wrapped_configILNS1_25lookback_scan_determinismE0ES3_S9_PKS6_NS0_17constant_iteratorIjlEEPS6_PlSH_S8_NS0_8equal_toIS6_EEEE10hipError_tPvRmT2_T3_mT4_T5_T6_T7_T8_P12ihipStream_tbENKUlT_T0_E_clISt17integral_constantIbLb1EES11_EEDaSW_SX_EUlSW_E_NS1_11comp_targetILNS1_3genE10ELNS1_11target_archE1201ELNS1_3gpuE5ELNS1_3repE0EEENS1_30default_config_static_selectorELNS0_4arch9wavefront6targetE0EEEvT1_.has_dyn_sized_stack, 0
	.set _ZN7rocprim17ROCPRIM_400000_NS6detail17trampoline_kernelINS0_14default_configENS1_33run_length_encode_config_selectorIN3c104HalfEjNS0_4plusIjEEEEZZNS1_33reduce_by_key_impl_wrapped_configILNS1_25lookback_scan_determinismE0ES3_S9_PKS6_NS0_17constant_iteratorIjlEEPS6_PlSH_S8_NS0_8equal_toIS6_EEEE10hipError_tPvRmT2_T3_mT4_T5_T6_T7_T8_P12ihipStream_tbENKUlT_T0_E_clISt17integral_constantIbLb1EES11_EEDaSW_SX_EUlSW_E_NS1_11comp_targetILNS1_3genE10ELNS1_11target_archE1201ELNS1_3gpuE5ELNS1_3repE0EEENS1_30default_config_static_selectorELNS0_4arch9wavefront6targetE0EEEvT1_.has_recursion, 0
	.set _ZN7rocprim17ROCPRIM_400000_NS6detail17trampoline_kernelINS0_14default_configENS1_33run_length_encode_config_selectorIN3c104HalfEjNS0_4plusIjEEEEZZNS1_33reduce_by_key_impl_wrapped_configILNS1_25lookback_scan_determinismE0ES3_S9_PKS6_NS0_17constant_iteratorIjlEEPS6_PlSH_S8_NS0_8equal_toIS6_EEEE10hipError_tPvRmT2_T3_mT4_T5_T6_T7_T8_P12ihipStream_tbENKUlT_T0_E_clISt17integral_constantIbLb1EES11_EEDaSW_SX_EUlSW_E_NS1_11comp_targetILNS1_3genE10ELNS1_11target_archE1201ELNS1_3gpuE5ELNS1_3repE0EEENS1_30default_config_static_selectorELNS0_4arch9wavefront6targetE0EEEvT1_.has_indirect_call, 0
	.section	.AMDGPU.csdata,"",@progbits
; Kernel info:
; codeLenInByte = 0
; TotalNumSgprs: 0
; NumVgprs: 0
; ScratchSize: 0
; MemoryBound: 0
; FloatMode: 240
; IeeeMode: 1
; LDSByteSize: 0 bytes/workgroup (compile time only)
; SGPRBlocks: 0
; VGPRBlocks: 0
; NumSGPRsForWavesPerEU: 1
; NumVGPRsForWavesPerEU: 1
; NamedBarCnt: 0
; Occupancy: 16
; WaveLimiterHint : 0
; COMPUTE_PGM_RSRC2:SCRATCH_EN: 0
; COMPUTE_PGM_RSRC2:USER_SGPR: 2
; COMPUTE_PGM_RSRC2:TRAP_HANDLER: 0
; COMPUTE_PGM_RSRC2:TGID_X_EN: 1
; COMPUTE_PGM_RSRC2:TGID_Y_EN: 0
; COMPUTE_PGM_RSRC2:TGID_Z_EN: 0
; COMPUTE_PGM_RSRC2:TIDIG_COMP_CNT: 0
	.section	.text._ZN7rocprim17ROCPRIM_400000_NS6detail17trampoline_kernelINS0_14default_configENS1_33run_length_encode_config_selectorIN3c104HalfEjNS0_4plusIjEEEEZZNS1_33reduce_by_key_impl_wrapped_configILNS1_25lookback_scan_determinismE0ES3_S9_PKS6_NS0_17constant_iteratorIjlEEPS6_PlSH_S8_NS0_8equal_toIS6_EEEE10hipError_tPvRmT2_T3_mT4_T5_T6_T7_T8_P12ihipStream_tbENKUlT_T0_E_clISt17integral_constantIbLb1EES11_EEDaSW_SX_EUlSW_E_NS1_11comp_targetILNS1_3genE10ELNS1_11target_archE1200ELNS1_3gpuE4ELNS1_3repE0EEENS1_30default_config_static_selectorELNS0_4arch9wavefront6targetE0EEEvT1_,"axG",@progbits,_ZN7rocprim17ROCPRIM_400000_NS6detail17trampoline_kernelINS0_14default_configENS1_33run_length_encode_config_selectorIN3c104HalfEjNS0_4plusIjEEEEZZNS1_33reduce_by_key_impl_wrapped_configILNS1_25lookback_scan_determinismE0ES3_S9_PKS6_NS0_17constant_iteratorIjlEEPS6_PlSH_S8_NS0_8equal_toIS6_EEEE10hipError_tPvRmT2_T3_mT4_T5_T6_T7_T8_P12ihipStream_tbENKUlT_T0_E_clISt17integral_constantIbLb1EES11_EEDaSW_SX_EUlSW_E_NS1_11comp_targetILNS1_3genE10ELNS1_11target_archE1200ELNS1_3gpuE4ELNS1_3repE0EEENS1_30default_config_static_selectorELNS0_4arch9wavefront6targetE0EEEvT1_,comdat
	.protected	_ZN7rocprim17ROCPRIM_400000_NS6detail17trampoline_kernelINS0_14default_configENS1_33run_length_encode_config_selectorIN3c104HalfEjNS0_4plusIjEEEEZZNS1_33reduce_by_key_impl_wrapped_configILNS1_25lookback_scan_determinismE0ES3_S9_PKS6_NS0_17constant_iteratorIjlEEPS6_PlSH_S8_NS0_8equal_toIS6_EEEE10hipError_tPvRmT2_T3_mT4_T5_T6_T7_T8_P12ihipStream_tbENKUlT_T0_E_clISt17integral_constantIbLb1EES11_EEDaSW_SX_EUlSW_E_NS1_11comp_targetILNS1_3genE10ELNS1_11target_archE1200ELNS1_3gpuE4ELNS1_3repE0EEENS1_30default_config_static_selectorELNS0_4arch9wavefront6targetE0EEEvT1_ ; -- Begin function _ZN7rocprim17ROCPRIM_400000_NS6detail17trampoline_kernelINS0_14default_configENS1_33run_length_encode_config_selectorIN3c104HalfEjNS0_4plusIjEEEEZZNS1_33reduce_by_key_impl_wrapped_configILNS1_25lookback_scan_determinismE0ES3_S9_PKS6_NS0_17constant_iteratorIjlEEPS6_PlSH_S8_NS0_8equal_toIS6_EEEE10hipError_tPvRmT2_T3_mT4_T5_T6_T7_T8_P12ihipStream_tbENKUlT_T0_E_clISt17integral_constantIbLb1EES11_EEDaSW_SX_EUlSW_E_NS1_11comp_targetILNS1_3genE10ELNS1_11target_archE1200ELNS1_3gpuE4ELNS1_3repE0EEENS1_30default_config_static_selectorELNS0_4arch9wavefront6targetE0EEEvT1_
	.globl	_ZN7rocprim17ROCPRIM_400000_NS6detail17trampoline_kernelINS0_14default_configENS1_33run_length_encode_config_selectorIN3c104HalfEjNS0_4plusIjEEEEZZNS1_33reduce_by_key_impl_wrapped_configILNS1_25lookback_scan_determinismE0ES3_S9_PKS6_NS0_17constant_iteratorIjlEEPS6_PlSH_S8_NS0_8equal_toIS6_EEEE10hipError_tPvRmT2_T3_mT4_T5_T6_T7_T8_P12ihipStream_tbENKUlT_T0_E_clISt17integral_constantIbLb1EES11_EEDaSW_SX_EUlSW_E_NS1_11comp_targetILNS1_3genE10ELNS1_11target_archE1200ELNS1_3gpuE4ELNS1_3repE0EEENS1_30default_config_static_selectorELNS0_4arch9wavefront6targetE0EEEvT1_
	.p2align	8
	.type	_ZN7rocprim17ROCPRIM_400000_NS6detail17trampoline_kernelINS0_14default_configENS1_33run_length_encode_config_selectorIN3c104HalfEjNS0_4plusIjEEEEZZNS1_33reduce_by_key_impl_wrapped_configILNS1_25lookback_scan_determinismE0ES3_S9_PKS6_NS0_17constant_iteratorIjlEEPS6_PlSH_S8_NS0_8equal_toIS6_EEEE10hipError_tPvRmT2_T3_mT4_T5_T6_T7_T8_P12ihipStream_tbENKUlT_T0_E_clISt17integral_constantIbLb1EES11_EEDaSW_SX_EUlSW_E_NS1_11comp_targetILNS1_3genE10ELNS1_11target_archE1200ELNS1_3gpuE4ELNS1_3repE0EEENS1_30default_config_static_selectorELNS0_4arch9wavefront6targetE0EEEvT1_,@function
_ZN7rocprim17ROCPRIM_400000_NS6detail17trampoline_kernelINS0_14default_configENS1_33run_length_encode_config_selectorIN3c104HalfEjNS0_4plusIjEEEEZZNS1_33reduce_by_key_impl_wrapped_configILNS1_25lookback_scan_determinismE0ES3_S9_PKS6_NS0_17constant_iteratorIjlEEPS6_PlSH_S8_NS0_8equal_toIS6_EEEE10hipError_tPvRmT2_T3_mT4_T5_T6_T7_T8_P12ihipStream_tbENKUlT_T0_E_clISt17integral_constantIbLb1EES11_EEDaSW_SX_EUlSW_E_NS1_11comp_targetILNS1_3genE10ELNS1_11target_archE1200ELNS1_3gpuE4ELNS1_3repE0EEENS1_30default_config_static_selectorELNS0_4arch9wavefront6targetE0EEEvT1_: ; @_ZN7rocprim17ROCPRIM_400000_NS6detail17trampoline_kernelINS0_14default_configENS1_33run_length_encode_config_selectorIN3c104HalfEjNS0_4plusIjEEEEZZNS1_33reduce_by_key_impl_wrapped_configILNS1_25lookback_scan_determinismE0ES3_S9_PKS6_NS0_17constant_iteratorIjlEEPS6_PlSH_S8_NS0_8equal_toIS6_EEEE10hipError_tPvRmT2_T3_mT4_T5_T6_T7_T8_P12ihipStream_tbENKUlT_T0_E_clISt17integral_constantIbLb1EES11_EEDaSW_SX_EUlSW_E_NS1_11comp_targetILNS1_3genE10ELNS1_11target_archE1200ELNS1_3gpuE4ELNS1_3repE0EEENS1_30default_config_static_selectorELNS0_4arch9wavefront6targetE0EEEvT1_
; %bb.0:
	.section	.rodata,"a",@progbits
	.p2align	6, 0x0
	.amdhsa_kernel _ZN7rocprim17ROCPRIM_400000_NS6detail17trampoline_kernelINS0_14default_configENS1_33run_length_encode_config_selectorIN3c104HalfEjNS0_4plusIjEEEEZZNS1_33reduce_by_key_impl_wrapped_configILNS1_25lookback_scan_determinismE0ES3_S9_PKS6_NS0_17constant_iteratorIjlEEPS6_PlSH_S8_NS0_8equal_toIS6_EEEE10hipError_tPvRmT2_T3_mT4_T5_T6_T7_T8_P12ihipStream_tbENKUlT_T0_E_clISt17integral_constantIbLb1EES11_EEDaSW_SX_EUlSW_E_NS1_11comp_targetILNS1_3genE10ELNS1_11target_archE1200ELNS1_3gpuE4ELNS1_3repE0EEENS1_30default_config_static_selectorELNS0_4arch9wavefront6targetE0EEEvT1_
		.amdhsa_group_segment_fixed_size 0
		.amdhsa_private_segment_fixed_size 0
		.amdhsa_kernarg_size 128
		.amdhsa_user_sgpr_count 2
		.amdhsa_user_sgpr_dispatch_ptr 0
		.amdhsa_user_sgpr_queue_ptr 0
		.amdhsa_user_sgpr_kernarg_segment_ptr 1
		.amdhsa_user_sgpr_dispatch_id 0
		.amdhsa_user_sgpr_kernarg_preload_length 0
		.amdhsa_user_sgpr_kernarg_preload_offset 0
		.amdhsa_user_sgpr_private_segment_size 0
		.amdhsa_wavefront_size32 1
		.amdhsa_uses_dynamic_stack 0
		.amdhsa_enable_private_segment 0
		.amdhsa_system_sgpr_workgroup_id_x 1
		.amdhsa_system_sgpr_workgroup_id_y 0
		.amdhsa_system_sgpr_workgroup_id_z 0
		.amdhsa_system_sgpr_workgroup_info 0
		.amdhsa_system_vgpr_workitem_id 0
		.amdhsa_next_free_vgpr 1
		.amdhsa_next_free_sgpr 1
		.amdhsa_named_barrier_count 0
		.amdhsa_reserve_vcc 0
		.amdhsa_float_round_mode_32 0
		.amdhsa_float_round_mode_16_64 0
		.amdhsa_float_denorm_mode_32 3
		.amdhsa_float_denorm_mode_16_64 3
		.amdhsa_fp16_overflow 0
		.amdhsa_memory_ordered 1
		.amdhsa_forward_progress 1
		.amdhsa_inst_pref_size 0
		.amdhsa_round_robin_scheduling 0
		.amdhsa_exception_fp_ieee_invalid_op 0
		.amdhsa_exception_fp_denorm_src 0
		.amdhsa_exception_fp_ieee_div_zero 0
		.amdhsa_exception_fp_ieee_overflow 0
		.amdhsa_exception_fp_ieee_underflow 0
		.amdhsa_exception_fp_ieee_inexact 0
		.amdhsa_exception_int_div_zero 0
	.end_amdhsa_kernel
	.section	.text._ZN7rocprim17ROCPRIM_400000_NS6detail17trampoline_kernelINS0_14default_configENS1_33run_length_encode_config_selectorIN3c104HalfEjNS0_4plusIjEEEEZZNS1_33reduce_by_key_impl_wrapped_configILNS1_25lookback_scan_determinismE0ES3_S9_PKS6_NS0_17constant_iteratorIjlEEPS6_PlSH_S8_NS0_8equal_toIS6_EEEE10hipError_tPvRmT2_T3_mT4_T5_T6_T7_T8_P12ihipStream_tbENKUlT_T0_E_clISt17integral_constantIbLb1EES11_EEDaSW_SX_EUlSW_E_NS1_11comp_targetILNS1_3genE10ELNS1_11target_archE1200ELNS1_3gpuE4ELNS1_3repE0EEENS1_30default_config_static_selectorELNS0_4arch9wavefront6targetE0EEEvT1_,"axG",@progbits,_ZN7rocprim17ROCPRIM_400000_NS6detail17trampoline_kernelINS0_14default_configENS1_33run_length_encode_config_selectorIN3c104HalfEjNS0_4plusIjEEEEZZNS1_33reduce_by_key_impl_wrapped_configILNS1_25lookback_scan_determinismE0ES3_S9_PKS6_NS0_17constant_iteratorIjlEEPS6_PlSH_S8_NS0_8equal_toIS6_EEEE10hipError_tPvRmT2_T3_mT4_T5_T6_T7_T8_P12ihipStream_tbENKUlT_T0_E_clISt17integral_constantIbLb1EES11_EEDaSW_SX_EUlSW_E_NS1_11comp_targetILNS1_3genE10ELNS1_11target_archE1200ELNS1_3gpuE4ELNS1_3repE0EEENS1_30default_config_static_selectorELNS0_4arch9wavefront6targetE0EEEvT1_,comdat
.Lfunc_end940:
	.size	_ZN7rocprim17ROCPRIM_400000_NS6detail17trampoline_kernelINS0_14default_configENS1_33run_length_encode_config_selectorIN3c104HalfEjNS0_4plusIjEEEEZZNS1_33reduce_by_key_impl_wrapped_configILNS1_25lookback_scan_determinismE0ES3_S9_PKS6_NS0_17constant_iteratorIjlEEPS6_PlSH_S8_NS0_8equal_toIS6_EEEE10hipError_tPvRmT2_T3_mT4_T5_T6_T7_T8_P12ihipStream_tbENKUlT_T0_E_clISt17integral_constantIbLb1EES11_EEDaSW_SX_EUlSW_E_NS1_11comp_targetILNS1_3genE10ELNS1_11target_archE1200ELNS1_3gpuE4ELNS1_3repE0EEENS1_30default_config_static_selectorELNS0_4arch9wavefront6targetE0EEEvT1_, .Lfunc_end940-_ZN7rocprim17ROCPRIM_400000_NS6detail17trampoline_kernelINS0_14default_configENS1_33run_length_encode_config_selectorIN3c104HalfEjNS0_4plusIjEEEEZZNS1_33reduce_by_key_impl_wrapped_configILNS1_25lookback_scan_determinismE0ES3_S9_PKS6_NS0_17constant_iteratorIjlEEPS6_PlSH_S8_NS0_8equal_toIS6_EEEE10hipError_tPvRmT2_T3_mT4_T5_T6_T7_T8_P12ihipStream_tbENKUlT_T0_E_clISt17integral_constantIbLb1EES11_EEDaSW_SX_EUlSW_E_NS1_11comp_targetILNS1_3genE10ELNS1_11target_archE1200ELNS1_3gpuE4ELNS1_3repE0EEENS1_30default_config_static_selectorELNS0_4arch9wavefront6targetE0EEEvT1_
                                        ; -- End function
	.set _ZN7rocprim17ROCPRIM_400000_NS6detail17trampoline_kernelINS0_14default_configENS1_33run_length_encode_config_selectorIN3c104HalfEjNS0_4plusIjEEEEZZNS1_33reduce_by_key_impl_wrapped_configILNS1_25lookback_scan_determinismE0ES3_S9_PKS6_NS0_17constant_iteratorIjlEEPS6_PlSH_S8_NS0_8equal_toIS6_EEEE10hipError_tPvRmT2_T3_mT4_T5_T6_T7_T8_P12ihipStream_tbENKUlT_T0_E_clISt17integral_constantIbLb1EES11_EEDaSW_SX_EUlSW_E_NS1_11comp_targetILNS1_3genE10ELNS1_11target_archE1200ELNS1_3gpuE4ELNS1_3repE0EEENS1_30default_config_static_selectorELNS0_4arch9wavefront6targetE0EEEvT1_.num_vgpr, 0
	.set _ZN7rocprim17ROCPRIM_400000_NS6detail17trampoline_kernelINS0_14default_configENS1_33run_length_encode_config_selectorIN3c104HalfEjNS0_4plusIjEEEEZZNS1_33reduce_by_key_impl_wrapped_configILNS1_25lookback_scan_determinismE0ES3_S9_PKS6_NS0_17constant_iteratorIjlEEPS6_PlSH_S8_NS0_8equal_toIS6_EEEE10hipError_tPvRmT2_T3_mT4_T5_T6_T7_T8_P12ihipStream_tbENKUlT_T0_E_clISt17integral_constantIbLb1EES11_EEDaSW_SX_EUlSW_E_NS1_11comp_targetILNS1_3genE10ELNS1_11target_archE1200ELNS1_3gpuE4ELNS1_3repE0EEENS1_30default_config_static_selectorELNS0_4arch9wavefront6targetE0EEEvT1_.num_agpr, 0
	.set _ZN7rocprim17ROCPRIM_400000_NS6detail17trampoline_kernelINS0_14default_configENS1_33run_length_encode_config_selectorIN3c104HalfEjNS0_4plusIjEEEEZZNS1_33reduce_by_key_impl_wrapped_configILNS1_25lookback_scan_determinismE0ES3_S9_PKS6_NS0_17constant_iteratorIjlEEPS6_PlSH_S8_NS0_8equal_toIS6_EEEE10hipError_tPvRmT2_T3_mT4_T5_T6_T7_T8_P12ihipStream_tbENKUlT_T0_E_clISt17integral_constantIbLb1EES11_EEDaSW_SX_EUlSW_E_NS1_11comp_targetILNS1_3genE10ELNS1_11target_archE1200ELNS1_3gpuE4ELNS1_3repE0EEENS1_30default_config_static_selectorELNS0_4arch9wavefront6targetE0EEEvT1_.numbered_sgpr, 0
	.set _ZN7rocprim17ROCPRIM_400000_NS6detail17trampoline_kernelINS0_14default_configENS1_33run_length_encode_config_selectorIN3c104HalfEjNS0_4plusIjEEEEZZNS1_33reduce_by_key_impl_wrapped_configILNS1_25lookback_scan_determinismE0ES3_S9_PKS6_NS0_17constant_iteratorIjlEEPS6_PlSH_S8_NS0_8equal_toIS6_EEEE10hipError_tPvRmT2_T3_mT4_T5_T6_T7_T8_P12ihipStream_tbENKUlT_T0_E_clISt17integral_constantIbLb1EES11_EEDaSW_SX_EUlSW_E_NS1_11comp_targetILNS1_3genE10ELNS1_11target_archE1200ELNS1_3gpuE4ELNS1_3repE0EEENS1_30default_config_static_selectorELNS0_4arch9wavefront6targetE0EEEvT1_.num_named_barrier, 0
	.set _ZN7rocprim17ROCPRIM_400000_NS6detail17trampoline_kernelINS0_14default_configENS1_33run_length_encode_config_selectorIN3c104HalfEjNS0_4plusIjEEEEZZNS1_33reduce_by_key_impl_wrapped_configILNS1_25lookback_scan_determinismE0ES3_S9_PKS6_NS0_17constant_iteratorIjlEEPS6_PlSH_S8_NS0_8equal_toIS6_EEEE10hipError_tPvRmT2_T3_mT4_T5_T6_T7_T8_P12ihipStream_tbENKUlT_T0_E_clISt17integral_constantIbLb1EES11_EEDaSW_SX_EUlSW_E_NS1_11comp_targetILNS1_3genE10ELNS1_11target_archE1200ELNS1_3gpuE4ELNS1_3repE0EEENS1_30default_config_static_selectorELNS0_4arch9wavefront6targetE0EEEvT1_.private_seg_size, 0
	.set _ZN7rocprim17ROCPRIM_400000_NS6detail17trampoline_kernelINS0_14default_configENS1_33run_length_encode_config_selectorIN3c104HalfEjNS0_4plusIjEEEEZZNS1_33reduce_by_key_impl_wrapped_configILNS1_25lookback_scan_determinismE0ES3_S9_PKS6_NS0_17constant_iteratorIjlEEPS6_PlSH_S8_NS0_8equal_toIS6_EEEE10hipError_tPvRmT2_T3_mT4_T5_T6_T7_T8_P12ihipStream_tbENKUlT_T0_E_clISt17integral_constantIbLb1EES11_EEDaSW_SX_EUlSW_E_NS1_11comp_targetILNS1_3genE10ELNS1_11target_archE1200ELNS1_3gpuE4ELNS1_3repE0EEENS1_30default_config_static_selectorELNS0_4arch9wavefront6targetE0EEEvT1_.uses_vcc, 0
	.set _ZN7rocprim17ROCPRIM_400000_NS6detail17trampoline_kernelINS0_14default_configENS1_33run_length_encode_config_selectorIN3c104HalfEjNS0_4plusIjEEEEZZNS1_33reduce_by_key_impl_wrapped_configILNS1_25lookback_scan_determinismE0ES3_S9_PKS6_NS0_17constant_iteratorIjlEEPS6_PlSH_S8_NS0_8equal_toIS6_EEEE10hipError_tPvRmT2_T3_mT4_T5_T6_T7_T8_P12ihipStream_tbENKUlT_T0_E_clISt17integral_constantIbLb1EES11_EEDaSW_SX_EUlSW_E_NS1_11comp_targetILNS1_3genE10ELNS1_11target_archE1200ELNS1_3gpuE4ELNS1_3repE0EEENS1_30default_config_static_selectorELNS0_4arch9wavefront6targetE0EEEvT1_.uses_flat_scratch, 0
	.set _ZN7rocprim17ROCPRIM_400000_NS6detail17trampoline_kernelINS0_14default_configENS1_33run_length_encode_config_selectorIN3c104HalfEjNS0_4plusIjEEEEZZNS1_33reduce_by_key_impl_wrapped_configILNS1_25lookback_scan_determinismE0ES3_S9_PKS6_NS0_17constant_iteratorIjlEEPS6_PlSH_S8_NS0_8equal_toIS6_EEEE10hipError_tPvRmT2_T3_mT4_T5_T6_T7_T8_P12ihipStream_tbENKUlT_T0_E_clISt17integral_constantIbLb1EES11_EEDaSW_SX_EUlSW_E_NS1_11comp_targetILNS1_3genE10ELNS1_11target_archE1200ELNS1_3gpuE4ELNS1_3repE0EEENS1_30default_config_static_selectorELNS0_4arch9wavefront6targetE0EEEvT1_.has_dyn_sized_stack, 0
	.set _ZN7rocprim17ROCPRIM_400000_NS6detail17trampoline_kernelINS0_14default_configENS1_33run_length_encode_config_selectorIN3c104HalfEjNS0_4plusIjEEEEZZNS1_33reduce_by_key_impl_wrapped_configILNS1_25lookback_scan_determinismE0ES3_S9_PKS6_NS0_17constant_iteratorIjlEEPS6_PlSH_S8_NS0_8equal_toIS6_EEEE10hipError_tPvRmT2_T3_mT4_T5_T6_T7_T8_P12ihipStream_tbENKUlT_T0_E_clISt17integral_constantIbLb1EES11_EEDaSW_SX_EUlSW_E_NS1_11comp_targetILNS1_3genE10ELNS1_11target_archE1200ELNS1_3gpuE4ELNS1_3repE0EEENS1_30default_config_static_selectorELNS0_4arch9wavefront6targetE0EEEvT1_.has_recursion, 0
	.set _ZN7rocprim17ROCPRIM_400000_NS6detail17trampoline_kernelINS0_14default_configENS1_33run_length_encode_config_selectorIN3c104HalfEjNS0_4plusIjEEEEZZNS1_33reduce_by_key_impl_wrapped_configILNS1_25lookback_scan_determinismE0ES3_S9_PKS6_NS0_17constant_iteratorIjlEEPS6_PlSH_S8_NS0_8equal_toIS6_EEEE10hipError_tPvRmT2_T3_mT4_T5_T6_T7_T8_P12ihipStream_tbENKUlT_T0_E_clISt17integral_constantIbLb1EES11_EEDaSW_SX_EUlSW_E_NS1_11comp_targetILNS1_3genE10ELNS1_11target_archE1200ELNS1_3gpuE4ELNS1_3repE0EEENS1_30default_config_static_selectorELNS0_4arch9wavefront6targetE0EEEvT1_.has_indirect_call, 0
	.section	.AMDGPU.csdata,"",@progbits
; Kernel info:
; codeLenInByte = 0
; TotalNumSgprs: 0
; NumVgprs: 0
; ScratchSize: 0
; MemoryBound: 0
; FloatMode: 240
; IeeeMode: 1
; LDSByteSize: 0 bytes/workgroup (compile time only)
; SGPRBlocks: 0
; VGPRBlocks: 0
; NumSGPRsForWavesPerEU: 1
; NumVGPRsForWavesPerEU: 1
; NamedBarCnt: 0
; Occupancy: 16
; WaveLimiterHint : 0
; COMPUTE_PGM_RSRC2:SCRATCH_EN: 0
; COMPUTE_PGM_RSRC2:USER_SGPR: 2
; COMPUTE_PGM_RSRC2:TRAP_HANDLER: 0
; COMPUTE_PGM_RSRC2:TGID_X_EN: 1
; COMPUTE_PGM_RSRC2:TGID_Y_EN: 0
; COMPUTE_PGM_RSRC2:TGID_Z_EN: 0
; COMPUTE_PGM_RSRC2:TIDIG_COMP_CNT: 0
	.section	.text._ZN7rocprim17ROCPRIM_400000_NS6detail17trampoline_kernelINS0_14default_configENS1_33run_length_encode_config_selectorIN3c104HalfEjNS0_4plusIjEEEEZZNS1_33reduce_by_key_impl_wrapped_configILNS1_25lookback_scan_determinismE0ES3_S9_PKS6_NS0_17constant_iteratorIjlEEPS6_PlSH_S8_NS0_8equal_toIS6_EEEE10hipError_tPvRmT2_T3_mT4_T5_T6_T7_T8_P12ihipStream_tbENKUlT_T0_E_clISt17integral_constantIbLb1EES11_EEDaSW_SX_EUlSW_E_NS1_11comp_targetILNS1_3genE9ELNS1_11target_archE1100ELNS1_3gpuE3ELNS1_3repE0EEENS1_30default_config_static_selectorELNS0_4arch9wavefront6targetE0EEEvT1_,"axG",@progbits,_ZN7rocprim17ROCPRIM_400000_NS6detail17trampoline_kernelINS0_14default_configENS1_33run_length_encode_config_selectorIN3c104HalfEjNS0_4plusIjEEEEZZNS1_33reduce_by_key_impl_wrapped_configILNS1_25lookback_scan_determinismE0ES3_S9_PKS6_NS0_17constant_iteratorIjlEEPS6_PlSH_S8_NS0_8equal_toIS6_EEEE10hipError_tPvRmT2_T3_mT4_T5_T6_T7_T8_P12ihipStream_tbENKUlT_T0_E_clISt17integral_constantIbLb1EES11_EEDaSW_SX_EUlSW_E_NS1_11comp_targetILNS1_3genE9ELNS1_11target_archE1100ELNS1_3gpuE3ELNS1_3repE0EEENS1_30default_config_static_selectorELNS0_4arch9wavefront6targetE0EEEvT1_,comdat
	.protected	_ZN7rocprim17ROCPRIM_400000_NS6detail17trampoline_kernelINS0_14default_configENS1_33run_length_encode_config_selectorIN3c104HalfEjNS0_4plusIjEEEEZZNS1_33reduce_by_key_impl_wrapped_configILNS1_25lookback_scan_determinismE0ES3_S9_PKS6_NS0_17constant_iteratorIjlEEPS6_PlSH_S8_NS0_8equal_toIS6_EEEE10hipError_tPvRmT2_T3_mT4_T5_T6_T7_T8_P12ihipStream_tbENKUlT_T0_E_clISt17integral_constantIbLb1EES11_EEDaSW_SX_EUlSW_E_NS1_11comp_targetILNS1_3genE9ELNS1_11target_archE1100ELNS1_3gpuE3ELNS1_3repE0EEENS1_30default_config_static_selectorELNS0_4arch9wavefront6targetE0EEEvT1_ ; -- Begin function _ZN7rocprim17ROCPRIM_400000_NS6detail17trampoline_kernelINS0_14default_configENS1_33run_length_encode_config_selectorIN3c104HalfEjNS0_4plusIjEEEEZZNS1_33reduce_by_key_impl_wrapped_configILNS1_25lookback_scan_determinismE0ES3_S9_PKS6_NS0_17constant_iteratorIjlEEPS6_PlSH_S8_NS0_8equal_toIS6_EEEE10hipError_tPvRmT2_T3_mT4_T5_T6_T7_T8_P12ihipStream_tbENKUlT_T0_E_clISt17integral_constantIbLb1EES11_EEDaSW_SX_EUlSW_E_NS1_11comp_targetILNS1_3genE9ELNS1_11target_archE1100ELNS1_3gpuE3ELNS1_3repE0EEENS1_30default_config_static_selectorELNS0_4arch9wavefront6targetE0EEEvT1_
	.globl	_ZN7rocprim17ROCPRIM_400000_NS6detail17trampoline_kernelINS0_14default_configENS1_33run_length_encode_config_selectorIN3c104HalfEjNS0_4plusIjEEEEZZNS1_33reduce_by_key_impl_wrapped_configILNS1_25lookback_scan_determinismE0ES3_S9_PKS6_NS0_17constant_iteratorIjlEEPS6_PlSH_S8_NS0_8equal_toIS6_EEEE10hipError_tPvRmT2_T3_mT4_T5_T6_T7_T8_P12ihipStream_tbENKUlT_T0_E_clISt17integral_constantIbLb1EES11_EEDaSW_SX_EUlSW_E_NS1_11comp_targetILNS1_3genE9ELNS1_11target_archE1100ELNS1_3gpuE3ELNS1_3repE0EEENS1_30default_config_static_selectorELNS0_4arch9wavefront6targetE0EEEvT1_
	.p2align	8
	.type	_ZN7rocprim17ROCPRIM_400000_NS6detail17trampoline_kernelINS0_14default_configENS1_33run_length_encode_config_selectorIN3c104HalfEjNS0_4plusIjEEEEZZNS1_33reduce_by_key_impl_wrapped_configILNS1_25lookback_scan_determinismE0ES3_S9_PKS6_NS0_17constant_iteratorIjlEEPS6_PlSH_S8_NS0_8equal_toIS6_EEEE10hipError_tPvRmT2_T3_mT4_T5_T6_T7_T8_P12ihipStream_tbENKUlT_T0_E_clISt17integral_constantIbLb1EES11_EEDaSW_SX_EUlSW_E_NS1_11comp_targetILNS1_3genE9ELNS1_11target_archE1100ELNS1_3gpuE3ELNS1_3repE0EEENS1_30default_config_static_selectorELNS0_4arch9wavefront6targetE0EEEvT1_,@function
_ZN7rocprim17ROCPRIM_400000_NS6detail17trampoline_kernelINS0_14default_configENS1_33run_length_encode_config_selectorIN3c104HalfEjNS0_4plusIjEEEEZZNS1_33reduce_by_key_impl_wrapped_configILNS1_25lookback_scan_determinismE0ES3_S9_PKS6_NS0_17constant_iteratorIjlEEPS6_PlSH_S8_NS0_8equal_toIS6_EEEE10hipError_tPvRmT2_T3_mT4_T5_T6_T7_T8_P12ihipStream_tbENKUlT_T0_E_clISt17integral_constantIbLb1EES11_EEDaSW_SX_EUlSW_E_NS1_11comp_targetILNS1_3genE9ELNS1_11target_archE1100ELNS1_3gpuE3ELNS1_3repE0EEENS1_30default_config_static_selectorELNS0_4arch9wavefront6targetE0EEEvT1_: ; @_ZN7rocprim17ROCPRIM_400000_NS6detail17trampoline_kernelINS0_14default_configENS1_33run_length_encode_config_selectorIN3c104HalfEjNS0_4plusIjEEEEZZNS1_33reduce_by_key_impl_wrapped_configILNS1_25lookback_scan_determinismE0ES3_S9_PKS6_NS0_17constant_iteratorIjlEEPS6_PlSH_S8_NS0_8equal_toIS6_EEEE10hipError_tPvRmT2_T3_mT4_T5_T6_T7_T8_P12ihipStream_tbENKUlT_T0_E_clISt17integral_constantIbLb1EES11_EEDaSW_SX_EUlSW_E_NS1_11comp_targetILNS1_3genE9ELNS1_11target_archE1100ELNS1_3gpuE3ELNS1_3repE0EEENS1_30default_config_static_selectorELNS0_4arch9wavefront6targetE0EEEvT1_
; %bb.0:
	.section	.rodata,"a",@progbits
	.p2align	6, 0x0
	.amdhsa_kernel _ZN7rocprim17ROCPRIM_400000_NS6detail17trampoline_kernelINS0_14default_configENS1_33run_length_encode_config_selectorIN3c104HalfEjNS0_4plusIjEEEEZZNS1_33reduce_by_key_impl_wrapped_configILNS1_25lookback_scan_determinismE0ES3_S9_PKS6_NS0_17constant_iteratorIjlEEPS6_PlSH_S8_NS0_8equal_toIS6_EEEE10hipError_tPvRmT2_T3_mT4_T5_T6_T7_T8_P12ihipStream_tbENKUlT_T0_E_clISt17integral_constantIbLb1EES11_EEDaSW_SX_EUlSW_E_NS1_11comp_targetILNS1_3genE9ELNS1_11target_archE1100ELNS1_3gpuE3ELNS1_3repE0EEENS1_30default_config_static_selectorELNS0_4arch9wavefront6targetE0EEEvT1_
		.amdhsa_group_segment_fixed_size 0
		.amdhsa_private_segment_fixed_size 0
		.amdhsa_kernarg_size 128
		.amdhsa_user_sgpr_count 2
		.amdhsa_user_sgpr_dispatch_ptr 0
		.amdhsa_user_sgpr_queue_ptr 0
		.amdhsa_user_sgpr_kernarg_segment_ptr 1
		.amdhsa_user_sgpr_dispatch_id 0
		.amdhsa_user_sgpr_kernarg_preload_length 0
		.amdhsa_user_sgpr_kernarg_preload_offset 0
		.amdhsa_user_sgpr_private_segment_size 0
		.amdhsa_wavefront_size32 1
		.amdhsa_uses_dynamic_stack 0
		.amdhsa_enable_private_segment 0
		.amdhsa_system_sgpr_workgroup_id_x 1
		.amdhsa_system_sgpr_workgroup_id_y 0
		.amdhsa_system_sgpr_workgroup_id_z 0
		.amdhsa_system_sgpr_workgroup_info 0
		.amdhsa_system_vgpr_workitem_id 0
		.amdhsa_next_free_vgpr 1
		.amdhsa_next_free_sgpr 1
		.amdhsa_named_barrier_count 0
		.amdhsa_reserve_vcc 0
		.amdhsa_float_round_mode_32 0
		.amdhsa_float_round_mode_16_64 0
		.amdhsa_float_denorm_mode_32 3
		.amdhsa_float_denorm_mode_16_64 3
		.amdhsa_fp16_overflow 0
		.amdhsa_memory_ordered 1
		.amdhsa_forward_progress 1
		.amdhsa_inst_pref_size 0
		.amdhsa_round_robin_scheduling 0
		.amdhsa_exception_fp_ieee_invalid_op 0
		.amdhsa_exception_fp_denorm_src 0
		.amdhsa_exception_fp_ieee_div_zero 0
		.amdhsa_exception_fp_ieee_overflow 0
		.amdhsa_exception_fp_ieee_underflow 0
		.amdhsa_exception_fp_ieee_inexact 0
		.amdhsa_exception_int_div_zero 0
	.end_amdhsa_kernel
	.section	.text._ZN7rocprim17ROCPRIM_400000_NS6detail17trampoline_kernelINS0_14default_configENS1_33run_length_encode_config_selectorIN3c104HalfEjNS0_4plusIjEEEEZZNS1_33reduce_by_key_impl_wrapped_configILNS1_25lookback_scan_determinismE0ES3_S9_PKS6_NS0_17constant_iteratorIjlEEPS6_PlSH_S8_NS0_8equal_toIS6_EEEE10hipError_tPvRmT2_T3_mT4_T5_T6_T7_T8_P12ihipStream_tbENKUlT_T0_E_clISt17integral_constantIbLb1EES11_EEDaSW_SX_EUlSW_E_NS1_11comp_targetILNS1_3genE9ELNS1_11target_archE1100ELNS1_3gpuE3ELNS1_3repE0EEENS1_30default_config_static_selectorELNS0_4arch9wavefront6targetE0EEEvT1_,"axG",@progbits,_ZN7rocprim17ROCPRIM_400000_NS6detail17trampoline_kernelINS0_14default_configENS1_33run_length_encode_config_selectorIN3c104HalfEjNS0_4plusIjEEEEZZNS1_33reduce_by_key_impl_wrapped_configILNS1_25lookback_scan_determinismE0ES3_S9_PKS6_NS0_17constant_iteratorIjlEEPS6_PlSH_S8_NS0_8equal_toIS6_EEEE10hipError_tPvRmT2_T3_mT4_T5_T6_T7_T8_P12ihipStream_tbENKUlT_T0_E_clISt17integral_constantIbLb1EES11_EEDaSW_SX_EUlSW_E_NS1_11comp_targetILNS1_3genE9ELNS1_11target_archE1100ELNS1_3gpuE3ELNS1_3repE0EEENS1_30default_config_static_selectorELNS0_4arch9wavefront6targetE0EEEvT1_,comdat
.Lfunc_end941:
	.size	_ZN7rocprim17ROCPRIM_400000_NS6detail17trampoline_kernelINS0_14default_configENS1_33run_length_encode_config_selectorIN3c104HalfEjNS0_4plusIjEEEEZZNS1_33reduce_by_key_impl_wrapped_configILNS1_25lookback_scan_determinismE0ES3_S9_PKS6_NS0_17constant_iteratorIjlEEPS6_PlSH_S8_NS0_8equal_toIS6_EEEE10hipError_tPvRmT2_T3_mT4_T5_T6_T7_T8_P12ihipStream_tbENKUlT_T0_E_clISt17integral_constantIbLb1EES11_EEDaSW_SX_EUlSW_E_NS1_11comp_targetILNS1_3genE9ELNS1_11target_archE1100ELNS1_3gpuE3ELNS1_3repE0EEENS1_30default_config_static_selectorELNS0_4arch9wavefront6targetE0EEEvT1_, .Lfunc_end941-_ZN7rocprim17ROCPRIM_400000_NS6detail17trampoline_kernelINS0_14default_configENS1_33run_length_encode_config_selectorIN3c104HalfEjNS0_4plusIjEEEEZZNS1_33reduce_by_key_impl_wrapped_configILNS1_25lookback_scan_determinismE0ES3_S9_PKS6_NS0_17constant_iteratorIjlEEPS6_PlSH_S8_NS0_8equal_toIS6_EEEE10hipError_tPvRmT2_T3_mT4_T5_T6_T7_T8_P12ihipStream_tbENKUlT_T0_E_clISt17integral_constantIbLb1EES11_EEDaSW_SX_EUlSW_E_NS1_11comp_targetILNS1_3genE9ELNS1_11target_archE1100ELNS1_3gpuE3ELNS1_3repE0EEENS1_30default_config_static_selectorELNS0_4arch9wavefront6targetE0EEEvT1_
                                        ; -- End function
	.set _ZN7rocprim17ROCPRIM_400000_NS6detail17trampoline_kernelINS0_14default_configENS1_33run_length_encode_config_selectorIN3c104HalfEjNS0_4plusIjEEEEZZNS1_33reduce_by_key_impl_wrapped_configILNS1_25lookback_scan_determinismE0ES3_S9_PKS6_NS0_17constant_iteratorIjlEEPS6_PlSH_S8_NS0_8equal_toIS6_EEEE10hipError_tPvRmT2_T3_mT4_T5_T6_T7_T8_P12ihipStream_tbENKUlT_T0_E_clISt17integral_constantIbLb1EES11_EEDaSW_SX_EUlSW_E_NS1_11comp_targetILNS1_3genE9ELNS1_11target_archE1100ELNS1_3gpuE3ELNS1_3repE0EEENS1_30default_config_static_selectorELNS0_4arch9wavefront6targetE0EEEvT1_.num_vgpr, 0
	.set _ZN7rocprim17ROCPRIM_400000_NS6detail17trampoline_kernelINS0_14default_configENS1_33run_length_encode_config_selectorIN3c104HalfEjNS0_4plusIjEEEEZZNS1_33reduce_by_key_impl_wrapped_configILNS1_25lookback_scan_determinismE0ES3_S9_PKS6_NS0_17constant_iteratorIjlEEPS6_PlSH_S8_NS0_8equal_toIS6_EEEE10hipError_tPvRmT2_T3_mT4_T5_T6_T7_T8_P12ihipStream_tbENKUlT_T0_E_clISt17integral_constantIbLb1EES11_EEDaSW_SX_EUlSW_E_NS1_11comp_targetILNS1_3genE9ELNS1_11target_archE1100ELNS1_3gpuE3ELNS1_3repE0EEENS1_30default_config_static_selectorELNS0_4arch9wavefront6targetE0EEEvT1_.num_agpr, 0
	.set _ZN7rocprim17ROCPRIM_400000_NS6detail17trampoline_kernelINS0_14default_configENS1_33run_length_encode_config_selectorIN3c104HalfEjNS0_4plusIjEEEEZZNS1_33reduce_by_key_impl_wrapped_configILNS1_25lookback_scan_determinismE0ES3_S9_PKS6_NS0_17constant_iteratorIjlEEPS6_PlSH_S8_NS0_8equal_toIS6_EEEE10hipError_tPvRmT2_T3_mT4_T5_T6_T7_T8_P12ihipStream_tbENKUlT_T0_E_clISt17integral_constantIbLb1EES11_EEDaSW_SX_EUlSW_E_NS1_11comp_targetILNS1_3genE9ELNS1_11target_archE1100ELNS1_3gpuE3ELNS1_3repE0EEENS1_30default_config_static_selectorELNS0_4arch9wavefront6targetE0EEEvT1_.numbered_sgpr, 0
	.set _ZN7rocprim17ROCPRIM_400000_NS6detail17trampoline_kernelINS0_14default_configENS1_33run_length_encode_config_selectorIN3c104HalfEjNS0_4plusIjEEEEZZNS1_33reduce_by_key_impl_wrapped_configILNS1_25lookback_scan_determinismE0ES3_S9_PKS6_NS0_17constant_iteratorIjlEEPS6_PlSH_S8_NS0_8equal_toIS6_EEEE10hipError_tPvRmT2_T3_mT4_T5_T6_T7_T8_P12ihipStream_tbENKUlT_T0_E_clISt17integral_constantIbLb1EES11_EEDaSW_SX_EUlSW_E_NS1_11comp_targetILNS1_3genE9ELNS1_11target_archE1100ELNS1_3gpuE3ELNS1_3repE0EEENS1_30default_config_static_selectorELNS0_4arch9wavefront6targetE0EEEvT1_.num_named_barrier, 0
	.set _ZN7rocprim17ROCPRIM_400000_NS6detail17trampoline_kernelINS0_14default_configENS1_33run_length_encode_config_selectorIN3c104HalfEjNS0_4plusIjEEEEZZNS1_33reduce_by_key_impl_wrapped_configILNS1_25lookback_scan_determinismE0ES3_S9_PKS6_NS0_17constant_iteratorIjlEEPS6_PlSH_S8_NS0_8equal_toIS6_EEEE10hipError_tPvRmT2_T3_mT4_T5_T6_T7_T8_P12ihipStream_tbENKUlT_T0_E_clISt17integral_constantIbLb1EES11_EEDaSW_SX_EUlSW_E_NS1_11comp_targetILNS1_3genE9ELNS1_11target_archE1100ELNS1_3gpuE3ELNS1_3repE0EEENS1_30default_config_static_selectorELNS0_4arch9wavefront6targetE0EEEvT1_.private_seg_size, 0
	.set _ZN7rocprim17ROCPRIM_400000_NS6detail17trampoline_kernelINS0_14default_configENS1_33run_length_encode_config_selectorIN3c104HalfEjNS0_4plusIjEEEEZZNS1_33reduce_by_key_impl_wrapped_configILNS1_25lookback_scan_determinismE0ES3_S9_PKS6_NS0_17constant_iteratorIjlEEPS6_PlSH_S8_NS0_8equal_toIS6_EEEE10hipError_tPvRmT2_T3_mT4_T5_T6_T7_T8_P12ihipStream_tbENKUlT_T0_E_clISt17integral_constantIbLb1EES11_EEDaSW_SX_EUlSW_E_NS1_11comp_targetILNS1_3genE9ELNS1_11target_archE1100ELNS1_3gpuE3ELNS1_3repE0EEENS1_30default_config_static_selectorELNS0_4arch9wavefront6targetE0EEEvT1_.uses_vcc, 0
	.set _ZN7rocprim17ROCPRIM_400000_NS6detail17trampoline_kernelINS0_14default_configENS1_33run_length_encode_config_selectorIN3c104HalfEjNS0_4plusIjEEEEZZNS1_33reduce_by_key_impl_wrapped_configILNS1_25lookback_scan_determinismE0ES3_S9_PKS6_NS0_17constant_iteratorIjlEEPS6_PlSH_S8_NS0_8equal_toIS6_EEEE10hipError_tPvRmT2_T3_mT4_T5_T6_T7_T8_P12ihipStream_tbENKUlT_T0_E_clISt17integral_constantIbLb1EES11_EEDaSW_SX_EUlSW_E_NS1_11comp_targetILNS1_3genE9ELNS1_11target_archE1100ELNS1_3gpuE3ELNS1_3repE0EEENS1_30default_config_static_selectorELNS0_4arch9wavefront6targetE0EEEvT1_.uses_flat_scratch, 0
	.set _ZN7rocprim17ROCPRIM_400000_NS6detail17trampoline_kernelINS0_14default_configENS1_33run_length_encode_config_selectorIN3c104HalfEjNS0_4plusIjEEEEZZNS1_33reduce_by_key_impl_wrapped_configILNS1_25lookback_scan_determinismE0ES3_S9_PKS6_NS0_17constant_iteratorIjlEEPS6_PlSH_S8_NS0_8equal_toIS6_EEEE10hipError_tPvRmT2_T3_mT4_T5_T6_T7_T8_P12ihipStream_tbENKUlT_T0_E_clISt17integral_constantIbLb1EES11_EEDaSW_SX_EUlSW_E_NS1_11comp_targetILNS1_3genE9ELNS1_11target_archE1100ELNS1_3gpuE3ELNS1_3repE0EEENS1_30default_config_static_selectorELNS0_4arch9wavefront6targetE0EEEvT1_.has_dyn_sized_stack, 0
	.set _ZN7rocprim17ROCPRIM_400000_NS6detail17trampoline_kernelINS0_14default_configENS1_33run_length_encode_config_selectorIN3c104HalfEjNS0_4plusIjEEEEZZNS1_33reduce_by_key_impl_wrapped_configILNS1_25lookback_scan_determinismE0ES3_S9_PKS6_NS0_17constant_iteratorIjlEEPS6_PlSH_S8_NS0_8equal_toIS6_EEEE10hipError_tPvRmT2_T3_mT4_T5_T6_T7_T8_P12ihipStream_tbENKUlT_T0_E_clISt17integral_constantIbLb1EES11_EEDaSW_SX_EUlSW_E_NS1_11comp_targetILNS1_3genE9ELNS1_11target_archE1100ELNS1_3gpuE3ELNS1_3repE0EEENS1_30default_config_static_selectorELNS0_4arch9wavefront6targetE0EEEvT1_.has_recursion, 0
	.set _ZN7rocprim17ROCPRIM_400000_NS6detail17trampoline_kernelINS0_14default_configENS1_33run_length_encode_config_selectorIN3c104HalfEjNS0_4plusIjEEEEZZNS1_33reduce_by_key_impl_wrapped_configILNS1_25lookback_scan_determinismE0ES3_S9_PKS6_NS0_17constant_iteratorIjlEEPS6_PlSH_S8_NS0_8equal_toIS6_EEEE10hipError_tPvRmT2_T3_mT4_T5_T6_T7_T8_P12ihipStream_tbENKUlT_T0_E_clISt17integral_constantIbLb1EES11_EEDaSW_SX_EUlSW_E_NS1_11comp_targetILNS1_3genE9ELNS1_11target_archE1100ELNS1_3gpuE3ELNS1_3repE0EEENS1_30default_config_static_selectorELNS0_4arch9wavefront6targetE0EEEvT1_.has_indirect_call, 0
	.section	.AMDGPU.csdata,"",@progbits
; Kernel info:
; codeLenInByte = 0
; TotalNumSgprs: 0
; NumVgprs: 0
; ScratchSize: 0
; MemoryBound: 0
; FloatMode: 240
; IeeeMode: 1
; LDSByteSize: 0 bytes/workgroup (compile time only)
; SGPRBlocks: 0
; VGPRBlocks: 0
; NumSGPRsForWavesPerEU: 1
; NumVGPRsForWavesPerEU: 1
; NamedBarCnt: 0
; Occupancy: 16
; WaveLimiterHint : 0
; COMPUTE_PGM_RSRC2:SCRATCH_EN: 0
; COMPUTE_PGM_RSRC2:USER_SGPR: 2
; COMPUTE_PGM_RSRC2:TRAP_HANDLER: 0
; COMPUTE_PGM_RSRC2:TGID_X_EN: 1
; COMPUTE_PGM_RSRC2:TGID_Y_EN: 0
; COMPUTE_PGM_RSRC2:TGID_Z_EN: 0
; COMPUTE_PGM_RSRC2:TIDIG_COMP_CNT: 0
	.section	.text._ZN7rocprim17ROCPRIM_400000_NS6detail17trampoline_kernelINS0_14default_configENS1_33run_length_encode_config_selectorIN3c104HalfEjNS0_4plusIjEEEEZZNS1_33reduce_by_key_impl_wrapped_configILNS1_25lookback_scan_determinismE0ES3_S9_PKS6_NS0_17constant_iteratorIjlEEPS6_PlSH_S8_NS0_8equal_toIS6_EEEE10hipError_tPvRmT2_T3_mT4_T5_T6_T7_T8_P12ihipStream_tbENKUlT_T0_E_clISt17integral_constantIbLb1EES11_EEDaSW_SX_EUlSW_E_NS1_11comp_targetILNS1_3genE8ELNS1_11target_archE1030ELNS1_3gpuE2ELNS1_3repE0EEENS1_30default_config_static_selectorELNS0_4arch9wavefront6targetE0EEEvT1_,"axG",@progbits,_ZN7rocprim17ROCPRIM_400000_NS6detail17trampoline_kernelINS0_14default_configENS1_33run_length_encode_config_selectorIN3c104HalfEjNS0_4plusIjEEEEZZNS1_33reduce_by_key_impl_wrapped_configILNS1_25lookback_scan_determinismE0ES3_S9_PKS6_NS0_17constant_iteratorIjlEEPS6_PlSH_S8_NS0_8equal_toIS6_EEEE10hipError_tPvRmT2_T3_mT4_T5_T6_T7_T8_P12ihipStream_tbENKUlT_T0_E_clISt17integral_constantIbLb1EES11_EEDaSW_SX_EUlSW_E_NS1_11comp_targetILNS1_3genE8ELNS1_11target_archE1030ELNS1_3gpuE2ELNS1_3repE0EEENS1_30default_config_static_selectorELNS0_4arch9wavefront6targetE0EEEvT1_,comdat
	.protected	_ZN7rocprim17ROCPRIM_400000_NS6detail17trampoline_kernelINS0_14default_configENS1_33run_length_encode_config_selectorIN3c104HalfEjNS0_4plusIjEEEEZZNS1_33reduce_by_key_impl_wrapped_configILNS1_25lookback_scan_determinismE0ES3_S9_PKS6_NS0_17constant_iteratorIjlEEPS6_PlSH_S8_NS0_8equal_toIS6_EEEE10hipError_tPvRmT2_T3_mT4_T5_T6_T7_T8_P12ihipStream_tbENKUlT_T0_E_clISt17integral_constantIbLb1EES11_EEDaSW_SX_EUlSW_E_NS1_11comp_targetILNS1_3genE8ELNS1_11target_archE1030ELNS1_3gpuE2ELNS1_3repE0EEENS1_30default_config_static_selectorELNS0_4arch9wavefront6targetE0EEEvT1_ ; -- Begin function _ZN7rocprim17ROCPRIM_400000_NS6detail17trampoline_kernelINS0_14default_configENS1_33run_length_encode_config_selectorIN3c104HalfEjNS0_4plusIjEEEEZZNS1_33reduce_by_key_impl_wrapped_configILNS1_25lookback_scan_determinismE0ES3_S9_PKS6_NS0_17constant_iteratorIjlEEPS6_PlSH_S8_NS0_8equal_toIS6_EEEE10hipError_tPvRmT2_T3_mT4_T5_T6_T7_T8_P12ihipStream_tbENKUlT_T0_E_clISt17integral_constantIbLb1EES11_EEDaSW_SX_EUlSW_E_NS1_11comp_targetILNS1_3genE8ELNS1_11target_archE1030ELNS1_3gpuE2ELNS1_3repE0EEENS1_30default_config_static_selectorELNS0_4arch9wavefront6targetE0EEEvT1_
	.globl	_ZN7rocprim17ROCPRIM_400000_NS6detail17trampoline_kernelINS0_14default_configENS1_33run_length_encode_config_selectorIN3c104HalfEjNS0_4plusIjEEEEZZNS1_33reduce_by_key_impl_wrapped_configILNS1_25lookback_scan_determinismE0ES3_S9_PKS6_NS0_17constant_iteratorIjlEEPS6_PlSH_S8_NS0_8equal_toIS6_EEEE10hipError_tPvRmT2_T3_mT4_T5_T6_T7_T8_P12ihipStream_tbENKUlT_T0_E_clISt17integral_constantIbLb1EES11_EEDaSW_SX_EUlSW_E_NS1_11comp_targetILNS1_3genE8ELNS1_11target_archE1030ELNS1_3gpuE2ELNS1_3repE0EEENS1_30default_config_static_selectorELNS0_4arch9wavefront6targetE0EEEvT1_
	.p2align	8
	.type	_ZN7rocprim17ROCPRIM_400000_NS6detail17trampoline_kernelINS0_14default_configENS1_33run_length_encode_config_selectorIN3c104HalfEjNS0_4plusIjEEEEZZNS1_33reduce_by_key_impl_wrapped_configILNS1_25lookback_scan_determinismE0ES3_S9_PKS6_NS0_17constant_iteratorIjlEEPS6_PlSH_S8_NS0_8equal_toIS6_EEEE10hipError_tPvRmT2_T3_mT4_T5_T6_T7_T8_P12ihipStream_tbENKUlT_T0_E_clISt17integral_constantIbLb1EES11_EEDaSW_SX_EUlSW_E_NS1_11comp_targetILNS1_3genE8ELNS1_11target_archE1030ELNS1_3gpuE2ELNS1_3repE0EEENS1_30default_config_static_selectorELNS0_4arch9wavefront6targetE0EEEvT1_,@function
_ZN7rocprim17ROCPRIM_400000_NS6detail17trampoline_kernelINS0_14default_configENS1_33run_length_encode_config_selectorIN3c104HalfEjNS0_4plusIjEEEEZZNS1_33reduce_by_key_impl_wrapped_configILNS1_25lookback_scan_determinismE0ES3_S9_PKS6_NS0_17constant_iteratorIjlEEPS6_PlSH_S8_NS0_8equal_toIS6_EEEE10hipError_tPvRmT2_T3_mT4_T5_T6_T7_T8_P12ihipStream_tbENKUlT_T0_E_clISt17integral_constantIbLb1EES11_EEDaSW_SX_EUlSW_E_NS1_11comp_targetILNS1_3genE8ELNS1_11target_archE1030ELNS1_3gpuE2ELNS1_3repE0EEENS1_30default_config_static_selectorELNS0_4arch9wavefront6targetE0EEEvT1_: ; @_ZN7rocprim17ROCPRIM_400000_NS6detail17trampoline_kernelINS0_14default_configENS1_33run_length_encode_config_selectorIN3c104HalfEjNS0_4plusIjEEEEZZNS1_33reduce_by_key_impl_wrapped_configILNS1_25lookback_scan_determinismE0ES3_S9_PKS6_NS0_17constant_iteratorIjlEEPS6_PlSH_S8_NS0_8equal_toIS6_EEEE10hipError_tPvRmT2_T3_mT4_T5_T6_T7_T8_P12ihipStream_tbENKUlT_T0_E_clISt17integral_constantIbLb1EES11_EEDaSW_SX_EUlSW_E_NS1_11comp_targetILNS1_3genE8ELNS1_11target_archE1030ELNS1_3gpuE2ELNS1_3repE0EEENS1_30default_config_static_selectorELNS0_4arch9wavefront6targetE0EEEvT1_
; %bb.0:
	.section	.rodata,"a",@progbits
	.p2align	6, 0x0
	.amdhsa_kernel _ZN7rocprim17ROCPRIM_400000_NS6detail17trampoline_kernelINS0_14default_configENS1_33run_length_encode_config_selectorIN3c104HalfEjNS0_4plusIjEEEEZZNS1_33reduce_by_key_impl_wrapped_configILNS1_25lookback_scan_determinismE0ES3_S9_PKS6_NS0_17constant_iteratorIjlEEPS6_PlSH_S8_NS0_8equal_toIS6_EEEE10hipError_tPvRmT2_T3_mT4_T5_T6_T7_T8_P12ihipStream_tbENKUlT_T0_E_clISt17integral_constantIbLb1EES11_EEDaSW_SX_EUlSW_E_NS1_11comp_targetILNS1_3genE8ELNS1_11target_archE1030ELNS1_3gpuE2ELNS1_3repE0EEENS1_30default_config_static_selectorELNS0_4arch9wavefront6targetE0EEEvT1_
		.amdhsa_group_segment_fixed_size 0
		.amdhsa_private_segment_fixed_size 0
		.amdhsa_kernarg_size 128
		.amdhsa_user_sgpr_count 2
		.amdhsa_user_sgpr_dispatch_ptr 0
		.amdhsa_user_sgpr_queue_ptr 0
		.amdhsa_user_sgpr_kernarg_segment_ptr 1
		.amdhsa_user_sgpr_dispatch_id 0
		.amdhsa_user_sgpr_kernarg_preload_length 0
		.amdhsa_user_sgpr_kernarg_preload_offset 0
		.amdhsa_user_sgpr_private_segment_size 0
		.amdhsa_wavefront_size32 1
		.amdhsa_uses_dynamic_stack 0
		.amdhsa_enable_private_segment 0
		.amdhsa_system_sgpr_workgroup_id_x 1
		.amdhsa_system_sgpr_workgroup_id_y 0
		.amdhsa_system_sgpr_workgroup_id_z 0
		.amdhsa_system_sgpr_workgroup_info 0
		.amdhsa_system_vgpr_workitem_id 0
		.amdhsa_next_free_vgpr 1
		.amdhsa_next_free_sgpr 1
		.amdhsa_named_barrier_count 0
		.amdhsa_reserve_vcc 0
		.amdhsa_float_round_mode_32 0
		.amdhsa_float_round_mode_16_64 0
		.amdhsa_float_denorm_mode_32 3
		.amdhsa_float_denorm_mode_16_64 3
		.amdhsa_fp16_overflow 0
		.amdhsa_memory_ordered 1
		.amdhsa_forward_progress 1
		.amdhsa_inst_pref_size 0
		.amdhsa_round_robin_scheduling 0
		.amdhsa_exception_fp_ieee_invalid_op 0
		.amdhsa_exception_fp_denorm_src 0
		.amdhsa_exception_fp_ieee_div_zero 0
		.amdhsa_exception_fp_ieee_overflow 0
		.amdhsa_exception_fp_ieee_underflow 0
		.amdhsa_exception_fp_ieee_inexact 0
		.amdhsa_exception_int_div_zero 0
	.end_amdhsa_kernel
	.section	.text._ZN7rocprim17ROCPRIM_400000_NS6detail17trampoline_kernelINS0_14default_configENS1_33run_length_encode_config_selectorIN3c104HalfEjNS0_4plusIjEEEEZZNS1_33reduce_by_key_impl_wrapped_configILNS1_25lookback_scan_determinismE0ES3_S9_PKS6_NS0_17constant_iteratorIjlEEPS6_PlSH_S8_NS0_8equal_toIS6_EEEE10hipError_tPvRmT2_T3_mT4_T5_T6_T7_T8_P12ihipStream_tbENKUlT_T0_E_clISt17integral_constantIbLb1EES11_EEDaSW_SX_EUlSW_E_NS1_11comp_targetILNS1_3genE8ELNS1_11target_archE1030ELNS1_3gpuE2ELNS1_3repE0EEENS1_30default_config_static_selectorELNS0_4arch9wavefront6targetE0EEEvT1_,"axG",@progbits,_ZN7rocprim17ROCPRIM_400000_NS6detail17trampoline_kernelINS0_14default_configENS1_33run_length_encode_config_selectorIN3c104HalfEjNS0_4plusIjEEEEZZNS1_33reduce_by_key_impl_wrapped_configILNS1_25lookback_scan_determinismE0ES3_S9_PKS6_NS0_17constant_iteratorIjlEEPS6_PlSH_S8_NS0_8equal_toIS6_EEEE10hipError_tPvRmT2_T3_mT4_T5_T6_T7_T8_P12ihipStream_tbENKUlT_T0_E_clISt17integral_constantIbLb1EES11_EEDaSW_SX_EUlSW_E_NS1_11comp_targetILNS1_3genE8ELNS1_11target_archE1030ELNS1_3gpuE2ELNS1_3repE0EEENS1_30default_config_static_selectorELNS0_4arch9wavefront6targetE0EEEvT1_,comdat
.Lfunc_end942:
	.size	_ZN7rocprim17ROCPRIM_400000_NS6detail17trampoline_kernelINS0_14default_configENS1_33run_length_encode_config_selectorIN3c104HalfEjNS0_4plusIjEEEEZZNS1_33reduce_by_key_impl_wrapped_configILNS1_25lookback_scan_determinismE0ES3_S9_PKS6_NS0_17constant_iteratorIjlEEPS6_PlSH_S8_NS0_8equal_toIS6_EEEE10hipError_tPvRmT2_T3_mT4_T5_T6_T7_T8_P12ihipStream_tbENKUlT_T0_E_clISt17integral_constantIbLb1EES11_EEDaSW_SX_EUlSW_E_NS1_11comp_targetILNS1_3genE8ELNS1_11target_archE1030ELNS1_3gpuE2ELNS1_3repE0EEENS1_30default_config_static_selectorELNS0_4arch9wavefront6targetE0EEEvT1_, .Lfunc_end942-_ZN7rocprim17ROCPRIM_400000_NS6detail17trampoline_kernelINS0_14default_configENS1_33run_length_encode_config_selectorIN3c104HalfEjNS0_4plusIjEEEEZZNS1_33reduce_by_key_impl_wrapped_configILNS1_25lookback_scan_determinismE0ES3_S9_PKS6_NS0_17constant_iteratorIjlEEPS6_PlSH_S8_NS0_8equal_toIS6_EEEE10hipError_tPvRmT2_T3_mT4_T5_T6_T7_T8_P12ihipStream_tbENKUlT_T0_E_clISt17integral_constantIbLb1EES11_EEDaSW_SX_EUlSW_E_NS1_11comp_targetILNS1_3genE8ELNS1_11target_archE1030ELNS1_3gpuE2ELNS1_3repE0EEENS1_30default_config_static_selectorELNS0_4arch9wavefront6targetE0EEEvT1_
                                        ; -- End function
	.set _ZN7rocprim17ROCPRIM_400000_NS6detail17trampoline_kernelINS0_14default_configENS1_33run_length_encode_config_selectorIN3c104HalfEjNS0_4plusIjEEEEZZNS1_33reduce_by_key_impl_wrapped_configILNS1_25lookback_scan_determinismE0ES3_S9_PKS6_NS0_17constant_iteratorIjlEEPS6_PlSH_S8_NS0_8equal_toIS6_EEEE10hipError_tPvRmT2_T3_mT4_T5_T6_T7_T8_P12ihipStream_tbENKUlT_T0_E_clISt17integral_constantIbLb1EES11_EEDaSW_SX_EUlSW_E_NS1_11comp_targetILNS1_3genE8ELNS1_11target_archE1030ELNS1_3gpuE2ELNS1_3repE0EEENS1_30default_config_static_selectorELNS0_4arch9wavefront6targetE0EEEvT1_.num_vgpr, 0
	.set _ZN7rocprim17ROCPRIM_400000_NS6detail17trampoline_kernelINS0_14default_configENS1_33run_length_encode_config_selectorIN3c104HalfEjNS0_4plusIjEEEEZZNS1_33reduce_by_key_impl_wrapped_configILNS1_25lookback_scan_determinismE0ES3_S9_PKS6_NS0_17constant_iteratorIjlEEPS6_PlSH_S8_NS0_8equal_toIS6_EEEE10hipError_tPvRmT2_T3_mT4_T5_T6_T7_T8_P12ihipStream_tbENKUlT_T0_E_clISt17integral_constantIbLb1EES11_EEDaSW_SX_EUlSW_E_NS1_11comp_targetILNS1_3genE8ELNS1_11target_archE1030ELNS1_3gpuE2ELNS1_3repE0EEENS1_30default_config_static_selectorELNS0_4arch9wavefront6targetE0EEEvT1_.num_agpr, 0
	.set _ZN7rocprim17ROCPRIM_400000_NS6detail17trampoline_kernelINS0_14default_configENS1_33run_length_encode_config_selectorIN3c104HalfEjNS0_4plusIjEEEEZZNS1_33reduce_by_key_impl_wrapped_configILNS1_25lookback_scan_determinismE0ES3_S9_PKS6_NS0_17constant_iteratorIjlEEPS6_PlSH_S8_NS0_8equal_toIS6_EEEE10hipError_tPvRmT2_T3_mT4_T5_T6_T7_T8_P12ihipStream_tbENKUlT_T0_E_clISt17integral_constantIbLb1EES11_EEDaSW_SX_EUlSW_E_NS1_11comp_targetILNS1_3genE8ELNS1_11target_archE1030ELNS1_3gpuE2ELNS1_3repE0EEENS1_30default_config_static_selectorELNS0_4arch9wavefront6targetE0EEEvT1_.numbered_sgpr, 0
	.set _ZN7rocprim17ROCPRIM_400000_NS6detail17trampoline_kernelINS0_14default_configENS1_33run_length_encode_config_selectorIN3c104HalfEjNS0_4plusIjEEEEZZNS1_33reduce_by_key_impl_wrapped_configILNS1_25lookback_scan_determinismE0ES3_S9_PKS6_NS0_17constant_iteratorIjlEEPS6_PlSH_S8_NS0_8equal_toIS6_EEEE10hipError_tPvRmT2_T3_mT4_T5_T6_T7_T8_P12ihipStream_tbENKUlT_T0_E_clISt17integral_constantIbLb1EES11_EEDaSW_SX_EUlSW_E_NS1_11comp_targetILNS1_3genE8ELNS1_11target_archE1030ELNS1_3gpuE2ELNS1_3repE0EEENS1_30default_config_static_selectorELNS0_4arch9wavefront6targetE0EEEvT1_.num_named_barrier, 0
	.set _ZN7rocprim17ROCPRIM_400000_NS6detail17trampoline_kernelINS0_14default_configENS1_33run_length_encode_config_selectorIN3c104HalfEjNS0_4plusIjEEEEZZNS1_33reduce_by_key_impl_wrapped_configILNS1_25lookback_scan_determinismE0ES3_S9_PKS6_NS0_17constant_iteratorIjlEEPS6_PlSH_S8_NS0_8equal_toIS6_EEEE10hipError_tPvRmT2_T3_mT4_T5_T6_T7_T8_P12ihipStream_tbENKUlT_T0_E_clISt17integral_constantIbLb1EES11_EEDaSW_SX_EUlSW_E_NS1_11comp_targetILNS1_3genE8ELNS1_11target_archE1030ELNS1_3gpuE2ELNS1_3repE0EEENS1_30default_config_static_selectorELNS0_4arch9wavefront6targetE0EEEvT1_.private_seg_size, 0
	.set _ZN7rocprim17ROCPRIM_400000_NS6detail17trampoline_kernelINS0_14default_configENS1_33run_length_encode_config_selectorIN3c104HalfEjNS0_4plusIjEEEEZZNS1_33reduce_by_key_impl_wrapped_configILNS1_25lookback_scan_determinismE0ES3_S9_PKS6_NS0_17constant_iteratorIjlEEPS6_PlSH_S8_NS0_8equal_toIS6_EEEE10hipError_tPvRmT2_T3_mT4_T5_T6_T7_T8_P12ihipStream_tbENKUlT_T0_E_clISt17integral_constantIbLb1EES11_EEDaSW_SX_EUlSW_E_NS1_11comp_targetILNS1_3genE8ELNS1_11target_archE1030ELNS1_3gpuE2ELNS1_3repE0EEENS1_30default_config_static_selectorELNS0_4arch9wavefront6targetE0EEEvT1_.uses_vcc, 0
	.set _ZN7rocprim17ROCPRIM_400000_NS6detail17trampoline_kernelINS0_14default_configENS1_33run_length_encode_config_selectorIN3c104HalfEjNS0_4plusIjEEEEZZNS1_33reduce_by_key_impl_wrapped_configILNS1_25lookback_scan_determinismE0ES3_S9_PKS6_NS0_17constant_iteratorIjlEEPS6_PlSH_S8_NS0_8equal_toIS6_EEEE10hipError_tPvRmT2_T3_mT4_T5_T6_T7_T8_P12ihipStream_tbENKUlT_T0_E_clISt17integral_constantIbLb1EES11_EEDaSW_SX_EUlSW_E_NS1_11comp_targetILNS1_3genE8ELNS1_11target_archE1030ELNS1_3gpuE2ELNS1_3repE0EEENS1_30default_config_static_selectorELNS0_4arch9wavefront6targetE0EEEvT1_.uses_flat_scratch, 0
	.set _ZN7rocprim17ROCPRIM_400000_NS6detail17trampoline_kernelINS0_14default_configENS1_33run_length_encode_config_selectorIN3c104HalfEjNS0_4plusIjEEEEZZNS1_33reduce_by_key_impl_wrapped_configILNS1_25lookback_scan_determinismE0ES3_S9_PKS6_NS0_17constant_iteratorIjlEEPS6_PlSH_S8_NS0_8equal_toIS6_EEEE10hipError_tPvRmT2_T3_mT4_T5_T6_T7_T8_P12ihipStream_tbENKUlT_T0_E_clISt17integral_constantIbLb1EES11_EEDaSW_SX_EUlSW_E_NS1_11comp_targetILNS1_3genE8ELNS1_11target_archE1030ELNS1_3gpuE2ELNS1_3repE0EEENS1_30default_config_static_selectorELNS0_4arch9wavefront6targetE0EEEvT1_.has_dyn_sized_stack, 0
	.set _ZN7rocprim17ROCPRIM_400000_NS6detail17trampoline_kernelINS0_14default_configENS1_33run_length_encode_config_selectorIN3c104HalfEjNS0_4plusIjEEEEZZNS1_33reduce_by_key_impl_wrapped_configILNS1_25lookback_scan_determinismE0ES3_S9_PKS6_NS0_17constant_iteratorIjlEEPS6_PlSH_S8_NS0_8equal_toIS6_EEEE10hipError_tPvRmT2_T3_mT4_T5_T6_T7_T8_P12ihipStream_tbENKUlT_T0_E_clISt17integral_constantIbLb1EES11_EEDaSW_SX_EUlSW_E_NS1_11comp_targetILNS1_3genE8ELNS1_11target_archE1030ELNS1_3gpuE2ELNS1_3repE0EEENS1_30default_config_static_selectorELNS0_4arch9wavefront6targetE0EEEvT1_.has_recursion, 0
	.set _ZN7rocprim17ROCPRIM_400000_NS6detail17trampoline_kernelINS0_14default_configENS1_33run_length_encode_config_selectorIN3c104HalfEjNS0_4plusIjEEEEZZNS1_33reduce_by_key_impl_wrapped_configILNS1_25lookback_scan_determinismE0ES3_S9_PKS6_NS0_17constant_iteratorIjlEEPS6_PlSH_S8_NS0_8equal_toIS6_EEEE10hipError_tPvRmT2_T3_mT4_T5_T6_T7_T8_P12ihipStream_tbENKUlT_T0_E_clISt17integral_constantIbLb1EES11_EEDaSW_SX_EUlSW_E_NS1_11comp_targetILNS1_3genE8ELNS1_11target_archE1030ELNS1_3gpuE2ELNS1_3repE0EEENS1_30default_config_static_selectorELNS0_4arch9wavefront6targetE0EEEvT1_.has_indirect_call, 0
	.section	.AMDGPU.csdata,"",@progbits
; Kernel info:
; codeLenInByte = 0
; TotalNumSgprs: 0
; NumVgprs: 0
; ScratchSize: 0
; MemoryBound: 0
; FloatMode: 240
; IeeeMode: 1
; LDSByteSize: 0 bytes/workgroup (compile time only)
; SGPRBlocks: 0
; VGPRBlocks: 0
; NumSGPRsForWavesPerEU: 1
; NumVGPRsForWavesPerEU: 1
; NamedBarCnt: 0
; Occupancy: 16
; WaveLimiterHint : 0
; COMPUTE_PGM_RSRC2:SCRATCH_EN: 0
; COMPUTE_PGM_RSRC2:USER_SGPR: 2
; COMPUTE_PGM_RSRC2:TRAP_HANDLER: 0
; COMPUTE_PGM_RSRC2:TGID_X_EN: 1
; COMPUTE_PGM_RSRC2:TGID_Y_EN: 0
; COMPUTE_PGM_RSRC2:TGID_Z_EN: 0
; COMPUTE_PGM_RSRC2:TIDIG_COMP_CNT: 0
	.section	.text._ZN7rocprim17ROCPRIM_400000_NS6detail17trampoline_kernelINS0_14default_configENS1_33run_length_encode_config_selectorIN3c104HalfEjNS0_4plusIjEEEEZZNS1_33reduce_by_key_impl_wrapped_configILNS1_25lookback_scan_determinismE0ES3_S9_PKS6_NS0_17constant_iteratorIjlEEPS6_PlSH_S8_NS0_8equal_toIS6_EEEE10hipError_tPvRmT2_T3_mT4_T5_T6_T7_T8_P12ihipStream_tbENKUlT_T0_E_clISt17integral_constantIbLb1EES10_IbLb0EEEEDaSW_SX_EUlSW_E_NS1_11comp_targetILNS1_3genE0ELNS1_11target_archE4294967295ELNS1_3gpuE0ELNS1_3repE0EEENS1_30default_config_static_selectorELNS0_4arch9wavefront6targetE0EEEvT1_,"axG",@progbits,_ZN7rocprim17ROCPRIM_400000_NS6detail17trampoline_kernelINS0_14default_configENS1_33run_length_encode_config_selectorIN3c104HalfEjNS0_4plusIjEEEEZZNS1_33reduce_by_key_impl_wrapped_configILNS1_25lookback_scan_determinismE0ES3_S9_PKS6_NS0_17constant_iteratorIjlEEPS6_PlSH_S8_NS0_8equal_toIS6_EEEE10hipError_tPvRmT2_T3_mT4_T5_T6_T7_T8_P12ihipStream_tbENKUlT_T0_E_clISt17integral_constantIbLb1EES10_IbLb0EEEEDaSW_SX_EUlSW_E_NS1_11comp_targetILNS1_3genE0ELNS1_11target_archE4294967295ELNS1_3gpuE0ELNS1_3repE0EEENS1_30default_config_static_selectorELNS0_4arch9wavefront6targetE0EEEvT1_,comdat
	.protected	_ZN7rocprim17ROCPRIM_400000_NS6detail17trampoline_kernelINS0_14default_configENS1_33run_length_encode_config_selectorIN3c104HalfEjNS0_4plusIjEEEEZZNS1_33reduce_by_key_impl_wrapped_configILNS1_25lookback_scan_determinismE0ES3_S9_PKS6_NS0_17constant_iteratorIjlEEPS6_PlSH_S8_NS0_8equal_toIS6_EEEE10hipError_tPvRmT2_T3_mT4_T5_T6_T7_T8_P12ihipStream_tbENKUlT_T0_E_clISt17integral_constantIbLb1EES10_IbLb0EEEEDaSW_SX_EUlSW_E_NS1_11comp_targetILNS1_3genE0ELNS1_11target_archE4294967295ELNS1_3gpuE0ELNS1_3repE0EEENS1_30default_config_static_selectorELNS0_4arch9wavefront6targetE0EEEvT1_ ; -- Begin function _ZN7rocprim17ROCPRIM_400000_NS6detail17trampoline_kernelINS0_14default_configENS1_33run_length_encode_config_selectorIN3c104HalfEjNS0_4plusIjEEEEZZNS1_33reduce_by_key_impl_wrapped_configILNS1_25lookback_scan_determinismE0ES3_S9_PKS6_NS0_17constant_iteratorIjlEEPS6_PlSH_S8_NS0_8equal_toIS6_EEEE10hipError_tPvRmT2_T3_mT4_T5_T6_T7_T8_P12ihipStream_tbENKUlT_T0_E_clISt17integral_constantIbLb1EES10_IbLb0EEEEDaSW_SX_EUlSW_E_NS1_11comp_targetILNS1_3genE0ELNS1_11target_archE4294967295ELNS1_3gpuE0ELNS1_3repE0EEENS1_30default_config_static_selectorELNS0_4arch9wavefront6targetE0EEEvT1_
	.globl	_ZN7rocprim17ROCPRIM_400000_NS6detail17trampoline_kernelINS0_14default_configENS1_33run_length_encode_config_selectorIN3c104HalfEjNS0_4plusIjEEEEZZNS1_33reduce_by_key_impl_wrapped_configILNS1_25lookback_scan_determinismE0ES3_S9_PKS6_NS0_17constant_iteratorIjlEEPS6_PlSH_S8_NS0_8equal_toIS6_EEEE10hipError_tPvRmT2_T3_mT4_T5_T6_T7_T8_P12ihipStream_tbENKUlT_T0_E_clISt17integral_constantIbLb1EES10_IbLb0EEEEDaSW_SX_EUlSW_E_NS1_11comp_targetILNS1_3genE0ELNS1_11target_archE4294967295ELNS1_3gpuE0ELNS1_3repE0EEENS1_30default_config_static_selectorELNS0_4arch9wavefront6targetE0EEEvT1_
	.p2align	8
	.type	_ZN7rocprim17ROCPRIM_400000_NS6detail17trampoline_kernelINS0_14default_configENS1_33run_length_encode_config_selectorIN3c104HalfEjNS0_4plusIjEEEEZZNS1_33reduce_by_key_impl_wrapped_configILNS1_25lookback_scan_determinismE0ES3_S9_PKS6_NS0_17constant_iteratorIjlEEPS6_PlSH_S8_NS0_8equal_toIS6_EEEE10hipError_tPvRmT2_T3_mT4_T5_T6_T7_T8_P12ihipStream_tbENKUlT_T0_E_clISt17integral_constantIbLb1EES10_IbLb0EEEEDaSW_SX_EUlSW_E_NS1_11comp_targetILNS1_3genE0ELNS1_11target_archE4294967295ELNS1_3gpuE0ELNS1_3repE0EEENS1_30default_config_static_selectorELNS0_4arch9wavefront6targetE0EEEvT1_,@function
_ZN7rocprim17ROCPRIM_400000_NS6detail17trampoline_kernelINS0_14default_configENS1_33run_length_encode_config_selectorIN3c104HalfEjNS0_4plusIjEEEEZZNS1_33reduce_by_key_impl_wrapped_configILNS1_25lookback_scan_determinismE0ES3_S9_PKS6_NS0_17constant_iteratorIjlEEPS6_PlSH_S8_NS0_8equal_toIS6_EEEE10hipError_tPvRmT2_T3_mT4_T5_T6_T7_T8_P12ihipStream_tbENKUlT_T0_E_clISt17integral_constantIbLb1EES10_IbLb0EEEEDaSW_SX_EUlSW_E_NS1_11comp_targetILNS1_3genE0ELNS1_11target_archE4294967295ELNS1_3gpuE0ELNS1_3repE0EEENS1_30default_config_static_selectorELNS0_4arch9wavefront6targetE0EEEvT1_: ; @_ZN7rocprim17ROCPRIM_400000_NS6detail17trampoline_kernelINS0_14default_configENS1_33run_length_encode_config_selectorIN3c104HalfEjNS0_4plusIjEEEEZZNS1_33reduce_by_key_impl_wrapped_configILNS1_25lookback_scan_determinismE0ES3_S9_PKS6_NS0_17constant_iteratorIjlEEPS6_PlSH_S8_NS0_8equal_toIS6_EEEE10hipError_tPvRmT2_T3_mT4_T5_T6_T7_T8_P12ihipStream_tbENKUlT_T0_E_clISt17integral_constantIbLb1EES10_IbLb0EEEEDaSW_SX_EUlSW_E_NS1_11comp_targetILNS1_3genE0ELNS1_11target_archE4294967295ELNS1_3gpuE0ELNS1_3repE0EEENS1_30default_config_static_selectorELNS0_4arch9wavefront6targetE0EEEvT1_
; %bb.0:
	s_endpgm
	.section	.rodata,"a",@progbits
	.p2align	6, 0x0
	.amdhsa_kernel _ZN7rocprim17ROCPRIM_400000_NS6detail17trampoline_kernelINS0_14default_configENS1_33run_length_encode_config_selectorIN3c104HalfEjNS0_4plusIjEEEEZZNS1_33reduce_by_key_impl_wrapped_configILNS1_25lookback_scan_determinismE0ES3_S9_PKS6_NS0_17constant_iteratorIjlEEPS6_PlSH_S8_NS0_8equal_toIS6_EEEE10hipError_tPvRmT2_T3_mT4_T5_T6_T7_T8_P12ihipStream_tbENKUlT_T0_E_clISt17integral_constantIbLb1EES10_IbLb0EEEEDaSW_SX_EUlSW_E_NS1_11comp_targetILNS1_3genE0ELNS1_11target_archE4294967295ELNS1_3gpuE0ELNS1_3repE0EEENS1_30default_config_static_selectorELNS0_4arch9wavefront6targetE0EEEvT1_
		.amdhsa_group_segment_fixed_size 0
		.amdhsa_private_segment_fixed_size 0
		.amdhsa_kernarg_size 128
		.amdhsa_user_sgpr_count 2
		.amdhsa_user_sgpr_dispatch_ptr 0
		.amdhsa_user_sgpr_queue_ptr 0
		.amdhsa_user_sgpr_kernarg_segment_ptr 1
		.amdhsa_user_sgpr_dispatch_id 0
		.amdhsa_user_sgpr_kernarg_preload_length 0
		.amdhsa_user_sgpr_kernarg_preload_offset 0
		.amdhsa_user_sgpr_private_segment_size 0
		.amdhsa_wavefront_size32 1
		.amdhsa_uses_dynamic_stack 0
		.amdhsa_enable_private_segment 0
		.amdhsa_system_sgpr_workgroup_id_x 1
		.amdhsa_system_sgpr_workgroup_id_y 0
		.amdhsa_system_sgpr_workgroup_id_z 0
		.amdhsa_system_sgpr_workgroup_info 0
		.amdhsa_system_vgpr_workitem_id 0
		.amdhsa_next_free_vgpr 1
		.amdhsa_next_free_sgpr 1
		.amdhsa_named_barrier_count 0
		.amdhsa_reserve_vcc 0
		.amdhsa_float_round_mode_32 0
		.amdhsa_float_round_mode_16_64 0
		.amdhsa_float_denorm_mode_32 3
		.amdhsa_float_denorm_mode_16_64 3
		.amdhsa_fp16_overflow 0
		.amdhsa_memory_ordered 1
		.amdhsa_forward_progress 1
		.amdhsa_inst_pref_size 1
		.amdhsa_round_robin_scheduling 0
		.amdhsa_exception_fp_ieee_invalid_op 0
		.amdhsa_exception_fp_denorm_src 0
		.amdhsa_exception_fp_ieee_div_zero 0
		.amdhsa_exception_fp_ieee_overflow 0
		.amdhsa_exception_fp_ieee_underflow 0
		.amdhsa_exception_fp_ieee_inexact 0
		.amdhsa_exception_int_div_zero 0
	.end_amdhsa_kernel
	.section	.text._ZN7rocprim17ROCPRIM_400000_NS6detail17trampoline_kernelINS0_14default_configENS1_33run_length_encode_config_selectorIN3c104HalfEjNS0_4plusIjEEEEZZNS1_33reduce_by_key_impl_wrapped_configILNS1_25lookback_scan_determinismE0ES3_S9_PKS6_NS0_17constant_iteratorIjlEEPS6_PlSH_S8_NS0_8equal_toIS6_EEEE10hipError_tPvRmT2_T3_mT4_T5_T6_T7_T8_P12ihipStream_tbENKUlT_T0_E_clISt17integral_constantIbLb1EES10_IbLb0EEEEDaSW_SX_EUlSW_E_NS1_11comp_targetILNS1_3genE0ELNS1_11target_archE4294967295ELNS1_3gpuE0ELNS1_3repE0EEENS1_30default_config_static_selectorELNS0_4arch9wavefront6targetE0EEEvT1_,"axG",@progbits,_ZN7rocprim17ROCPRIM_400000_NS6detail17trampoline_kernelINS0_14default_configENS1_33run_length_encode_config_selectorIN3c104HalfEjNS0_4plusIjEEEEZZNS1_33reduce_by_key_impl_wrapped_configILNS1_25lookback_scan_determinismE0ES3_S9_PKS6_NS0_17constant_iteratorIjlEEPS6_PlSH_S8_NS0_8equal_toIS6_EEEE10hipError_tPvRmT2_T3_mT4_T5_T6_T7_T8_P12ihipStream_tbENKUlT_T0_E_clISt17integral_constantIbLb1EES10_IbLb0EEEEDaSW_SX_EUlSW_E_NS1_11comp_targetILNS1_3genE0ELNS1_11target_archE4294967295ELNS1_3gpuE0ELNS1_3repE0EEENS1_30default_config_static_selectorELNS0_4arch9wavefront6targetE0EEEvT1_,comdat
.Lfunc_end943:
	.size	_ZN7rocprim17ROCPRIM_400000_NS6detail17trampoline_kernelINS0_14default_configENS1_33run_length_encode_config_selectorIN3c104HalfEjNS0_4plusIjEEEEZZNS1_33reduce_by_key_impl_wrapped_configILNS1_25lookback_scan_determinismE0ES3_S9_PKS6_NS0_17constant_iteratorIjlEEPS6_PlSH_S8_NS0_8equal_toIS6_EEEE10hipError_tPvRmT2_T3_mT4_T5_T6_T7_T8_P12ihipStream_tbENKUlT_T0_E_clISt17integral_constantIbLb1EES10_IbLb0EEEEDaSW_SX_EUlSW_E_NS1_11comp_targetILNS1_3genE0ELNS1_11target_archE4294967295ELNS1_3gpuE0ELNS1_3repE0EEENS1_30default_config_static_selectorELNS0_4arch9wavefront6targetE0EEEvT1_, .Lfunc_end943-_ZN7rocprim17ROCPRIM_400000_NS6detail17trampoline_kernelINS0_14default_configENS1_33run_length_encode_config_selectorIN3c104HalfEjNS0_4plusIjEEEEZZNS1_33reduce_by_key_impl_wrapped_configILNS1_25lookback_scan_determinismE0ES3_S9_PKS6_NS0_17constant_iteratorIjlEEPS6_PlSH_S8_NS0_8equal_toIS6_EEEE10hipError_tPvRmT2_T3_mT4_T5_T6_T7_T8_P12ihipStream_tbENKUlT_T0_E_clISt17integral_constantIbLb1EES10_IbLb0EEEEDaSW_SX_EUlSW_E_NS1_11comp_targetILNS1_3genE0ELNS1_11target_archE4294967295ELNS1_3gpuE0ELNS1_3repE0EEENS1_30default_config_static_selectorELNS0_4arch9wavefront6targetE0EEEvT1_
                                        ; -- End function
	.set _ZN7rocprim17ROCPRIM_400000_NS6detail17trampoline_kernelINS0_14default_configENS1_33run_length_encode_config_selectorIN3c104HalfEjNS0_4plusIjEEEEZZNS1_33reduce_by_key_impl_wrapped_configILNS1_25lookback_scan_determinismE0ES3_S9_PKS6_NS0_17constant_iteratorIjlEEPS6_PlSH_S8_NS0_8equal_toIS6_EEEE10hipError_tPvRmT2_T3_mT4_T5_T6_T7_T8_P12ihipStream_tbENKUlT_T0_E_clISt17integral_constantIbLb1EES10_IbLb0EEEEDaSW_SX_EUlSW_E_NS1_11comp_targetILNS1_3genE0ELNS1_11target_archE4294967295ELNS1_3gpuE0ELNS1_3repE0EEENS1_30default_config_static_selectorELNS0_4arch9wavefront6targetE0EEEvT1_.num_vgpr, 0
	.set _ZN7rocprim17ROCPRIM_400000_NS6detail17trampoline_kernelINS0_14default_configENS1_33run_length_encode_config_selectorIN3c104HalfEjNS0_4plusIjEEEEZZNS1_33reduce_by_key_impl_wrapped_configILNS1_25lookback_scan_determinismE0ES3_S9_PKS6_NS0_17constant_iteratorIjlEEPS6_PlSH_S8_NS0_8equal_toIS6_EEEE10hipError_tPvRmT2_T3_mT4_T5_T6_T7_T8_P12ihipStream_tbENKUlT_T0_E_clISt17integral_constantIbLb1EES10_IbLb0EEEEDaSW_SX_EUlSW_E_NS1_11comp_targetILNS1_3genE0ELNS1_11target_archE4294967295ELNS1_3gpuE0ELNS1_3repE0EEENS1_30default_config_static_selectorELNS0_4arch9wavefront6targetE0EEEvT1_.num_agpr, 0
	.set _ZN7rocprim17ROCPRIM_400000_NS6detail17trampoline_kernelINS0_14default_configENS1_33run_length_encode_config_selectorIN3c104HalfEjNS0_4plusIjEEEEZZNS1_33reduce_by_key_impl_wrapped_configILNS1_25lookback_scan_determinismE0ES3_S9_PKS6_NS0_17constant_iteratorIjlEEPS6_PlSH_S8_NS0_8equal_toIS6_EEEE10hipError_tPvRmT2_T3_mT4_T5_T6_T7_T8_P12ihipStream_tbENKUlT_T0_E_clISt17integral_constantIbLb1EES10_IbLb0EEEEDaSW_SX_EUlSW_E_NS1_11comp_targetILNS1_3genE0ELNS1_11target_archE4294967295ELNS1_3gpuE0ELNS1_3repE0EEENS1_30default_config_static_selectorELNS0_4arch9wavefront6targetE0EEEvT1_.numbered_sgpr, 0
	.set _ZN7rocprim17ROCPRIM_400000_NS6detail17trampoline_kernelINS0_14default_configENS1_33run_length_encode_config_selectorIN3c104HalfEjNS0_4plusIjEEEEZZNS1_33reduce_by_key_impl_wrapped_configILNS1_25lookback_scan_determinismE0ES3_S9_PKS6_NS0_17constant_iteratorIjlEEPS6_PlSH_S8_NS0_8equal_toIS6_EEEE10hipError_tPvRmT2_T3_mT4_T5_T6_T7_T8_P12ihipStream_tbENKUlT_T0_E_clISt17integral_constantIbLb1EES10_IbLb0EEEEDaSW_SX_EUlSW_E_NS1_11comp_targetILNS1_3genE0ELNS1_11target_archE4294967295ELNS1_3gpuE0ELNS1_3repE0EEENS1_30default_config_static_selectorELNS0_4arch9wavefront6targetE0EEEvT1_.num_named_barrier, 0
	.set _ZN7rocprim17ROCPRIM_400000_NS6detail17trampoline_kernelINS0_14default_configENS1_33run_length_encode_config_selectorIN3c104HalfEjNS0_4plusIjEEEEZZNS1_33reduce_by_key_impl_wrapped_configILNS1_25lookback_scan_determinismE0ES3_S9_PKS6_NS0_17constant_iteratorIjlEEPS6_PlSH_S8_NS0_8equal_toIS6_EEEE10hipError_tPvRmT2_T3_mT4_T5_T6_T7_T8_P12ihipStream_tbENKUlT_T0_E_clISt17integral_constantIbLb1EES10_IbLb0EEEEDaSW_SX_EUlSW_E_NS1_11comp_targetILNS1_3genE0ELNS1_11target_archE4294967295ELNS1_3gpuE0ELNS1_3repE0EEENS1_30default_config_static_selectorELNS0_4arch9wavefront6targetE0EEEvT1_.private_seg_size, 0
	.set _ZN7rocprim17ROCPRIM_400000_NS6detail17trampoline_kernelINS0_14default_configENS1_33run_length_encode_config_selectorIN3c104HalfEjNS0_4plusIjEEEEZZNS1_33reduce_by_key_impl_wrapped_configILNS1_25lookback_scan_determinismE0ES3_S9_PKS6_NS0_17constant_iteratorIjlEEPS6_PlSH_S8_NS0_8equal_toIS6_EEEE10hipError_tPvRmT2_T3_mT4_T5_T6_T7_T8_P12ihipStream_tbENKUlT_T0_E_clISt17integral_constantIbLb1EES10_IbLb0EEEEDaSW_SX_EUlSW_E_NS1_11comp_targetILNS1_3genE0ELNS1_11target_archE4294967295ELNS1_3gpuE0ELNS1_3repE0EEENS1_30default_config_static_selectorELNS0_4arch9wavefront6targetE0EEEvT1_.uses_vcc, 0
	.set _ZN7rocprim17ROCPRIM_400000_NS6detail17trampoline_kernelINS0_14default_configENS1_33run_length_encode_config_selectorIN3c104HalfEjNS0_4plusIjEEEEZZNS1_33reduce_by_key_impl_wrapped_configILNS1_25lookback_scan_determinismE0ES3_S9_PKS6_NS0_17constant_iteratorIjlEEPS6_PlSH_S8_NS0_8equal_toIS6_EEEE10hipError_tPvRmT2_T3_mT4_T5_T6_T7_T8_P12ihipStream_tbENKUlT_T0_E_clISt17integral_constantIbLb1EES10_IbLb0EEEEDaSW_SX_EUlSW_E_NS1_11comp_targetILNS1_3genE0ELNS1_11target_archE4294967295ELNS1_3gpuE0ELNS1_3repE0EEENS1_30default_config_static_selectorELNS0_4arch9wavefront6targetE0EEEvT1_.uses_flat_scratch, 0
	.set _ZN7rocprim17ROCPRIM_400000_NS6detail17trampoline_kernelINS0_14default_configENS1_33run_length_encode_config_selectorIN3c104HalfEjNS0_4plusIjEEEEZZNS1_33reduce_by_key_impl_wrapped_configILNS1_25lookback_scan_determinismE0ES3_S9_PKS6_NS0_17constant_iteratorIjlEEPS6_PlSH_S8_NS0_8equal_toIS6_EEEE10hipError_tPvRmT2_T3_mT4_T5_T6_T7_T8_P12ihipStream_tbENKUlT_T0_E_clISt17integral_constantIbLb1EES10_IbLb0EEEEDaSW_SX_EUlSW_E_NS1_11comp_targetILNS1_3genE0ELNS1_11target_archE4294967295ELNS1_3gpuE0ELNS1_3repE0EEENS1_30default_config_static_selectorELNS0_4arch9wavefront6targetE0EEEvT1_.has_dyn_sized_stack, 0
	.set _ZN7rocprim17ROCPRIM_400000_NS6detail17trampoline_kernelINS0_14default_configENS1_33run_length_encode_config_selectorIN3c104HalfEjNS0_4plusIjEEEEZZNS1_33reduce_by_key_impl_wrapped_configILNS1_25lookback_scan_determinismE0ES3_S9_PKS6_NS0_17constant_iteratorIjlEEPS6_PlSH_S8_NS0_8equal_toIS6_EEEE10hipError_tPvRmT2_T3_mT4_T5_T6_T7_T8_P12ihipStream_tbENKUlT_T0_E_clISt17integral_constantIbLb1EES10_IbLb0EEEEDaSW_SX_EUlSW_E_NS1_11comp_targetILNS1_3genE0ELNS1_11target_archE4294967295ELNS1_3gpuE0ELNS1_3repE0EEENS1_30default_config_static_selectorELNS0_4arch9wavefront6targetE0EEEvT1_.has_recursion, 0
	.set _ZN7rocprim17ROCPRIM_400000_NS6detail17trampoline_kernelINS0_14default_configENS1_33run_length_encode_config_selectorIN3c104HalfEjNS0_4plusIjEEEEZZNS1_33reduce_by_key_impl_wrapped_configILNS1_25lookback_scan_determinismE0ES3_S9_PKS6_NS0_17constant_iteratorIjlEEPS6_PlSH_S8_NS0_8equal_toIS6_EEEE10hipError_tPvRmT2_T3_mT4_T5_T6_T7_T8_P12ihipStream_tbENKUlT_T0_E_clISt17integral_constantIbLb1EES10_IbLb0EEEEDaSW_SX_EUlSW_E_NS1_11comp_targetILNS1_3genE0ELNS1_11target_archE4294967295ELNS1_3gpuE0ELNS1_3repE0EEENS1_30default_config_static_selectorELNS0_4arch9wavefront6targetE0EEEvT1_.has_indirect_call, 0
	.section	.AMDGPU.csdata,"",@progbits
; Kernel info:
; codeLenInByte = 4
; TotalNumSgprs: 0
; NumVgprs: 0
; ScratchSize: 0
; MemoryBound: 0
; FloatMode: 240
; IeeeMode: 1
; LDSByteSize: 0 bytes/workgroup (compile time only)
; SGPRBlocks: 0
; VGPRBlocks: 0
; NumSGPRsForWavesPerEU: 1
; NumVGPRsForWavesPerEU: 1
; NamedBarCnt: 0
; Occupancy: 16
; WaveLimiterHint : 0
; COMPUTE_PGM_RSRC2:SCRATCH_EN: 0
; COMPUTE_PGM_RSRC2:USER_SGPR: 2
; COMPUTE_PGM_RSRC2:TRAP_HANDLER: 0
; COMPUTE_PGM_RSRC2:TGID_X_EN: 1
; COMPUTE_PGM_RSRC2:TGID_Y_EN: 0
; COMPUTE_PGM_RSRC2:TGID_Z_EN: 0
; COMPUTE_PGM_RSRC2:TIDIG_COMP_CNT: 0
	.section	.text._ZN7rocprim17ROCPRIM_400000_NS6detail17trampoline_kernelINS0_14default_configENS1_33run_length_encode_config_selectorIN3c104HalfEjNS0_4plusIjEEEEZZNS1_33reduce_by_key_impl_wrapped_configILNS1_25lookback_scan_determinismE0ES3_S9_PKS6_NS0_17constant_iteratorIjlEEPS6_PlSH_S8_NS0_8equal_toIS6_EEEE10hipError_tPvRmT2_T3_mT4_T5_T6_T7_T8_P12ihipStream_tbENKUlT_T0_E_clISt17integral_constantIbLb1EES10_IbLb0EEEEDaSW_SX_EUlSW_E_NS1_11comp_targetILNS1_3genE5ELNS1_11target_archE942ELNS1_3gpuE9ELNS1_3repE0EEENS1_30default_config_static_selectorELNS0_4arch9wavefront6targetE0EEEvT1_,"axG",@progbits,_ZN7rocprim17ROCPRIM_400000_NS6detail17trampoline_kernelINS0_14default_configENS1_33run_length_encode_config_selectorIN3c104HalfEjNS0_4plusIjEEEEZZNS1_33reduce_by_key_impl_wrapped_configILNS1_25lookback_scan_determinismE0ES3_S9_PKS6_NS0_17constant_iteratorIjlEEPS6_PlSH_S8_NS0_8equal_toIS6_EEEE10hipError_tPvRmT2_T3_mT4_T5_T6_T7_T8_P12ihipStream_tbENKUlT_T0_E_clISt17integral_constantIbLb1EES10_IbLb0EEEEDaSW_SX_EUlSW_E_NS1_11comp_targetILNS1_3genE5ELNS1_11target_archE942ELNS1_3gpuE9ELNS1_3repE0EEENS1_30default_config_static_selectorELNS0_4arch9wavefront6targetE0EEEvT1_,comdat
	.protected	_ZN7rocprim17ROCPRIM_400000_NS6detail17trampoline_kernelINS0_14default_configENS1_33run_length_encode_config_selectorIN3c104HalfEjNS0_4plusIjEEEEZZNS1_33reduce_by_key_impl_wrapped_configILNS1_25lookback_scan_determinismE0ES3_S9_PKS6_NS0_17constant_iteratorIjlEEPS6_PlSH_S8_NS0_8equal_toIS6_EEEE10hipError_tPvRmT2_T3_mT4_T5_T6_T7_T8_P12ihipStream_tbENKUlT_T0_E_clISt17integral_constantIbLb1EES10_IbLb0EEEEDaSW_SX_EUlSW_E_NS1_11comp_targetILNS1_3genE5ELNS1_11target_archE942ELNS1_3gpuE9ELNS1_3repE0EEENS1_30default_config_static_selectorELNS0_4arch9wavefront6targetE0EEEvT1_ ; -- Begin function _ZN7rocprim17ROCPRIM_400000_NS6detail17trampoline_kernelINS0_14default_configENS1_33run_length_encode_config_selectorIN3c104HalfEjNS0_4plusIjEEEEZZNS1_33reduce_by_key_impl_wrapped_configILNS1_25lookback_scan_determinismE0ES3_S9_PKS6_NS0_17constant_iteratorIjlEEPS6_PlSH_S8_NS0_8equal_toIS6_EEEE10hipError_tPvRmT2_T3_mT4_T5_T6_T7_T8_P12ihipStream_tbENKUlT_T0_E_clISt17integral_constantIbLb1EES10_IbLb0EEEEDaSW_SX_EUlSW_E_NS1_11comp_targetILNS1_3genE5ELNS1_11target_archE942ELNS1_3gpuE9ELNS1_3repE0EEENS1_30default_config_static_selectorELNS0_4arch9wavefront6targetE0EEEvT1_
	.globl	_ZN7rocprim17ROCPRIM_400000_NS6detail17trampoline_kernelINS0_14default_configENS1_33run_length_encode_config_selectorIN3c104HalfEjNS0_4plusIjEEEEZZNS1_33reduce_by_key_impl_wrapped_configILNS1_25lookback_scan_determinismE0ES3_S9_PKS6_NS0_17constant_iteratorIjlEEPS6_PlSH_S8_NS0_8equal_toIS6_EEEE10hipError_tPvRmT2_T3_mT4_T5_T6_T7_T8_P12ihipStream_tbENKUlT_T0_E_clISt17integral_constantIbLb1EES10_IbLb0EEEEDaSW_SX_EUlSW_E_NS1_11comp_targetILNS1_3genE5ELNS1_11target_archE942ELNS1_3gpuE9ELNS1_3repE0EEENS1_30default_config_static_selectorELNS0_4arch9wavefront6targetE0EEEvT1_
	.p2align	8
	.type	_ZN7rocprim17ROCPRIM_400000_NS6detail17trampoline_kernelINS0_14default_configENS1_33run_length_encode_config_selectorIN3c104HalfEjNS0_4plusIjEEEEZZNS1_33reduce_by_key_impl_wrapped_configILNS1_25lookback_scan_determinismE0ES3_S9_PKS6_NS0_17constant_iteratorIjlEEPS6_PlSH_S8_NS0_8equal_toIS6_EEEE10hipError_tPvRmT2_T3_mT4_T5_T6_T7_T8_P12ihipStream_tbENKUlT_T0_E_clISt17integral_constantIbLb1EES10_IbLb0EEEEDaSW_SX_EUlSW_E_NS1_11comp_targetILNS1_3genE5ELNS1_11target_archE942ELNS1_3gpuE9ELNS1_3repE0EEENS1_30default_config_static_selectorELNS0_4arch9wavefront6targetE0EEEvT1_,@function
_ZN7rocprim17ROCPRIM_400000_NS6detail17trampoline_kernelINS0_14default_configENS1_33run_length_encode_config_selectorIN3c104HalfEjNS0_4plusIjEEEEZZNS1_33reduce_by_key_impl_wrapped_configILNS1_25lookback_scan_determinismE0ES3_S9_PKS6_NS0_17constant_iteratorIjlEEPS6_PlSH_S8_NS0_8equal_toIS6_EEEE10hipError_tPvRmT2_T3_mT4_T5_T6_T7_T8_P12ihipStream_tbENKUlT_T0_E_clISt17integral_constantIbLb1EES10_IbLb0EEEEDaSW_SX_EUlSW_E_NS1_11comp_targetILNS1_3genE5ELNS1_11target_archE942ELNS1_3gpuE9ELNS1_3repE0EEENS1_30default_config_static_selectorELNS0_4arch9wavefront6targetE0EEEvT1_: ; @_ZN7rocprim17ROCPRIM_400000_NS6detail17trampoline_kernelINS0_14default_configENS1_33run_length_encode_config_selectorIN3c104HalfEjNS0_4plusIjEEEEZZNS1_33reduce_by_key_impl_wrapped_configILNS1_25lookback_scan_determinismE0ES3_S9_PKS6_NS0_17constant_iteratorIjlEEPS6_PlSH_S8_NS0_8equal_toIS6_EEEE10hipError_tPvRmT2_T3_mT4_T5_T6_T7_T8_P12ihipStream_tbENKUlT_T0_E_clISt17integral_constantIbLb1EES10_IbLb0EEEEDaSW_SX_EUlSW_E_NS1_11comp_targetILNS1_3genE5ELNS1_11target_archE942ELNS1_3gpuE9ELNS1_3repE0EEENS1_30default_config_static_selectorELNS0_4arch9wavefront6targetE0EEEvT1_
; %bb.0:
	.section	.rodata,"a",@progbits
	.p2align	6, 0x0
	.amdhsa_kernel _ZN7rocprim17ROCPRIM_400000_NS6detail17trampoline_kernelINS0_14default_configENS1_33run_length_encode_config_selectorIN3c104HalfEjNS0_4plusIjEEEEZZNS1_33reduce_by_key_impl_wrapped_configILNS1_25lookback_scan_determinismE0ES3_S9_PKS6_NS0_17constant_iteratorIjlEEPS6_PlSH_S8_NS0_8equal_toIS6_EEEE10hipError_tPvRmT2_T3_mT4_T5_T6_T7_T8_P12ihipStream_tbENKUlT_T0_E_clISt17integral_constantIbLb1EES10_IbLb0EEEEDaSW_SX_EUlSW_E_NS1_11comp_targetILNS1_3genE5ELNS1_11target_archE942ELNS1_3gpuE9ELNS1_3repE0EEENS1_30default_config_static_selectorELNS0_4arch9wavefront6targetE0EEEvT1_
		.amdhsa_group_segment_fixed_size 0
		.amdhsa_private_segment_fixed_size 0
		.amdhsa_kernarg_size 128
		.amdhsa_user_sgpr_count 2
		.amdhsa_user_sgpr_dispatch_ptr 0
		.amdhsa_user_sgpr_queue_ptr 0
		.amdhsa_user_sgpr_kernarg_segment_ptr 1
		.amdhsa_user_sgpr_dispatch_id 0
		.amdhsa_user_sgpr_kernarg_preload_length 0
		.amdhsa_user_sgpr_kernarg_preload_offset 0
		.amdhsa_user_sgpr_private_segment_size 0
		.amdhsa_wavefront_size32 1
		.amdhsa_uses_dynamic_stack 0
		.amdhsa_enable_private_segment 0
		.amdhsa_system_sgpr_workgroup_id_x 1
		.amdhsa_system_sgpr_workgroup_id_y 0
		.amdhsa_system_sgpr_workgroup_id_z 0
		.amdhsa_system_sgpr_workgroup_info 0
		.amdhsa_system_vgpr_workitem_id 0
		.amdhsa_next_free_vgpr 1
		.amdhsa_next_free_sgpr 1
		.amdhsa_named_barrier_count 0
		.amdhsa_reserve_vcc 0
		.amdhsa_float_round_mode_32 0
		.amdhsa_float_round_mode_16_64 0
		.amdhsa_float_denorm_mode_32 3
		.amdhsa_float_denorm_mode_16_64 3
		.amdhsa_fp16_overflow 0
		.amdhsa_memory_ordered 1
		.amdhsa_forward_progress 1
		.amdhsa_inst_pref_size 0
		.amdhsa_round_robin_scheduling 0
		.amdhsa_exception_fp_ieee_invalid_op 0
		.amdhsa_exception_fp_denorm_src 0
		.amdhsa_exception_fp_ieee_div_zero 0
		.amdhsa_exception_fp_ieee_overflow 0
		.amdhsa_exception_fp_ieee_underflow 0
		.amdhsa_exception_fp_ieee_inexact 0
		.amdhsa_exception_int_div_zero 0
	.end_amdhsa_kernel
	.section	.text._ZN7rocprim17ROCPRIM_400000_NS6detail17trampoline_kernelINS0_14default_configENS1_33run_length_encode_config_selectorIN3c104HalfEjNS0_4plusIjEEEEZZNS1_33reduce_by_key_impl_wrapped_configILNS1_25lookback_scan_determinismE0ES3_S9_PKS6_NS0_17constant_iteratorIjlEEPS6_PlSH_S8_NS0_8equal_toIS6_EEEE10hipError_tPvRmT2_T3_mT4_T5_T6_T7_T8_P12ihipStream_tbENKUlT_T0_E_clISt17integral_constantIbLb1EES10_IbLb0EEEEDaSW_SX_EUlSW_E_NS1_11comp_targetILNS1_3genE5ELNS1_11target_archE942ELNS1_3gpuE9ELNS1_3repE0EEENS1_30default_config_static_selectorELNS0_4arch9wavefront6targetE0EEEvT1_,"axG",@progbits,_ZN7rocprim17ROCPRIM_400000_NS6detail17trampoline_kernelINS0_14default_configENS1_33run_length_encode_config_selectorIN3c104HalfEjNS0_4plusIjEEEEZZNS1_33reduce_by_key_impl_wrapped_configILNS1_25lookback_scan_determinismE0ES3_S9_PKS6_NS0_17constant_iteratorIjlEEPS6_PlSH_S8_NS0_8equal_toIS6_EEEE10hipError_tPvRmT2_T3_mT4_T5_T6_T7_T8_P12ihipStream_tbENKUlT_T0_E_clISt17integral_constantIbLb1EES10_IbLb0EEEEDaSW_SX_EUlSW_E_NS1_11comp_targetILNS1_3genE5ELNS1_11target_archE942ELNS1_3gpuE9ELNS1_3repE0EEENS1_30default_config_static_selectorELNS0_4arch9wavefront6targetE0EEEvT1_,comdat
.Lfunc_end944:
	.size	_ZN7rocprim17ROCPRIM_400000_NS6detail17trampoline_kernelINS0_14default_configENS1_33run_length_encode_config_selectorIN3c104HalfEjNS0_4plusIjEEEEZZNS1_33reduce_by_key_impl_wrapped_configILNS1_25lookback_scan_determinismE0ES3_S9_PKS6_NS0_17constant_iteratorIjlEEPS6_PlSH_S8_NS0_8equal_toIS6_EEEE10hipError_tPvRmT2_T3_mT4_T5_T6_T7_T8_P12ihipStream_tbENKUlT_T0_E_clISt17integral_constantIbLb1EES10_IbLb0EEEEDaSW_SX_EUlSW_E_NS1_11comp_targetILNS1_3genE5ELNS1_11target_archE942ELNS1_3gpuE9ELNS1_3repE0EEENS1_30default_config_static_selectorELNS0_4arch9wavefront6targetE0EEEvT1_, .Lfunc_end944-_ZN7rocprim17ROCPRIM_400000_NS6detail17trampoline_kernelINS0_14default_configENS1_33run_length_encode_config_selectorIN3c104HalfEjNS0_4plusIjEEEEZZNS1_33reduce_by_key_impl_wrapped_configILNS1_25lookback_scan_determinismE0ES3_S9_PKS6_NS0_17constant_iteratorIjlEEPS6_PlSH_S8_NS0_8equal_toIS6_EEEE10hipError_tPvRmT2_T3_mT4_T5_T6_T7_T8_P12ihipStream_tbENKUlT_T0_E_clISt17integral_constantIbLb1EES10_IbLb0EEEEDaSW_SX_EUlSW_E_NS1_11comp_targetILNS1_3genE5ELNS1_11target_archE942ELNS1_3gpuE9ELNS1_3repE0EEENS1_30default_config_static_selectorELNS0_4arch9wavefront6targetE0EEEvT1_
                                        ; -- End function
	.set _ZN7rocprim17ROCPRIM_400000_NS6detail17trampoline_kernelINS0_14default_configENS1_33run_length_encode_config_selectorIN3c104HalfEjNS0_4plusIjEEEEZZNS1_33reduce_by_key_impl_wrapped_configILNS1_25lookback_scan_determinismE0ES3_S9_PKS6_NS0_17constant_iteratorIjlEEPS6_PlSH_S8_NS0_8equal_toIS6_EEEE10hipError_tPvRmT2_T3_mT4_T5_T6_T7_T8_P12ihipStream_tbENKUlT_T0_E_clISt17integral_constantIbLb1EES10_IbLb0EEEEDaSW_SX_EUlSW_E_NS1_11comp_targetILNS1_3genE5ELNS1_11target_archE942ELNS1_3gpuE9ELNS1_3repE0EEENS1_30default_config_static_selectorELNS0_4arch9wavefront6targetE0EEEvT1_.num_vgpr, 0
	.set _ZN7rocprim17ROCPRIM_400000_NS6detail17trampoline_kernelINS0_14default_configENS1_33run_length_encode_config_selectorIN3c104HalfEjNS0_4plusIjEEEEZZNS1_33reduce_by_key_impl_wrapped_configILNS1_25lookback_scan_determinismE0ES3_S9_PKS6_NS0_17constant_iteratorIjlEEPS6_PlSH_S8_NS0_8equal_toIS6_EEEE10hipError_tPvRmT2_T3_mT4_T5_T6_T7_T8_P12ihipStream_tbENKUlT_T0_E_clISt17integral_constantIbLb1EES10_IbLb0EEEEDaSW_SX_EUlSW_E_NS1_11comp_targetILNS1_3genE5ELNS1_11target_archE942ELNS1_3gpuE9ELNS1_3repE0EEENS1_30default_config_static_selectorELNS0_4arch9wavefront6targetE0EEEvT1_.num_agpr, 0
	.set _ZN7rocprim17ROCPRIM_400000_NS6detail17trampoline_kernelINS0_14default_configENS1_33run_length_encode_config_selectorIN3c104HalfEjNS0_4plusIjEEEEZZNS1_33reduce_by_key_impl_wrapped_configILNS1_25lookback_scan_determinismE0ES3_S9_PKS6_NS0_17constant_iteratorIjlEEPS6_PlSH_S8_NS0_8equal_toIS6_EEEE10hipError_tPvRmT2_T3_mT4_T5_T6_T7_T8_P12ihipStream_tbENKUlT_T0_E_clISt17integral_constantIbLb1EES10_IbLb0EEEEDaSW_SX_EUlSW_E_NS1_11comp_targetILNS1_3genE5ELNS1_11target_archE942ELNS1_3gpuE9ELNS1_3repE0EEENS1_30default_config_static_selectorELNS0_4arch9wavefront6targetE0EEEvT1_.numbered_sgpr, 0
	.set _ZN7rocprim17ROCPRIM_400000_NS6detail17trampoline_kernelINS0_14default_configENS1_33run_length_encode_config_selectorIN3c104HalfEjNS0_4plusIjEEEEZZNS1_33reduce_by_key_impl_wrapped_configILNS1_25lookback_scan_determinismE0ES3_S9_PKS6_NS0_17constant_iteratorIjlEEPS6_PlSH_S8_NS0_8equal_toIS6_EEEE10hipError_tPvRmT2_T3_mT4_T5_T6_T7_T8_P12ihipStream_tbENKUlT_T0_E_clISt17integral_constantIbLb1EES10_IbLb0EEEEDaSW_SX_EUlSW_E_NS1_11comp_targetILNS1_3genE5ELNS1_11target_archE942ELNS1_3gpuE9ELNS1_3repE0EEENS1_30default_config_static_selectorELNS0_4arch9wavefront6targetE0EEEvT1_.num_named_barrier, 0
	.set _ZN7rocprim17ROCPRIM_400000_NS6detail17trampoline_kernelINS0_14default_configENS1_33run_length_encode_config_selectorIN3c104HalfEjNS0_4plusIjEEEEZZNS1_33reduce_by_key_impl_wrapped_configILNS1_25lookback_scan_determinismE0ES3_S9_PKS6_NS0_17constant_iteratorIjlEEPS6_PlSH_S8_NS0_8equal_toIS6_EEEE10hipError_tPvRmT2_T3_mT4_T5_T6_T7_T8_P12ihipStream_tbENKUlT_T0_E_clISt17integral_constantIbLb1EES10_IbLb0EEEEDaSW_SX_EUlSW_E_NS1_11comp_targetILNS1_3genE5ELNS1_11target_archE942ELNS1_3gpuE9ELNS1_3repE0EEENS1_30default_config_static_selectorELNS0_4arch9wavefront6targetE0EEEvT1_.private_seg_size, 0
	.set _ZN7rocprim17ROCPRIM_400000_NS6detail17trampoline_kernelINS0_14default_configENS1_33run_length_encode_config_selectorIN3c104HalfEjNS0_4plusIjEEEEZZNS1_33reduce_by_key_impl_wrapped_configILNS1_25lookback_scan_determinismE0ES3_S9_PKS6_NS0_17constant_iteratorIjlEEPS6_PlSH_S8_NS0_8equal_toIS6_EEEE10hipError_tPvRmT2_T3_mT4_T5_T6_T7_T8_P12ihipStream_tbENKUlT_T0_E_clISt17integral_constantIbLb1EES10_IbLb0EEEEDaSW_SX_EUlSW_E_NS1_11comp_targetILNS1_3genE5ELNS1_11target_archE942ELNS1_3gpuE9ELNS1_3repE0EEENS1_30default_config_static_selectorELNS0_4arch9wavefront6targetE0EEEvT1_.uses_vcc, 0
	.set _ZN7rocprim17ROCPRIM_400000_NS6detail17trampoline_kernelINS0_14default_configENS1_33run_length_encode_config_selectorIN3c104HalfEjNS0_4plusIjEEEEZZNS1_33reduce_by_key_impl_wrapped_configILNS1_25lookback_scan_determinismE0ES3_S9_PKS6_NS0_17constant_iteratorIjlEEPS6_PlSH_S8_NS0_8equal_toIS6_EEEE10hipError_tPvRmT2_T3_mT4_T5_T6_T7_T8_P12ihipStream_tbENKUlT_T0_E_clISt17integral_constantIbLb1EES10_IbLb0EEEEDaSW_SX_EUlSW_E_NS1_11comp_targetILNS1_3genE5ELNS1_11target_archE942ELNS1_3gpuE9ELNS1_3repE0EEENS1_30default_config_static_selectorELNS0_4arch9wavefront6targetE0EEEvT1_.uses_flat_scratch, 0
	.set _ZN7rocprim17ROCPRIM_400000_NS6detail17trampoline_kernelINS0_14default_configENS1_33run_length_encode_config_selectorIN3c104HalfEjNS0_4plusIjEEEEZZNS1_33reduce_by_key_impl_wrapped_configILNS1_25lookback_scan_determinismE0ES3_S9_PKS6_NS0_17constant_iteratorIjlEEPS6_PlSH_S8_NS0_8equal_toIS6_EEEE10hipError_tPvRmT2_T3_mT4_T5_T6_T7_T8_P12ihipStream_tbENKUlT_T0_E_clISt17integral_constantIbLb1EES10_IbLb0EEEEDaSW_SX_EUlSW_E_NS1_11comp_targetILNS1_3genE5ELNS1_11target_archE942ELNS1_3gpuE9ELNS1_3repE0EEENS1_30default_config_static_selectorELNS0_4arch9wavefront6targetE0EEEvT1_.has_dyn_sized_stack, 0
	.set _ZN7rocprim17ROCPRIM_400000_NS6detail17trampoline_kernelINS0_14default_configENS1_33run_length_encode_config_selectorIN3c104HalfEjNS0_4plusIjEEEEZZNS1_33reduce_by_key_impl_wrapped_configILNS1_25lookback_scan_determinismE0ES3_S9_PKS6_NS0_17constant_iteratorIjlEEPS6_PlSH_S8_NS0_8equal_toIS6_EEEE10hipError_tPvRmT2_T3_mT4_T5_T6_T7_T8_P12ihipStream_tbENKUlT_T0_E_clISt17integral_constantIbLb1EES10_IbLb0EEEEDaSW_SX_EUlSW_E_NS1_11comp_targetILNS1_3genE5ELNS1_11target_archE942ELNS1_3gpuE9ELNS1_3repE0EEENS1_30default_config_static_selectorELNS0_4arch9wavefront6targetE0EEEvT1_.has_recursion, 0
	.set _ZN7rocprim17ROCPRIM_400000_NS6detail17trampoline_kernelINS0_14default_configENS1_33run_length_encode_config_selectorIN3c104HalfEjNS0_4plusIjEEEEZZNS1_33reduce_by_key_impl_wrapped_configILNS1_25lookback_scan_determinismE0ES3_S9_PKS6_NS0_17constant_iteratorIjlEEPS6_PlSH_S8_NS0_8equal_toIS6_EEEE10hipError_tPvRmT2_T3_mT4_T5_T6_T7_T8_P12ihipStream_tbENKUlT_T0_E_clISt17integral_constantIbLb1EES10_IbLb0EEEEDaSW_SX_EUlSW_E_NS1_11comp_targetILNS1_3genE5ELNS1_11target_archE942ELNS1_3gpuE9ELNS1_3repE0EEENS1_30default_config_static_selectorELNS0_4arch9wavefront6targetE0EEEvT1_.has_indirect_call, 0
	.section	.AMDGPU.csdata,"",@progbits
; Kernel info:
; codeLenInByte = 0
; TotalNumSgprs: 0
; NumVgprs: 0
; ScratchSize: 0
; MemoryBound: 0
; FloatMode: 240
; IeeeMode: 1
; LDSByteSize: 0 bytes/workgroup (compile time only)
; SGPRBlocks: 0
; VGPRBlocks: 0
; NumSGPRsForWavesPerEU: 1
; NumVGPRsForWavesPerEU: 1
; NamedBarCnt: 0
; Occupancy: 16
; WaveLimiterHint : 0
; COMPUTE_PGM_RSRC2:SCRATCH_EN: 0
; COMPUTE_PGM_RSRC2:USER_SGPR: 2
; COMPUTE_PGM_RSRC2:TRAP_HANDLER: 0
; COMPUTE_PGM_RSRC2:TGID_X_EN: 1
; COMPUTE_PGM_RSRC2:TGID_Y_EN: 0
; COMPUTE_PGM_RSRC2:TGID_Z_EN: 0
; COMPUTE_PGM_RSRC2:TIDIG_COMP_CNT: 0
	.section	.text._ZN7rocprim17ROCPRIM_400000_NS6detail17trampoline_kernelINS0_14default_configENS1_33run_length_encode_config_selectorIN3c104HalfEjNS0_4plusIjEEEEZZNS1_33reduce_by_key_impl_wrapped_configILNS1_25lookback_scan_determinismE0ES3_S9_PKS6_NS0_17constant_iteratorIjlEEPS6_PlSH_S8_NS0_8equal_toIS6_EEEE10hipError_tPvRmT2_T3_mT4_T5_T6_T7_T8_P12ihipStream_tbENKUlT_T0_E_clISt17integral_constantIbLb1EES10_IbLb0EEEEDaSW_SX_EUlSW_E_NS1_11comp_targetILNS1_3genE4ELNS1_11target_archE910ELNS1_3gpuE8ELNS1_3repE0EEENS1_30default_config_static_selectorELNS0_4arch9wavefront6targetE0EEEvT1_,"axG",@progbits,_ZN7rocprim17ROCPRIM_400000_NS6detail17trampoline_kernelINS0_14default_configENS1_33run_length_encode_config_selectorIN3c104HalfEjNS0_4plusIjEEEEZZNS1_33reduce_by_key_impl_wrapped_configILNS1_25lookback_scan_determinismE0ES3_S9_PKS6_NS0_17constant_iteratorIjlEEPS6_PlSH_S8_NS0_8equal_toIS6_EEEE10hipError_tPvRmT2_T3_mT4_T5_T6_T7_T8_P12ihipStream_tbENKUlT_T0_E_clISt17integral_constantIbLb1EES10_IbLb0EEEEDaSW_SX_EUlSW_E_NS1_11comp_targetILNS1_3genE4ELNS1_11target_archE910ELNS1_3gpuE8ELNS1_3repE0EEENS1_30default_config_static_selectorELNS0_4arch9wavefront6targetE0EEEvT1_,comdat
	.protected	_ZN7rocprim17ROCPRIM_400000_NS6detail17trampoline_kernelINS0_14default_configENS1_33run_length_encode_config_selectorIN3c104HalfEjNS0_4plusIjEEEEZZNS1_33reduce_by_key_impl_wrapped_configILNS1_25lookback_scan_determinismE0ES3_S9_PKS6_NS0_17constant_iteratorIjlEEPS6_PlSH_S8_NS0_8equal_toIS6_EEEE10hipError_tPvRmT2_T3_mT4_T5_T6_T7_T8_P12ihipStream_tbENKUlT_T0_E_clISt17integral_constantIbLb1EES10_IbLb0EEEEDaSW_SX_EUlSW_E_NS1_11comp_targetILNS1_3genE4ELNS1_11target_archE910ELNS1_3gpuE8ELNS1_3repE0EEENS1_30default_config_static_selectorELNS0_4arch9wavefront6targetE0EEEvT1_ ; -- Begin function _ZN7rocprim17ROCPRIM_400000_NS6detail17trampoline_kernelINS0_14default_configENS1_33run_length_encode_config_selectorIN3c104HalfEjNS0_4plusIjEEEEZZNS1_33reduce_by_key_impl_wrapped_configILNS1_25lookback_scan_determinismE0ES3_S9_PKS6_NS0_17constant_iteratorIjlEEPS6_PlSH_S8_NS0_8equal_toIS6_EEEE10hipError_tPvRmT2_T3_mT4_T5_T6_T7_T8_P12ihipStream_tbENKUlT_T0_E_clISt17integral_constantIbLb1EES10_IbLb0EEEEDaSW_SX_EUlSW_E_NS1_11comp_targetILNS1_3genE4ELNS1_11target_archE910ELNS1_3gpuE8ELNS1_3repE0EEENS1_30default_config_static_selectorELNS0_4arch9wavefront6targetE0EEEvT1_
	.globl	_ZN7rocprim17ROCPRIM_400000_NS6detail17trampoline_kernelINS0_14default_configENS1_33run_length_encode_config_selectorIN3c104HalfEjNS0_4plusIjEEEEZZNS1_33reduce_by_key_impl_wrapped_configILNS1_25lookback_scan_determinismE0ES3_S9_PKS6_NS0_17constant_iteratorIjlEEPS6_PlSH_S8_NS0_8equal_toIS6_EEEE10hipError_tPvRmT2_T3_mT4_T5_T6_T7_T8_P12ihipStream_tbENKUlT_T0_E_clISt17integral_constantIbLb1EES10_IbLb0EEEEDaSW_SX_EUlSW_E_NS1_11comp_targetILNS1_3genE4ELNS1_11target_archE910ELNS1_3gpuE8ELNS1_3repE0EEENS1_30default_config_static_selectorELNS0_4arch9wavefront6targetE0EEEvT1_
	.p2align	8
	.type	_ZN7rocprim17ROCPRIM_400000_NS6detail17trampoline_kernelINS0_14default_configENS1_33run_length_encode_config_selectorIN3c104HalfEjNS0_4plusIjEEEEZZNS1_33reduce_by_key_impl_wrapped_configILNS1_25lookback_scan_determinismE0ES3_S9_PKS6_NS0_17constant_iteratorIjlEEPS6_PlSH_S8_NS0_8equal_toIS6_EEEE10hipError_tPvRmT2_T3_mT4_T5_T6_T7_T8_P12ihipStream_tbENKUlT_T0_E_clISt17integral_constantIbLb1EES10_IbLb0EEEEDaSW_SX_EUlSW_E_NS1_11comp_targetILNS1_3genE4ELNS1_11target_archE910ELNS1_3gpuE8ELNS1_3repE0EEENS1_30default_config_static_selectorELNS0_4arch9wavefront6targetE0EEEvT1_,@function
_ZN7rocprim17ROCPRIM_400000_NS6detail17trampoline_kernelINS0_14default_configENS1_33run_length_encode_config_selectorIN3c104HalfEjNS0_4plusIjEEEEZZNS1_33reduce_by_key_impl_wrapped_configILNS1_25lookback_scan_determinismE0ES3_S9_PKS6_NS0_17constant_iteratorIjlEEPS6_PlSH_S8_NS0_8equal_toIS6_EEEE10hipError_tPvRmT2_T3_mT4_T5_T6_T7_T8_P12ihipStream_tbENKUlT_T0_E_clISt17integral_constantIbLb1EES10_IbLb0EEEEDaSW_SX_EUlSW_E_NS1_11comp_targetILNS1_3genE4ELNS1_11target_archE910ELNS1_3gpuE8ELNS1_3repE0EEENS1_30default_config_static_selectorELNS0_4arch9wavefront6targetE0EEEvT1_: ; @_ZN7rocprim17ROCPRIM_400000_NS6detail17trampoline_kernelINS0_14default_configENS1_33run_length_encode_config_selectorIN3c104HalfEjNS0_4plusIjEEEEZZNS1_33reduce_by_key_impl_wrapped_configILNS1_25lookback_scan_determinismE0ES3_S9_PKS6_NS0_17constant_iteratorIjlEEPS6_PlSH_S8_NS0_8equal_toIS6_EEEE10hipError_tPvRmT2_T3_mT4_T5_T6_T7_T8_P12ihipStream_tbENKUlT_T0_E_clISt17integral_constantIbLb1EES10_IbLb0EEEEDaSW_SX_EUlSW_E_NS1_11comp_targetILNS1_3genE4ELNS1_11target_archE910ELNS1_3gpuE8ELNS1_3repE0EEENS1_30default_config_static_selectorELNS0_4arch9wavefront6targetE0EEEvT1_
; %bb.0:
	.section	.rodata,"a",@progbits
	.p2align	6, 0x0
	.amdhsa_kernel _ZN7rocprim17ROCPRIM_400000_NS6detail17trampoline_kernelINS0_14default_configENS1_33run_length_encode_config_selectorIN3c104HalfEjNS0_4plusIjEEEEZZNS1_33reduce_by_key_impl_wrapped_configILNS1_25lookback_scan_determinismE0ES3_S9_PKS6_NS0_17constant_iteratorIjlEEPS6_PlSH_S8_NS0_8equal_toIS6_EEEE10hipError_tPvRmT2_T3_mT4_T5_T6_T7_T8_P12ihipStream_tbENKUlT_T0_E_clISt17integral_constantIbLb1EES10_IbLb0EEEEDaSW_SX_EUlSW_E_NS1_11comp_targetILNS1_3genE4ELNS1_11target_archE910ELNS1_3gpuE8ELNS1_3repE0EEENS1_30default_config_static_selectorELNS0_4arch9wavefront6targetE0EEEvT1_
		.amdhsa_group_segment_fixed_size 0
		.amdhsa_private_segment_fixed_size 0
		.amdhsa_kernarg_size 128
		.amdhsa_user_sgpr_count 2
		.amdhsa_user_sgpr_dispatch_ptr 0
		.amdhsa_user_sgpr_queue_ptr 0
		.amdhsa_user_sgpr_kernarg_segment_ptr 1
		.amdhsa_user_sgpr_dispatch_id 0
		.amdhsa_user_sgpr_kernarg_preload_length 0
		.amdhsa_user_sgpr_kernarg_preload_offset 0
		.amdhsa_user_sgpr_private_segment_size 0
		.amdhsa_wavefront_size32 1
		.amdhsa_uses_dynamic_stack 0
		.amdhsa_enable_private_segment 0
		.amdhsa_system_sgpr_workgroup_id_x 1
		.amdhsa_system_sgpr_workgroup_id_y 0
		.amdhsa_system_sgpr_workgroup_id_z 0
		.amdhsa_system_sgpr_workgroup_info 0
		.amdhsa_system_vgpr_workitem_id 0
		.amdhsa_next_free_vgpr 1
		.amdhsa_next_free_sgpr 1
		.amdhsa_named_barrier_count 0
		.amdhsa_reserve_vcc 0
		.amdhsa_float_round_mode_32 0
		.amdhsa_float_round_mode_16_64 0
		.amdhsa_float_denorm_mode_32 3
		.amdhsa_float_denorm_mode_16_64 3
		.amdhsa_fp16_overflow 0
		.amdhsa_memory_ordered 1
		.amdhsa_forward_progress 1
		.amdhsa_inst_pref_size 0
		.amdhsa_round_robin_scheduling 0
		.amdhsa_exception_fp_ieee_invalid_op 0
		.amdhsa_exception_fp_denorm_src 0
		.amdhsa_exception_fp_ieee_div_zero 0
		.amdhsa_exception_fp_ieee_overflow 0
		.amdhsa_exception_fp_ieee_underflow 0
		.amdhsa_exception_fp_ieee_inexact 0
		.amdhsa_exception_int_div_zero 0
	.end_amdhsa_kernel
	.section	.text._ZN7rocprim17ROCPRIM_400000_NS6detail17trampoline_kernelINS0_14default_configENS1_33run_length_encode_config_selectorIN3c104HalfEjNS0_4plusIjEEEEZZNS1_33reduce_by_key_impl_wrapped_configILNS1_25lookback_scan_determinismE0ES3_S9_PKS6_NS0_17constant_iteratorIjlEEPS6_PlSH_S8_NS0_8equal_toIS6_EEEE10hipError_tPvRmT2_T3_mT4_T5_T6_T7_T8_P12ihipStream_tbENKUlT_T0_E_clISt17integral_constantIbLb1EES10_IbLb0EEEEDaSW_SX_EUlSW_E_NS1_11comp_targetILNS1_3genE4ELNS1_11target_archE910ELNS1_3gpuE8ELNS1_3repE0EEENS1_30default_config_static_selectorELNS0_4arch9wavefront6targetE0EEEvT1_,"axG",@progbits,_ZN7rocprim17ROCPRIM_400000_NS6detail17trampoline_kernelINS0_14default_configENS1_33run_length_encode_config_selectorIN3c104HalfEjNS0_4plusIjEEEEZZNS1_33reduce_by_key_impl_wrapped_configILNS1_25lookback_scan_determinismE0ES3_S9_PKS6_NS0_17constant_iteratorIjlEEPS6_PlSH_S8_NS0_8equal_toIS6_EEEE10hipError_tPvRmT2_T3_mT4_T5_T6_T7_T8_P12ihipStream_tbENKUlT_T0_E_clISt17integral_constantIbLb1EES10_IbLb0EEEEDaSW_SX_EUlSW_E_NS1_11comp_targetILNS1_3genE4ELNS1_11target_archE910ELNS1_3gpuE8ELNS1_3repE0EEENS1_30default_config_static_selectorELNS0_4arch9wavefront6targetE0EEEvT1_,comdat
.Lfunc_end945:
	.size	_ZN7rocprim17ROCPRIM_400000_NS6detail17trampoline_kernelINS0_14default_configENS1_33run_length_encode_config_selectorIN3c104HalfEjNS0_4plusIjEEEEZZNS1_33reduce_by_key_impl_wrapped_configILNS1_25lookback_scan_determinismE0ES3_S9_PKS6_NS0_17constant_iteratorIjlEEPS6_PlSH_S8_NS0_8equal_toIS6_EEEE10hipError_tPvRmT2_T3_mT4_T5_T6_T7_T8_P12ihipStream_tbENKUlT_T0_E_clISt17integral_constantIbLb1EES10_IbLb0EEEEDaSW_SX_EUlSW_E_NS1_11comp_targetILNS1_3genE4ELNS1_11target_archE910ELNS1_3gpuE8ELNS1_3repE0EEENS1_30default_config_static_selectorELNS0_4arch9wavefront6targetE0EEEvT1_, .Lfunc_end945-_ZN7rocprim17ROCPRIM_400000_NS6detail17trampoline_kernelINS0_14default_configENS1_33run_length_encode_config_selectorIN3c104HalfEjNS0_4plusIjEEEEZZNS1_33reduce_by_key_impl_wrapped_configILNS1_25lookback_scan_determinismE0ES3_S9_PKS6_NS0_17constant_iteratorIjlEEPS6_PlSH_S8_NS0_8equal_toIS6_EEEE10hipError_tPvRmT2_T3_mT4_T5_T6_T7_T8_P12ihipStream_tbENKUlT_T0_E_clISt17integral_constantIbLb1EES10_IbLb0EEEEDaSW_SX_EUlSW_E_NS1_11comp_targetILNS1_3genE4ELNS1_11target_archE910ELNS1_3gpuE8ELNS1_3repE0EEENS1_30default_config_static_selectorELNS0_4arch9wavefront6targetE0EEEvT1_
                                        ; -- End function
	.set _ZN7rocprim17ROCPRIM_400000_NS6detail17trampoline_kernelINS0_14default_configENS1_33run_length_encode_config_selectorIN3c104HalfEjNS0_4plusIjEEEEZZNS1_33reduce_by_key_impl_wrapped_configILNS1_25lookback_scan_determinismE0ES3_S9_PKS6_NS0_17constant_iteratorIjlEEPS6_PlSH_S8_NS0_8equal_toIS6_EEEE10hipError_tPvRmT2_T3_mT4_T5_T6_T7_T8_P12ihipStream_tbENKUlT_T0_E_clISt17integral_constantIbLb1EES10_IbLb0EEEEDaSW_SX_EUlSW_E_NS1_11comp_targetILNS1_3genE4ELNS1_11target_archE910ELNS1_3gpuE8ELNS1_3repE0EEENS1_30default_config_static_selectorELNS0_4arch9wavefront6targetE0EEEvT1_.num_vgpr, 0
	.set _ZN7rocprim17ROCPRIM_400000_NS6detail17trampoline_kernelINS0_14default_configENS1_33run_length_encode_config_selectorIN3c104HalfEjNS0_4plusIjEEEEZZNS1_33reduce_by_key_impl_wrapped_configILNS1_25lookback_scan_determinismE0ES3_S9_PKS6_NS0_17constant_iteratorIjlEEPS6_PlSH_S8_NS0_8equal_toIS6_EEEE10hipError_tPvRmT2_T3_mT4_T5_T6_T7_T8_P12ihipStream_tbENKUlT_T0_E_clISt17integral_constantIbLb1EES10_IbLb0EEEEDaSW_SX_EUlSW_E_NS1_11comp_targetILNS1_3genE4ELNS1_11target_archE910ELNS1_3gpuE8ELNS1_3repE0EEENS1_30default_config_static_selectorELNS0_4arch9wavefront6targetE0EEEvT1_.num_agpr, 0
	.set _ZN7rocprim17ROCPRIM_400000_NS6detail17trampoline_kernelINS0_14default_configENS1_33run_length_encode_config_selectorIN3c104HalfEjNS0_4plusIjEEEEZZNS1_33reduce_by_key_impl_wrapped_configILNS1_25lookback_scan_determinismE0ES3_S9_PKS6_NS0_17constant_iteratorIjlEEPS6_PlSH_S8_NS0_8equal_toIS6_EEEE10hipError_tPvRmT2_T3_mT4_T5_T6_T7_T8_P12ihipStream_tbENKUlT_T0_E_clISt17integral_constantIbLb1EES10_IbLb0EEEEDaSW_SX_EUlSW_E_NS1_11comp_targetILNS1_3genE4ELNS1_11target_archE910ELNS1_3gpuE8ELNS1_3repE0EEENS1_30default_config_static_selectorELNS0_4arch9wavefront6targetE0EEEvT1_.numbered_sgpr, 0
	.set _ZN7rocprim17ROCPRIM_400000_NS6detail17trampoline_kernelINS0_14default_configENS1_33run_length_encode_config_selectorIN3c104HalfEjNS0_4plusIjEEEEZZNS1_33reduce_by_key_impl_wrapped_configILNS1_25lookback_scan_determinismE0ES3_S9_PKS6_NS0_17constant_iteratorIjlEEPS6_PlSH_S8_NS0_8equal_toIS6_EEEE10hipError_tPvRmT2_T3_mT4_T5_T6_T7_T8_P12ihipStream_tbENKUlT_T0_E_clISt17integral_constantIbLb1EES10_IbLb0EEEEDaSW_SX_EUlSW_E_NS1_11comp_targetILNS1_3genE4ELNS1_11target_archE910ELNS1_3gpuE8ELNS1_3repE0EEENS1_30default_config_static_selectorELNS0_4arch9wavefront6targetE0EEEvT1_.num_named_barrier, 0
	.set _ZN7rocprim17ROCPRIM_400000_NS6detail17trampoline_kernelINS0_14default_configENS1_33run_length_encode_config_selectorIN3c104HalfEjNS0_4plusIjEEEEZZNS1_33reduce_by_key_impl_wrapped_configILNS1_25lookback_scan_determinismE0ES3_S9_PKS6_NS0_17constant_iteratorIjlEEPS6_PlSH_S8_NS0_8equal_toIS6_EEEE10hipError_tPvRmT2_T3_mT4_T5_T6_T7_T8_P12ihipStream_tbENKUlT_T0_E_clISt17integral_constantIbLb1EES10_IbLb0EEEEDaSW_SX_EUlSW_E_NS1_11comp_targetILNS1_3genE4ELNS1_11target_archE910ELNS1_3gpuE8ELNS1_3repE0EEENS1_30default_config_static_selectorELNS0_4arch9wavefront6targetE0EEEvT1_.private_seg_size, 0
	.set _ZN7rocprim17ROCPRIM_400000_NS6detail17trampoline_kernelINS0_14default_configENS1_33run_length_encode_config_selectorIN3c104HalfEjNS0_4plusIjEEEEZZNS1_33reduce_by_key_impl_wrapped_configILNS1_25lookback_scan_determinismE0ES3_S9_PKS6_NS0_17constant_iteratorIjlEEPS6_PlSH_S8_NS0_8equal_toIS6_EEEE10hipError_tPvRmT2_T3_mT4_T5_T6_T7_T8_P12ihipStream_tbENKUlT_T0_E_clISt17integral_constantIbLb1EES10_IbLb0EEEEDaSW_SX_EUlSW_E_NS1_11comp_targetILNS1_3genE4ELNS1_11target_archE910ELNS1_3gpuE8ELNS1_3repE0EEENS1_30default_config_static_selectorELNS0_4arch9wavefront6targetE0EEEvT1_.uses_vcc, 0
	.set _ZN7rocprim17ROCPRIM_400000_NS6detail17trampoline_kernelINS0_14default_configENS1_33run_length_encode_config_selectorIN3c104HalfEjNS0_4plusIjEEEEZZNS1_33reduce_by_key_impl_wrapped_configILNS1_25lookback_scan_determinismE0ES3_S9_PKS6_NS0_17constant_iteratorIjlEEPS6_PlSH_S8_NS0_8equal_toIS6_EEEE10hipError_tPvRmT2_T3_mT4_T5_T6_T7_T8_P12ihipStream_tbENKUlT_T0_E_clISt17integral_constantIbLb1EES10_IbLb0EEEEDaSW_SX_EUlSW_E_NS1_11comp_targetILNS1_3genE4ELNS1_11target_archE910ELNS1_3gpuE8ELNS1_3repE0EEENS1_30default_config_static_selectorELNS0_4arch9wavefront6targetE0EEEvT1_.uses_flat_scratch, 0
	.set _ZN7rocprim17ROCPRIM_400000_NS6detail17trampoline_kernelINS0_14default_configENS1_33run_length_encode_config_selectorIN3c104HalfEjNS0_4plusIjEEEEZZNS1_33reduce_by_key_impl_wrapped_configILNS1_25lookback_scan_determinismE0ES3_S9_PKS6_NS0_17constant_iteratorIjlEEPS6_PlSH_S8_NS0_8equal_toIS6_EEEE10hipError_tPvRmT2_T3_mT4_T5_T6_T7_T8_P12ihipStream_tbENKUlT_T0_E_clISt17integral_constantIbLb1EES10_IbLb0EEEEDaSW_SX_EUlSW_E_NS1_11comp_targetILNS1_3genE4ELNS1_11target_archE910ELNS1_3gpuE8ELNS1_3repE0EEENS1_30default_config_static_selectorELNS0_4arch9wavefront6targetE0EEEvT1_.has_dyn_sized_stack, 0
	.set _ZN7rocprim17ROCPRIM_400000_NS6detail17trampoline_kernelINS0_14default_configENS1_33run_length_encode_config_selectorIN3c104HalfEjNS0_4plusIjEEEEZZNS1_33reduce_by_key_impl_wrapped_configILNS1_25lookback_scan_determinismE0ES3_S9_PKS6_NS0_17constant_iteratorIjlEEPS6_PlSH_S8_NS0_8equal_toIS6_EEEE10hipError_tPvRmT2_T3_mT4_T5_T6_T7_T8_P12ihipStream_tbENKUlT_T0_E_clISt17integral_constantIbLb1EES10_IbLb0EEEEDaSW_SX_EUlSW_E_NS1_11comp_targetILNS1_3genE4ELNS1_11target_archE910ELNS1_3gpuE8ELNS1_3repE0EEENS1_30default_config_static_selectorELNS0_4arch9wavefront6targetE0EEEvT1_.has_recursion, 0
	.set _ZN7rocprim17ROCPRIM_400000_NS6detail17trampoline_kernelINS0_14default_configENS1_33run_length_encode_config_selectorIN3c104HalfEjNS0_4plusIjEEEEZZNS1_33reduce_by_key_impl_wrapped_configILNS1_25lookback_scan_determinismE0ES3_S9_PKS6_NS0_17constant_iteratorIjlEEPS6_PlSH_S8_NS0_8equal_toIS6_EEEE10hipError_tPvRmT2_T3_mT4_T5_T6_T7_T8_P12ihipStream_tbENKUlT_T0_E_clISt17integral_constantIbLb1EES10_IbLb0EEEEDaSW_SX_EUlSW_E_NS1_11comp_targetILNS1_3genE4ELNS1_11target_archE910ELNS1_3gpuE8ELNS1_3repE0EEENS1_30default_config_static_selectorELNS0_4arch9wavefront6targetE0EEEvT1_.has_indirect_call, 0
	.section	.AMDGPU.csdata,"",@progbits
; Kernel info:
; codeLenInByte = 0
; TotalNumSgprs: 0
; NumVgprs: 0
; ScratchSize: 0
; MemoryBound: 0
; FloatMode: 240
; IeeeMode: 1
; LDSByteSize: 0 bytes/workgroup (compile time only)
; SGPRBlocks: 0
; VGPRBlocks: 0
; NumSGPRsForWavesPerEU: 1
; NumVGPRsForWavesPerEU: 1
; NamedBarCnt: 0
; Occupancy: 16
; WaveLimiterHint : 0
; COMPUTE_PGM_RSRC2:SCRATCH_EN: 0
; COMPUTE_PGM_RSRC2:USER_SGPR: 2
; COMPUTE_PGM_RSRC2:TRAP_HANDLER: 0
; COMPUTE_PGM_RSRC2:TGID_X_EN: 1
; COMPUTE_PGM_RSRC2:TGID_Y_EN: 0
; COMPUTE_PGM_RSRC2:TGID_Z_EN: 0
; COMPUTE_PGM_RSRC2:TIDIG_COMP_CNT: 0
	.section	.text._ZN7rocprim17ROCPRIM_400000_NS6detail17trampoline_kernelINS0_14default_configENS1_33run_length_encode_config_selectorIN3c104HalfEjNS0_4plusIjEEEEZZNS1_33reduce_by_key_impl_wrapped_configILNS1_25lookback_scan_determinismE0ES3_S9_PKS6_NS0_17constant_iteratorIjlEEPS6_PlSH_S8_NS0_8equal_toIS6_EEEE10hipError_tPvRmT2_T3_mT4_T5_T6_T7_T8_P12ihipStream_tbENKUlT_T0_E_clISt17integral_constantIbLb1EES10_IbLb0EEEEDaSW_SX_EUlSW_E_NS1_11comp_targetILNS1_3genE3ELNS1_11target_archE908ELNS1_3gpuE7ELNS1_3repE0EEENS1_30default_config_static_selectorELNS0_4arch9wavefront6targetE0EEEvT1_,"axG",@progbits,_ZN7rocprim17ROCPRIM_400000_NS6detail17trampoline_kernelINS0_14default_configENS1_33run_length_encode_config_selectorIN3c104HalfEjNS0_4plusIjEEEEZZNS1_33reduce_by_key_impl_wrapped_configILNS1_25lookback_scan_determinismE0ES3_S9_PKS6_NS0_17constant_iteratorIjlEEPS6_PlSH_S8_NS0_8equal_toIS6_EEEE10hipError_tPvRmT2_T3_mT4_T5_T6_T7_T8_P12ihipStream_tbENKUlT_T0_E_clISt17integral_constantIbLb1EES10_IbLb0EEEEDaSW_SX_EUlSW_E_NS1_11comp_targetILNS1_3genE3ELNS1_11target_archE908ELNS1_3gpuE7ELNS1_3repE0EEENS1_30default_config_static_selectorELNS0_4arch9wavefront6targetE0EEEvT1_,comdat
	.protected	_ZN7rocprim17ROCPRIM_400000_NS6detail17trampoline_kernelINS0_14default_configENS1_33run_length_encode_config_selectorIN3c104HalfEjNS0_4plusIjEEEEZZNS1_33reduce_by_key_impl_wrapped_configILNS1_25lookback_scan_determinismE0ES3_S9_PKS6_NS0_17constant_iteratorIjlEEPS6_PlSH_S8_NS0_8equal_toIS6_EEEE10hipError_tPvRmT2_T3_mT4_T5_T6_T7_T8_P12ihipStream_tbENKUlT_T0_E_clISt17integral_constantIbLb1EES10_IbLb0EEEEDaSW_SX_EUlSW_E_NS1_11comp_targetILNS1_3genE3ELNS1_11target_archE908ELNS1_3gpuE7ELNS1_3repE0EEENS1_30default_config_static_selectorELNS0_4arch9wavefront6targetE0EEEvT1_ ; -- Begin function _ZN7rocprim17ROCPRIM_400000_NS6detail17trampoline_kernelINS0_14default_configENS1_33run_length_encode_config_selectorIN3c104HalfEjNS0_4plusIjEEEEZZNS1_33reduce_by_key_impl_wrapped_configILNS1_25lookback_scan_determinismE0ES3_S9_PKS6_NS0_17constant_iteratorIjlEEPS6_PlSH_S8_NS0_8equal_toIS6_EEEE10hipError_tPvRmT2_T3_mT4_T5_T6_T7_T8_P12ihipStream_tbENKUlT_T0_E_clISt17integral_constantIbLb1EES10_IbLb0EEEEDaSW_SX_EUlSW_E_NS1_11comp_targetILNS1_3genE3ELNS1_11target_archE908ELNS1_3gpuE7ELNS1_3repE0EEENS1_30default_config_static_selectorELNS0_4arch9wavefront6targetE0EEEvT1_
	.globl	_ZN7rocprim17ROCPRIM_400000_NS6detail17trampoline_kernelINS0_14default_configENS1_33run_length_encode_config_selectorIN3c104HalfEjNS0_4plusIjEEEEZZNS1_33reduce_by_key_impl_wrapped_configILNS1_25lookback_scan_determinismE0ES3_S9_PKS6_NS0_17constant_iteratorIjlEEPS6_PlSH_S8_NS0_8equal_toIS6_EEEE10hipError_tPvRmT2_T3_mT4_T5_T6_T7_T8_P12ihipStream_tbENKUlT_T0_E_clISt17integral_constantIbLb1EES10_IbLb0EEEEDaSW_SX_EUlSW_E_NS1_11comp_targetILNS1_3genE3ELNS1_11target_archE908ELNS1_3gpuE7ELNS1_3repE0EEENS1_30default_config_static_selectorELNS0_4arch9wavefront6targetE0EEEvT1_
	.p2align	8
	.type	_ZN7rocprim17ROCPRIM_400000_NS6detail17trampoline_kernelINS0_14default_configENS1_33run_length_encode_config_selectorIN3c104HalfEjNS0_4plusIjEEEEZZNS1_33reduce_by_key_impl_wrapped_configILNS1_25lookback_scan_determinismE0ES3_S9_PKS6_NS0_17constant_iteratorIjlEEPS6_PlSH_S8_NS0_8equal_toIS6_EEEE10hipError_tPvRmT2_T3_mT4_T5_T6_T7_T8_P12ihipStream_tbENKUlT_T0_E_clISt17integral_constantIbLb1EES10_IbLb0EEEEDaSW_SX_EUlSW_E_NS1_11comp_targetILNS1_3genE3ELNS1_11target_archE908ELNS1_3gpuE7ELNS1_3repE0EEENS1_30default_config_static_selectorELNS0_4arch9wavefront6targetE0EEEvT1_,@function
_ZN7rocprim17ROCPRIM_400000_NS6detail17trampoline_kernelINS0_14default_configENS1_33run_length_encode_config_selectorIN3c104HalfEjNS0_4plusIjEEEEZZNS1_33reduce_by_key_impl_wrapped_configILNS1_25lookback_scan_determinismE0ES3_S9_PKS6_NS0_17constant_iteratorIjlEEPS6_PlSH_S8_NS0_8equal_toIS6_EEEE10hipError_tPvRmT2_T3_mT4_T5_T6_T7_T8_P12ihipStream_tbENKUlT_T0_E_clISt17integral_constantIbLb1EES10_IbLb0EEEEDaSW_SX_EUlSW_E_NS1_11comp_targetILNS1_3genE3ELNS1_11target_archE908ELNS1_3gpuE7ELNS1_3repE0EEENS1_30default_config_static_selectorELNS0_4arch9wavefront6targetE0EEEvT1_: ; @_ZN7rocprim17ROCPRIM_400000_NS6detail17trampoline_kernelINS0_14default_configENS1_33run_length_encode_config_selectorIN3c104HalfEjNS0_4plusIjEEEEZZNS1_33reduce_by_key_impl_wrapped_configILNS1_25lookback_scan_determinismE0ES3_S9_PKS6_NS0_17constant_iteratorIjlEEPS6_PlSH_S8_NS0_8equal_toIS6_EEEE10hipError_tPvRmT2_T3_mT4_T5_T6_T7_T8_P12ihipStream_tbENKUlT_T0_E_clISt17integral_constantIbLb1EES10_IbLb0EEEEDaSW_SX_EUlSW_E_NS1_11comp_targetILNS1_3genE3ELNS1_11target_archE908ELNS1_3gpuE7ELNS1_3repE0EEENS1_30default_config_static_selectorELNS0_4arch9wavefront6targetE0EEEvT1_
; %bb.0:
	.section	.rodata,"a",@progbits
	.p2align	6, 0x0
	.amdhsa_kernel _ZN7rocprim17ROCPRIM_400000_NS6detail17trampoline_kernelINS0_14default_configENS1_33run_length_encode_config_selectorIN3c104HalfEjNS0_4plusIjEEEEZZNS1_33reduce_by_key_impl_wrapped_configILNS1_25lookback_scan_determinismE0ES3_S9_PKS6_NS0_17constant_iteratorIjlEEPS6_PlSH_S8_NS0_8equal_toIS6_EEEE10hipError_tPvRmT2_T3_mT4_T5_T6_T7_T8_P12ihipStream_tbENKUlT_T0_E_clISt17integral_constantIbLb1EES10_IbLb0EEEEDaSW_SX_EUlSW_E_NS1_11comp_targetILNS1_3genE3ELNS1_11target_archE908ELNS1_3gpuE7ELNS1_3repE0EEENS1_30default_config_static_selectorELNS0_4arch9wavefront6targetE0EEEvT1_
		.amdhsa_group_segment_fixed_size 0
		.amdhsa_private_segment_fixed_size 0
		.amdhsa_kernarg_size 128
		.amdhsa_user_sgpr_count 2
		.amdhsa_user_sgpr_dispatch_ptr 0
		.amdhsa_user_sgpr_queue_ptr 0
		.amdhsa_user_sgpr_kernarg_segment_ptr 1
		.amdhsa_user_sgpr_dispatch_id 0
		.amdhsa_user_sgpr_kernarg_preload_length 0
		.amdhsa_user_sgpr_kernarg_preload_offset 0
		.amdhsa_user_sgpr_private_segment_size 0
		.amdhsa_wavefront_size32 1
		.amdhsa_uses_dynamic_stack 0
		.amdhsa_enable_private_segment 0
		.amdhsa_system_sgpr_workgroup_id_x 1
		.amdhsa_system_sgpr_workgroup_id_y 0
		.amdhsa_system_sgpr_workgroup_id_z 0
		.amdhsa_system_sgpr_workgroup_info 0
		.amdhsa_system_vgpr_workitem_id 0
		.amdhsa_next_free_vgpr 1
		.amdhsa_next_free_sgpr 1
		.amdhsa_named_barrier_count 0
		.amdhsa_reserve_vcc 0
		.amdhsa_float_round_mode_32 0
		.amdhsa_float_round_mode_16_64 0
		.amdhsa_float_denorm_mode_32 3
		.amdhsa_float_denorm_mode_16_64 3
		.amdhsa_fp16_overflow 0
		.amdhsa_memory_ordered 1
		.amdhsa_forward_progress 1
		.amdhsa_inst_pref_size 0
		.amdhsa_round_robin_scheduling 0
		.amdhsa_exception_fp_ieee_invalid_op 0
		.amdhsa_exception_fp_denorm_src 0
		.amdhsa_exception_fp_ieee_div_zero 0
		.amdhsa_exception_fp_ieee_overflow 0
		.amdhsa_exception_fp_ieee_underflow 0
		.amdhsa_exception_fp_ieee_inexact 0
		.amdhsa_exception_int_div_zero 0
	.end_amdhsa_kernel
	.section	.text._ZN7rocprim17ROCPRIM_400000_NS6detail17trampoline_kernelINS0_14default_configENS1_33run_length_encode_config_selectorIN3c104HalfEjNS0_4plusIjEEEEZZNS1_33reduce_by_key_impl_wrapped_configILNS1_25lookback_scan_determinismE0ES3_S9_PKS6_NS0_17constant_iteratorIjlEEPS6_PlSH_S8_NS0_8equal_toIS6_EEEE10hipError_tPvRmT2_T3_mT4_T5_T6_T7_T8_P12ihipStream_tbENKUlT_T0_E_clISt17integral_constantIbLb1EES10_IbLb0EEEEDaSW_SX_EUlSW_E_NS1_11comp_targetILNS1_3genE3ELNS1_11target_archE908ELNS1_3gpuE7ELNS1_3repE0EEENS1_30default_config_static_selectorELNS0_4arch9wavefront6targetE0EEEvT1_,"axG",@progbits,_ZN7rocprim17ROCPRIM_400000_NS6detail17trampoline_kernelINS0_14default_configENS1_33run_length_encode_config_selectorIN3c104HalfEjNS0_4plusIjEEEEZZNS1_33reduce_by_key_impl_wrapped_configILNS1_25lookback_scan_determinismE0ES3_S9_PKS6_NS0_17constant_iteratorIjlEEPS6_PlSH_S8_NS0_8equal_toIS6_EEEE10hipError_tPvRmT2_T3_mT4_T5_T6_T7_T8_P12ihipStream_tbENKUlT_T0_E_clISt17integral_constantIbLb1EES10_IbLb0EEEEDaSW_SX_EUlSW_E_NS1_11comp_targetILNS1_3genE3ELNS1_11target_archE908ELNS1_3gpuE7ELNS1_3repE0EEENS1_30default_config_static_selectorELNS0_4arch9wavefront6targetE0EEEvT1_,comdat
.Lfunc_end946:
	.size	_ZN7rocprim17ROCPRIM_400000_NS6detail17trampoline_kernelINS0_14default_configENS1_33run_length_encode_config_selectorIN3c104HalfEjNS0_4plusIjEEEEZZNS1_33reduce_by_key_impl_wrapped_configILNS1_25lookback_scan_determinismE0ES3_S9_PKS6_NS0_17constant_iteratorIjlEEPS6_PlSH_S8_NS0_8equal_toIS6_EEEE10hipError_tPvRmT2_T3_mT4_T5_T6_T7_T8_P12ihipStream_tbENKUlT_T0_E_clISt17integral_constantIbLb1EES10_IbLb0EEEEDaSW_SX_EUlSW_E_NS1_11comp_targetILNS1_3genE3ELNS1_11target_archE908ELNS1_3gpuE7ELNS1_3repE0EEENS1_30default_config_static_selectorELNS0_4arch9wavefront6targetE0EEEvT1_, .Lfunc_end946-_ZN7rocprim17ROCPRIM_400000_NS6detail17trampoline_kernelINS0_14default_configENS1_33run_length_encode_config_selectorIN3c104HalfEjNS0_4plusIjEEEEZZNS1_33reduce_by_key_impl_wrapped_configILNS1_25lookback_scan_determinismE0ES3_S9_PKS6_NS0_17constant_iteratorIjlEEPS6_PlSH_S8_NS0_8equal_toIS6_EEEE10hipError_tPvRmT2_T3_mT4_T5_T6_T7_T8_P12ihipStream_tbENKUlT_T0_E_clISt17integral_constantIbLb1EES10_IbLb0EEEEDaSW_SX_EUlSW_E_NS1_11comp_targetILNS1_3genE3ELNS1_11target_archE908ELNS1_3gpuE7ELNS1_3repE0EEENS1_30default_config_static_selectorELNS0_4arch9wavefront6targetE0EEEvT1_
                                        ; -- End function
	.set _ZN7rocprim17ROCPRIM_400000_NS6detail17trampoline_kernelINS0_14default_configENS1_33run_length_encode_config_selectorIN3c104HalfEjNS0_4plusIjEEEEZZNS1_33reduce_by_key_impl_wrapped_configILNS1_25lookback_scan_determinismE0ES3_S9_PKS6_NS0_17constant_iteratorIjlEEPS6_PlSH_S8_NS0_8equal_toIS6_EEEE10hipError_tPvRmT2_T3_mT4_T5_T6_T7_T8_P12ihipStream_tbENKUlT_T0_E_clISt17integral_constantIbLb1EES10_IbLb0EEEEDaSW_SX_EUlSW_E_NS1_11comp_targetILNS1_3genE3ELNS1_11target_archE908ELNS1_3gpuE7ELNS1_3repE0EEENS1_30default_config_static_selectorELNS0_4arch9wavefront6targetE0EEEvT1_.num_vgpr, 0
	.set _ZN7rocprim17ROCPRIM_400000_NS6detail17trampoline_kernelINS0_14default_configENS1_33run_length_encode_config_selectorIN3c104HalfEjNS0_4plusIjEEEEZZNS1_33reduce_by_key_impl_wrapped_configILNS1_25lookback_scan_determinismE0ES3_S9_PKS6_NS0_17constant_iteratorIjlEEPS6_PlSH_S8_NS0_8equal_toIS6_EEEE10hipError_tPvRmT2_T3_mT4_T5_T6_T7_T8_P12ihipStream_tbENKUlT_T0_E_clISt17integral_constantIbLb1EES10_IbLb0EEEEDaSW_SX_EUlSW_E_NS1_11comp_targetILNS1_3genE3ELNS1_11target_archE908ELNS1_3gpuE7ELNS1_3repE0EEENS1_30default_config_static_selectorELNS0_4arch9wavefront6targetE0EEEvT1_.num_agpr, 0
	.set _ZN7rocprim17ROCPRIM_400000_NS6detail17trampoline_kernelINS0_14default_configENS1_33run_length_encode_config_selectorIN3c104HalfEjNS0_4plusIjEEEEZZNS1_33reduce_by_key_impl_wrapped_configILNS1_25lookback_scan_determinismE0ES3_S9_PKS6_NS0_17constant_iteratorIjlEEPS6_PlSH_S8_NS0_8equal_toIS6_EEEE10hipError_tPvRmT2_T3_mT4_T5_T6_T7_T8_P12ihipStream_tbENKUlT_T0_E_clISt17integral_constantIbLb1EES10_IbLb0EEEEDaSW_SX_EUlSW_E_NS1_11comp_targetILNS1_3genE3ELNS1_11target_archE908ELNS1_3gpuE7ELNS1_3repE0EEENS1_30default_config_static_selectorELNS0_4arch9wavefront6targetE0EEEvT1_.numbered_sgpr, 0
	.set _ZN7rocprim17ROCPRIM_400000_NS6detail17trampoline_kernelINS0_14default_configENS1_33run_length_encode_config_selectorIN3c104HalfEjNS0_4plusIjEEEEZZNS1_33reduce_by_key_impl_wrapped_configILNS1_25lookback_scan_determinismE0ES3_S9_PKS6_NS0_17constant_iteratorIjlEEPS6_PlSH_S8_NS0_8equal_toIS6_EEEE10hipError_tPvRmT2_T3_mT4_T5_T6_T7_T8_P12ihipStream_tbENKUlT_T0_E_clISt17integral_constantIbLb1EES10_IbLb0EEEEDaSW_SX_EUlSW_E_NS1_11comp_targetILNS1_3genE3ELNS1_11target_archE908ELNS1_3gpuE7ELNS1_3repE0EEENS1_30default_config_static_selectorELNS0_4arch9wavefront6targetE0EEEvT1_.num_named_barrier, 0
	.set _ZN7rocprim17ROCPRIM_400000_NS6detail17trampoline_kernelINS0_14default_configENS1_33run_length_encode_config_selectorIN3c104HalfEjNS0_4plusIjEEEEZZNS1_33reduce_by_key_impl_wrapped_configILNS1_25lookback_scan_determinismE0ES3_S9_PKS6_NS0_17constant_iteratorIjlEEPS6_PlSH_S8_NS0_8equal_toIS6_EEEE10hipError_tPvRmT2_T3_mT4_T5_T6_T7_T8_P12ihipStream_tbENKUlT_T0_E_clISt17integral_constantIbLb1EES10_IbLb0EEEEDaSW_SX_EUlSW_E_NS1_11comp_targetILNS1_3genE3ELNS1_11target_archE908ELNS1_3gpuE7ELNS1_3repE0EEENS1_30default_config_static_selectorELNS0_4arch9wavefront6targetE0EEEvT1_.private_seg_size, 0
	.set _ZN7rocprim17ROCPRIM_400000_NS6detail17trampoline_kernelINS0_14default_configENS1_33run_length_encode_config_selectorIN3c104HalfEjNS0_4plusIjEEEEZZNS1_33reduce_by_key_impl_wrapped_configILNS1_25lookback_scan_determinismE0ES3_S9_PKS6_NS0_17constant_iteratorIjlEEPS6_PlSH_S8_NS0_8equal_toIS6_EEEE10hipError_tPvRmT2_T3_mT4_T5_T6_T7_T8_P12ihipStream_tbENKUlT_T0_E_clISt17integral_constantIbLb1EES10_IbLb0EEEEDaSW_SX_EUlSW_E_NS1_11comp_targetILNS1_3genE3ELNS1_11target_archE908ELNS1_3gpuE7ELNS1_3repE0EEENS1_30default_config_static_selectorELNS0_4arch9wavefront6targetE0EEEvT1_.uses_vcc, 0
	.set _ZN7rocprim17ROCPRIM_400000_NS6detail17trampoline_kernelINS0_14default_configENS1_33run_length_encode_config_selectorIN3c104HalfEjNS0_4plusIjEEEEZZNS1_33reduce_by_key_impl_wrapped_configILNS1_25lookback_scan_determinismE0ES3_S9_PKS6_NS0_17constant_iteratorIjlEEPS6_PlSH_S8_NS0_8equal_toIS6_EEEE10hipError_tPvRmT2_T3_mT4_T5_T6_T7_T8_P12ihipStream_tbENKUlT_T0_E_clISt17integral_constantIbLb1EES10_IbLb0EEEEDaSW_SX_EUlSW_E_NS1_11comp_targetILNS1_3genE3ELNS1_11target_archE908ELNS1_3gpuE7ELNS1_3repE0EEENS1_30default_config_static_selectorELNS0_4arch9wavefront6targetE0EEEvT1_.uses_flat_scratch, 0
	.set _ZN7rocprim17ROCPRIM_400000_NS6detail17trampoline_kernelINS0_14default_configENS1_33run_length_encode_config_selectorIN3c104HalfEjNS0_4plusIjEEEEZZNS1_33reduce_by_key_impl_wrapped_configILNS1_25lookback_scan_determinismE0ES3_S9_PKS6_NS0_17constant_iteratorIjlEEPS6_PlSH_S8_NS0_8equal_toIS6_EEEE10hipError_tPvRmT2_T3_mT4_T5_T6_T7_T8_P12ihipStream_tbENKUlT_T0_E_clISt17integral_constantIbLb1EES10_IbLb0EEEEDaSW_SX_EUlSW_E_NS1_11comp_targetILNS1_3genE3ELNS1_11target_archE908ELNS1_3gpuE7ELNS1_3repE0EEENS1_30default_config_static_selectorELNS0_4arch9wavefront6targetE0EEEvT1_.has_dyn_sized_stack, 0
	.set _ZN7rocprim17ROCPRIM_400000_NS6detail17trampoline_kernelINS0_14default_configENS1_33run_length_encode_config_selectorIN3c104HalfEjNS0_4plusIjEEEEZZNS1_33reduce_by_key_impl_wrapped_configILNS1_25lookback_scan_determinismE0ES3_S9_PKS6_NS0_17constant_iteratorIjlEEPS6_PlSH_S8_NS0_8equal_toIS6_EEEE10hipError_tPvRmT2_T3_mT4_T5_T6_T7_T8_P12ihipStream_tbENKUlT_T0_E_clISt17integral_constantIbLb1EES10_IbLb0EEEEDaSW_SX_EUlSW_E_NS1_11comp_targetILNS1_3genE3ELNS1_11target_archE908ELNS1_3gpuE7ELNS1_3repE0EEENS1_30default_config_static_selectorELNS0_4arch9wavefront6targetE0EEEvT1_.has_recursion, 0
	.set _ZN7rocprim17ROCPRIM_400000_NS6detail17trampoline_kernelINS0_14default_configENS1_33run_length_encode_config_selectorIN3c104HalfEjNS0_4plusIjEEEEZZNS1_33reduce_by_key_impl_wrapped_configILNS1_25lookback_scan_determinismE0ES3_S9_PKS6_NS0_17constant_iteratorIjlEEPS6_PlSH_S8_NS0_8equal_toIS6_EEEE10hipError_tPvRmT2_T3_mT4_T5_T6_T7_T8_P12ihipStream_tbENKUlT_T0_E_clISt17integral_constantIbLb1EES10_IbLb0EEEEDaSW_SX_EUlSW_E_NS1_11comp_targetILNS1_3genE3ELNS1_11target_archE908ELNS1_3gpuE7ELNS1_3repE0EEENS1_30default_config_static_selectorELNS0_4arch9wavefront6targetE0EEEvT1_.has_indirect_call, 0
	.section	.AMDGPU.csdata,"",@progbits
; Kernel info:
; codeLenInByte = 0
; TotalNumSgprs: 0
; NumVgprs: 0
; ScratchSize: 0
; MemoryBound: 0
; FloatMode: 240
; IeeeMode: 1
; LDSByteSize: 0 bytes/workgroup (compile time only)
; SGPRBlocks: 0
; VGPRBlocks: 0
; NumSGPRsForWavesPerEU: 1
; NumVGPRsForWavesPerEU: 1
; NamedBarCnt: 0
; Occupancy: 16
; WaveLimiterHint : 0
; COMPUTE_PGM_RSRC2:SCRATCH_EN: 0
; COMPUTE_PGM_RSRC2:USER_SGPR: 2
; COMPUTE_PGM_RSRC2:TRAP_HANDLER: 0
; COMPUTE_PGM_RSRC2:TGID_X_EN: 1
; COMPUTE_PGM_RSRC2:TGID_Y_EN: 0
; COMPUTE_PGM_RSRC2:TGID_Z_EN: 0
; COMPUTE_PGM_RSRC2:TIDIG_COMP_CNT: 0
	.section	.text._ZN7rocprim17ROCPRIM_400000_NS6detail17trampoline_kernelINS0_14default_configENS1_33run_length_encode_config_selectorIN3c104HalfEjNS0_4plusIjEEEEZZNS1_33reduce_by_key_impl_wrapped_configILNS1_25lookback_scan_determinismE0ES3_S9_PKS6_NS0_17constant_iteratorIjlEEPS6_PlSH_S8_NS0_8equal_toIS6_EEEE10hipError_tPvRmT2_T3_mT4_T5_T6_T7_T8_P12ihipStream_tbENKUlT_T0_E_clISt17integral_constantIbLb1EES10_IbLb0EEEEDaSW_SX_EUlSW_E_NS1_11comp_targetILNS1_3genE2ELNS1_11target_archE906ELNS1_3gpuE6ELNS1_3repE0EEENS1_30default_config_static_selectorELNS0_4arch9wavefront6targetE0EEEvT1_,"axG",@progbits,_ZN7rocprim17ROCPRIM_400000_NS6detail17trampoline_kernelINS0_14default_configENS1_33run_length_encode_config_selectorIN3c104HalfEjNS0_4plusIjEEEEZZNS1_33reduce_by_key_impl_wrapped_configILNS1_25lookback_scan_determinismE0ES3_S9_PKS6_NS0_17constant_iteratorIjlEEPS6_PlSH_S8_NS0_8equal_toIS6_EEEE10hipError_tPvRmT2_T3_mT4_T5_T6_T7_T8_P12ihipStream_tbENKUlT_T0_E_clISt17integral_constantIbLb1EES10_IbLb0EEEEDaSW_SX_EUlSW_E_NS1_11comp_targetILNS1_3genE2ELNS1_11target_archE906ELNS1_3gpuE6ELNS1_3repE0EEENS1_30default_config_static_selectorELNS0_4arch9wavefront6targetE0EEEvT1_,comdat
	.protected	_ZN7rocprim17ROCPRIM_400000_NS6detail17trampoline_kernelINS0_14default_configENS1_33run_length_encode_config_selectorIN3c104HalfEjNS0_4plusIjEEEEZZNS1_33reduce_by_key_impl_wrapped_configILNS1_25lookback_scan_determinismE0ES3_S9_PKS6_NS0_17constant_iteratorIjlEEPS6_PlSH_S8_NS0_8equal_toIS6_EEEE10hipError_tPvRmT2_T3_mT4_T5_T6_T7_T8_P12ihipStream_tbENKUlT_T0_E_clISt17integral_constantIbLb1EES10_IbLb0EEEEDaSW_SX_EUlSW_E_NS1_11comp_targetILNS1_3genE2ELNS1_11target_archE906ELNS1_3gpuE6ELNS1_3repE0EEENS1_30default_config_static_selectorELNS0_4arch9wavefront6targetE0EEEvT1_ ; -- Begin function _ZN7rocprim17ROCPRIM_400000_NS6detail17trampoline_kernelINS0_14default_configENS1_33run_length_encode_config_selectorIN3c104HalfEjNS0_4plusIjEEEEZZNS1_33reduce_by_key_impl_wrapped_configILNS1_25lookback_scan_determinismE0ES3_S9_PKS6_NS0_17constant_iteratorIjlEEPS6_PlSH_S8_NS0_8equal_toIS6_EEEE10hipError_tPvRmT2_T3_mT4_T5_T6_T7_T8_P12ihipStream_tbENKUlT_T0_E_clISt17integral_constantIbLb1EES10_IbLb0EEEEDaSW_SX_EUlSW_E_NS1_11comp_targetILNS1_3genE2ELNS1_11target_archE906ELNS1_3gpuE6ELNS1_3repE0EEENS1_30default_config_static_selectorELNS0_4arch9wavefront6targetE0EEEvT1_
	.globl	_ZN7rocprim17ROCPRIM_400000_NS6detail17trampoline_kernelINS0_14default_configENS1_33run_length_encode_config_selectorIN3c104HalfEjNS0_4plusIjEEEEZZNS1_33reduce_by_key_impl_wrapped_configILNS1_25lookback_scan_determinismE0ES3_S9_PKS6_NS0_17constant_iteratorIjlEEPS6_PlSH_S8_NS0_8equal_toIS6_EEEE10hipError_tPvRmT2_T3_mT4_T5_T6_T7_T8_P12ihipStream_tbENKUlT_T0_E_clISt17integral_constantIbLb1EES10_IbLb0EEEEDaSW_SX_EUlSW_E_NS1_11comp_targetILNS1_3genE2ELNS1_11target_archE906ELNS1_3gpuE6ELNS1_3repE0EEENS1_30default_config_static_selectorELNS0_4arch9wavefront6targetE0EEEvT1_
	.p2align	8
	.type	_ZN7rocprim17ROCPRIM_400000_NS6detail17trampoline_kernelINS0_14default_configENS1_33run_length_encode_config_selectorIN3c104HalfEjNS0_4plusIjEEEEZZNS1_33reduce_by_key_impl_wrapped_configILNS1_25lookback_scan_determinismE0ES3_S9_PKS6_NS0_17constant_iteratorIjlEEPS6_PlSH_S8_NS0_8equal_toIS6_EEEE10hipError_tPvRmT2_T3_mT4_T5_T6_T7_T8_P12ihipStream_tbENKUlT_T0_E_clISt17integral_constantIbLb1EES10_IbLb0EEEEDaSW_SX_EUlSW_E_NS1_11comp_targetILNS1_3genE2ELNS1_11target_archE906ELNS1_3gpuE6ELNS1_3repE0EEENS1_30default_config_static_selectorELNS0_4arch9wavefront6targetE0EEEvT1_,@function
_ZN7rocprim17ROCPRIM_400000_NS6detail17trampoline_kernelINS0_14default_configENS1_33run_length_encode_config_selectorIN3c104HalfEjNS0_4plusIjEEEEZZNS1_33reduce_by_key_impl_wrapped_configILNS1_25lookback_scan_determinismE0ES3_S9_PKS6_NS0_17constant_iteratorIjlEEPS6_PlSH_S8_NS0_8equal_toIS6_EEEE10hipError_tPvRmT2_T3_mT4_T5_T6_T7_T8_P12ihipStream_tbENKUlT_T0_E_clISt17integral_constantIbLb1EES10_IbLb0EEEEDaSW_SX_EUlSW_E_NS1_11comp_targetILNS1_3genE2ELNS1_11target_archE906ELNS1_3gpuE6ELNS1_3repE0EEENS1_30default_config_static_selectorELNS0_4arch9wavefront6targetE0EEEvT1_: ; @_ZN7rocprim17ROCPRIM_400000_NS6detail17trampoline_kernelINS0_14default_configENS1_33run_length_encode_config_selectorIN3c104HalfEjNS0_4plusIjEEEEZZNS1_33reduce_by_key_impl_wrapped_configILNS1_25lookback_scan_determinismE0ES3_S9_PKS6_NS0_17constant_iteratorIjlEEPS6_PlSH_S8_NS0_8equal_toIS6_EEEE10hipError_tPvRmT2_T3_mT4_T5_T6_T7_T8_P12ihipStream_tbENKUlT_T0_E_clISt17integral_constantIbLb1EES10_IbLb0EEEEDaSW_SX_EUlSW_E_NS1_11comp_targetILNS1_3genE2ELNS1_11target_archE906ELNS1_3gpuE6ELNS1_3repE0EEENS1_30default_config_static_selectorELNS0_4arch9wavefront6targetE0EEEvT1_
; %bb.0:
	.section	.rodata,"a",@progbits
	.p2align	6, 0x0
	.amdhsa_kernel _ZN7rocprim17ROCPRIM_400000_NS6detail17trampoline_kernelINS0_14default_configENS1_33run_length_encode_config_selectorIN3c104HalfEjNS0_4plusIjEEEEZZNS1_33reduce_by_key_impl_wrapped_configILNS1_25lookback_scan_determinismE0ES3_S9_PKS6_NS0_17constant_iteratorIjlEEPS6_PlSH_S8_NS0_8equal_toIS6_EEEE10hipError_tPvRmT2_T3_mT4_T5_T6_T7_T8_P12ihipStream_tbENKUlT_T0_E_clISt17integral_constantIbLb1EES10_IbLb0EEEEDaSW_SX_EUlSW_E_NS1_11comp_targetILNS1_3genE2ELNS1_11target_archE906ELNS1_3gpuE6ELNS1_3repE0EEENS1_30default_config_static_selectorELNS0_4arch9wavefront6targetE0EEEvT1_
		.amdhsa_group_segment_fixed_size 0
		.amdhsa_private_segment_fixed_size 0
		.amdhsa_kernarg_size 128
		.amdhsa_user_sgpr_count 2
		.amdhsa_user_sgpr_dispatch_ptr 0
		.amdhsa_user_sgpr_queue_ptr 0
		.amdhsa_user_sgpr_kernarg_segment_ptr 1
		.amdhsa_user_sgpr_dispatch_id 0
		.amdhsa_user_sgpr_kernarg_preload_length 0
		.amdhsa_user_sgpr_kernarg_preload_offset 0
		.amdhsa_user_sgpr_private_segment_size 0
		.amdhsa_wavefront_size32 1
		.amdhsa_uses_dynamic_stack 0
		.amdhsa_enable_private_segment 0
		.amdhsa_system_sgpr_workgroup_id_x 1
		.amdhsa_system_sgpr_workgroup_id_y 0
		.amdhsa_system_sgpr_workgroup_id_z 0
		.amdhsa_system_sgpr_workgroup_info 0
		.amdhsa_system_vgpr_workitem_id 0
		.amdhsa_next_free_vgpr 1
		.amdhsa_next_free_sgpr 1
		.amdhsa_named_barrier_count 0
		.amdhsa_reserve_vcc 0
		.amdhsa_float_round_mode_32 0
		.amdhsa_float_round_mode_16_64 0
		.amdhsa_float_denorm_mode_32 3
		.amdhsa_float_denorm_mode_16_64 3
		.amdhsa_fp16_overflow 0
		.amdhsa_memory_ordered 1
		.amdhsa_forward_progress 1
		.amdhsa_inst_pref_size 0
		.amdhsa_round_robin_scheduling 0
		.amdhsa_exception_fp_ieee_invalid_op 0
		.amdhsa_exception_fp_denorm_src 0
		.amdhsa_exception_fp_ieee_div_zero 0
		.amdhsa_exception_fp_ieee_overflow 0
		.amdhsa_exception_fp_ieee_underflow 0
		.amdhsa_exception_fp_ieee_inexact 0
		.amdhsa_exception_int_div_zero 0
	.end_amdhsa_kernel
	.section	.text._ZN7rocprim17ROCPRIM_400000_NS6detail17trampoline_kernelINS0_14default_configENS1_33run_length_encode_config_selectorIN3c104HalfEjNS0_4plusIjEEEEZZNS1_33reduce_by_key_impl_wrapped_configILNS1_25lookback_scan_determinismE0ES3_S9_PKS6_NS0_17constant_iteratorIjlEEPS6_PlSH_S8_NS0_8equal_toIS6_EEEE10hipError_tPvRmT2_T3_mT4_T5_T6_T7_T8_P12ihipStream_tbENKUlT_T0_E_clISt17integral_constantIbLb1EES10_IbLb0EEEEDaSW_SX_EUlSW_E_NS1_11comp_targetILNS1_3genE2ELNS1_11target_archE906ELNS1_3gpuE6ELNS1_3repE0EEENS1_30default_config_static_selectorELNS0_4arch9wavefront6targetE0EEEvT1_,"axG",@progbits,_ZN7rocprim17ROCPRIM_400000_NS6detail17trampoline_kernelINS0_14default_configENS1_33run_length_encode_config_selectorIN3c104HalfEjNS0_4plusIjEEEEZZNS1_33reduce_by_key_impl_wrapped_configILNS1_25lookback_scan_determinismE0ES3_S9_PKS6_NS0_17constant_iteratorIjlEEPS6_PlSH_S8_NS0_8equal_toIS6_EEEE10hipError_tPvRmT2_T3_mT4_T5_T6_T7_T8_P12ihipStream_tbENKUlT_T0_E_clISt17integral_constantIbLb1EES10_IbLb0EEEEDaSW_SX_EUlSW_E_NS1_11comp_targetILNS1_3genE2ELNS1_11target_archE906ELNS1_3gpuE6ELNS1_3repE0EEENS1_30default_config_static_selectorELNS0_4arch9wavefront6targetE0EEEvT1_,comdat
.Lfunc_end947:
	.size	_ZN7rocprim17ROCPRIM_400000_NS6detail17trampoline_kernelINS0_14default_configENS1_33run_length_encode_config_selectorIN3c104HalfEjNS0_4plusIjEEEEZZNS1_33reduce_by_key_impl_wrapped_configILNS1_25lookback_scan_determinismE0ES3_S9_PKS6_NS0_17constant_iteratorIjlEEPS6_PlSH_S8_NS0_8equal_toIS6_EEEE10hipError_tPvRmT2_T3_mT4_T5_T6_T7_T8_P12ihipStream_tbENKUlT_T0_E_clISt17integral_constantIbLb1EES10_IbLb0EEEEDaSW_SX_EUlSW_E_NS1_11comp_targetILNS1_3genE2ELNS1_11target_archE906ELNS1_3gpuE6ELNS1_3repE0EEENS1_30default_config_static_selectorELNS0_4arch9wavefront6targetE0EEEvT1_, .Lfunc_end947-_ZN7rocprim17ROCPRIM_400000_NS6detail17trampoline_kernelINS0_14default_configENS1_33run_length_encode_config_selectorIN3c104HalfEjNS0_4plusIjEEEEZZNS1_33reduce_by_key_impl_wrapped_configILNS1_25lookback_scan_determinismE0ES3_S9_PKS6_NS0_17constant_iteratorIjlEEPS6_PlSH_S8_NS0_8equal_toIS6_EEEE10hipError_tPvRmT2_T3_mT4_T5_T6_T7_T8_P12ihipStream_tbENKUlT_T0_E_clISt17integral_constantIbLb1EES10_IbLb0EEEEDaSW_SX_EUlSW_E_NS1_11comp_targetILNS1_3genE2ELNS1_11target_archE906ELNS1_3gpuE6ELNS1_3repE0EEENS1_30default_config_static_selectorELNS0_4arch9wavefront6targetE0EEEvT1_
                                        ; -- End function
	.set _ZN7rocprim17ROCPRIM_400000_NS6detail17trampoline_kernelINS0_14default_configENS1_33run_length_encode_config_selectorIN3c104HalfEjNS0_4plusIjEEEEZZNS1_33reduce_by_key_impl_wrapped_configILNS1_25lookback_scan_determinismE0ES3_S9_PKS6_NS0_17constant_iteratorIjlEEPS6_PlSH_S8_NS0_8equal_toIS6_EEEE10hipError_tPvRmT2_T3_mT4_T5_T6_T7_T8_P12ihipStream_tbENKUlT_T0_E_clISt17integral_constantIbLb1EES10_IbLb0EEEEDaSW_SX_EUlSW_E_NS1_11comp_targetILNS1_3genE2ELNS1_11target_archE906ELNS1_3gpuE6ELNS1_3repE0EEENS1_30default_config_static_selectorELNS0_4arch9wavefront6targetE0EEEvT1_.num_vgpr, 0
	.set _ZN7rocprim17ROCPRIM_400000_NS6detail17trampoline_kernelINS0_14default_configENS1_33run_length_encode_config_selectorIN3c104HalfEjNS0_4plusIjEEEEZZNS1_33reduce_by_key_impl_wrapped_configILNS1_25lookback_scan_determinismE0ES3_S9_PKS6_NS0_17constant_iteratorIjlEEPS6_PlSH_S8_NS0_8equal_toIS6_EEEE10hipError_tPvRmT2_T3_mT4_T5_T6_T7_T8_P12ihipStream_tbENKUlT_T0_E_clISt17integral_constantIbLb1EES10_IbLb0EEEEDaSW_SX_EUlSW_E_NS1_11comp_targetILNS1_3genE2ELNS1_11target_archE906ELNS1_3gpuE6ELNS1_3repE0EEENS1_30default_config_static_selectorELNS0_4arch9wavefront6targetE0EEEvT1_.num_agpr, 0
	.set _ZN7rocprim17ROCPRIM_400000_NS6detail17trampoline_kernelINS0_14default_configENS1_33run_length_encode_config_selectorIN3c104HalfEjNS0_4plusIjEEEEZZNS1_33reduce_by_key_impl_wrapped_configILNS1_25lookback_scan_determinismE0ES3_S9_PKS6_NS0_17constant_iteratorIjlEEPS6_PlSH_S8_NS0_8equal_toIS6_EEEE10hipError_tPvRmT2_T3_mT4_T5_T6_T7_T8_P12ihipStream_tbENKUlT_T0_E_clISt17integral_constantIbLb1EES10_IbLb0EEEEDaSW_SX_EUlSW_E_NS1_11comp_targetILNS1_3genE2ELNS1_11target_archE906ELNS1_3gpuE6ELNS1_3repE0EEENS1_30default_config_static_selectorELNS0_4arch9wavefront6targetE0EEEvT1_.numbered_sgpr, 0
	.set _ZN7rocprim17ROCPRIM_400000_NS6detail17trampoline_kernelINS0_14default_configENS1_33run_length_encode_config_selectorIN3c104HalfEjNS0_4plusIjEEEEZZNS1_33reduce_by_key_impl_wrapped_configILNS1_25lookback_scan_determinismE0ES3_S9_PKS6_NS0_17constant_iteratorIjlEEPS6_PlSH_S8_NS0_8equal_toIS6_EEEE10hipError_tPvRmT2_T3_mT4_T5_T6_T7_T8_P12ihipStream_tbENKUlT_T0_E_clISt17integral_constantIbLb1EES10_IbLb0EEEEDaSW_SX_EUlSW_E_NS1_11comp_targetILNS1_3genE2ELNS1_11target_archE906ELNS1_3gpuE6ELNS1_3repE0EEENS1_30default_config_static_selectorELNS0_4arch9wavefront6targetE0EEEvT1_.num_named_barrier, 0
	.set _ZN7rocprim17ROCPRIM_400000_NS6detail17trampoline_kernelINS0_14default_configENS1_33run_length_encode_config_selectorIN3c104HalfEjNS0_4plusIjEEEEZZNS1_33reduce_by_key_impl_wrapped_configILNS1_25lookback_scan_determinismE0ES3_S9_PKS6_NS0_17constant_iteratorIjlEEPS6_PlSH_S8_NS0_8equal_toIS6_EEEE10hipError_tPvRmT2_T3_mT4_T5_T6_T7_T8_P12ihipStream_tbENKUlT_T0_E_clISt17integral_constantIbLb1EES10_IbLb0EEEEDaSW_SX_EUlSW_E_NS1_11comp_targetILNS1_3genE2ELNS1_11target_archE906ELNS1_3gpuE6ELNS1_3repE0EEENS1_30default_config_static_selectorELNS0_4arch9wavefront6targetE0EEEvT1_.private_seg_size, 0
	.set _ZN7rocprim17ROCPRIM_400000_NS6detail17trampoline_kernelINS0_14default_configENS1_33run_length_encode_config_selectorIN3c104HalfEjNS0_4plusIjEEEEZZNS1_33reduce_by_key_impl_wrapped_configILNS1_25lookback_scan_determinismE0ES3_S9_PKS6_NS0_17constant_iteratorIjlEEPS6_PlSH_S8_NS0_8equal_toIS6_EEEE10hipError_tPvRmT2_T3_mT4_T5_T6_T7_T8_P12ihipStream_tbENKUlT_T0_E_clISt17integral_constantIbLb1EES10_IbLb0EEEEDaSW_SX_EUlSW_E_NS1_11comp_targetILNS1_3genE2ELNS1_11target_archE906ELNS1_3gpuE6ELNS1_3repE0EEENS1_30default_config_static_selectorELNS0_4arch9wavefront6targetE0EEEvT1_.uses_vcc, 0
	.set _ZN7rocprim17ROCPRIM_400000_NS6detail17trampoline_kernelINS0_14default_configENS1_33run_length_encode_config_selectorIN3c104HalfEjNS0_4plusIjEEEEZZNS1_33reduce_by_key_impl_wrapped_configILNS1_25lookback_scan_determinismE0ES3_S9_PKS6_NS0_17constant_iteratorIjlEEPS6_PlSH_S8_NS0_8equal_toIS6_EEEE10hipError_tPvRmT2_T3_mT4_T5_T6_T7_T8_P12ihipStream_tbENKUlT_T0_E_clISt17integral_constantIbLb1EES10_IbLb0EEEEDaSW_SX_EUlSW_E_NS1_11comp_targetILNS1_3genE2ELNS1_11target_archE906ELNS1_3gpuE6ELNS1_3repE0EEENS1_30default_config_static_selectorELNS0_4arch9wavefront6targetE0EEEvT1_.uses_flat_scratch, 0
	.set _ZN7rocprim17ROCPRIM_400000_NS6detail17trampoline_kernelINS0_14default_configENS1_33run_length_encode_config_selectorIN3c104HalfEjNS0_4plusIjEEEEZZNS1_33reduce_by_key_impl_wrapped_configILNS1_25lookback_scan_determinismE0ES3_S9_PKS6_NS0_17constant_iteratorIjlEEPS6_PlSH_S8_NS0_8equal_toIS6_EEEE10hipError_tPvRmT2_T3_mT4_T5_T6_T7_T8_P12ihipStream_tbENKUlT_T0_E_clISt17integral_constantIbLb1EES10_IbLb0EEEEDaSW_SX_EUlSW_E_NS1_11comp_targetILNS1_3genE2ELNS1_11target_archE906ELNS1_3gpuE6ELNS1_3repE0EEENS1_30default_config_static_selectorELNS0_4arch9wavefront6targetE0EEEvT1_.has_dyn_sized_stack, 0
	.set _ZN7rocprim17ROCPRIM_400000_NS6detail17trampoline_kernelINS0_14default_configENS1_33run_length_encode_config_selectorIN3c104HalfEjNS0_4plusIjEEEEZZNS1_33reduce_by_key_impl_wrapped_configILNS1_25lookback_scan_determinismE0ES3_S9_PKS6_NS0_17constant_iteratorIjlEEPS6_PlSH_S8_NS0_8equal_toIS6_EEEE10hipError_tPvRmT2_T3_mT4_T5_T6_T7_T8_P12ihipStream_tbENKUlT_T0_E_clISt17integral_constantIbLb1EES10_IbLb0EEEEDaSW_SX_EUlSW_E_NS1_11comp_targetILNS1_3genE2ELNS1_11target_archE906ELNS1_3gpuE6ELNS1_3repE0EEENS1_30default_config_static_selectorELNS0_4arch9wavefront6targetE0EEEvT1_.has_recursion, 0
	.set _ZN7rocprim17ROCPRIM_400000_NS6detail17trampoline_kernelINS0_14default_configENS1_33run_length_encode_config_selectorIN3c104HalfEjNS0_4plusIjEEEEZZNS1_33reduce_by_key_impl_wrapped_configILNS1_25lookback_scan_determinismE0ES3_S9_PKS6_NS0_17constant_iteratorIjlEEPS6_PlSH_S8_NS0_8equal_toIS6_EEEE10hipError_tPvRmT2_T3_mT4_T5_T6_T7_T8_P12ihipStream_tbENKUlT_T0_E_clISt17integral_constantIbLb1EES10_IbLb0EEEEDaSW_SX_EUlSW_E_NS1_11comp_targetILNS1_3genE2ELNS1_11target_archE906ELNS1_3gpuE6ELNS1_3repE0EEENS1_30default_config_static_selectorELNS0_4arch9wavefront6targetE0EEEvT1_.has_indirect_call, 0
	.section	.AMDGPU.csdata,"",@progbits
; Kernel info:
; codeLenInByte = 0
; TotalNumSgprs: 0
; NumVgprs: 0
; ScratchSize: 0
; MemoryBound: 0
; FloatMode: 240
; IeeeMode: 1
; LDSByteSize: 0 bytes/workgroup (compile time only)
; SGPRBlocks: 0
; VGPRBlocks: 0
; NumSGPRsForWavesPerEU: 1
; NumVGPRsForWavesPerEU: 1
; NamedBarCnt: 0
; Occupancy: 16
; WaveLimiterHint : 0
; COMPUTE_PGM_RSRC2:SCRATCH_EN: 0
; COMPUTE_PGM_RSRC2:USER_SGPR: 2
; COMPUTE_PGM_RSRC2:TRAP_HANDLER: 0
; COMPUTE_PGM_RSRC2:TGID_X_EN: 1
; COMPUTE_PGM_RSRC2:TGID_Y_EN: 0
; COMPUTE_PGM_RSRC2:TGID_Z_EN: 0
; COMPUTE_PGM_RSRC2:TIDIG_COMP_CNT: 0
	.section	.text._ZN7rocprim17ROCPRIM_400000_NS6detail17trampoline_kernelINS0_14default_configENS1_33run_length_encode_config_selectorIN3c104HalfEjNS0_4plusIjEEEEZZNS1_33reduce_by_key_impl_wrapped_configILNS1_25lookback_scan_determinismE0ES3_S9_PKS6_NS0_17constant_iteratorIjlEEPS6_PlSH_S8_NS0_8equal_toIS6_EEEE10hipError_tPvRmT2_T3_mT4_T5_T6_T7_T8_P12ihipStream_tbENKUlT_T0_E_clISt17integral_constantIbLb1EES10_IbLb0EEEEDaSW_SX_EUlSW_E_NS1_11comp_targetILNS1_3genE10ELNS1_11target_archE1201ELNS1_3gpuE5ELNS1_3repE0EEENS1_30default_config_static_selectorELNS0_4arch9wavefront6targetE0EEEvT1_,"axG",@progbits,_ZN7rocprim17ROCPRIM_400000_NS6detail17trampoline_kernelINS0_14default_configENS1_33run_length_encode_config_selectorIN3c104HalfEjNS0_4plusIjEEEEZZNS1_33reduce_by_key_impl_wrapped_configILNS1_25lookback_scan_determinismE0ES3_S9_PKS6_NS0_17constant_iteratorIjlEEPS6_PlSH_S8_NS0_8equal_toIS6_EEEE10hipError_tPvRmT2_T3_mT4_T5_T6_T7_T8_P12ihipStream_tbENKUlT_T0_E_clISt17integral_constantIbLb1EES10_IbLb0EEEEDaSW_SX_EUlSW_E_NS1_11comp_targetILNS1_3genE10ELNS1_11target_archE1201ELNS1_3gpuE5ELNS1_3repE0EEENS1_30default_config_static_selectorELNS0_4arch9wavefront6targetE0EEEvT1_,comdat
	.protected	_ZN7rocprim17ROCPRIM_400000_NS6detail17trampoline_kernelINS0_14default_configENS1_33run_length_encode_config_selectorIN3c104HalfEjNS0_4plusIjEEEEZZNS1_33reduce_by_key_impl_wrapped_configILNS1_25lookback_scan_determinismE0ES3_S9_PKS6_NS0_17constant_iteratorIjlEEPS6_PlSH_S8_NS0_8equal_toIS6_EEEE10hipError_tPvRmT2_T3_mT4_T5_T6_T7_T8_P12ihipStream_tbENKUlT_T0_E_clISt17integral_constantIbLb1EES10_IbLb0EEEEDaSW_SX_EUlSW_E_NS1_11comp_targetILNS1_3genE10ELNS1_11target_archE1201ELNS1_3gpuE5ELNS1_3repE0EEENS1_30default_config_static_selectorELNS0_4arch9wavefront6targetE0EEEvT1_ ; -- Begin function _ZN7rocprim17ROCPRIM_400000_NS6detail17trampoline_kernelINS0_14default_configENS1_33run_length_encode_config_selectorIN3c104HalfEjNS0_4plusIjEEEEZZNS1_33reduce_by_key_impl_wrapped_configILNS1_25lookback_scan_determinismE0ES3_S9_PKS6_NS0_17constant_iteratorIjlEEPS6_PlSH_S8_NS0_8equal_toIS6_EEEE10hipError_tPvRmT2_T3_mT4_T5_T6_T7_T8_P12ihipStream_tbENKUlT_T0_E_clISt17integral_constantIbLb1EES10_IbLb0EEEEDaSW_SX_EUlSW_E_NS1_11comp_targetILNS1_3genE10ELNS1_11target_archE1201ELNS1_3gpuE5ELNS1_3repE0EEENS1_30default_config_static_selectorELNS0_4arch9wavefront6targetE0EEEvT1_
	.globl	_ZN7rocprim17ROCPRIM_400000_NS6detail17trampoline_kernelINS0_14default_configENS1_33run_length_encode_config_selectorIN3c104HalfEjNS0_4plusIjEEEEZZNS1_33reduce_by_key_impl_wrapped_configILNS1_25lookback_scan_determinismE0ES3_S9_PKS6_NS0_17constant_iteratorIjlEEPS6_PlSH_S8_NS0_8equal_toIS6_EEEE10hipError_tPvRmT2_T3_mT4_T5_T6_T7_T8_P12ihipStream_tbENKUlT_T0_E_clISt17integral_constantIbLb1EES10_IbLb0EEEEDaSW_SX_EUlSW_E_NS1_11comp_targetILNS1_3genE10ELNS1_11target_archE1201ELNS1_3gpuE5ELNS1_3repE0EEENS1_30default_config_static_selectorELNS0_4arch9wavefront6targetE0EEEvT1_
	.p2align	8
	.type	_ZN7rocprim17ROCPRIM_400000_NS6detail17trampoline_kernelINS0_14default_configENS1_33run_length_encode_config_selectorIN3c104HalfEjNS0_4plusIjEEEEZZNS1_33reduce_by_key_impl_wrapped_configILNS1_25lookback_scan_determinismE0ES3_S9_PKS6_NS0_17constant_iteratorIjlEEPS6_PlSH_S8_NS0_8equal_toIS6_EEEE10hipError_tPvRmT2_T3_mT4_T5_T6_T7_T8_P12ihipStream_tbENKUlT_T0_E_clISt17integral_constantIbLb1EES10_IbLb0EEEEDaSW_SX_EUlSW_E_NS1_11comp_targetILNS1_3genE10ELNS1_11target_archE1201ELNS1_3gpuE5ELNS1_3repE0EEENS1_30default_config_static_selectorELNS0_4arch9wavefront6targetE0EEEvT1_,@function
_ZN7rocprim17ROCPRIM_400000_NS6detail17trampoline_kernelINS0_14default_configENS1_33run_length_encode_config_selectorIN3c104HalfEjNS0_4plusIjEEEEZZNS1_33reduce_by_key_impl_wrapped_configILNS1_25lookback_scan_determinismE0ES3_S9_PKS6_NS0_17constant_iteratorIjlEEPS6_PlSH_S8_NS0_8equal_toIS6_EEEE10hipError_tPvRmT2_T3_mT4_T5_T6_T7_T8_P12ihipStream_tbENKUlT_T0_E_clISt17integral_constantIbLb1EES10_IbLb0EEEEDaSW_SX_EUlSW_E_NS1_11comp_targetILNS1_3genE10ELNS1_11target_archE1201ELNS1_3gpuE5ELNS1_3repE0EEENS1_30default_config_static_selectorELNS0_4arch9wavefront6targetE0EEEvT1_: ; @_ZN7rocprim17ROCPRIM_400000_NS6detail17trampoline_kernelINS0_14default_configENS1_33run_length_encode_config_selectorIN3c104HalfEjNS0_4plusIjEEEEZZNS1_33reduce_by_key_impl_wrapped_configILNS1_25lookback_scan_determinismE0ES3_S9_PKS6_NS0_17constant_iteratorIjlEEPS6_PlSH_S8_NS0_8equal_toIS6_EEEE10hipError_tPvRmT2_T3_mT4_T5_T6_T7_T8_P12ihipStream_tbENKUlT_T0_E_clISt17integral_constantIbLb1EES10_IbLb0EEEEDaSW_SX_EUlSW_E_NS1_11comp_targetILNS1_3genE10ELNS1_11target_archE1201ELNS1_3gpuE5ELNS1_3repE0EEENS1_30default_config_static_selectorELNS0_4arch9wavefront6targetE0EEEvT1_
; %bb.0:
	.section	.rodata,"a",@progbits
	.p2align	6, 0x0
	.amdhsa_kernel _ZN7rocprim17ROCPRIM_400000_NS6detail17trampoline_kernelINS0_14default_configENS1_33run_length_encode_config_selectorIN3c104HalfEjNS0_4plusIjEEEEZZNS1_33reduce_by_key_impl_wrapped_configILNS1_25lookback_scan_determinismE0ES3_S9_PKS6_NS0_17constant_iteratorIjlEEPS6_PlSH_S8_NS0_8equal_toIS6_EEEE10hipError_tPvRmT2_T3_mT4_T5_T6_T7_T8_P12ihipStream_tbENKUlT_T0_E_clISt17integral_constantIbLb1EES10_IbLb0EEEEDaSW_SX_EUlSW_E_NS1_11comp_targetILNS1_3genE10ELNS1_11target_archE1201ELNS1_3gpuE5ELNS1_3repE0EEENS1_30default_config_static_selectorELNS0_4arch9wavefront6targetE0EEEvT1_
		.amdhsa_group_segment_fixed_size 0
		.amdhsa_private_segment_fixed_size 0
		.amdhsa_kernarg_size 128
		.amdhsa_user_sgpr_count 2
		.amdhsa_user_sgpr_dispatch_ptr 0
		.amdhsa_user_sgpr_queue_ptr 0
		.amdhsa_user_sgpr_kernarg_segment_ptr 1
		.amdhsa_user_sgpr_dispatch_id 0
		.amdhsa_user_sgpr_kernarg_preload_length 0
		.amdhsa_user_sgpr_kernarg_preload_offset 0
		.amdhsa_user_sgpr_private_segment_size 0
		.amdhsa_wavefront_size32 1
		.amdhsa_uses_dynamic_stack 0
		.amdhsa_enable_private_segment 0
		.amdhsa_system_sgpr_workgroup_id_x 1
		.amdhsa_system_sgpr_workgroup_id_y 0
		.amdhsa_system_sgpr_workgroup_id_z 0
		.amdhsa_system_sgpr_workgroup_info 0
		.amdhsa_system_vgpr_workitem_id 0
		.amdhsa_next_free_vgpr 1
		.amdhsa_next_free_sgpr 1
		.amdhsa_named_barrier_count 0
		.amdhsa_reserve_vcc 0
		.amdhsa_float_round_mode_32 0
		.amdhsa_float_round_mode_16_64 0
		.amdhsa_float_denorm_mode_32 3
		.amdhsa_float_denorm_mode_16_64 3
		.amdhsa_fp16_overflow 0
		.amdhsa_memory_ordered 1
		.amdhsa_forward_progress 1
		.amdhsa_inst_pref_size 0
		.amdhsa_round_robin_scheduling 0
		.amdhsa_exception_fp_ieee_invalid_op 0
		.amdhsa_exception_fp_denorm_src 0
		.amdhsa_exception_fp_ieee_div_zero 0
		.amdhsa_exception_fp_ieee_overflow 0
		.amdhsa_exception_fp_ieee_underflow 0
		.amdhsa_exception_fp_ieee_inexact 0
		.amdhsa_exception_int_div_zero 0
	.end_amdhsa_kernel
	.section	.text._ZN7rocprim17ROCPRIM_400000_NS6detail17trampoline_kernelINS0_14default_configENS1_33run_length_encode_config_selectorIN3c104HalfEjNS0_4plusIjEEEEZZNS1_33reduce_by_key_impl_wrapped_configILNS1_25lookback_scan_determinismE0ES3_S9_PKS6_NS0_17constant_iteratorIjlEEPS6_PlSH_S8_NS0_8equal_toIS6_EEEE10hipError_tPvRmT2_T3_mT4_T5_T6_T7_T8_P12ihipStream_tbENKUlT_T0_E_clISt17integral_constantIbLb1EES10_IbLb0EEEEDaSW_SX_EUlSW_E_NS1_11comp_targetILNS1_3genE10ELNS1_11target_archE1201ELNS1_3gpuE5ELNS1_3repE0EEENS1_30default_config_static_selectorELNS0_4arch9wavefront6targetE0EEEvT1_,"axG",@progbits,_ZN7rocprim17ROCPRIM_400000_NS6detail17trampoline_kernelINS0_14default_configENS1_33run_length_encode_config_selectorIN3c104HalfEjNS0_4plusIjEEEEZZNS1_33reduce_by_key_impl_wrapped_configILNS1_25lookback_scan_determinismE0ES3_S9_PKS6_NS0_17constant_iteratorIjlEEPS6_PlSH_S8_NS0_8equal_toIS6_EEEE10hipError_tPvRmT2_T3_mT4_T5_T6_T7_T8_P12ihipStream_tbENKUlT_T0_E_clISt17integral_constantIbLb1EES10_IbLb0EEEEDaSW_SX_EUlSW_E_NS1_11comp_targetILNS1_3genE10ELNS1_11target_archE1201ELNS1_3gpuE5ELNS1_3repE0EEENS1_30default_config_static_selectorELNS0_4arch9wavefront6targetE0EEEvT1_,comdat
.Lfunc_end948:
	.size	_ZN7rocprim17ROCPRIM_400000_NS6detail17trampoline_kernelINS0_14default_configENS1_33run_length_encode_config_selectorIN3c104HalfEjNS0_4plusIjEEEEZZNS1_33reduce_by_key_impl_wrapped_configILNS1_25lookback_scan_determinismE0ES3_S9_PKS6_NS0_17constant_iteratorIjlEEPS6_PlSH_S8_NS0_8equal_toIS6_EEEE10hipError_tPvRmT2_T3_mT4_T5_T6_T7_T8_P12ihipStream_tbENKUlT_T0_E_clISt17integral_constantIbLb1EES10_IbLb0EEEEDaSW_SX_EUlSW_E_NS1_11comp_targetILNS1_3genE10ELNS1_11target_archE1201ELNS1_3gpuE5ELNS1_3repE0EEENS1_30default_config_static_selectorELNS0_4arch9wavefront6targetE0EEEvT1_, .Lfunc_end948-_ZN7rocprim17ROCPRIM_400000_NS6detail17trampoline_kernelINS0_14default_configENS1_33run_length_encode_config_selectorIN3c104HalfEjNS0_4plusIjEEEEZZNS1_33reduce_by_key_impl_wrapped_configILNS1_25lookback_scan_determinismE0ES3_S9_PKS6_NS0_17constant_iteratorIjlEEPS6_PlSH_S8_NS0_8equal_toIS6_EEEE10hipError_tPvRmT2_T3_mT4_T5_T6_T7_T8_P12ihipStream_tbENKUlT_T0_E_clISt17integral_constantIbLb1EES10_IbLb0EEEEDaSW_SX_EUlSW_E_NS1_11comp_targetILNS1_3genE10ELNS1_11target_archE1201ELNS1_3gpuE5ELNS1_3repE0EEENS1_30default_config_static_selectorELNS0_4arch9wavefront6targetE0EEEvT1_
                                        ; -- End function
	.set _ZN7rocprim17ROCPRIM_400000_NS6detail17trampoline_kernelINS0_14default_configENS1_33run_length_encode_config_selectorIN3c104HalfEjNS0_4plusIjEEEEZZNS1_33reduce_by_key_impl_wrapped_configILNS1_25lookback_scan_determinismE0ES3_S9_PKS6_NS0_17constant_iteratorIjlEEPS6_PlSH_S8_NS0_8equal_toIS6_EEEE10hipError_tPvRmT2_T3_mT4_T5_T6_T7_T8_P12ihipStream_tbENKUlT_T0_E_clISt17integral_constantIbLb1EES10_IbLb0EEEEDaSW_SX_EUlSW_E_NS1_11comp_targetILNS1_3genE10ELNS1_11target_archE1201ELNS1_3gpuE5ELNS1_3repE0EEENS1_30default_config_static_selectorELNS0_4arch9wavefront6targetE0EEEvT1_.num_vgpr, 0
	.set _ZN7rocprim17ROCPRIM_400000_NS6detail17trampoline_kernelINS0_14default_configENS1_33run_length_encode_config_selectorIN3c104HalfEjNS0_4plusIjEEEEZZNS1_33reduce_by_key_impl_wrapped_configILNS1_25lookback_scan_determinismE0ES3_S9_PKS6_NS0_17constant_iteratorIjlEEPS6_PlSH_S8_NS0_8equal_toIS6_EEEE10hipError_tPvRmT2_T3_mT4_T5_T6_T7_T8_P12ihipStream_tbENKUlT_T0_E_clISt17integral_constantIbLb1EES10_IbLb0EEEEDaSW_SX_EUlSW_E_NS1_11comp_targetILNS1_3genE10ELNS1_11target_archE1201ELNS1_3gpuE5ELNS1_3repE0EEENS1_30default_config_static_selectorELNS0_4arch9wavefront6targetE0EEEvT1_.num_agpr, 0
	.set _ZN7rocprim17ROCPRIM_400000_NS6detail17trampoline_kernelINS0_14default_configENS1_33run_length_encode_config_selectorIN3c104HalfEjNS0_4plusIjEEEEZZNS1_33reduce_by_key_impl_wrapped_configILNS1_25lookback_scan_determinismE0ES3_S9_PKS6_NS0_17constant_iteratorIjlEEPS6_PlSH_S8_NS0_8equal_toIS6_EEEE10hipError_tPvRmT2_T3_mT4_T5_T6_T7_T8_P12ihipStream_tbENKUlT_T0_E_clISt17integral_constantIbLb1EES10_IbLb0EEEEDaSW_SX_EUlSW_E_NS1_11comp_targetILNS1_3genE10ELNS1_11target_archE1201ELNS1_3gpuE5ELNS1_3repE0EEENS1_30default_config_static_selectorELNS0_4arch9wavefront6targetE0EEEvT1_.numbered_sgpr, 0
	.set _ZN7rocprim17ROCPRIM_400000_NS6detail17trampoline_kernelINS0_14default_configENS1_33run_length_encode_config_selectorIN3c104HalfEjNS0_4plusIjEEEEZZNS1_33reduce_by_key_impl_wrapped_configILNS1_25lookback_scan_determinismE0ES3_S9_PKS6_NS0_17constant_iteratorIjlEEPS6_PlSH_S8_NS0_8equal_toIS6_EEEE10hipError_tPvRmT2_T3_mT4_T5_T6_T7_T8_P12ihipStream_tbENKUlT_T0_E_clISt17integral_constantIbLb1EES10_IbLb0EEEEDaSW_SX_EUlSW_E_NS1_11comp_targetILNS1_3genE10ELNS1_11target_archE1201ELNS1_3gpuE5ELNS1_3repE0EEENS1_30default_config_static_selectorELNS0_4arch9wavefront6targetE0EEEvT1_.num_named_barrier, 0
	.set _ZN7rocprim17ROCPRIM_400000_NS6detail17trampoline_kernelINS0_14default_configENS1_33run_length_encode_config_selectorIN3c104HalfEjNS0_4plusIjEEEEZZNS1_33reduce_by_key_impl_wrapped_configILNS1_25lookback_scan_determinismE0ES3_S9_PKS6_NS0_17constant_iteratorIjlEEPS6_PlSH_S8_NS0_8equal_toIS6_EEEE10hipError_tPvRmT2_T3_mT4_T5_T6_T7_T8_P12ihipStream_tbENKUlT_T0_E_clISt17integral_constantIbLb1EES10_IbLb0EEEEDaSW_SX_EUlSW_E_NS1_11comp_targetILNS1_3genE10ELNS1_11target_archE1201ELNS1_3gpuE5ELNS1_3repE0EEENS1_30default_config_static_selectorELNS0_4arch9wavefront6targetE0EEEvT1_.private_seg_size, 0
	.set _ZN7rocprim17ROCPRIM_400000_NS6detail17trampoline_kernelINS0_14default_configENS1_33run_length_encode_config_selectorIN3c104HalfEjNS0_4plusIjEEEEZZNS1_33reduce_by_key_impl_wrapped_configILNS1_25lookback_scan_determinismE0ES3_S9_PKS6_NS0_17constant_iteratorIjlEEPS6_PlSH_S8_NS0_8equal_toIS6_EEEE10hipError_tPvRmT2_T3_mT4_T5_T6_T7_T8_P12ihipStream_tbENKUlT_T0_E_clISt17integral_constantIbLb1EES10_IbLb0EEEEDaSW_SX_EUlSW_E_NS1_11comp_targetILNS1_3genE10ELNS1_11target_archE1201ELNS1_3gpuE5ELNS1_3repE0EEENS1_30default_config_static_selectorELNS0_4arch9wavefront6targetE0EEEvT1_.uses_vcc, 0
	.set _ZN7rocprim17ROCPRIM_400000_NS6detail17trampoline_kernelINS0_14default_configENS1_33run_length_encode_config_selectorIN3c104HalfEjNS0_4plusIjEEEEZZNS1_33reduce_by_key_impl_wrapped_configILNS1_25lookback_scan_determinismE0ES3_S9_PKS6_NS0_17constant_iteratorIjlEEPS6_PlSH_S8_NS0_8equal_toIS6_EEEE10hipError_tPvRmT2_T3_mT4_T5_T6_T7_T8_P12ihipStream_tbENKUlT_T0_E_clISt17integral_constantIbLb1EES10_IbLb0EEEEDaSW_SX_EUlSW_E_NS1_11comp_targetILNS1_3genE10ELNS1_11target_archE1201ELNS1_3gpuE5ELNS1_3repE0EEENS1_30default_config_static_selectorELNS0_4arch9wavefront6targetE0EEEvT1_.uses_flat_scratch, 0
	.set _ZN7rocprim17ROCPRIM_400000_NS6detail17trampoline_kernelINS0_14default_configENS1_33run_length_encode_config_selectorIN3c104HalfEjNS0_4plusIjEEEEZZNS1_33reduce_by_key_impl_wrapped_configILNS1_25lookback_scan_determinismE0ES3_S9_PKS6_NS0_17constant_iteratorIjlEEPS6_PlSH_S8_NS0_8equal_toIS6_EEEE10hipError_tPvRmT2_T3_mT4_T5_T6_T7_T8_P12ihipStream_tbENKUlT_T0_E_clISt17integral_constantIbLb1EES10_IbLb0EEEEDaSW_SX_EUlSW_E_NS1_11comp_targetILNS1_3genE10ELNS1_11target_archE1201ELNS1_3gpuE5ELNS1_3repE0EEENS1_30default_config_static_selectorELNS0_4arch9wavefront6targetE0EEEvT1_.has_dyn_sized_stack, 0
	.set _ZN7rocprim17ROCPRIM_400000_NS6detail17trampoline_kernelINS0_14default_configENS1_33run_length_encode_config_selectorIN3c104HalfEjNS0_4plusIjEEEEZZNS1_33reduce_by_key_impl_wrapped_configILNS1_25lookback_scan_determinismE0ES3_S9_PKS6_NS0_17constant_iteratorIjlEEPS6_PlSH_S8_NS0_8equal_toIS6_EEEE10hipError_tPvRmT2_T3_mT4_T5_T6_T7_T8_P12ihipStream_tbENKUlT_T0_E_clISt17integral_constantIbLb1EES10_IbLb0EEEEDaSW_SX_EUlSW_E_NS1_11comp_targetILNS1_3genE10ELNS1_11target_archE1201ELNS1_3gpuE5ELNS1_3repE0EEENS1_30default_config_static_selectorELNS0_4arch9wavefront6targetE0EEEvT1_.has_recursion, 0
	.set _ZN7rocprim17ROCPRIM_400000_NS6detail17trampoline_kernelINS0_14default_configENS1_33run_length_encode_config_selectorIN3c104HalfEjNS0_4plusIjEEEEZZNS1_33reduce_by_key_impl_wrapped_configILNS1_25lookback_scan_determinismE0ES3_S9_PKS6_NS0_17constant_iteratorIjlEEPS6_PlSH_S8_NS0_8equal_toIS6_EEEE10hipError_tPvRmT2_T3_mT4_T5_T6_T7_T8_P12ihipStream_tbENKUlT_T0_E_clISt17integral_constantIbLb1EES10_IbLb0EEEEDaSW_SX_EUlSW_E_NS1_11comp_targetILNS1_3genE10ELNS1_11target_archE1201ELNS1_3gpuE5ELNS1_3repE0EEENS1_30default_config_static_selectorELNS0_4arch9wavefront6targetE0EEEvT1_.has_indirect_call, 0
	.section	.AMDGPU.csdata,"",@progbits
; Kernel info:
; codeLenInByte = 0
; TotalNumSgprs: 0
; NumVgprs: 0
; ScratchSize: 0
; MemoryBound: 0
; FloatMode: 240
; IeeeMode: 1
; LDSByteSize: 0 bytes/workgroup (compile time only)
; SGPRBlocks: 0
; VGPRBlocks: 0
; NumSGPRsForWavesPerEU: 1
; NumVGPRsForWavesPerEU: 1
; NamedBarCnt: 0
; Occupancy: 16
; WaveLimiterHint : 0
; COMPUTE_PGM_RSRC2:SCRATCH_EN: 0
; COMPUTE_PGM_RSRC2:USER_SGPR: 2
; COMPUTE_PGM_RSRC2:TRAP_HANDLER: 0
; COMPUTE_PGM_RSRC2:TGID_X_EN: 1
; COMPUTE_PGM_RSRC2:TGID_Y_EN: 0
; COMPUTE_PGM_RSRC2:TGID_Z_EN: 0
; COMPUTE_PGM_RSRC2:TIDIG_COMP_CNT: 0
	.section	.text._ZN7rocprim17ROCPRIM_400000_NS6detail17trampoline_kernelINS0_14default_configENS1_33run_length_encode_config_selectorIN3c104HalfEjNS0_4plusIjEEEEZZNS1_33reduce_by_key_impl_wrapped_configILNS1_25lookback_scan_determinismE0ES3_S9_PKS6_NS0_17constant_iteratorIjlEEPS6_PlSH_S8_NS0_8equal_toIS6_EEEE10hipError_tPvRmT2_T3_mT4_T5_T6_T7_T8_P12ihipStream_tbENKUlT_T0_E_clISt17integral_constantIbLb1EES10_IbLb0EEEEDaSW_SX_EUlSW_E_NS1_11comp_targetILNS1_3genE10ELNS1_11target_archE1200ELNS1_3gpuE4ELNS1_3repE0EEENS1_30default_config_static_selectorELNS0_4arch9wavefront6targetE0EEEvT1_,"axG",@progbits,_ZN7rocprim17ROCPRIM_400000_NS6detail17trampoline_kernelINS0_14default_configENS1_33run_length_encode_config_selectorIN3c104HalfEjNS0_4plusIjEEEEZZNS1_33reduce_by_key_impl_wrapped_configILNS1_25lookback_scan_determinismE0ES3_S9_PKS6_NS0_17constant_iteratorIjlEEPS6_PlSH_S8_NS0_8equal_toIS6_EEEE10hipError_tPvRmT2_T3_mT4_T5_T6_T7_T8_P12ihipStream_tbENKUlT_T0_E_clISt17integral_constantIbLb1EES10_IbLb0EEEEDaSW_SX_EUlSW_E_NS1_11comp_targetILNS1_3genE10ELNS1_11target_archE1200ELNS1_3gpuE4ELNS1_3repE0EEENS1_30default_config_static_selectorELNS0_4arch9wavefront6targetE0EEEvT1_,comdat
	.protected	_ZN7rocprim17ROCPRIM_400000_NS6detail17trampoline_kernelINS0_14default_configENS1_33run_length_encode_config_selectorIN3c104HalfEjNS0_4plusIjEEEEZZNS1_33reduce_by_key_impl_wrapped_configILNS1_25lookback_scan_determinismE0ES3_S9_PKS6_NS0_17constant_iteratorIjlEEPS6_PlSH_S8_NS0_8equal_toIS6_EEEE10hipError_tPvRmT2_T3_mT4_T5_T6_T7_T8_P12ihipStream_tbENKUlT_T0_E_clISt17integral_constantIbLb1EES10_IbLb0EEEEDaSW_SX_EUlSW_E_NS1_11comp_targetILNS1_3genE10ELNS1_11target_archE1200ELNS1_3gpuE4ELNS1_3repE0EEENS1_30default_config_static_selectorELNS0_4arch9wavefront6targetE0EEEvT1_ ; -- Begin function _ZN7rocprim17ROCPRIM_400000_NS6detail17trampoline_kernelINS0_14default_configENS1_33run_length_encode_config_selectorIN3c104HalfEjNS0_4plusIjEEEEZZNS1_33reduce_by_key_impl_wrapped_configILNS1_25lookback_scan_determinismE0ES3_S9_PKS6_NS0_17constant_iteratorIjlEEPS6_PlSH_S8_NS0_8equal_toIS6_EEEE10hipError_tPvRmT2_T3_mT4_T5_T6_T7_T8_P12ihipStream_tbENKUlT_T0_E_clISt17integral_constantIbLb1EES10_IbLb0EEEEDaSW_SX_EUlSW_E_NS1_11comp_targetILNS1_3genE10ELNS1_11target_archE1200ELNS1_3gpuE4ELNS1_3repE0EEENS1_30default_config_static_selectorELNS0_4arch9wavefront6targetE0EEEvT1_
	.globl	_ZN7rocprim17ROCPRIM_400000_NS6detail17trampoline_kernelINS0_14default_configENS1_33run_length_encode_config_selectorIN3c104HalfEjNS0_4plusIjEEEEZZNS1_33reduce_by_key_impl_wrapped_configILNS1_25lookback_scan_determinismE0ES3_S9_PKS6_NS0_17constant_iteratorIjlEEPS6_PlSH_S8_NS0_8equal_toIS6_EEEE10hipError_tPvRmT2_T3_mT4_T5_T6_T7_T8_P12ihipStream_tbENKUlT_T0_E_clISt17integral_constantIbLb1EES10_IbLb0EEEEDaSW_SX_EUlSW_E_NS1_11comp_targetILNS1_3genE10ELNS1_11target_archE1200ELNS1_3gpuE4ELNS1_3repE0EEENS1_30default_config_static_selectorELNS0_4arch9wavefront6targetE0EEEvT1_
	.p2align	8
	.type	_ZN7rocprim17ROCPRIM_400000_NS6detail17trampoline_kernelINS0_14default_configENS1_33run_length_encode_config_selectorIN3c104HalfEjNS0_4plusIjEEEEZZNS1_33reduce_by_key_impl_wrapped_configILNS1_25lookback_scan_determinismE0ES3_S9_PKS6_NS0_17constant_iteratorIjlEEPS6_PlSH_S8_NS0_8equal_toIS6_EEEE10hipError_tPvRmT2_T3_mT4_T5_T6_T7_T8_P12ihipStream_tbENKUlT_T0_E_clISt17integral_constantIbLb1EES10_IbLb0EEEEDaSW_SX_EUlSW_E_NS1_11comp_targetILNS1_3genE10ELNS1_11target_archE1200ELNS1_3gpuE4ELNS1_3repE0EEENS1_30default_config_static_selectorELNS0_4arch9wavefront6targetE0EEEvT1_,@function
_ZN7rocprim17ROCPRIM_400000_NS6detail17trampoline_kernelINS0_14default_configENS1_33run_length_encode_config_selectorIN3c104HalfEjNS0_4plusIjEEEEZZNS1_33reduce_by_key_impl_wrapped_configILNS1_25lookback_scan_determinismE0ES3_S9_PKS6_NS0_17constant_iteratorIjlEEPS6_PlSH_S8_NS0_8equal_toIS6_EEEE10hipError_tPvRmT2_T3_mT4_T5_T6_T7_T8_P12ihipStream_tbENKUlT_T0_E_clISt17integral_constantIbLb1EES10_IbLb0EEEEDaSW_SX_EUlSW_E_NS1_11comp_targetILNS1_3genE10ELNS1_11target_archE1200ELNS1_3gpuE4ELNS1_3repE0EEENS1_30default_config_static_selectorELNS0_4arch9wavefront6targetE0EEEvT1_: ; @_ZN7rocprim17ROCPRIM_400000_NS6detail17trampoline_kernelINS0_14default_configENS1_33run_length_encode_config_selectorIN3c104HalfEjNS0_4plusIjEEEEZZNS1_33reduce_by_key_impl_wrapped_configILNS1_25lookback_scan_determinismE0ES3_S9_PKS6_NS0_17constant_iteratorIjlEEPS6_PlSH_S8_NS0_8equal_toIS6_EEEE10hipError_tPvRmT2_T3_mT4_T5_T6_T7_T8_P12ihipStream_tbENKUlT_T0_E_clISt17integral_constantIbLb1EES10_IbLb0EEEEDaSW_SX_EUlSW_E_NS1_11comp_targetILNS1_3genE10ELNS1_11target_archE1200ELNS1_3gpuE4ELNS1_3repE0EEENS1_30default_config_static_selectorELNS0_4arch9wavefront6targetE0EEEvT1_
; %bb.0:
	.section	.rodata,"a",@progbits
	.p2align	6, 0x0
	.amdhsa_kernel _ZN7rocprim17ROCPRIM_400000_NS6detail17trampoline_kernelINS0_14default_configENS1_33run_length_encode_config_selectorIN3c104HalfEjNS0_4plusIjEEEEZZNS1_33reduce_by_key_impl_wrapped_configILNS1_25lookback_scan_determinismE0ES3_S9_PKS6_NS0_17constant_iteratorIjlEEPS6_PlSH_S8_NS0_8equal_toIS6_EEEE10hipError_tPvRmT2_T3_mT4_T5_T6_T7_T8_P12ihipStream_tbENKUlT_T0_E_clISt17integral_constantIbLb1EES10_IbLb0EEEEDaSW_SX_EUlSW_E_NS1_11comp_targetILNS1_3genE10ELNS1_11target_archE1200ELNS1_3gpuE4ELNS1_3repE0EEENS1_30default_config_static_selectorELNS0_4arch9wavefront6targetE0EEEvT1_
		.amdhsa_group_segment_fixed_size 0
		.amdhsa_private_segment_fixed_size 0
		.amdhsa_kernarg_size 128
		.amdhsa_user_sgpr_count 2
		.amdhsa_user_sgpr_dispatch_ptr 0
		.amdhsa_user_sgpr_queue_ptr 0
		.amdhsa_user_sgpr_kernarg_segment_ptr 1
		.amdhsa_user_sgpr_dispatch_id 0
		.amdhsa_user_sgpr_kernarg_preload_length 0
		.amdhsa_user_sgpr_kernarg_preload_offset 0
		.amdhsa_user_sgpr_private_segment_size 0
		.amdhsa_wavefront_size32 1
		.amdhsa_uses_dynamic_stack 0
		.amdhsa_enable_private_segment 0
		.amdhsa_system_sgpr_workgroup_id_x 1
		.amdhsa_system_sgpr_workgroup_id_y 0
		.amdhsa_system_sgpr_workgroup_id_z 0
		.amdhsa_system_sgpr_workgroup_info 0
		.amdhsa_system_vgpr_workitem_id 0
		.amdhsa_next_free_vgpr 1
		.amdhsa_next_free_sgpr 1
		.amdhsa_named_barrier_count 0
		.amdhsa_reserve_vcc 0
		.amdhsa_float_round_mode_32 0
		.amdhsa_float_round_mode_16_64 0
		.amdhsa_float_denorm_mode_32 3
		.amdhsa_float_denorm_mode_16_64 3
		.amdhsa_fp16_overflow 0
		.amdhsa_memory_ordered 1
		.amdhsa_forward_progress 1
		.amdhsa_inst_pref_size 0
		.amdhsa_round_robin_scheduling 0
		.amdhsa_exception_fp_ieee_invalid_op 0
		.amdhsa_exception_fp_denorm_src 0
		.amdhsa_exception_fp_ieee_div_zero 0
		.amdhsa_exception_fp_ieee_overflow 0
		.amdhsa_exception_fp_ieee_underflow 0
		.amdhsa_exception_fp_ieee_inexact 0
		.amdhsa_exception_int_div_zero 0
	.end_amdhsa_kernel
	.section	.text._ZN7rocprim17ROCPRIM_400000_NS6detail17trampoline_kernelINS0_14default_configENS1_33run_length_encode_config_selectorIN3c104HalfEjNS0_4plusIjEEEEZZNS1_33reduce_by_key_impl_wrapped_configILNS1_25lookback_scan_determinismE0ES3_S9_PKS6_NS0_17constant_iteratorIjlEEPS6_PlSH_S8_NS0_8equal_toIS6_EEEE10hipError_tPvRmT2_T3_mT4_T5_T6_T7_T8_P12ihipStream_tbENKUlT_T0_E_clISt17integral_constantIbLb1EES10_IbLb0EEEEDaSW_SX_EUlSW_E_NS1_11comp_targetILNS1_3genE10ELNS1_11target_archE1200ELNS1_3gpuE4ELNS1_3repE0EEENS1_30default_config_static_selectorELNS0_4arch9wavefront6targetE0EEEvT1_,"axG",@progbits,_ZN7rocprim17ROCPRIM_400000_NS6detail17trampoline_kernelINS0_14default_configENS1_33run_length_encode_config_selectorIN3c104HalfEjNS0_4plusIjEEEEZZNS1_33reduce_by_key_impl_wrapped_configILNS1_25lookback_scan_determinismE0ES3_S9_PKS6_NS0_17constant_iteratorIjlEEPS6_PlSH_S8_NS0_8equal_toIS6_EEEE10hipError_tPvRmT2_T3_mT4_T5_T6_T7_T8_P12ihipStream_tbENKUlT_T0_E_clISt17integral_constantIbLb1EES10_IbLb0EEEEDaSW_SX_EUlSW_E_NS1_11comp_targetILNS1_3genE10ELNS1_11target_archE1200ELNS1_3gpuE4ELNS1_3repE0EEENS1_30default_config_static_selectorELNS0_4arch9wavefront6targetE0EEEvT1_,comdat
.Lfunc_end949:
	.size	_ZN7rocprim17ROCPRIM_400000_NS6detail17trampoline_kernelINS0_14default_configENS1_33run_length_encode_config_selectorIN3c104HalfEjNS0_4plusIjEEEEZZNS1_33reduce_by_key_impl_wrapped_configILNS1_25lookback_scan_determinismE0ES3_S9_PKS6_NS0_17constant_iteratorIjlEEPS6_PlSH_S8_NS0_8equal_toIS6_EEEE10hipError_tPvRmT2_T3_mT4_T5_T6_T7_T8_P12ihipStream_tbENKUlT_T0_E_clISt17integral_constantIbLb1EES10_IbLb0EEEEDaSW_SX_EUlSW_E_NS1_11comp_targetILNS1_3genE10ELNS1_11target_archE1200ELNS1_3gpuE4ELNS1_3repE0EEENS1_30default_config_static_selectorELNS0_4arch9wavefront6targetE0EEEvT1_, .Lfunc_end949-_ZN7rocprim17ROCPRIM_400000_NS6detail17trampoline_kernelINS0_14default_configENS1_33run_length_encode_config_selectorIN3c104HalfEjNS0_4plusIjEEEEZZNS1_33reduce_by_key_impl_wrapped_configILNS1_25lookback_scan_determinismE0ES3_S9_PKS6_NS0_17constant_iteratorIjlEEPS6_PlSH_S8_NS0_8equal_toIS6_EEEE10hipError_tPvRmT2_T3_mT4_T5_T6_T7_T8_P12ihipStream_tbENKUlT_T0_E_clISt17integral_constantIbLb1EES10_IbLb0EEEEDaSW_SX_EUlSW_E_NS1_11comp_targetILNS1_3genE10ELNS1_11target_archE1200ELNS1_3gpuE4ELNS1_3repE0EEENS1_30default_config_static_selectorELNS0_4arch9wavefront6targetE0EEEvT1_
                                        ; -- End function
	.set _ZN7rocprim17ROCPRIM_400000_NS6detail17trampoline_kernelINS0_14default_configENS1_33run_length_encode_config_selectorIN3c104HalfEjNS0_4plusIjEEEEZZNS1_33reduce_by_key_impl_wrapped_configILNS1_25lookback_scan_determinismE0ES3_S9_PKS6_NS0_17constant_iteratorIjlEEPS6_PlSH_S8_NS0_8equal_toIS6_EEEE10hipError_tPvRmT2_T3_mT4_T5_T6_T7_T8_P12ihipStream_tbENKUlT_T0_E_clISt17integral_constantIbLb1EES10_IbLb0EEEEDaSW_SX_EUlSW_E_NS1_11comp_targetILNS1_3genE10ELNS1_11target_archE1200ELNS1_3gpuE4ELNS1_3repE0EEENS1_30default_config_static_selectorELNS0_4arch9wavefront6targetE0EEEvT1_.num_vgpr, 0
	.set _ZN7rocprim17ROCPRIM_400000_NS6detail17trampoline_kernelINS0_14default_configENS1_33run_length_encode_config_selectorIN3c104HalfEjNS0_4plusIjEEEEZZNS1_33reduce_by_key_impl_wrapped_configILNS1_25lookback_scan_determinismE0ES3_S9_PKS6_NS0_17constant_iteratorIjlEEPS6_PlSH_S8_NS0_8equal_toIS6_EEEE10hipError_tPvRmT2_T3_mT4_T5_T6_T7_T8_P12ihipStream_tbENKUlT_T0_E_clISt17integral_constantIbLb1EES10_IbLb0EEEEDaSW_SX_EUlSW_E_NS1_11comp_targetILNS1_3genE10ELNS1_11target_archE1200ELNS1_3gpuE4ELNS1_3repE0EEENS1_30default_config_static_selectorELNS0_4arch9wavefront6targetE0EEEvT1_.num_agpr, 0
	.set _ZN7rocprim17ROCPRIM_400000_NS6detail17trampoline_kernelINS0_14default_configENS1_33run_length_encode_config_selectorIN3c104HalfEjNS0_4plusIjEEEEZZNS1_33reduce_by_key_impl_wrapped_configILNS1_25lookback_scan_determinismE0ES3_S9_PKS6_NS0_17constant_iteratorIjlEEPS6_PlSH_S8_NS0_8equal_toIS6_EEEE10hipError_tPvRmT2_T3_mT4_T5_T6_T7_T8_P12ihipStream_tbENKUlT_T0_E_clISt17integral_constantIbLb1EES10_IbLb0EEEEDaSW_SX_EUlSW_E_NS1_11comp_targetILNS1_3genE10ELNS1_11target_archE1200ELNS1_3gpuE4ELNS1_3repE0EEENS1_30default_config_static_selectorELNS0_4arch9wavefront6targetE0EEEvT1_.numbered_sgpr, 0
	.set _ZN7rocprim17ROCPRIM_400000_NS6detail17trampoline_kernelINS0_14default_configENS1_33run_length_encode_config_selectorIN3c104HalfEjNS0_4plusIjEEEEZZNS1_33reduce_by_key_impl_wrapped_configILNS1_25lookback_scan_determinismE0ES3_S9_PKS6_NS0_17constant_iteratorIjlEEPS6_PlSH_S8_NS0_8equal_toIS6_EEEE10hipError_tPvRmT2_T3_mT4_T5_T6_T7_T8_P12ihipStream_tbENKUlT_T0_E_clISt17integral_constantIbLb1EES10_IbLb0EEEEDaSW_SX_EUlSW_E_NS1_11comp_targetILNS1_3genE10ELNS1_11target_archE1200ELNS1_3gpuE4ELNS1_3repE0EEENS1_30default_config_static_selectorELNS0_4arch9wavefront6targetE0EEEvT1_.num_named_barrier, 0
	.set _ZN7rocprim17ROCPRIM_400000_NS6detail17trampoline_kernelINS0_14default_configENS1_33run_length_encode_config_selectorIN3c104HalfEjNS0_4plusIjEEEEZZNS1_33reduce_by_key_impl_wrapped_configILNS1_25lookback_scan_determinismE0ES3_S9_PKS6_NS0_17constant_iteratorIjlEEPS6_PlSH_S8_NS0_8equal_toIS6_EEEE10hipError_tPvRmT2_T3_mT4_T5_T6_T7_T8_P12ihipStream_tbENKUlT_T0_E_clISt17integral_constantIbLb1EES10_IbLb0EEEEDaSW_SX_EUlSW_E_NS1_11comp_targetILNS1_3genE10ELNS1_11target_archE1200ELNS1_3gpuE4ELNS1_3repE0EEENS1_30default_config_static_selectorELNS0_4arch9wavefront6targetE0EEEvT1_.private_seg_size, 0
	.set _ZN7rocprim17ROCPRIM_400000_NS6detail17trampoline_kernelINS0_14default_configENS1_33run_length_encode_config_selectorIN3c104HalfEjNS0_4plusIjEEEEZZNS1_33reduce_by_key_impl_wrapped_configILNS1_25lookback_scan_determinismE0ES3_S9_PKS6_NS0_17constant_iteratorIjlEEPS6_PlSH_S8_NS0_8equal_toIS6_EEEE10hipError_tPvRmT2_T3_mT4_T5_T6_T7_T8_P12ihipStream_tbENKUlT_T0_E_clISt17integral_constantIbLb1EES10_IbLb0EEEEDaSW_SX_EUlSW_E_NS1_11comp_targetILNS1_3genE10ELNS1_11target_archE1200ELNS1_3gpuE4ELNS1_3repE0EEENS1_30default_config_static_selectorELNS0_4arch9wavefront6targetE0EEEvT1_.uses_vcc, 0
	.set _ZN7rocprim17ROCPRIM_400000_NS6detail17trampoline_kernelINS0_14default_configENS1_33run_length_encode_config_selectorIN3c104HalfEjNS0_4plusIjEEEEZZNS1_33reduce_by_key_impl_wrapped_configILNS1_25lookback_scan_determinismE0ES3_S9_PKS6_NS0_17constant_iteratorIjlEEPS6_PlSH_S8_NS0_8equal_toIS6_EEEE10hipError_tPvRmT2_T3_mT4_T5_T6_T7_T8_P12ihipStream_tbENKUlT_T0_E_clISt17integral_constantIbLb1EES10_IbLb0EEEEDaSW_SX_EUlSW_E_NS1_11comp_targetILNS1_3genE10ELNS1_11target_archE1200ELNS1_3gpuE4ELNS1_3repE0EEENS1_30default_config_static_selectorELNS0_4arch9wavefront6targetE0EEEvT1_.uses_flat_scratch, 0
	.set _ZN7rocprim17ROCPRIM_400000_NS6detail17trampoline_kernelINS0_14default_configENS1_33run_length_encode_config_selectorIN3c104HalfEjNS0_4plusIjEEEEZZNS1_33reduce_by_key_impl_wrapped_configILNS1_25lookback_scan_determinismE0ES3_S9_PKS6_NS0_17constant_iteratorIjlEEPS6_PlSH_S8_NS0_8equal_toIS6_EEEE10hipError_tPvRmT2_T3_mT4_T5_T6_T7_T8_P12ihipStream_tbENKUlT_T0_E_clISt17integral_constantIbLb1EES10_IbLb0EEEEDaSW_SX_EUlSW_E_NS1_11comp_targetILNS1_3genE10ELNS1_11target_archE1200ELNS1_3gpuE4ELNS1_3repE0EEENS1_30default_config_static_selectorELNS0_4arch9wavefront6targetE0EEEvT1_.has_dyn_sized_stack, 0
	.set _ZN7rocprim17ROCPRIM_400000_NS6detail17trampoline_kernelINS0_14default_configENS1_33run_length_encode_config_selectorIN3c104HalfEjNS0_4plusIjEEEEZZNS1_33reduce_by_key_impl_wrapped_configILNS1_25lookback_scan_determinismE0ES3_S9_PKS6_NS0_17constant_iteratorIjlEEPS6_PlSH_S8_NS0_8equal_toIS6_EEEE10hipError_tPvRmT2_T3_mT4_T5_T6_T7_T8_P12ihipStream_tbENKUlT_T0_E_clISt17integral_constantIbLb1EES10_IbLb0EEEEDaSW_SX_EUlSW_E_NS1_11comp_targetILNS1_3genE10ELNS1_11target_archE1200ELNS1_3gpuE4ELNS1_3repE0EEENS1_30default_config_static_selectorELNS0_4arch9wavefront6targetE0EEEvT1_.has_recursion, 0
	.set _ZN7rocprim17ROCPRIM_400000_NS6detail17trampoline_kernelINS0_14default_configENS1_33run_length_encode_config_selectorIN3c104HalfEjNS0_4plusIjEEEEZZNS1_33reduce_by_key_impl_wrapped_configILNS1_25lookback_scan_determinismE0ES3_S9_PKS6_NS0_17constant_iteratorIjlEEPS6_PlSH_S8_NS0_8equal_toIS6_EEEE10hipError_tPvRmT2_T3_mT4_T5_T6_T7_T8_P12ihipStream_tbENKUlT_T0_E_clISt17integral_constantIbLb1EES10_IbLb0EEEEDaSW_SX_EUlSW_E_NS1_11comp_targetILNS1_3genE10ELNS1_11target_archE1200ELNS1_3gpuE4ELNS1_3repE0EEENS1_30default_config_static_selectorELNS0_4arch9wavefront6targetE0EEEvT1_.has_indirect_call, 0
	.section	.AMDGPU.csdata,"",@progbits
; Kernel info:
; codeLenInByte = 0
; TotalNumSgprs: 0
; NumVgprs: 0
; ScratchSize: 0
; MemoryBound: 0
; FloatMode: 240
; IeeeMode: 1
; LDSByteSize: 0 bytes/workgroup (compile time only)
; SGPRBlocks: 0
; VGPRBlocks: 0
; NumSGPRsForWavesPerEU: 1
; NumVGPRsForWavesPerEU: 1
; NamedBarCnt: 0
; Occupancy: 16
; WaveLimiterHint : 0
; COMPUTE_PGM_RSRC2:SCRATCH_EN: 0
; COMPUTE_PGM_RSRC2:USER_SGPR: 2
; COMPUTE_PGM_RSRC2:TRAP_HANDLER: 0
; COMPUTE_PGM_RSRC2:TGID_X_EN: 1
; COMPUTE_PGM_RSRC2:TGID_Y_EN: 0
; COMPUTE_PGM_RSRC2:TGID_Z_EN: 0
; COMPUTE_PGM_RSRC2:TIDIG_COMP_CNT: 0
	.section	.text._ZN7rocprim17ROCPRIM_400000_NS6detail17trampoline_kernelINS0_14default_configENS1_33run_length_encode_config_selectorIN3c104HalfEjNS0_4plusIjEEEEZZNS1_33reduce_by_key_impl_wrapped_configILNS1_25lookback_scan_determinismE0ES3_S9_PKS6_NS0_17constant_iteratorIjlEEPS6_PlSH_S8_NS0_8equal_toIS6_EEEE10hipError_tPvRmT2_T3_mT4_T5_T6_T7_T8_P12ihipStream_tbENKUlT_T0_E_clISt17integral_constantIbLb1EES10_IbLb0EEEEDaSW_SX_EUlSW_E_NS1_11comp_targetILNS1_3genE9ELNS1_11target_archE1100ELNS1_3gpuE3ELNS1_3repE0EEENS1_30default_config_static_selectorELNS0_4arch9wavefront6targetE0EEEvT1_,"axG",@progbits,_ZN7rocprim17ROCPRIM_400000_NS6detail17trampoline_kernelINS0_14default_configENS1_33run_length_encode_config_selectorIN3c104HalfEjNS0_4plusIjEEEEZZNS1_33reduce_by_key_impl_wrapped_configILNS1_25lookback_scan_determinismE0ES3_S9_PKS6_NS0_17constant_iteratorIjlEEPS6_PlSH_S8_NS0_8equal_toIS6_EEEE10hipError_tPvRmT2_T3_mT4_T5_T6_T7_T8_P12ihipStream_tbENKUlT_T0_E_clISt17integral_constantIbLb1EES10_IbLb0EEEEDaSW_SX_EUlSW_E_NS1_11comp_targetILNS1_3genE9ELNS1_11target_archE1100ELNS1_3gpuE3ELNS1_3repE0EEENS1_30default_config_static_selectorELNS0_4arch9wavefront6targetE0EEEvT1_,comdat
	.protected	_ZN7rocprim17ROCPRIM_400000_NS6detail17trampoline_kernelINS0_14default_configENS1_33run_length_encode_config_selectorIN3c104HalfEjNS0_4plusIjEEEEZZNS1_33reduce_by_key_impl_wrapped_configILNS1_25lookback_scan_determinismE0ES3_S9_PKS6_NS0_17constant_iteratorIjlEEPS6_PlSH_S8_NS0_8equal_toIS6_EEEE10hipError_tPvRmT2_T3_mT4_T5_T6_T7_T8_P12ihipStream_tbENKUlT_T0_E_clISt17integral_constantIbLb1EES10_IbLb0EEEEDaSW_SX_EUlSW_E_NS1_11comp_targetILNS1_3genE9ELNS1_11target_archE1100ELNS1_3gpuE3ELNS1_3repE0EEENS1_30default_config_static_selectorELNS0_4arch9wavefront6targetE0EEEvT1_ ; -- Begin function _ZN7rocprim17ROCPRIM_400000_NS6detail17trampoline_kernelINS0_14default_configENS1_33run_length_encode_config_selectorIN3c104HalfEjNS0_4plusIjEEEEZZNS1_33reduce_by_key_impl_wrapped_configILNS1_25lookback_scan_determinismE0ES3_S9_PKS6_NS0_17constant_iteratorIjlEEPS6_PlSH_S8_NS0_8equal_toIS6_EEEE10hipError_tPvRmT2_T3_mT4_T5_T6_T7_T8_P12ihipStream_tbENKUlT_T0_E_clISt17integral_constantIbLb1EES10_IbLb0EEEEDaSW_SX_EUlSW_E_NS1_11comp_targetILNS1_3genE9ELNS1_11target_archE1100ELNS1_3gpuE3ELNS1_3repE0EEENS1_30default_config_static_selectorELNS0_4arch9wavefront6targetE0EEEvT1_
	.globl	_ZN7rocprim17ROCPRIM_400000_NS6detail17trampoline_kernelINS0_14default_configENS1_33run_length_encode_config_selectorIN3c104HalfEjNS0_4plusIjEEEEZZNS1_33reduce_by_key_impl_wrapped_configILNS1_25lookback_scan_determinismE0ES3_S9_PKS6_NS0_17constant_iteratorIjlEEPS6_PlSH_S8_NS0_8equal_toIS6_EEEE10hipError_tPvRmT2_T3_mT4_T5_T6_T7_T8_P12ihipStream_tbENKUlT_T0_E_clISt17integral_constantIbLb1EES10_IbLb0EEEEDaSW_SX_EUlSW_E_NS1_11comp_targetILNS1_3genE9ELNS1_11target_archE1100ELNS1_3gpuE3ELNS1_3repE0EEENS1_30default_config_static_selectorELNS0_4arch9wavefront6targetE0EEEvT1_
	.p2align	8
	.type	_ZN7rocprim17ROCPRIM_400000_NS6detail17trampoline_kernelINS0_14default_configENS1_33run_length_encode_config_selectorIN3c104HalfEjNS0_4plusIjEEEEZZNS1_33reduce_by_key_impl_wrapped_configILNS1_25lookback_scan_determinismE0ES3_S9_PKS6_NS0_17constant_iteratorIjlEEPS6_PlSH_S8_NS0_8equal_toIS6_EEEE10hipError_tPvRmT2_T3_mT4_T5_T6_T7_T8_P12ihipStream_tbENKUlT_T0_E_clISt17integral_constantIbLb1EES10_IbLb0EEEEDaSW_SX_EUlSW_E_NS1_11comp_targetILNS1_3genE9ELNS1_11target_archE1100ELNS1_3gpuE3ELNS1_3repE0EEENS1_30default_config_static_selectorELNS0_4arch9wavefront6targetE0EEEvT1_,@function
_ZN7rocprim17ROCPRIM_400000_NS6detail17trampoline_kernelINS0_14default_configENS1_33run_length_encode_config_selectorIN3c104HalfEjNS0_4plusIjEEEEZZNS1_33reduce_by_key_impl_wrapped_configILNS1_25lookback_scan_determinismE0ES3_S9_PKS6_NS0_17constant_iteratorIjlEEPS6_PlSH_S8_NS0_8equal_toIS6_EEEE10hipError_tPvRmT2_T3_mT4_T5_T6_T7_T8_P12ihipStream_tbENKUlT_T0_E_clISt17integral_constantIbLb1EES10_IbLb0EEEEDaSW_SX_EUlSW_E_NS1_11comp_targetILNS1_3genE9ELNS1_11target_archE1100ELNS1_3gpuE3ELNS1_3repE0EEENS1_30default_config_static_selectorELNS0_4arch9wavefront6targetE0EEEvT1_: ; @_ZN7rocprim17ROCPRIM_400000_NS6detail17trampoline_kernelINS0_14default_configENS1_33run_length_encode_config_selectorIN3c104HalfEjNS0_4plusIjEEEEZZNS1_33reduce_by_key_impl_wrapped_configILNS1_25lookback_scan_determinismE0ES3_S9_PKS6_NS0_17constant_iteratorIjlEEPS6_PlSH_S8_NS0_8equal_toIS6_EEEE10hipError_tPvRmT2_T3_mT4_T5_T6_T7_T8_P12ihipStream_tbENKUlT_T0_E_clISt17integral_constantIbLb1EES10_IbLb0EEEEDaSW_SX_EUlSW_E_NS1_11comp_targetILNS1_3genE9ELNS1_11target_archE1100ELNS1_3gpuE3ELNS1_3repE0EEENS1_30default_config_static_selectorELNS0_4arch9wavefront6targetE0EEEvT1_
; %bb.0:
	.section	.rodata,"a",@progbits
	.p2align	6, 0x0
	.amdhsa_kernel _ZN7rocprim17ROCPRIM_400000_NS6detail17trampoline_kernelINS0_14default_configENS1_33run_length_encode_config_selectorIN3c104HalfEjNS0_4plusIjEEEEZZNS1_33reduce_by_key_impl_wrapped_configILNS1_25lookback_scan_determinismE0ES3_S9_PKS6_NS0_17constant_iteratorIjlEEPS6_PlSH_S8_NS0_8equal_toIS6_EEEE10hipError_tPvRmT2_T3_mT4_T5_T6_T7_T8_P12ihipStream_tbENKUlT_T0_E_clISt17integral_constantIbLb1EES10_IbLb0EEEEDaSW_SX_EUlSW_E_NS1_11comp_targetILNS1_3genE9ELNS1_11target_archE1100ELNS1_3gpuE3ELNS1_3repE0EEENS1_30default_config_static_selectorELNS0_4arch9wavefront6targetE0EEEvT1_
		.amdhsa_group_segment_fixed_size 0
		.amdhsa_private_segment_fixed_size 0
		.amdhsa_kernarg_size 128
		.amdhsa_user_sgpr_count 2
		.amdhsa_user_sgpr_dispatch_ptr 0
		.amdhsa_user_sgpr_queue_ptr 0
		.amdhsa_user_sgpr_kernarg_segment_ptr 1
		.amdhsa_user_sgpr_dispatch_id 0
		.amdhsa_user_sgpr_kernarg_preload_length 0
		.amdhsa_user_sgpr_kernarg_preload_offset 0
		.amdhsa_user_sgpr_private_segment_size 0
		.amdhsa_wavefront_size32 1
		.amdhsa_uses_dynamic_stack 0
		.amdhsa_enable_private_segment 0
		.amdhsa_system_sgpr_workgroup_id_x 1
		.amdhsa_system_sgpr_workgroup_id_y 0
		.amdhsa_system_sgpr_workgroup_id_z 0
		.amdhsa_system_sgpr_workgroup_info 0
		.amdhsa_system_vgpr_workitem_id 0
		.amdhsa_next_free_vgpr 1
		.amdhsa_next_free_sgpr 1
		.amdhsa_named_barrier_count 0
		.amdhsa_reserve_vcc 0
		.amdhsa_float_round_mode_32 0
		.amdhsa_float_round_mode_16_64 0
		.amdhsa_float_denorm_mode_32 3
		.amdhsa_float_denorm_mode_16_64 3
		.amdhsa_fp16_overflow 0
		.amdhsa_memory_ordered 1
		.amdhsa_forward_progress 1
		.amdhsa_inst_pref_size 0
		.amdhsa_round_robin_scheduling 0
		.amdhsa_exception_fp_ieee_invalid_op 0
		.amdhsa_exception_fp_denorm_src 0
		.amdhsa_exception_fp_ieee_div_zero 0
		.amdhsa_exception_fp_ieee_overflow 0
		.amdhsa_exception_fp_ieee_underflow 0
		.amdhsa_exception_fp_ieee_inexact 0
		.amdhsa_exception_int_div_zero 0
	.end_amdhsa_kernel
	.section	.text._ZN7rocprim17ROCPRIM_400000_NS6detail17trampoline_kernelINS0_14default_configENS1_33run_length_encode_config_selectorIN3c104HalfEjNS0_4plusIjEEEEZZNS1_33reduce_by_key_impl_wrapped_configILNS1_25lookback_scan_determinismE0ES3_S9_PKS6_NS0_17constant_iteratorIjlEEPS6_PlSH_S8_NS0_8equal_toIS6_EEEE10hipError_tPvRmT2_T3_mT4_T5_T6_T7_T8_P12ihipStream_tbENKUlT_T0_E_clISt17integral_constantIbLb1EES10_IbLb0EEEEDaSW_SX_EUlSW_E_NS1_11comp_targetILNS1_3genE9ELNS1_11target_archE1100ELNS1_3gpuE3ELNS1_3repE0EEENS1_30default_config_static_selectorELNS0_4arch9wavefront6targetE0EEEvT1_,"axG",@progbits,_ZN7rocprim17ROCPRIM_400000_NS6detail17trampoline_kernelINS0_14default_configENS1_33run_length_encode_config_selectorIN3c104HalfEjNS0_4plusIjEEEEZZNS1_33reduce_by_key_impl_wrapped_configILNS1_25lookback_scan_determinismE0ES3_S9_PKS6_NS0_17constant_iteratorIjlEEPS6_PlSH_S8_NS0_8equal_toIS6_EEEE10hipError_tPvRmT2_T3_mT4_T5_T6_T7_T8_P12ihipStream_tbENKUlT_T0_E_clISt17integral_constantIbLb1EES10_IbLb0EEEEDaSW_SX_EUlSW_E_NS1_11comp_targetILNS1_3genE9ELNS1_11target_archE1100ELNS1_3gpuE3ELNS1_3repE0EEENS1_30default_config_static_selectorELNS0_4arch9wavefront6targetE0EEEvT1_,comdat
.Lfunc_end950:
	.size	_ZN7rocprim17ROCPRIM_400000_NS6detail17trampoline_kernelINS0_14default_configENS1_33run_length_encode_config_selectorIN3c104HalfEjNS0_4plusIjEEEEZZNS1_33reduce_by_key_impl_wrapped_configILNS1_25lookback_scan_determinismE0ES3_S9_PKS6_NS0_17constant_iteratorIjlEEPS6_PlSH_S8_NS0_8equal_toIS6_EEEE10hipError_tPvRmT2_T3_mT4_T5_T6_T7_T8_P12ihipStream_tbENKUlT_T0_E_clISt17integral_constantIbLb1EES10_IbLb0EEEEDaSW_SX_EUlSW_E_NS1_11comp_targetILNS1_3genE9ELNS1_11target_archE1100ELNS1_3gpuE3ELNS1_3repE0EEENS1_30default_config_static_selectorELNS0_4arch9wavefront6targetE0EEEvT1_, .Lfunc_end950-_ZN7rocprim17ROCPRIM_400000_NS6detail17trampoline_kernelINS0_14default_configENS1_33run_length_encode_config_selectorIN3c104HalfEjNS0_4plusIjEEEEZZNS1_33reduce_by_key_impl_wrapped_configILNS1_25lookback_scan_determinismE0ES3_S9_PKS6_NS0_17constant_iteratorIjlEEPS6_PlSH_S8_NS0_8equal_toIS6_EEEE10hipError_tPvRmT2_T3_mT4_T5_T6_T7_T8_P12ihipStream_tbENKUlT_T0_E_clISt17integral_constantIbLb1EES10_IbLb0EEEEDaSW_SX_EUlSW_E_NS1_11comp_targetILNS1_3genE9ELNS1_11target_archE1100ELNS1_3gpuE3ELNS1_3repE0EEENS1_30default_config_static_selectorELNS0_4arch9wavefront6targetE0EEEvT1_
                                        ; -- End function
	.set _ZN7rocprim17ROCPRIM_400000_NS6detail17trampoline_kernelINS0_14default_configENS1_33run_length_encode_config_selectorIN3c104HalfEjNS0_4plusIjEEEEZZNS1_33reduce_by_key_impl_wrapped_configILNS1_25lookback_scan_determinismE0ES3_S9_PKS6_NS0_17constant_iteratorIjlEEPS6_PlSH_S8_NS0_8equal_toIS6_EEEE10hipError_tPvRmT2_T3_mT4_T5_T6_T7_T8_P12ihipStream_tbENKUlT_T0_E_clISt17integral_constantIbLb1EES10_IbLb0EEEEDaSW_SX_EUlSW_E_NS1_11comp_targetILNS1_3genE9ELNS1_11target_archE1100ELNS1_3gpuE3ELNS1_3repE0EEENS1_30default_config_static_selectorELNS0_4arch9wavefront6targetE0EEEvT1_.num_vgpr, 0
	.set _ZN7rocprim17ROCPRIM_400000_NS6detail17trampoline_kernelINS0_14default_configENS1_33run_length_encode_config_selectorIN3c104HalfEjNS0_4plusIjEEEEZZNS1_33reduce_by_key_impl_wrapped_configILNS1_25lookback_scan_determinismE0ES3_S9_PKS6_NS0_17constant_iteratorIjlEEPS6_PlSH_S8_NS0_8equal_toIS6_EEEE10hipError_tPvRmT2_T3_mT4_T5_T6_T7_T8_P12ihipStream_tbENKUlT_T0_E_clISt17integral_constantIbLb1EES10_IbLb0EEEEDaSW_SX_EUlSW_E_NS1_11comp_targetILNS1_3genE9ELNS1_11target_archE1100ELNS1_3gpuE3ELNS1_3repE0EEENS1_30default_config_static_selectorELNS0_4arch9wavefront6targetE0EEEvT1_.num_agpr, 0
	.set _ZN7rocprim17ROCPRIM_400000_NS6detail17trampoline_kernelINS0_14default_configENS1_33run_length_encode_config_selectorIN3c104HalfEjNS0_4plusIjEEEEZZNS1_33reduce_by_key_impl_wrapped_configILNS1_25lookback_scan_determinismE0ES3_S9_PKS6_NS0_17constant_iteratorIjlEEPS6_PlSH_S8_NS0_8equal_toIS6_EEEE10hipError_tPvRmT2_T3_mT4_T5_T6_T7_T8_P12ihipStream_tbENKUlT_T0_E_clISt17integral_constantIbLb1EES10_IbLb0EEEEDaSW_SX_EUlSW_E_NS1_11comp_targetILNS1_3genE9ELNS1_11target_archE1100ELNS1_3gpuE3ELNS1_3repE0EEENS1_30default_config_static_selectorELNS0_4arch9wavefront6targetE0EEEvT1_.numbered_sgpr, 0
	.set _ZN7rocprim17ROCPRIM_400000_NS6detail17trampoline_kernelINS0_14default_configENS1_33run_length_encode_config_selectorIN3c104HalfEjNS0_4plusIjEEEEZZNS1_33reduce_by_key_impl_wrapped_configILNS1_25lookback_scan_determinismE0ES3_S9_PKS6_NS0_17constant_iteratorIjlEEPS6_PlSH_S8_NS0_8equal_toIS6_EEEE10hipError_tPvRmT2_T3_mT4_T5_T6_T7_T8_P12ihipStream_tbENKUlT_T0_E_clISt17integral_constantIbLb1EES10_IbLb0EEEEDaSW_SX_EUlSW_E_NS1_11comp_targetILNS1_3genE9ELNS1_11target_archE1100ELNS1_3gpuE3ELNS1_3repE0EEENS1_30default_config_static_selectorELNS0_4arch9wavefront6targetE0EEEvT1_.num_named_barrier, 0
	.set _ZN7rocprim17ROCPRIM_400000_NS6detail17trampoline_kernelINS0_14default_configENS1_33run_length_encode_config_selectorIN3c104HalfEjNS0_4plusIjEEEEZZNS1_33reduce_by_key_impl_wrapped_configILNS1_25lookback_scan_determinismE0ES3_S9_PKS6_NS0_17constant_iteratorIjlEEPS6_PlSH_S8_NS0_8equal_toIS6_EEEE10hipError_tPvRmT2_T3_mT4_T5_T6_T7_T8_P12ihipStream_tbENKUlT_T0_E_clISt17integral_constantIbLb1EES10_IbLb0EEEEDaSW_SX_EUlSW_E_NS1_11comp_targetILNS1_3genE9ELNS1_11target_archE1100ELNS1_3gpuE3ELNS1_3repE0EEENS1_30default_config_static_selectorELNS0_4arch9wavefront6targetE0EEEvT1_.private_seg_size, 0
	.set _ZN7rocprim17ROCPRIM_400000_NS6detail17trampoline_kernelINS0_14default_configENS1_33run_length_encode_config_selectorIN3c104HalfEjNS0_4plusIjEEEEZZNS1_33reduce_by_key_impl_wrapped_configILNS1_25lookback_scan_determinismE0ES3_S9_PKS6_NS0_17constant_iteratorIjlEEPS6_PlSH_S8_NS0_8equal_toIS6_EEEE10hipError_tPvRmT2_T3_mT4_T5_T6_T7_T8_P12ihipStream_tbENKUlT_T0_E_clISt17integral_constantIbLb1EES10_IbLb0EEEEDaSW_SX_EUlSW_E_NS1_11comp_targetILNS1_3genE9ELNS1_11target_archE1100ELNS1_3gpuE3ELNS1_3repE0EEENS1_30default_config_static_selectorELNS0_4arch9wavefront6targetE0EEEvT1_.uses_vcc, 0
	.set _ZN7rocprim17ROCPRIM_400000_NS6detail17trampoline_kernelINS0_14default_configENS1_33run_length_encode_config_selectorIN3c104HalfEjNS0_4plusIjEEEEZZNS1_33reduce_by_key_impl_wrapped_configILNS1_25lookback_scan_determinismE0ES3_S9_PKS6_NS0_17constant_iteratorIjlEEPS6_PlSH_S8_NS0_8equal_toIS6_EEEE10hipError_tPvRmT2_T3_mT4_T5_T6_T7_T8_P12ihipStream_tbENKUlT_T0_E_clISt17integral_constantIbLb1EES10_IbLb0EEEEDaSW_SX_EUlSW_E_NS1_11comp_targetILNS1_3genE9ELNS1_11target_archE1100ELNS1_3gpuE3ELNS1_3repE0EEENS1_30default_config_static_selectorELNS0_4arch9wavefront6targetE0EEEvT1_.uses_flat_scratch, 0
	.set _ZN7rocprim17ROCPRIM_400000_NS6detail17trampoline_kernelINS0_14default_configENS1_33run_length_encode_config_selectorIN3c104HalfEjNS0_4plusIjEEEEZZNS1_33reduce_by_key_impl_wrapped_configILNS1_25lookback_scan_determinismE0ES3_S9_PKS6_NS0_17constant_iteratorIjlEEPS6_PlSH_S8_NS0_8equal_toIS6_EEEE10hipError_tPvRmT2_T3_mT4_T5_T6_T7_T8_P12ihipStream_tbENKUlT_T0_E_clISt17integral_constantIbLb1EES10_IbLb0EEEEDaSW_SX_EUlSW_E_NS1_11comp_targetILNS1_3genE9ELNS1_11target_archE1100ELNS1_3gpuE3ELNS1_3repE0EEENS1_30default_config_static_selectorELNS0_4arch9wavefront6targetE0EEEvT1_.has_dyn_sized_stack, 0
	.set _ZN7rocprim17ROCPRIM_400000_NS6detail17trampoline_kernelINS0_14default_configENS1_33run_length_encode_config_selectorIN3c104HalfEjNS0_4plusIjEEEEZZNS1_33reduce_by_key_impl_wrapped_configILNS1_25lookback_scan_determinismE0ES3_S9_PKS6_NS0_17constant_iteratorIjlEEPS6_PlSH_S8_NS0_8equal_toIS6_EEEE10hipError_tPvRmT2_T3_mT4_T5_T6_T7_T8_P12ihipStream_tbENKUlT_T0_E_clISt17integral_constantIbLb1EES10_IbLb0EEEEDaSW_SX_EUlSW_E_NS1_11comp_targetILNS1_3genE9ELNS1_11target_archE1100ELNS1_3gpuE3ELNS1_3repE0EEENS1_30default_config_static_selectorELNS0_4arch9wavefront6targetE0EEEvT1_.has_recursion, 0
	.set _ZN7rocprim17ROCPRIM_400000_NS6detail17trampoline_kernelINS0_14default_configENS1_33run_length_encode_config_selectorIN3c104HalfEjNS0_4plusIjEEEEZZNS1_33reduce_by_key_impl_wrapped_configILNS1_25lookback_scan_determinismE0ES3_S9_PKS6_NS0_17constant_iteratorIjlEEPS6_PlSH_S8_NS0_8equal_toIS6_EEEE10hipError_tPvRmT2_T3_mT4_T5_T6_T7_T8_P12ihipStream_tbENKUlT_T0_E_clISt17integral_constantIbLb1EES10_IbLb0EEEEDaSW_SX_EUlSW_E_NS1_11comp_targetILNS1_3genE9ELNS1_11target_archE1100ELNS1_3gpuE3ELNS1_3repE0EEENS1_30default_config_static_selectorELNS0_4arch9wavefront6targetE0EEEvT1_.has_indirect_call, 0
	.section	.AMDGPU.csdata,"",@progbits
; Kernel info:
; codeLenInByte = 0
; TotalNumSgprs: 0
; NumVgprs: 0
; ScratchSize: 0
; MemoryBound: 0
; FloatMode: 240
; IeeeMode: 1
; LDSByteSize: 0 bytes/workgroup (compile time only)
; SGPRBlocks: 0
; VGPRBlocks: 0
; NumSGPRsForWavesPerEU: 1
; NumVGPRsForWavesPerEU: 1
; NamedBarCnt: 0
; Occupancy: 16
; WaveLimiterHint : 0
; COMPUTE_PGM_RSRC2:SCRATCH_EN: 0
; COMPUTE_PGM_RSRC2:USER_SGPR: 2
; COMPUTE_PGM_RSRC2:TRAP_HANDLER: 0
; COMPUTE_PGM_RSRC2:TGID_X_EN: 1
; COMPUTE_PGM_RSRC2:TGID_Y_EN: 0
; COMPUTE_PGM_RSRC2:TGID_Z_EN: 0
; COMPUTE_PGM_RSRC2:TIDIG_COMP_CNT: 0
	.section	.text._ZN7rocprim17ROCPRIM_400000_NS6detail17trampoline_kernelINS0_14default_configENS1_33run_length_encode_config_selectorIN3c104HalfEjNS0_4plusIjEEEEZZNS1_33reduce_by_key_impl_wrapped_configILNS1_25lookback_scan_determinismE0ES3_S9_PKS6_NS0_17constant_iteratorIjlEEPS6_PlSH_S8_NS0_8equal_toIS6_EEEE10hipError_tPvRmT2_T3_mT4_T5_T6_T7_T8_P12ihipStream_tbENKUlT_T0_E_clISt17integral_constantIbLb1EES10_IbLb0EEEEDaSW_SX_EUlSW_E_NS1_11comp_targetILNS1_3genE8ELNS1_11target_archE1030ELNS1_3gpuE2ELNS1_3repE0EEENS1_30default_config_static_selectorELNS0_4arch9wavefront6targetE0EEEvT1_,"axG",@progbits,_ZN7rocprim17ROCPRIM_400000_NS6detail17trampoline_kernelINS0_14default_configENS1_33run_length_encode_config_selectorIN3c104HalfEjNS0_4plusIjEEEEZZNS1_33reduce_by_key_impl_wrapped_configILNS1_25lookback_scan_determinismE0ES3_S9_PKS6_NS0_17constant_iteratorIjlEEPS6_PlSH_S8_NS0_8equal_toIS6_EEEE10hipError_tPvRmT2_T3_mT4_T5_T6_T7_T8_P12ihipStream_tbENKUlT_T0_E_clISt17integral_constantIbLb1EES10_IbLb0EEEEDaSW_SX_EUlSW_E_NS1_11comp_targetILNS1_3genE8ELNS1_11target_archE1030ELNS1_3gpuE2ELNS1_3repE0EEENS1_30default_config_static_selectorELNS0_4arch9wavefront6targetE0EEEvT1_,comdat
	.protected	_ZN7rocprim17ROCPRIM_400000_NS6detail17trampoline_kernelINS0_14default_configENS1_33run_length_encode_config_selectorIN3c104HalfEjNS0_4plusIjEEEEZZNS1_33reduce_by_key_impl_wrapped_configILNS1_25lookback_scan_determinismE0ES3_S9_PKS6_NS0_17constant_iteratorIjlEEPS6_PlSH_S8_NS0_8equal_toIS6_EEEE10hipError_tPvRmT2_T3_mT4_T5_T6_T7_T8_P12ihipStream_tbENKUlT_T0_E_clISt17integral_constantIbLb1EES10_IbLb0EEEEDaSW_SX_EUlSW_E_NS1_11comp_targetILNS1_3genE8ELNS1_11target_archE1030ELNS1_3gpuE2ELNS1_3repE0EEENS1_30default_config_static_selectorELNS0_4arch9wavefront6targetE0EEEvT1_ ; -- Begin function _ZN7rocprim17ROCPRIM_400000_NS6detail17trampoline_kernelINS0_14default_configENS1_33run_length_encode_config_selectorIN3c104HalfEjNS0_4plusIjEEEEZZNS1_33reduce_by_key_impl_wrapped_configILNS1_25lookback_scan_determinismE0ES3_S9_PKS6_NS0_17constant_iteratorIjlEEPS6_PlSH_S8_NS0_8equal_toIS6_EEEE10hipError_tPvRmT2_T3_mT4_T5_T6_T7_T8_P12ihipStream_tbENKUlT_T0_E_clISt17integral_constantIbLb1EES10_IbLb0EEEEDaSW_SX_EUlSW_E_NS1_11comp_targetILNS1_3genE8ELNS1_11target_archE1030ELNS1_3gpuE2ELNS1_3repE0EEENS1_30default_config_static_selectorELNS0_4arch9wavefront6targetE0EEEvT1_
	.globl	_ZN7rocprim17ROCPRIM_400000_NS6detail17trampoline_kernelINS0_14default_configENS1_33run_length_encode_config_selectorIN3c104HalfEjNS0_4plusIjEEEEZZNS1_33reduce_by_key_impl_wrapped_configILNS1_25lookback_scan_determinismE0ES3_S9_PKS6_NS0_17constant_iteratorIjlEEPS6_PlSH_S8_NS0_8equal_toIS6_EEEE10hipError_tPvRmT2_T3_mT4_T5_T6_T7_T8_P12ihipStream_tbENKUlT_T0_E_clISt17integral_constantIbLb1EES10_IbLb0EEEEDaSW_SX_EUlSW_E_NS1_11comp_targetILNS1_3genE8ELNS1_11target_archE1030ELNS1_3gpuE2ELNS1_3repE0EEENS1_30default_config_static_selectorELNS0_4arch9wavefront6targetE0EEEvT1_
	.p2align	8
	.type	_ZN7rocprim17ROCPRIM_400000_NS6detail17trampoline_kernelINS0_14default_configENS1_33run_length_encode_config_selectorIN3c104HalfEjNS0_4plusIjEEEEZZNS1_33reduce_by_key_impl_wrapped_configILNS1_25lookback_scan_determinismE0ES3_S9_PKS6_NS0_17constant_iteratorIjlEEPS6_PlSH_S8_NS0_8equal_toIS6_EEEE10hipError_tPvRmT2_T3_mT4_T5_T6_T7_T8_P12ihipStream_tbENKUlT_T0_E_clISt17integral_constantIbLb1EES10_IbLb0EEEEDaSW_SX_EUlSW_E_NS1_11comp_targetILNS1_3genE8ELNS1_11target_archE1030ELNS1_3gpuE2ELNS1_3repE0EEENS1_30default_config_static_selectorELNS0_4arch9wavefront6targetE0EEEvT1_,@function
_ZN7rocprim17ROCPRIM_400000_NS6detail17trampoline_kernelINS0_14default_configENS1_33run_length_encode_config_selectorIN3c104HalfEjNS0_4plusIjEEEEZZNS1_33reduce_by_key_impl_wrapped_configILNS1_25lookback_scan_determinismE0ES3_S9_PKS6_NS0_17constant_iteratorIjlEEPS6_PlSH_S8_NS0_8equal_toIS6_EEEE10hipError_tPvRmT2_T3_mT4_T5_T6_T7_T8_P12ihipStream_tbENKUlT_T0_E_clISt17integral_constantIbLb1EES10_IbLb0EEEEDaSW_SX_EUlSW_E_NS1_11comp_targetILNS1_3genE8ELNS1_11target_archE1030ELNS1_3gpuE2ELNS1_3repE0EEENS1_30default_config_static_selectorELNS0_4arch9wavefront6targetE0EEEvT1_: ; @_ZN7rocprim17ROCPRIM_400000_NS6detail17trampoline_kernelINS0_14default_configENS1_33run_length_encode_config_selectorIN3c104HalfEjNS0_4plusIjEEEEZZNS1_33reduce_by_key_impl_wrapped_configILNS1_25lookback_scan_determinismE0ES3_S9_PKS6_NS0_17constant_iteratorIjlEEPS6_PlSH_S8_NS0_8equal_toIS6_EEEE10hipError_tPvRmT2_T3_mT4_T5_T6_T7_T8_P12ihipStream_tbENKUlT_T0_E_clISt17integral_constantIbLb1EES10_IbLb0EEEEDaSW_SX_EUlSW_E_NS1_11comp_targetILNS1_3genE8ELNS1_11target_archE1030ELNS1_3gpuE2ELNS1_3repE0EEENS1_30default_config_static_selectorELNS0_4arch9wavefront6targetE0EEEvT1_
; %bb.0:
	.section	.rodata,"a",@progbits
	.p2align	6, 0x0
	.amdhsa_kernel _ZN7rocprim17ROCPRIM_400000_NS6detail17trampoline_kernelINS0_14default_configENS1_33run_length_encode_config_selectorIN3c104HalfEjNS0_4plusIjEEEEZZNS1_33reduce_by_key_impl_wrapped_configILNS1_25lookback_scan_determinismE0ES3_S9_PKS6_NS0_17constant_iteratorIjlEEPS6_PlSH_S8_NS0_8equal_toIS6_EEEE10hipError_tPvRmT2_T3_mT4_T5_T6_T7_T8_P12ihipStream_tbENKUlT_T0_E_clISt17integral_constantIbLb1EES10_IbLb0EEEEDaSW_SX_EUlSW_E_NS1_11comp_targetILNS1_3genE8ELNS1_11target_archE1030ELNS1_3gpuE2ELNS1_3repE0EEENS1_30default_config_static_selectorELNS0_4arch9wavefront6targetE0EEEvT1_
		.amdhsa_group_segment_fixed_size 0
		.amdhsa_private_segment_fixed_size 0
		.amdhsa_kernarg_size 128
		.amdhsa_user_sgpr_count 2
		.amdhsa_user_sgpr_dispatch_ptr 0
		.amdhsa_user_sgpr_queue_ptr 0
		.amdhsa_user_sgpr_kernarg_segment_ptr 1
		.amdhsa_user_sgpr_dispatch_id 0
		.amdhsa_user_sgpr_kernarg_preload_length 0
		.amdhsa_user_sgpr_kernarg_preload_offset 0
		.amdhsa_user_sgpr_private_segment_size 0
		.amdhsa_wavefront_size32 1
		.amdhsa_uses_dynamic_stack 0
		.amdhsa_enable_private_segment 0
		.amdhsa_system_sgpr_workgroup_id_x 1
		.amdhsa_system_sgpr_workgroup_id_y 0
		.amdhsa_system_sgpr_workgroup_id_z 0
		.amdhsa_system_sgpr_workgroup_info 0
		.amdhsa_system_vgpr_workitem_id 0
		.amdhsa_next_free_vgpr 1
		.amdhsa_next_free_sgpr 1
		.amdhsa_named_barrier_count 0
		.amdhsa_reserve_vcc 0
		.amdhsa_float_round_mode_32 0
		.amdhsa_float_round_mode_16_64 0
		.amdhsa_float_denorm_mode_32 3
		.amdhsa_float_denorm_mode_16_64 3
		.amdhsa_fp16_overflow 0
		.amdhsa_memory_ordered 1
		.amdhsa_forward_progress 1
		.amdhsa_inst_pref_size 0
		.amdhsa_round_robin_scheduling 0
		.amdhsa_exception_fp_ieee_invalid_op 0
		.amdhsa_exception_fp_denorm_src 0
		.amdhsa_exception_fp_ieee_div_zero 0
		.amdhsa_exception_fp_ieee_overflow 0
		.amdhsa_exception_fp_ieee_underflow 0
		.amdhsa_exception_fp_ieee_inexact 0
		.amdhsa_exception_int_div_zero 0
	.end_amdhsa_kernel
	.section	.text._ZN7rocprim17ROCPRIM_400000_NS6detail17trampoline_kernelINS0_14default_configENS1_33run_length_encode_config_selectorIN3c104HalfEjNS0_4plusIjEEEEZZNS1_33reduce_by_key_impl_wrapped_configILNS1_25lookback_scan_determinismE0ES3_S9_PKS6_NS0_17constant_iteratorIjlEEPS6_PlSH_S8_NS0_8equal_toIS6_EEEE10hipError_tPvRmT2_T3_mT4_T5_T6_T7_T8_P12ihipStream_tbENKUlT_T0_E_clISt17integral_constantIbLb1EES10_IbLb0EEEEDaSW_SX_EUlSW_E_NS1_11comp_targetILNS1_3genE8ELNS1_11target_archE1030ELNS1_3gpuE2ELNS1_3repE0EEENS1_30default_config_static_selectorELNS0_4arch9wavefront6targetE0EEEvT1_,"axG",@progbits,_ZN7rocprim17ROCPRIM_400000_NS6detail17trampoline_kernelINS0_14default_configENS1_33run_length_encode_config_selectorIN3c104HalfEjNS0_4plusIjEEEEZZNS1_33reduce_by_key_impl_wrapped_configILNS1_25lookback_scan_determinismE0ES3_S9_PKS6_NS0_17constant_iteratorIjlEEPS6_PlSH_S8_NS0_8equal_toIS6_EEEE10hipError_tPvRmT2_T3_mT4_T5_T6_T7_T8_P12ihipStream_tbENKUlT_T0_E_clISt17integral_constantIbLb1EES10_IbLb0EEEEDaSW_SX_EUlSW_E_NS1_11comp_targetILNS1_3genE8ELNS1_11target_archE1030ELNS1_3gpuE2ELNS1_3repE0EEENS1_30default_config_static_selectorELNS0_4arch9wavefront6targetE0EEEvT1_,comdat
.Lfunc_end951:
	.size	_ZN7rocprim17ROCPRIM_400000_NS6detail17trampoline_kernelINS0_14default_configENS1_33run_length_encode_config_selectorIN3c104HalfEjNS0_4plusIjEEEEZZNS1_33reduce_by_key_impl_wrapped_configILNS1_25lookback_scan_determinismE0ES3_S9_PKS6_NS0_17constant_iteratorIjlEEPS6_PlSH_S8_NS0_8equal_toIS6_EEEE10hipError_tPvRmT2_T3_mT4_T5_T6_T7_T8_P12ihipStream_tbENKUlT_T0_E_clISt17integral_constantIbLb1EES10_IbLb0EEEEDaSW_SX_EUlSW_E_NS1_11comp_targetILNS1_3genE8ELNS1_11target_archE1030ELNS1_3gpuE2ELNS1_3repE0EEENS1_30default_config_static_selectorELNS0_4arch9wavefront6targetE0EEEvT1_, .Lfunc_end951-_ZN7rocprim17ROCPRIM_400000_NS6detail17trampoline_kernelINS0_14default_configENS1_33run_length_encode_config_selectorIN3c104HalfEjNS0_4plusIjEEEEZZNS1_33reduce_by_key_impl_wrapped_configILNS1_25lookback_scan_determinismE0ES3_S9_PKS6_NS0_17constant_iteratorIjlEEPS6_PlSH_S8_NS0_8equal_toIS6_EEEE10hipError_tPvRmT2_T3_mT4_T5_T6_T7_T8_P12ihipStream_tbENKUlT_T0_E_clISt17integral_constantIbLb1EES10_IbLb0EEEEDaSW_SX_EUlSW_E_NS1_11comp_targetILNS1_3genE8ELNS1_11target_archE1030ELNS1_3gpuE2ELNS1_3repE0EEENS1_30default_config_static_selectorELNS0_4arch9wavefront6targetE0EEEvT1_
                                        ; -- End function
	.set _ZN7rocprim17ROCPRIM_400000_NS6detail17trampoline_kernelINS0_14default_configENS1_33run_length_encode_config_selectorIN3c104HalfEjNS0_4plusIjEEEEZZNS1_33reduce_by_key_impl_wrapped_configILNS1_25lookback_scan_determinismE0ES3_S9_PKS6_NS0_17constant_iteratorIjlEEPS6_PlSH_S8_NS0_8equal_toIS6_EEEE10hipError_tPvRmT2_T3_mT4_T5_T6_T7_T8_P12ihipStream_tbENKUlT_T0_E_clISt17integral_constantIbLb1EES10_IbLb0EEEEDaSW_SX_EUlSW_E_NS1_11comp_targetILNS1_3genE8ELNS1_11target_archE1030ELNS1_3gpuE2ELNS1_3repE0EEENS1_30default_config_static_selectorELNS0_4arch9wavefront6targetE0EEEvT1_.num_vgpr, 0
	.set _ZN7rocprim17ROCPRIM_400000_NS6detail17trampoline_kernelINS0_14default_configENS1_33run_length_encode_config_selectorIN3c104HalfEjNS0_4plusIjEEEEZZNS1_33reduce_by_key_impl_wrapped_configILNS1_25lookback_scan_determinismE0ES3_S9_PKS6_NS0_17constant_iteratorIjlEEPS6_PlSH_S8_NS0_8equal_toIS6_EEEE10hipError_tPvRmT2_T3_mT4_T5_T6_T7_T8_P12ihipStream_tbENKUlT_T0_E_clISt17integral_constantIbLb1EES10_IbLb0EEEEDaSW_SX_EUlSW_E_NS1_11comp_targetILNS1_3genE8ELNS1_11target_archE1030ELNS1_3gpuE2ELNS1_3repE0EEENS1_30default_config_static_selectorELNS0_4arch9wavefront6targetE0EEEvT1_.num_agpr, 0
	.set _ZN7rocprim17ROCPRIM_400000_NS6detail17trampoline_kernelINS0_14default_configENS1_33run_length_encode_config_selectorIN3c104HalfEjNS0_4plusIjEEEEZZNS1_33reduce_by_key_impl_wrapped_configILNS1_25lookback_scan_determinismE0ES3_S9_PKS6_NS0_17constant_iteratorIjlEEPS6_PlSH_S8_NS0_8equal_toIS6_EEEE10hipError_tPvRmT2_T3_mT4_T5_T6_T7_T8_P12ihipStream_tbENKUlT_T0_E_clISt17integral_constantIbLb1EES10_IbLb0EEEEDaSW_SX_EUlSW_E_NS1_11comp_targetILNS1_3genE8ELNS1_11target_archE1030ELNS1_3gpuE2ELNS1_3repE0EEENS1_30default_config_static_selectorELNS0_4arch9wavefront6targetE0EEEvT1_.numbered_sgpr, 0
	.set _ZN7rocprim17ROCPRIM_400000_NS6detail17trampoline_kernelINS0_14default_configENS1_33run_length_encode_config_selectorIN3c104HalfEjNS0_4plusIjEEEEZZNS1_33reduce_by_key_impl_wrapped_configILNS1_25lookback_scan_determinismE0ES3_S9_PKS6_NS0_17constant_iteratorIjlEEPS6_PlSH_S8_NS0_8equal_toIS6_EEEE10hipError_tPvRmT2_T3_mT4_T5_T6_T7_T8_P12ihipStream_tbENKUlT_T0_E_clISt17integral_constantIbLb1EES10_IbLb0EEEEDaSW_SX_EUlSW_E_NS1_11comp_targetILNS1_3genE8ELNS1_11target_archE1030ELNS1_3gpuE2ELNS1_3repE0EEENS1_30default_config_static_selectorELNS0_4arch9wavefront6targetE0EEEvT1_.num_named_barrier, 0
	.set _ZN7rocprim17ROCPRIM_400000_NS6detail17trampoline_kernelINS0_14default_configENS1_33run_length_encode_config_selectorIN3c104HalfEjNS0_4plusIjEEEEZZNS1_33reduce_by_key_impl_wrapped_configILNS1_25lookback_scan_determinismE0ES3_S9_PKS6_NS0_17constant_iteratorIjlEEPS6_PlSH_S8_NS0_8equal_toIS6_EEEE10hipError_tPvRmT2_T3_mT4_T5_T6_T7_T8_P12ihipStream_tbENKUlT_T0_E_clISt17integral_constantIbLb1EES10_IbLb0EEEEDaSW_SX_EUlSW_E_NS1_11comp_targetILNS1_3genE8ELNS1_11target_archE1030ELNS1_3gpuE2ELNS1_3repE0EEENS1_30default_config_static_selectorELNS0_4arch9wavefront6targetE0EEEvT1_.private_seg_size, 0
	.set _ZN7rocprim17ROCPRIM_400000_NS6detail17trampoline_kernelINS0_14default_configENS1_33run_length_encode_config_selectorIN3c104HalfEjNS0_4plusIjEEEEZZNS1_33reduce_by_key_impl_wrapped_configILNS1_25lookback_scan_determinismE0ES3_S9_PKS6_NS0_17constant_iteratorIjlEEPS6_PlSH_S8_NS0_8equal_toIS6_EEEE10hipError_tPvRmT2_T3_mT4_T5_T6_T7_T8_P12ihipStream_tbENKUlT_T0_E_clISt17integral_constantIbLb1EES10_IbLb0EEEEDaSW_SX_EUlSW_E_NS1_11comp_targetILNS1_3genE8ELNS1_11target_archE1030ELNS1_3gpuE2ELNS1_3repE0EEENS1_30default_config_static_selectorELNS0_4arch9wavefront6targetE0EEEvT1_.uses_vcc, 0
	.set _ZN7rocprim17ROCPRIM_400000_NS6detail17trampoline_kernelINS0_14default_configENS1_33run_length_encode_config_selectorIN3c104HalfEjNS0_4plusIjEEEEZZNS1_33reduce_by_key_impl_wrapped_configILNS1_25lookback_scan_determinismE0ES3_S9_PKS6_NS0_17constant_iteratorIjlEEPS6_PlSH_S8_NS0_8equal_toIS6_EEEE10hipError_tPvRmT2_T3_mT4_T5_T6_T7_T8_P12ihipStream_tbENKUlT_T0_E_clISt17integral_constantIbLb1EES10_IbLb0EEEEDaSW_SX_EUlSW_E_NS1_11comp_targetILNS1_3genE8ELNS1_11target_archE1030ELNS1_3gpuE2ELNS1_3repE0EEENS1_30default_config_static_selectorELNS0_4arch9wavefront6targetE0EEEvT1_.uses_flat_scratch, 0
	.set _ZN7rocprim17ROCPRIM_400000_NS6detail17trampoline_kernelINS0_14default_configENS1_33run_length_encode_config_selectorIN3c104HalfEjNS0_4plusIjEEEEZZNS1_33reduce_by_key_impl_wrapped_configILNS1_25lookback_scan_determinismE0ES3_S9_PKS6_NS0_17constant_iteratorIjlEEPS6_PlSH_S8_NS0_8equal_toIS6_EEEE10hipError_tPvRmT2_T3_mT4_T5_T6_T7_T8_P12ihipStream_tbENKUlT_T0_E_clISt17integral_constantIbLb1EES10_IbLb0EEEEDaSW_SX_EUlSW_E_NS1_11comp_targetILNS1_3genE8ELNS1_11target_archE1030ELNS1_3gpuE2ELNS1_3repE0EEENS1_30default_config_static_selectorELNS0_4arch9wavefront6targetE0EEEvT1_.has_dyn_sized_stack, 0
	.set _ZN7rocprim17ROCPRIM_400000_NS6detail17trampoline_kernelINS0_14default_configENS1_33run_length_encode_config_selectorIN3c104HalfEjNS0_4plusIjEEEEZZNS1_33reduce_by_key_impl_wrapped_configILNS1_25lookback_scan_determinismE0ES3_S9_PKS6_NS0_17constant_iteratorIjlEEPS6_PlSH_S8_NS0_8equal_toIS6_EEEE10hipError_tPvRmT2_T3_mT4_T5_T6_T7_T8_P12ihipStream_tbENKUlT_T0_E_clISt17integral_constantIbLb1EES10_IbLb0EEEEDaSW_SX_EUlSW_E_NS1_11comp_targetILNS1_3genE8ELNS1_11target_archE1030ELNS1_3gpuE2ELNS1_3repE0EEENS1_30default_config_static_selectorELNS0_4arch9wavefront6targetE0EEEvT1_.has_recursion, 0
	.set _ZN7rocprim17ROCPRIM_400000_NS6detail17trampoline_kernelINS0_14default_configENS1_33run_length_encode_config_selectorIN3c104HalfEjNS0_4plusIjEEEEZZNS1_33reduce_by_key_impl_wrapped_configILNS1_25lookback_scan_determinismE0ES3_S9_PKS6_NS0_17constant_iteratorIjlEEPS6_PlSH_S8_NS0_8equal_toIS6_EEEE10hipError_tPvRmT2_T3_mT4_T5_T6_T7_T8_P12ihipStream_tbENKUlT_T0_E_clISt17integral_constantIbLb1EES10_IbLb0EEEEDaSW_SX_EUlSW_E_NS1_11comp_targetILNS1_3genE8ELNS1_11target_archE1030ELNS1_3gpuE2ELNS1_3repE0EEENS1_30default_config_static_selectorELNS0_4arch9wavefront6targetE0EEEvT1_.has_indirect_call, 0
	.section	.AMDGPU.csdata,"",@progbits
; Kernel info:
; codeLenInByte = 0
; TotalNumSgprs: 0
; NumVgprs: 0
; ScratchSize: 0
; MemoryBound: 0
; FloatMode: 240
; IeeeMode: 1
; LDSByteSize: 0 bytes/workgroup (compile time only)
; SGPRBlocks: 0
; VGPRBlocks: 0
; NumSGPRsForWavesPerEU: 1
; NumVGPRsForWavesPerEU: 1
; NamedBarCnt: 0
; Occupancy: 16
; WaveLimiterHint : 0
; COMPUTE_PGM_RSRC2:SCRATCH_EN: 0
; COMPUTE_PGM_RSRC2:USER_SGPR: 2
; COMPUTE_PGM_RSRC2:TRAP_HANDLER: 0
; COMPUTE_PGM_RSRC2:TGID_X_EN: 1
; COMPUTE_PGM_RSRC2:TGID_Y_EN: 0
; COMPUTE_PGM_RSRC2:TGID_Z_EN: 0
; COMPUTE_PGM_RSRC2:TIDIG_COMP_CNT: 0
	.section	.text._ZN7rocprim17ROCPRIM_400000_NS6detail17trampoline_kernelINS0_14default_configENS1_33run_length_encode_config_selectorIN3c104HalfEjNS0_4plusIjEEEEZZNS1_33reduce_by_key_impl_wrapped_configILNS1_25lookback_scan_determinismE0ES3_S9_PKS6_NS0_17constant_iteratorIjlEEPS6_PlSH_S8_NS0_8equal_toIS6_EEEE10hipError_tPvRmT2_T3_mT4_T5_T6_T7_T8_P12ihipStream_tbENKUlT_T0_E_clISt17integral_constantIbLb0EES10_IbLb1EEEEDaSW_SX_EUlSW_E_NS1_11comp_targetILNS1_3genE0ELNS1_11target_archE4294967295ELNS1_3gpuE0ELNS1_3repE0EEENS1_30default_config_static_selectorELNS0_4arch9wavefront6targetE0EEEvT1_,"axG",@progbits,_ZN7rocprim17ROCPRIM_400000_NS6detail17trampoline_kernelINS0_14default_configENS1_33run_length_encode_config_selectorIN3c104HalfEjNS0_4plusIjEEEEZZNS1_33reduce_by_key_impl_wrapped_configILNS1_25lookback_scan_determinismE0ES3_S9_PKS6_NS0_17constant_iteratorIjlEEPS6_PlSH_S8_NS0_8equal_toIS6_EEEE10hipError_tPvRmT2_T3_mT4_T5_T6_T7_T8_P12ihipStream_tbENKUlT_T0_E_clISt17integral_constantIbLb0EES10_IbLb1EEEEDaSW_SX_EUlSW_E_NS1_11comp_targetILNS1_3genE0ELNS1_11target_archE4294967295ELNS1_3gpuE0ELNS1_3repE0EEENS1_30default_config_static_selectorELNS0_4arch9wavefront6targetE0EEEvT1_,comdat
	.protected	_ZN7rocprim17ROCPRIM_400000_NS6detail17trampoline_kernelINS0_14default_configENS1_33run_length_encode_config_selectorIN3c104HalfEjNS0_4plusIjEEEEZZNS1_33reduce_by_key_impl_wrapped_configILNS1_25lookback_scan_determinismE0ES3_S9_PKS6_NS0_17constant_iteratorIjlEEPS6_PlSH_S8_NS0_8equal_toIS6_EEEE10hipError_tPvRmT2_T3_mT4_T5_T6_T7_T8_P12ihipStream_tbENKUlT_T0_E_clISt17integral_constantIbLb0EES10_IbLb1EEEEDaSW_SX_EUlSW_E_NS1_11comp_targetILNS1_3genE0ELNS1_11target_archE4294967295ELNS1_3gpuE0ELNS1_3repE0EEENS1_30default_config_static_selectorELNS0_4arch9wavefront6targetE0EEEvT1_ ; -- Begin function _ZN7rocprim17ROCPRIM_400000_NS6detail17trampoline_kernelINS0_14default_configENS1_33run_length_encode_config_selectorIN3c104HalfEjNS0_4plusIjEEEEZZNS1_33reduce_by_key_impl_wrapped_configILNS1_25lookback_scan_determinismE0ES3_S9_PKS6_NS0_17constant_iteratorIjlEEPS6_PlSH_S8_NS0_8equal_toIS6_EEEE10hipError_tPvRmT2_T3_mT4_T5_T6_T7_T8_P12ihipStream_tbENKUlT_T0_E_clISt17integral_constantIbLb0EES10_IbLb1EEEEDaSW_SX_EUlSW_E_NS1_11comp_targetILNS1_3genE0ELNS1_11target_archE4294967295ELNS1_3gpuE0ELNS1_3repE0EEENS1_30default_config_static_selectorELNS0_4arch9wavefront6targetE0EEEvT1_
	.globl	_ZN7rocprim17ROCPRIM_400000_NS6detail17trampoline_kernelINS0_14default_configENS1_33run_length_encode_config_selectorIN3c104HalfEjNS0_4plusIjEEEEZZNS1_33reduce_by_key_impl_wrapped_configILNS1_25lookback_scan_determinismE0ES3_S9_PKS6_NS0_17constant_iteratorIjlEEPS6_PlSH_S8_NS0_8equal_toIS6_EEEE10hipError_tPvRmT2_T3_mT4_T5_T6_T7_T8_P12ihipStream_tbENKUlT_T0_E_clISt17integral_constantIbLb0EES10_IbLb1EEEEDaSW_SX_EUlSW_E_NS1_11comp_targetILNS1_3genE0ELNS1_11target_archE4294967295ELNS1_3gpuE0ELNS1_3repE0EEENS1_30default_config_static_selectorELNS0_4arch9wavefront6targetE0EEEvT1_
	.p2align	8
	.type	_ZN7rocprim17ROCPRIM_400000_NS6detail17trampoline_kernelINS0_14default_configENS1_33run_length_encode_config_selectorIN3c104HalfEjNS0_4plusIjEEEEZZNS1_33reduce_by_key_impl_wrapped_configILNS1_25lookback_scan_determinismE0ES3_S9_PKS6_NS0_17constant_iteratorIjlEEPS6_PlSH_S8_NS0_8equal_toIS6_EEEE10hipError_tPvRmT2_T3_mT4_T5_T6_T7_T8_P12ihipStream_tbENKUlT_T0_E_clISt17integral_constantIbLb0EES10_IbLb1EEEEDaSW_SX_EUlSW_E_NS1_11comp_targetILNS1_3genE0ELNS1_11target_archE4294967295ELNS1_3gpuE0ELNS1_3repE0EEENS1_30default_config_static_selectorELNS0_4arch9wavefront6targetE0EEEvT1_,@function
_ZN7rocprim17ROCPRIM_400000_NS6detail17trampoline_kernelINS0_14default_configENS1_33run_length_encode_config_selectorIN3c104HalfEjNS0_4plusIjEEEEZZNS1_33reduce_by_key_impl_wrapped_configILNS1_25lookback_scan_determinismE0ES3_S9_PKS6_NS0_17constant_iteratorIjlEEPS6_PlSH_S8_NS0_8equal_toIS6_EEEE10hipError_tPvRmT2_T3_mT4_T5_T6_T7_T8_P12ihipStream_tbENKUlT_T0_E_clISt17integral_constantIbLb0EES10_IbLb1EEEEDaSW_SX_EUlSW_E_NS1_11comp_targetILNS1_3genE0ELNS1_11target_archE4294967295ELNS1_3gpuE0ELNS1_3repE0EEENS1_30default_config_static_selectorELNS0_4arch9wavefront6targetE0EEEvT1_: ; @_ZN7rocprim17ROCPRIM_400000_NS6detail17trampoline_kernelINS0_14default_configENS1_33run_length_encode_config_selectorIN3c104HalfEjNS0_4plusIjEEEEZZNS1_33reduce_by_key_impl_wrapped_configILNS1_25lookback_scan_determinismE0ES3_S9_PKS6_NS0_17constant_iteratorIjlEEPS6_PlSH_S8_NS0_8equal_toIS6_EEEE10hipError_tPvRmT2_T3_mT4_T5_T6_T7_T8_P12ihipStream_tbENKUlT_T0_E_clISt17integral_constantIbLb0EES10_IbLb1EEEEDaSW_SX_EUlSW_E_NS1_11comp_targetILNS1_3genE0ELNS1_11target_archE4294967295ELNS1_3gpuE0ELNS1_3repE0EEENS1_30default_config_static_selectorELNS0_4arch9wavefront6targetE0EEEvT1_
; %bb.0:
	s_clause 0x5
	s_load_b32 s18, s[0:1], 0x10
	s_load_b128 s[28:31], s[0:1], 0x20
	s_load_b64 s[34:35], s[0:1], 0x30
	s_load_b64 s[40:41], s[0:1], 0x70
	s_load_b128 s[36:39], s[0:1], 0x60
	s_load_b256 s[20:27], s[0:1], 0x40
	v_cmp_ne_u32_e64 s3, 0, v0
	v_cmp_eq_u32_e64 s2, 0, v0
	s_and_saveexec_b32 s4, s2
	s_cbranch_execz .LBB952_4
; %bb.1:
	s_mov_b32 s6, exec_lo
	s_mov_b32 s5, exec_lo
	v_mbcnt_lo_u32_b32 v1, s6, 0
                                        ; implicit-def: $vgpr2
	s_delay_alu instid0(VALU_DEP_1)
	v_cmpx_eq_u32_e32 0, v1
	s_cbranch_execz .LBB952_3
; %bb.2:
	s_load_b64 s[8:9], s[0:1], 0x78
	s_bcnt1_i32_b32 s6, s6
	s_delay_alu instid0(SALU_CYCLE_1)
	v_dual_mov_b32 v2, 0 :: v_dual_mov_b32 v3, s6
	s_wait_xcnt 0x0
	s_wait_kmcnt 0x0
	global_atomic_add_u32 v2, v2, v3, s[8:9] th:TH_ATOMIC_RETURN scope:SCOPE_DEV
.LBB952_3:
	s_wait_xcnt 0x0
	s_or_b32 exec_lo, exec_lo, s5
	s_wait_loadcnt 0x0
	v_readfirstlane_b32 s5, v2
	s_delay_alu instid0(VALU_DEP_1)
	v_dual_mov_b32 v2, 0 :: v_dual_add_nc_u32 v1, s5, v1
	ds_store_b32 v2, v1
.LBB952_4:
	s_or_b32 exec_lo, exec_lo, s4
	v_mov_b32_e32 v3, 0
	s_wait_dscnt 0x0
	s_barrier_signal -1
	s_barrier_wait -1
	ds_load_b32 v1, v3
	s_load_b128 s[4:7], s[0:1], 0x0
	s_wait_kmcnt 0x0
	s_mul_u64 s[0:1], s[24:25], s[22:23]
	s_mov_b32 s25, 0
	s_wait_dscnt 0x0
	s_barrier_signal -1
	s_barrier_wait -1
	v_mul_lo_u32 v2, 0xf00, v1
	v_readfirstlane_b32 s24, v1
	s_lshl_b64 s[6:7], s[6:7], 1
	s_delay_alu instid0(SALU_CYCLE_1) | instskip(SKIP_2) | instid1(SALU_CYCLE_1)
	s_add_nc_u64 s[4:5], s[4:5], s[6:7]
	s_add_nc_u64 s[16:17], s[0:1], s[24:25]
	s_add_nc_u64 s[0:1], s[26:27], -1
	s_cmp_eq_u64 s[16:17], s[0:1]
	s_cselect_b32 s19, -1, 0
	v_lshlrev_b64_e32 v[2:3], 1, v[2:3]
	s_cmp_lg_u64 s[16:17], s[0:1]
	s_mulk_i32 s0, 0xf100
	s_cselect_b32 s26, -1, 0
	s_and_b32 vcc_lo, exec_lo, s19
	s_delay_alu instid0(VALU_DEP_1)
	v_add_nc_u64_e32 v[6:7], s[4:5], v[2:3]
	s_cbranch_vccnz .LBB952_6
; %bb.5:
	s_delay_alu instid0(VALU_DEP_1) | instskip(NEXT) | instid1(VALU_DEP_2)
	v_readfirstlane_b32 s4, v6
	v_readfirstlane_b32 s5, v7
	v_lshlrev_b32_e32 v18, 1, v0
	s_clause 0xe
	global_load_u16 v1, v0, s[4:5] scale_offset
	global_load_u16 v2, v0, s[4:5] offset:512 scale_offset
	global_load_u16 v3, v0, s[4:5] offset:1024 scale_offset
	;; [unrolled: 1-line block ×14, first 2 shown]
	s_wait_loadcnt 0xe
	ds_store_b16 v18, v1
	s_wait_loadcnt 0xd
	ds_store_b16 v18, v2 offset:512
	s_wait_loadcnt 0xc
	ds_store_b16 v18, v3 offset:1024
	;; [unrolled: 2-line block ×14, first 2 shown]
	v_mov_b32_e32 v9, s18
	v_mad_u32_u24 v19, v0, 28, v18
	s_wait_dscnt 0x0
	s_barrier_signal -1
	s_barrier_wait -1
	ds_load_u16 v78, v19
	ds_load_b128 v[2:5], v19 offset:2
	ds_load_b96 v[14:16], v19 offset:18
	v_mul_u32_u24_e32 v1, 15, v0
	v_mad_i32_i24 v8, 0xffffffe6, v0, v19
	s_wait_dscnt 0x0
	s_barrier_signal -1
	s_barrier_wait -1
	ds_store_2addr_stride64_b32 v8, v9, v9 offset1:4
	ds_store_2addr_stride64_b32 v8, v9, v9 offset0:8 offset1:12
	ds_store_2addr_stride64_b32 v8, v9, v9 offset0:16 offset1:20
	;; [unrolled: 1-line block ×6, first 2 shown]
	ds_store_b32 v8, v9 offset:14336
	s_wait_dscnt 0x0
	s_barrier_signal -1
	s_barrier_wait -1
	s_and_not1_b32 vcc_lo, exec_lo, s25
	s_add_co_i32 s25, s0, s36
	s_cbranch_vccz .LBB952_7
	s_branch .LBB952_38
.LBB952_6:
                                        ; implicit-def: $vgpr2
                                        ; implicit-def: $vgpr14
                                        ; implicit-def: $vgpr78
                                        ; implicit-def: $vgpr1
	s_add_co_i32 s25, s0, s36
.LBB952_7:
	s_delay_alu instid0(SALU_CYCLE_1)
	v_cmp_gt_u32_e32 vcc_lo, s25, v0
                                        ; implicit-def: $vgpr1
	s_and_saveexec_b32 s0, vcc_lo
	s_cbranch_execz .LBB952_9
; %bb.8:
	s_delay_alu instid0(VALU_DEP_2)
	v_readfirstlane_b32 s4, v6
	v_readfirstlane_b32 s5, v7
	global_load_u16 v1, v0, s[4:5] scale_offset
.LBB952_9:
	s_wait_xcnt 0x0
	s_or_b32 exec_lo, exec_lo, s0
	v_or_b32_e32 v2, 0x100, v0
	s_delay_alu instid0(VALU_DEP_1)
	v_cmp_gt_u32_e64 s0, s25, v2
                                        ; implicit-def: $vgpr2
	s_and_saveexec_b32 s1, s0
	s_cbranch_execz .LBB952_11
; %bb.10:
	v_readfirstlane_b32 s4, v6
	v_readfirstlane_b32 s5, v7
	global_load_u16 v2, v0, s[4:5] offset:512 scale_offset
.LBB952_11:
	s_wait_xcnt 0x0
	s_or_b32 exec_lo, exec_lo, s1
	v_or_b32_e32 v3, 0x200, v0
	s_delay_alu instid0(VALU_DEP_1)
	v_cmp_gt_u32_e64 s1, s25, v3
                                        ; implicit-def: $vgpr3
	s_and_saveexec_b32 s4, s1
	s_cbranch_execz .LBB952_13
; %bb.12:
	v_readfirstlane_b32 s6, v6
	v_readfirstlane_b32 s7, v7
	global_load_u16 v3, v0, s[6:7] offset:1024 scale_offset
.LBB952_13:
	s_wait_xcnt 0x0
	s_or_b32 exec_lo, exec_lo, s4
	v_or_b32_e32 v4, 0x300, v0
	s_delay_alu instid0(VALU_DEP_1)
	v_cmp_gt_u32_e64 s4, s25, v4
                                        ; implicit-def: $vgpr4
	s_and_saveexec_b32 s5, s4
	s_cbranch_execz .LBB952_15
; %bb.14:
	v_readfirstlane_b32 s6, v6
	v_readfirstlane_b32 s7, v7
	global_load_u16 v4, v0, s[6:7] offset:1536 scale_offset
.LBB952_15:
	s_wait_xcnt 0x0
	s_or_b32 exec_lo, exec_lo, s5
	v_or_b32_e32 v5, 0x400, v0
	s_delay_alu instid0(VALU_DEP_1)
	v_cmp_gt_u32_e64 s5, s25, v5
                                        ; implicit-def: $vgpr5
	s_and_saveexec_b32 s6, s5
	s_cbranch_execz .LBB952_17
; %bb.16:
	v_readfirstlane_b32 s8, v6
	v_readfirstlane_b32 s9, v7
	global_load_u16 v5, v0, s[8:9] offset:2048 scale_offset
.LBB952_17:
	s_wait_xcnt 0x0
	s_or_b32 exec_lo, exec_lo, s6
	v_or_b32_e32 v8, 0x500, v0
	s_delay_alu instid0(VALU_DEP_1)
	v_cmp_gt_u32_e64 s6, s25, v8
                                        ; implicit-def: $vgpr8
	s_and_saveexec_b32 s7, s6
	s_cbranch_execz .LBB952_19
; %bb.18:
	v_readfirstlane_b32 s8, v6
	v_readfirstlane_b32 s9, v7
	global_load_u16 v8, v0, s[8:9] offset:2560 scale_offset
.LBB952_19:
	s_wait_xcnt 0x0
	s_or_b32 exec_lo, exec_lo, s7
	v_or_b32_e32 v9, 0x600, v0
	s_delay_alu instid0(VALU_DEP_1)
	v_cmp_gt_u32_e64 s7, s25, v9
                                        ; implicit-def: $vgpr9
	s_and_saveexec_b32 s8, s7
	s_cbranch_execz .LBB952_21
; %bb.20:
	v_readfirstlane_b32 s10, v6
	v_readfirstlane_b32 s11, v7
	global_load_u16 v9, v0, s[10:11] offset:3072 scale_offset
.LBB952_21:
	s_wait_xcnt 0x0
	s_or_b32 exec_lo, exec_lo, s8
	v_or_b32_e32 v10, 0x700, v0
	s_delay_alu instid0(VALU_DEP_1)
	v_cmp_gt_u32_e64 s8, s25, v10
                                        ; implicit-def: $vgpr10
	s_and_saveexec_b32 s9, s8
	s_cbranch_execz .LBB952_23
; %bb.22:
	v_readfirstlane_b32 s10, v6
	v_readfirstlane_b32 s11, v7
	global_load_u16 v10, v0, s[10:11] offset:3584 scale_offset
.LBB952_23:
	s_wait_xcnt 0x0
	s_or_b32 exec_lo, exec_lo, s9
	v_or_b32_e32 v11, 0x800, v0
	s_delay_alu instid0(VALU_DEP_1)
	v_cmp_gt_u32_e64 s9, s25, v11
                                        ; implicit-def: $vgpr11
	s_and_saveexec_b32 s10, s9
	s_cbranch_execz .LBB952_25
; %bb.24:
	v_readfirstlane_b32 s12, v6
	v_readfirstlane_b32 s13, v7
	global_load_u16 v11, v0, s[12:13] offset:4096 scale_offset
.LBB952_25:
	s_wait_xcnt 0x0
	s_or_b32 exec_lo, exec_lo, s10
	v_or_b32_e32 v12, 0x900, v0
	s_delay_alu instid0(VALU_DEP_1)
	v_cmp_gt_u32_e64 s10, s25, v12
                                        ; implicit-def: $vgpr12
	s_and_saveexec_b32 s11, s10
	s_cbranch_execz .LBB952_27
; %bb.26:
	v_readfirstlane_b32 s12, v6
	v_readfirstlane_b32 s13, v7
	global_load_u16 v12, v0, s[12:13] offset:4608 scale_offset
.LBB952_27:
	s_wait_xcnt 0x0
	s_or_b32 exec_lo, exec_lo, s11
	v_or_b32_e32 v13, 0xa00, v0
	s_delay_alu instid0(VALU_DEP_1)
	v_cmp_gt_u32_e64 s11, s25, v13
                                        ; implicit-def: $vgpr13
	s_and_saveexec_b32 s12, s11
	s_cbranch_execz .LBB952_29
; %bb.28:
	v_readfirstlane_b32 s14, v6
	v_readfirstlane_b32 s15, v7
	global_load_u16 v13, v0, s[14:15] offset:5120 scale_offset
.LBB952_29:
	s_wait_xcnt 0x0
	s_or_b32 exec_lo, exec_lo, s12
	v_or_b32_e32 v14, 0xb00, v0
	s_delay_alu instid0(VALU_DEP_1)
	v_cmp_gt_u32_e64 s12, s25, v14
                                        ; implicit-def: $vgpr14
	s_and_saveexec_b32 s13, s12
	s_cbranch_execz .LBB952_31
; %bb.30:
	v_readfirstlane_b32 s14, v6
	v_readfirstlane_b32 s15, v7
	global_load_u16 v14, v0, s[14:15] offset:5632 scale_offset
.LBB952_31:
	s_wait_xcnt 0x0
	s_or_b32 exec_lo, exec_lo, s13
	v_or_b32_e32 v15, 0xc00, v0
	s_delay_alu instid0(VALU_DEP_1)
	v_cmp_gt_u32_e64 s13, s25, v15
                                        ; implicit-def: $vgpr15
	s_and_saveexec_b32 s14, s13
	s_cbranch_execz .LBB952_33
; %bb.32:
	v_readfirstlane_b32 s42, v6
	v_readfirstlane_b32 s43, v7
	global_load_u16 v15, v0, s[42:43] offset:6144 scale_offset
.LBB952_33:
	s_wait_xcnt 0x0
	s_or_b32 exec_lo, exec_lo, s14
	v_or_b32_e32 v16, 0xd00, v0
	s_delay_alu instid0(VALU_DEP_1)
	v_cmp_gt_u32_e64 s14, s25, v16
                                        ; implicit-def: $vgpr16
	s_and_saveexec_b32 s15, s14
	s_cbranch_execz .LBB952_35
; %bb.34:
	v_readfirstlane_b32 s42, v6
	v_readfirstlane_b32 s43, v7
	global_load_u16 v16, v0, s[42:43] offset:6656 scale_offset
.LBB952_35:
	s_wait_xcnt 0x0
	s_or_b32 exec_lo, exec_lo, s15
	v_or_b32_e32 v17, 0xe00, v0
	s_delay_alu instid0(VALU_DEP_1)
	v_cmp_gt_u32_e64 s15, s25, v17
                                        ; implicit-def: $vgpr17
	s_and_saveexec_b32 s27, s15
	s_cbranch_execz .LBB952_37
; %bb.36:
	v_readfirstlane_b32 s42, v6
	v_readfirstlane_b32 s43, v7
	global_load_u16 v17, v0, s[42:43] offset:7168 scale_offset
.LBB952_37:
	s_wait_xcnt 0x0
	s_or_b32 exec_lo, exec_lo, s27
	v_lshlrev_b32_e32 v18, 1, v0
	v_cndmask_b32_e64 v19, 0, s18, s8
	v_cndmask_b32_e64 v20, 0, s18, s9
	;; [unrolled: 1-line block ×4, first 2 shown]
	s_wait_loadcnt 0x0
	ds_store_b16 v18, v1
	ds_store_b16 v18, v2 offset:512
	ds_store_b16 v18, v3 offset:1024
	;; [unrolled: 1-line block ×14, first 2 shown]
	v_mad_u32_u24 v8, v0, 28, v18
	s_wait_dscnt 0x0
	s_barrier_signal -1
	s_barrier_wait -1
	ds_load_u16 v78, v8
	ds_load_b128 v[2:5], v8 offset:2
	ds_load_b96 v[14:16], v8 offset:18
	v_mul_u32_u24_e32 v1, 15, v0
	v_cndmask_b32_e64 v9, 0, s18, vcc_lo
	v_cndmask_b32_e64 v10, 0, s18, s0
	v_mad_i32_i24 v8, 0xffffffe6, v0, v8
	v_cndmask_b32_e64 v11, 0, s18, s1
	v_cndmask_b32_e64 v12, 0, s18, s4
	;; [unrolled: 1-line block ×5, first 2 shown]
	s_wait_dscnt 0x0
	s_barrier_signal -1
	s_barrier_wait -1
	v_cndmask_b32_e64 v23, 0, s18, s12
	v_cndmask_b32_e64 v24, 0, s18, s13
	;; [unrolled: 1-line block ×4, first 2 shown]
	ds_store_2addr_stride64_b32 v8, v9, v10 offset1:4
	ds_store_2addr_stride64_b32 v8, v11, v12 offset0:8 offset1:12
	ds_store_2addr_stride64_b32 v8, v13, v17 offset0:16 offset1:20
	;; [unrolled: 1-line block ×6, first 2 shown]
	ds_store_b32 v8, v26 offset:14336
	s_wait_dscnt 0x0
	s_barrier_signal -1
	s_barrier_wait -1
.LBB952_38:
	v_dual_lshlrev_b32 v1, 2, v1 :: v_dual_lshrrev_b32 v83, 16, v2
	s_cmp_eq_u64 s[16:17], 0
	v_dual_lshrrev_b32 v82, 16, v3 :: v_dual_lshrrev_b32 v81, 16, v4
	ds_load_2addr_b32 v[62:63], v1 offset1:1
	ds_load_2addr_b32 v[60:61], v1 offset0:2 offset1:3
	ds_load_2addr_b32 v[58:59], v1 offset0:4 offset1:5
	;; [unrolled: 1-line block ×6, first 2 shown]
	ds_load_b32 v85, v1 offset:56
	v_dual_lshrrev_b32 v80, 16, v5 :: v_dual_lshrrev_b32 v79, 16, v14
	v_dual_lshrrev_b32 v77, 16, v15 :: v_dual_lshrrev_b32 v1, 16, v16
	s_cselect_b32 s33, -1, 0
	s_cmp_lg_u64 s[16:17], 0
	s_wait_dscnt 0x0
	s_cselect_b32 s27, -1, 0
	s_and_b32 vcc_lo, exec_lo, s26
	s_barrier_signal -1
	s_barrier_wait -1
	s_cbranch_vccz .LBB952_43
; %bb.39:
	s_and_b32 vcc_lo, exec_lo, s27
	s_cbranch_vccz .LBB952_44
; %bb.40:
	global_load_u16 v8, v[6:7], off offset:-2
	v_lshlrev_b32_e32 v9, 1, v0
	v_cmp_neq_f16_e64 s0, v77, v16
	v_cmp_neq_f16_e64 s1, v15, v77
	;; [unrolled: 1-line block ×13, first 2 shown]
	ds_store_b16 v9, v1
	v_cmp_neq_f16_e32 vcc_lo, v16, v1
	s_wait_loadcnt_dscnt 0x0
	s_barrier_signal -1
	s_barrier_wait -1
	s_and_saveexec_b32 s15, s3
; %bb.41:
	v_add_nc_u32_e32 v8, -2, v9
	ds_load_u16 v8, v8
; %bb.42:
	s_or_b32 exec_lo, exec_lo, s15
	v_cndmask_b32_e64 v67, 0, 1, vcc_lo
	v_cndmask_b32_e64 v69, 0, 1, s0
	v_cndmask_b32_e64 v70, 0, 1, s1
	;; [unrolled: 1-line block ×13, first 2 shown]
	s_wait_dscnt 0x0
	v_cmp_neq_f16_e64 s15, v78, v8
	s_mov_b32 s18, -1
	s_branch .LBB952_48
.LBB952_43:
	s_mov_b32 s18, 0
                                        ; implicit-def: $sgpr15
                                        ; implicit-def: $vgpr67
                                        ; implicit-def: $vgpr69
                                        ; implicit-def: $vgpr70
                                        ; implicit-def: $vgpr64
                                        ; implicit-def: $vgpr17
                                        ; implicit-def: $vgpr65
                                        ; implicit-def: $vgpr66
                                        ; implicit-def: $vgpr68
                                        ; implicit-def: $vgpr73
                                        ; implicit-def: $vgpr71
                                        ; implicit-def: $vgpr72
                                        ; implicit-def: $vgpr74
                                        ; implicit-def: $vgpr75
                                        ; implicit-def: $vgpr76
	s_cbranch_execnz .LBB952_49
	s_branch .LBB952_57
.LBB952_44:
	s_mov_b32 s18, 0
                                        ; implicit-def: $sgpr15
                                        ; implicit-def: $vgpr67
                                        ; implicit-def: $vgpr69
                                        ; implicit-def: $vgpr70
                                        ; implicit-def: $vgpr64
                                        ; implicit-def: $vgpr17
                                        ; implicit-def: $vgpr65
                                        ; implicit-def: $vgpr66
                                        ; implicit-def: $vgpr68
                                        ; implicit-def: $vgpr73
                                        ; implicit-def: $vgpr71
                                        ; implicit-def: $vgpr72
                                        ; implicit-def: $vgpr74
                                        ; implicit-def: $vgpr75
                                        ; implicit-def: $vgpr76
	s_cbranch_execz .LBB952_48
; %bb.45:
	v_lshlrev_b32_e32 v8, 1, v0
	v_cmp_neq_f16_e64 s0, v77, v16
	v_cmp_neq_f16_e64 s1, v15, v77
	;; [unrolled: 1-line block ×13, first 2 shown]
	v_cmp_neq_f16_e32 vcc_lo, v16, v1
	ds_store_b16 v8, v1
	s_wait_dscnt 0x0
	s_barrier_signal -1
	s_barrier_wait -1
                                        ; implicit-def: $sgpr15
	s_and_saveexec_b32 s26, s3
	s_delay_alu instid0(SALU_CYCLE_1)
	s_xor_b32 s26, exec_lo, s26
	s_cbranch_execz .LBB952_47
; %bb.46:
	v_add_nc_u32_e32 v8, -2, v8
	s_or_b32 s18, s18, exec_lo
	ds_load_u16 v8, v8
	s_wait_dscnt 0x0
	v_cmp_neq_f16_e64 s15, v8, v78
.LBB952_47:
	s_or_b32 exec_lo, exec_lo, s26
	v_cndmask_b32_e64 v67, 0, 1, vcc_lo
	v_cndmask_b32_e64 v69, 0, 1, s0
	v_cndmask_b32_e64 v70, 0, 1, s1
	;; [unrolled: 1-line block ×13, first 2 shown]
.LBB952_48:
	s_branch .LBB952_57
.LBB952_49:
	s_mov_b64 s[0:1], 0xfffffffffffff100
	v_cmp_neq_f16_e64 s14, v16, v1
	s_mul_u64 s[16:17], s[16:17], s[0:1]
	v_cmp_neq_f16_e64 s15, v77, v16
	v_cmp_neq_f16_e64 s12, v15, v77
	;; [unrolled: 1-line block ×13, first 2 shown]
	v_mad_u32_u24 v8, v0, 15, 14
	v_mad_u32_u24 v42, v0, 15, 13
	;; [unrolled: 1-line block ×14, first 2 shown]
	s_and_b32 vcc_lo, exec_lo, s27
	s_add_nc_u64 s[26:27], s[16:17], s[36:37]
	s_cbranch_vccz .LBB952_53
; %bb.50:
	global_load_u16 v44, v[6:7], off offset:-2
	s_wait_xcnt 0x0
	v_dual_lshlrev_b32 v7, 1, v0 :: v_dual_mov_b32 v9, 0
	v_mul_u32_u24_e32 v6, 15, v0
	ds_store_b16 v7, v1
	v_dual_mov_b32 v43, v9 :: v_dual_mov_b32 v41, v9
	v_cmp_gt_u64_e32 vcc_lo, s[26:27], v[8:9]
	v_dual_mov_b32 v39, v9 :: v_dual_mov_b32 v37, v9
	s_delay_alu instid0(VALU_DEP_3) | instskip(SKIP_2) | instid1(VALU_DEP_4)
	v_cmp_gt_u64_e64 s16, s[26:27], v[42:43]
	v_dual_mov_b32 v35, v9 :: v_dual_mov_b32 v33, v9
	v_cmp_gt_u64_e64 s17, s[26:27], v[40:41]
	v_cmp_gt_u64_e64 s18, s[26:27], v[38:39]
	s_and_b32 s36, vcc_lo, s14
	v_cmp_gt_u64_e32 vcc_lo, s[26:27], v[36:37]
	s_and_b32 s37, s16, s15
	v_cmp_gt_u64_e64 s14, s[26:27], v[34:35]
	v_cmp_gt_u64_e64 s15, s[26:27], v[32:33]
	v_dual_mov_b32 v31, v9 :: v_dual_mov_b32 v29, v9
	v_dual_mov_b32 v25, v9 :: v_dual_mov_b32 v23, v9
	;; [unrolled: 1-line block ×3, first 2 shown]
	v_mov_b32_e32 v11, v9
	s_and_b32 s17, s17, s12
	s_and_b32 s18, s18, s13
	s_and_b32 s42, vcc_lo, s9
	s_and_b32 s16, s14, s10
	s_and_b32 s15, s15, s11
	v_cmp_gt_u64_e32 vcc_lo, s[26:27], v[30:31]
	v_cmp_gt_u64_e64 s9, s[26:27], v[28:29]
	v_cmp_gt_u64_e64 s10, s[26:27], v[24:25]
	;; [unrolled: 1-line block ×6, first 2 shown]
	s_and_b32 s43, vcc_lo, s0
	s_and_b32 s9, s9, s1
	s_and_b32 s0, s10, s4
	;; [unrolled: 1-line block ×6, first 2 shown]
	s_wait_loadcnt_dscnt 0x0
	s_barrier_signal -1
	s_barrier_wait -1
	s_and_saveexec_b32 s7, s3
; %bb.51:
	v_add_nc_u32_e32 v7, -2, v7
	ds_load_u16 v44, v7
; %bb.52:
	s_or_b32 exec_lo, exec_lo, s7
	v_mov_b32_e32 v7, v9
	v_cndmask_b32_e64 v71, 0, 1, s0
	s_wait_dscnt 0x0
	v_cmp_neq_f16_e64 s0, v78, v44
	v_cndmask_b32_e64 v67, 0, 1, s36
	v_cndmask_b32_e64 v69, 0, 1, s37
	v_cmp_gt_u64_e32 vcc_lo, s[26:27], v[6:7]
	v_cndmask_b32_e64 v70, 0, 1, s17
	v_cndmask_b32_e64 v64, 0, 1, s18
	;; [unrolled: 1-line block ×11, first 2 shown]
	s_and_b32 s15, vcc_lo, s0
	s_mov_b32 s18, -1
	s_branch .LBB952_57
.LBB952_53:
                                        ; implicit-def: $sgpr15
                                        ; implicit-def: $vgpr67
                                        ; implicit-def: $vgpr69
                                        ; implicit-def: $vgpr70
                                        ; implicit-def: $vgpr64
                                        ; implicit-def: $vgpr17
                                        ; implicit-def: $vgpr65
                                        ; implicit-def: $vgpr66
                                        ; implicit-def: $vgpr68
                                        ; implicit-def: $vgpr73
                                        ; implicit-def: $vgpr71
                                        ; implicit-def: $vgpr72
                                        ; implicit-def: $vgpr74
                                        ; implicit-def: $vgpr75
                                        ; implicit-def: $vgpr76
	s_cbranch_execz .LBB952_57
; %bb.54:
	v_dual_mov_b32 v9, 0 :: v_dual_lshlrev_b32 v6, 1, v0
	v_cmp_neq_f16_e32 vcc_lo, v16, v1
	v_cmp_neq_f16_e64 s0, v77, v16
	v_cmp_neq_f16_e64 s7, v79, v15
	s_delay_alu instid0(VALU_DEP_4) | instskip(SKIP_3) | instid1(VALU_DEP_3)
	v_cmp_gt_u64_e64 s1, s[26:27], v[8:9]
	v_dual_mov_b32 v43, v9 :: v_dual_mov_b32 v41, v9
	v_dual_mov_b32 v39, v9 :: v_dual_mov_b32 v37, v9
	;; [unrolled: 1-line block ×3, first 2 shown]
	v_cmp_gt_u64_e64 s5, s[26:27], v[40:41]
	s_delay_alu instid0(VALU_DEP_4)
	v_cmp_gt_u64_e64 s4, s[26:27], v[42:43]
	s_and_b32 s11, s1, vcc_lo
	v_cmp_neq_f16_e32 vcc_lo, v15, v77
	v_cmp_gt_u64_e64 s1, s[26:27], v[38:39]
	v_cmp_gt_u64_e64 s6, s[26:27], v[36:37]
	v_dual_mov_b32 v31, v9 :: v_dual_mov_b32 v29, v9
	s_and_b32 s13, s5, vcc_lo
	v_cmp_gt_u64_e32 vcc_lo, s[26:27], v[34:35]
	v_cmp_neq_f16_e64 s8, v14, v79
	s_and_b32 s12, s4, s0
	v_cmp_neq_f16_e64 s0, v80, v14
	s_and_b32 s14, s1, s7
	v_cmp_gt_u64_e64 s1, s[26:27], v[32:33]
	v_cmp_gt_u64_e64 s5, s[26:27], v[30:31]
	;; [unrolled: 1-line block ×3, first 2 shown]
	s_and_b32 s16, s6, s8
	v_cmp_neq_f16_e64 s4, v5, v80
	v_cmp_neq_f16_e64 s6, v81, v5
	s_and_b32 s17, vcc_lo, s0
	v_cmp_neq_f16_e32 vcc_lo, v4, v81
	v_dual_mov_b32 v25, v9 :: v_dual_mov_b32 v23, v9
	v_dual_mov_b32 v19, v9 :: v_dual_mov_b32 v13, v9
	v_mov_b32_e32 v11, v9
	s_and_b32 s36, s1, s4
	s_and_b32 s37, s5, s6
	s_and_b32 s42, s7, vcc_lo
	v_cmp_gt_u64_e32 vcc_lo, s[26:27], v[24:25]
	v_cmp_gt_u64_e64 s1, s[26:27], v[22:23]
	v_cmp_gt_u64_e64 s5, s[26:27], v[18:19]
	;; [unrolled: 1-line block ×4, first 2 shown]
	v_cmp_neq_f16_e64 s0, v82, v4
	v_cmp_neq_f16_e64 s4, v3, v82
	;; [unrolled: 1-line block ×5, first 2 shown]
	s_and_b32 s43, vcc_lo, s0
	s_and_b32 s1, s1, s4
	s_and_b32 s4, s5, s6
	;; [unrolled: 1-line block ×4, first 2 shown]
	ds_store_b16 v6, v1
	s_wait_dscnt 0x0
	s_barrier_signal -1
	s_barrier_wait -1
                                        ; implicit-def: $sgpr15
	s_and_saveexec_b32 s7, s3
	s_cbranch_execz .LBB952_56
; %bb.55:
	v_add_nc_u32_e32 v6, -2, v6
	v_mul_u32_u24_e32 v8, 15, v0
	s_or_b32 s18, s18, exec_lo
	ds_load_u16 v6, v6
	v_cmp_gt_u64_e32 vcc_lo, s[26:27], v[8:9]
	s_wait_dscnt 0x0
	v_cmp_neq_f16_e64 s0, v6, v78
	s_and_b32 s15, vcc_lo, s0
.LBB952_56:
	s_or_b32 exec_lo, exec_lo, s7
	v_cndmask_b32_e64 v67, 0, 1, s11
	v_cndmask_b32_e64 v69, 0, 1, s12
	;; [unrolled: 1-line block ×14, first 2 shown]
.LBB952_57:
	v_mov_b32_e32 v84, 1
	s_and_saveexec_b32 s0, s18
; %bb.58:
	v_cndmask_b32_e64 v84, 0, 1, s15
; %bb.59:
	s_or_b32 exec_lo, exec_lo, s0
	s_delay_alu instid0(VALU_DEP_1)
	v_add3_u32 v6, v76, v84, v75
	v_cmp_eq_u32_e64 s13, 0, v76
	v_cmp_eq_u32_e64 s12, 0, v75
	;; [unrolled: 1-line block ×4, first 2 shown]
	v_add3_u32 v89, v6, v74, v72
	v_cmp_eq_u32_e64 s9, 0, v71
	v_cmp_eq_u32_e64 s8, 0, v73
	;; [unrolled: 1-line block ×9, first 2 shown]
	v_mbcnt_lo_u32_b32 v86, -1, 0
	v_dual_lshrrev_b32 v87, 5, v0 :: v_dual_bitop2_b32 v88, 31, v0 bitop3:0x54
	s_cmp_eq_u64 s[22:23], 0
	v_cmp_eq_u32_e32 vcc_lo, 0, v67
	s_cselect_b32 s17, -1, 0
	s_cmp_lg_u32 s24, 0
	s_cbranch_scc0 .LBB952_80
; %bb.60:
	v_add3_u32 v7, v89, v71, v73
	v_cndmask_b32_e64 v6, 0, v62, s13
	v_and_b32_e32 v9, 15, v86
	s_delay_alu instid0(VALU_DEP_3) | instskip(NEXT) | instid1(VALU_DEP_3)
	v_add3_u32 v7, v7, v68, v66
	v_add_nc_u32_e32 v6, v6, v63
	s_delay_alu instid0(VALU_DEP_2) | instskip(NEXT) | instid1(VALU_DEP_1)
	v_add3_u32 v7, v7, v65, v17
	v_add3_u32 v7, v7, v64, v70
	s_delay_alu instid0(VALU_DEP_1) | instskip(NEXT) | instid1(VALU_DEP_4)
	v_add3_u32 v7, v7, v69, v67
	v_cndmask_b32_e64 v6, 0, v6, s12
	s_delay_alu instid0(VALU_DEP_2) | instskip(NEXT) | instid1(VALU_DEP_2)
	v_mov_b32_dpp v10, v7 row_shr:1 row_mask:0xf bank_mask:0xf
	v_add_nc_u32_e32 v6, v6, v60
	s_delay_alu instid0(VALU_DEP_1) | instskip(NEXT) | instid1(VALU_DEP_1)
	v_cndmask_b32_e64 v6, 0, v6, s11
	v_add_nc_u32_e32 v6, v6, v61
	s_delay_alu instid0(VALU_DEP_1) | instskip(NEXT) | instid1(VALU_DEP_1)
	v_cndmask_b32_e64 v6, 0, v6, s10
	;; [unrolled: 3-line block ×11, first 2 shown]
	v_add_nc_u32_e32 v6, v6, v21
	s_delay_alu instid0(VALU_DEP_1) | instskip(SKIP_1) | instid1(VALU_DEP_2)
	v_cndmask_b32_e32 v6, 0, v6, vcc_lo
	v_cmp_eq_u32_e32 vcc_lo, 0, v7
	v_add_nc_u32_e32 v6, v6, v85
	s_delay_alu instid0(VALU_DEP_1) | instskip(NEXT) | instid1(VALU_DEP_1)
	v_mov_b32_dpp v8, v6 row_shr:1 row_mask:0xf bank_mask:0xf
	v_cndmask_b32_e32 v8, 0, v8, vcc_lo
	v_cmp_eq_u32_e32 vcc_lo, 0, v9
	v_cndmask_b32_e64 v10, v10, 0, vcc_lo
	s_delay_alu instid0(VALU_DEP_3) | instskip(SKIP_1) | instid1(VALU_DEP_2)
	v_cndmask_b32_e64 v8, v8, 0, vcc_lo
	v_cmp_lt_u32_e32 vcc_lo, 1, v9
	v_dual_add_nc_u32 v7, v10, v7 :: v_dual_add_nc_u32 v6, v8, v6
	s_delay_alu instid0(VALU_DEP_1) | instskip(SKIP_1) | instid1(VALU_DEP_3)
	v_mov_b32_dpp v8, v7 row_shr:2 row_mask:0xf bank_mask:0xf
	v_cmp_eq_u32_e64 s14, 0, v7
	v_mov_b32_dpp v10, v6 row_shr:2 row_mask:0xf bank_mask:0xf
	s_delay_alu instid0(VALU_DEP_3) | instskip(SKIP_1) | instid1(VALU_DEP_2)
	v_cndmask_b32_e32 v8, 0, v8, vcc_lo
	s_and_b32 vcc_lo, vcc_lo, s14
	v_cndmask_b32_e32 v10, 0, v10, vcc_lo
	v_cmp_lt_u32_e32 vcc_lo, 3, v9
	s_delay_alu instid0(VALU_DEP_2) | instskip(NEXT) | instid1(VALU_DEP_1)
	v_dual_add_nc_u32 v7, v7, v8 :: v_dual_add_nc_u32 v6, v10, v6
	v_mov_b32_dpp v8, v7 row_shr:4 row_mask:0xf bank_mask:0xf
	v_cmp_eq_u32_e64 s14, 0, v7
	s_delay_alu instid0(VALU_DEP_3) | instskip(NEXT) | instid1(VALU_DEP_3)
	v_mov_b32_dpp v10, v6 row_shr:4 row_mask:0xf bank_mask:0xf
	v_cndmask_b32_e32 v8, 0, v8, vcc_lo
	s_and_b32 vcc_lo, vcc_lo, s14
	s_delay_alu instid0(VALU_DEP_2) | instskip(SKIP_1) | instid1(VALU_DEP_2)
	v_cndmask_b32_e32 v10, 0, v10, vcc_lo
	v_cmp_lt_u32_e32 vcc_lo, 7, v9
	v_dual_add_nc_u32 v7, v8, v7 :: v_dual_add_nc_u32 v6, v6, v10
	v_bfe_i32 v10, v86, 4, 1
	s_delay_alu instid0(VALU_DEP_2) | instskip(SKIP_1) | instid1(VALU_DEP_4)
	v_mov_b32_dpp v8, v7 row_shr:8 row_mask:0xf bank_mask:0xf
	v_cmp_eq_u32_e64 s14, 0, v7
	v_mov_b32_dpp v9, v6 row_shr:8 row_mask:0xf bank_mask:0xf
	s_delay_alu instid0(VALU_DEP_3) | instskip(SKIP_2) | instid1(VALU_DEP_2)
	v_cndmask_b32_e32 v8, 0, v8, vcc_lo
	s_and_b32 vcc_lo, vcc_lo, s14
	s_mov_b32 s14, exec_lo
	v_cndmask_b32_e32 v9, 0, v9, vcc_lo
	s_delay_alu instid0(VALU_DEP_1)
	v_dual_add_nc_u32 v9, v9, v6 :: v_dual_add_nc_u32 v6, v8, v7
	ds_swizzle_b32 v7, v9 offset:swizzle(BROADCAST,32,15)
	ds_swizzle_b32 v8, v6 offset:swizzle(BROADCAST,32,15)
	v_cmp_eq_u32_e32 vcc_lo, 0, v6
	s_wait_dscnt 0x0
	v_dual_cndmask_b32 v7, 0, v7, vcc_lo :: v_dual_bitop2_b32 v8, v10, v8 bitop3:0x40
	s_delay_alu instid0(VALU_DEP_1) | instskip(NEXT) | instid1(VALU_DEP_1)
	v_dual_add_nc_u32 v6, v8, v6 :: v_dual_bitop2_b32 v7, v10, v7 bitop3:0x40
	v_dual_lshlrev_b32 v8, 3, v87 :: v_dual_add_nc_u32 v7, v7, v9
	v_cmpx_eq_u32_e64 v0, v88
; %bb.61:
	ds_store_b64 v8, v[6:7] offset:1040
; %bb.62:
	s_or_b32 exec_lo, exec_lo, s14
	s_delay_alu instid0(SALU_CYCLE_1)
	s_mov_b32 s15, exec_lo
	s_wait_dscnt 0x0
	s_barrier_signal -1
	s_barrier_wait -1
	v_cmpx_gt_u32_e32 8, v0
	s_cbranch_execz .LBB952_64
; %bb.63:
	v_dual_lshlrev_b32 v9, 3, v0 :: v_dual_bitop2_b32 v13, 7, v86 bitop3:0x40
	ds_load_b64 v[10:11], v9 offset:1040
	s_wait_dscnt 0x0
	v_mov_b32_dpp v12, v11 row_shr:1 row_mask:0xf bank_mask:0xf
	v_cmp_eq_u32_e32 vcc_lo, 0, v10
	v_mov_b32_dpp v18, v10 row_shr:1 row_mask:0xf bank_mask:0xf
	s_delay_alu instid0(VALU_DEP_3) | instskip(SKIP_1) | instid1(VALU_DEP_3)
	v_cndmask_b32_e32 v12, 0, v12, vcc_lo
	v_cmp_eq_u32_e32 vcc_lo, 0, v13
	v_cndmask_b32_e64 v18, v18, 0, vcc_lo
	s_delay_alu instid0(VALU_DEP_1) | instskip(NEXT) | instid1(VALU_DEP_4)
	v_add_nc_u32_e32 v10, v18, v10
	v_cndmask_b32_e64 v12, v12, 0, vcc_lo
	v_cmp_lt_u32_e32 vcc_lo, 1, v13
	s_delay_alu instid0(VALU_DEP_3) | instskip(NEXT) | instid1(VALU_DEP_3)
	v_cmp_eq_u32_e64 s14, 0, v10
	v_add_nc_u32_e32 v11, v12, v11
	v_mov_b32_dpp v12, v10 row_shr:2 row_mask:0xf bank_mask:0xf
	s_delay_alu instid0(VALU_DEP_1) | instskip(NEXT) | instid1(VALU_DEP_3)
	v_cndmask_b32_e32 v12, 0, v12, vcc_lo
	v_mov_b32_dpp v18, v11 row_shr:2 row_mask:0xf bank_mask:0xf
	s_and_b32 vcc_lo, vcc_lo, s14
	s_delay_alu instid0(VALU_DEP_2) | instskip(NEXT) | instid1(VALU_DEP_1)
	v_add_nc_u32_e32 v10, v12, v10
	v_mov_b32_dpp v12, v10 row_shr:4 row_mask:0xf bank_mask:0xf
	s_delay_alu instid0(VALU_DEP_3) | instskip(SKIP_1) | instid1(VALU_DEP_2)
	v_cndmask_b32_e32 v18, 0, v18, vcc_lo
	v_cmp_lt_u32_e32 vcc_lo, 3, v13
	v_dual_cndmask_b32 v12, 0, v12 :: v_dual_add_nc_u32 v11, v18, v11
	v_cmp_eq_u32_e64 s14, 0, v10
	s_delay_alu instid0(VALU_DEP_2) | instskip(NEXT) | instid1(VALU_DEP_3)
	v_add_nc_u32_e32 v10, v12, v10
	v_mov_b32_dpp v13, v11 row_shr:4 row_mask:0xf bank_mask:0xf
	s_and_b32 vcc_lo, vcc_lo, s14
	s_delay_alu instid0(VALU_DEP_1) | instskip(NEXT) | instid1(VALU_DEP_1)
	v_cndmask_b32_e32 v13, 0, v13, vcc_lo
	v_add_nc_u32_e32 v11, v13, v11
	ds_store_b64 v9, v[10:11] offset:1040
.LBB952_64:
	s_or_b32 exec_lo, exec_lo, s15
	v_dual_mov_b32 v18, 0 :: v_dual_mov_b32 v19, 0
	s_mov_b32 s15, exec_lo
	v_cmp_gt_u32_e32 vcc_lo, 32, v0
	s_wait_dscnt 0x0
	s_barrier_signal -1
	s_barrier_wait -1
	v_cmpx_lt_u32_e32 31, v0
	s_cbranch_execz .LBB952_66
; %bb.65:
	ds_load_b64 v[18:19], v8 offset:1032
	v_cmp_eq_u32_e64 s14, 0, v6
	s_wait_dscnt 0x0
	s_delay_alu instid0(VALU_DEP_1) | instskip(NEXT) | instid1(VALU_DEP_1)
	v_dual_cndmask_b32 v8, 0, v19, s14 :: v_dual_add_nc_u32 v6, v18, v6
	v_add_nc_u32_e32 v7, v8, v7
.LBB952_66:
	s_or_b32 exec_lo, exec_lo, s15
	v_sub_co_u32 v8, s14, v86, 1
	s_delay_alu instid0(VALU_DEP_1) | instskip(NEXT) | instid1(VALU_DEP_1)
	v_cmp_gt_i32_e64 s15, 0, v8
	v_cndmask_b32_e64 v8, v8, v86, s15
	s_delay_alu instid0(VALU_DEP_1)
	v_lshlrev_b32_e32 v8, 2, v8
	ds_bpermute_b32 v28, v8, v6
	ds_bpermute_b32 v29, v8, v7
	s_and_saveexec_b32 s18, vcc_lo
	s_cbranch_execz .LBB952_85
; %bb.67:
	v_mov_b32_e32 v9, 0
	ds_load_b64 v[6:7], v9 offset:1096
	s_and_saveexec_b32 s15, s14
	s_cbranch_execz .LBB952_69
; %bb.68:
	s_add_co_i32 s22, s24, 32
	s_mov_b32 s23, 0
	v_mov_b32_e32 v8, 1
	s_lshl_b64 s[22:23], s[22:23], 4
	s_delay_alu instid0(SALU_CYCLE_1) | instskip(NEXT) | instid1(SALU_CYCLE_1)
	s_add_nc_u64 s[22:23], s[20:21], s[22:23]
	v_mov_b64_e32 v[10:11], s[22:23]
	s_wait_dscnt 0x0
	;;#ASMSTART
	global_store_b128 v[10:11], v[6:9] off scope:SCOPE_DEV	
s_wait_storecnt 0x0
	;;#ASMEND
.LBB952_69:
	s_or_b32 exec_lo, exec_lo, s15
	v_xad_u32 v22, v86, -1, s24
	s_mov_b32 s16, 0
	s_mov_b32 s15, exec_lo
	s_delay_alu instid0(VALU_DEP_1) | instskip(NEXT) | instid1(VALU_DEP_1)
	v_add_nc_u32_e32 v8, 32, v22
	v_lshl_add_u64 v[8:9], v[8:9], 4, s[20:21]
	;;#ASMSTART
	global_load_b128 v[10:13], v[8:9] off scope:SCOPE_DEV	
s_wait_loadcnt 0x0
	;;#ASMEND
	v_and_b32_e32 v13, 0xff, v12
	s_delay_alu instid0(VALU_DEP_1)
	v_cmpx_eq_u16_e32 0, v13
	s_cbranch_execz .LBB952_72
.LBB952_70:                             ; =>This Inner Loop Header: Depth=1
	;;#ASMSTART
	global_load_b128 v[10:13], v[8:9] off scope:SCOPE_DEV	
s_wait_loadcnt 0x0
	;;#ASMEND
	v_and_b32_e32 v13, 0xff, v12
	s_delay_alu instid0(VALU_DEP_1) | instskip(SKIP_1) | instid1(SALU_CYCLE_1)
	v_cmp_ne_u16_e32 vcc_lo, 0, v13
	s_or_b32 s16, vcc_lo, s16
	s_and_not1_b32 exec_lo, exec_lo, s16
	s_cbranch_execnz .LBB952_70
; %bb.71:
	s_or_b32 exec_lo, exec_lo, s16
.LBB952_72:
	s_delay_alu instid0(SALU_CYCLE_1)
	s_or_b32 exec_lo, exec_lo, s15
	v_cmp_ne_u32_e32 vcc_lo, 31, v86
	v_lshlrev_b32_e64 v31, v86, -1
	v_cmp_gt_u32_e64 s16, 30, v86
	v_dual_add_nc_u32 v37, 8, v86 :: v_dual_add_nc_u32 v39, 16, v86
	v_add_co_ci_u32_e64 v8, null, 0, v86, vcc_lo
	s_delay_alu instid0(VALU_DEP_3) | instskip(SKIP_1) | instid1(VALU_DEP_3)
	v_cndmask_b32_e64 v23, 0, 2, s16
	v_lshl_or_b32 v38, v86, 2, 64
	v_dual_add_nc_u32 v33, 2, v86 :: v_dual_lshlrev_b32 v30, 2, v8
	v_and_b32_e32 v8, 0xff, v12
	s_delay_alu instid0(VALU_DEP_4)
	v_add_lshl_u32 v32, v23, v86, 2
	v_add_nc_u32_e32 v35, 4, v86
	ds_bpermute_b32 v9, v30, v10
	v_cmp_eq_u16_e32 vcc_lo, 2, v8
	v_and_or_b32 v13, vcc_lo, v31, 0x80000000
	v_cmp_eq_u32_e32 vcc_lo, 0, v10
	s_delay_alu instid0(VALU_DEP_2) | instskip(NEXT) | instid1(VALU_DEP_1)
	v_ctz_i32_b32_e32 v13, v13
	v_cmp_lt_u32_e64 s15, v86, v13
	s_wait_dscnt 0x0
	s_delay_alu instid0(VALU_DEP_1) | instskip(SKIP_4) | instid1(VALU_DEP_1)
	v_cndmask_b32_e64 v9, 0, v9, s15
	ds_bpermute_b32 v8, v30, v11
	s_and_b32 vcc_lo, s15, vcc_lo
	s_wait_dscnt 0x0
	v_dual_cndmask_b32 v8, 0, v8 :: v_dual_add_nc_u32 v9, v9, v10
	v_cmp_eq_u32_e32 vcc_lo, 0, v9
	s_delay_alu instid0(VALU_DEP_2)
	v_add_nc_u32_e32 v8, v8, v11
	ds_bpermute_b32 v11, v32, v8
	s_wait_dscnt 0x0
	v_cndmask_b32_e32 v10, 0, v11, vcc_lo
	ds_bpermute_b32 v11, v32, v9
	v_cmp_gt_u32_e32 vcc_lo, 28, v86
	v_cndmask_b32_e64 v23, 0, 4, vcc_lo
	v_cmp_gt_u32_e32 vcc_lo, v33, v13
	s_delay_alu instid0(VALU_DEP_2) | instskip(SKIP_2) | instid1(VALU_DEP_1)
	v_add_lshl_u32 v34, v23, v86, 2
	s_wait_dscnt 0x0
	v_cndmask_b32_e64 v11, v11, 0, vcc_lo
	v_add_nc_u32_e32 v9, v9, v11
	v_cndmask_b32_e64 v10, v10, 0, vcc_lo
	ds_bpermute_b32 v11, v34, v9
	v_add_nc_u32_e32 v8, v10, v8
	v_cmp_eq_u32_e32 vcc_lo, 0, v9
	ds_bpermute_b32 v10, v34, v8
	s_wait_dscnt 0x0
	v_cndmask_b32_e32 v10, 0, v10, vcc_lo
	v_cmp_gt_u32_e32 vcc_lo, 24, v86
	v_cndmask_b32_e64 v23, 0, 8, vcc_lo
	v_cmp_gt_u32_e32 vcc_lo, v35, v13
	s_delay_alu instid0(VALU_DEP_2) | instskip(SKIP_1) | instid1(VALU_DEP_1)
	v_add_lshl_u32 v36, v23, v86, 2
	v_cndmask_b32_e64 v11, v11, 0, vcc_lo
	v_dual_mov_b32 v23, 0 :: v_dual_add_nc_u32 v9, v9, v11
	v_cndmask_b32_e64 v10, v10, 0, vcc_lo
	s_delay_alu instid0(VALU_DEP_2) | instskip(NEXT) | instid1(VALU_DEP_2)
	v_cmp_eq_u32_e32 vcc_lo, 0, v9
	v_add_nc_u32_e32 v8, v8, v10
	ds_bpermute_b32 v11, v36, v9
	ds_bpermute_b32 v10, v36, v8
	s_wait_dscnt 0x0
	v_cndmask_b32_e32 v10, 0, v10, vcc_lo
	v_cmp_gt_u32_e32 vcc_lo, v37, v13
	s_delay_alu instid0(VALU_DEP_2) | instskip(NEXT) | instid1(VALU_DEP_1)
	v_cndmask_b32_e64 v10, v10, 0, vcc_lo
	v_add_nc_u32_e32 v8, v8, v10
	v_cndmask_b32_e64 v10, v11, 0, vcc_lo
	s_delay_alu instid0(VALU_DEP_1)
	v_add_nc_u32_e32 v9, v9, v10
	ds_bpermute_b32 v11, v38, v8
	ds_bpermute_b32 v10, v38, v9
	v_cmp_eq_u32_e32 vcc_lo, 0, v9
	s_wait_dscnt 0x1
	v_cndmask_b32_e32 v11, 0, v11, vcc_lo
	v_cmp_gt_u32_e32 vcc_lo, v39, v13
	s_wait_dscnt 0x0
	v_cndmask_b32_e64 v10, v10, 0, vcc_lo
	s_delay_alu instid0(VALU_DEP_1) | instskip(SKIP_1) | instid1(VALU_DEP_1)
	v_add_nc_u32_e32 v10, v10, v9
	v_cndmask_b32_e64 v11, v11, 0, vcc_lo
	v_add_nc_u32_e32 v11, v11, v8
	s_branch .LBB952_76
.LBB952_73:                             ;   in Loop: Header=BB952_76 Depth=1
	s_or_b32 exec_lo, exec_lo, s16
.LBB952_74:                             ;   in Loop: Header=BB952_76 Depth=1
	s_delay_alu instid0(SALU_CYCLE_1)
	s_or_b32 exec_lo, exec_lo, s15
	v_and_b32_e32 v13, 0xff, v12
	ds_bpermute_b32 v24, v30, v10
	v_subrev_nc_u32_e32 v22, 32, v22
	v_cmp_eq_u16_e32 vcc_lo, 2, v13
	ds_bpermute_b32 v13, v30, v11
	v_and_or_b32 v25, vcc_lo, v31, 0x80000000
	v_cmp_eq_u32_e32 vcc_lo, 0, v10
	s_delay_alu instid0(VALU_DEP_2) | instskip(NEXT) | instid1(VALU_DEP_1)
	v_ctz_i32_b32_e32 v25, v25
	v_cmp_lt_u32_e64 s15, v86, v25
	s_and_b32 vcc_lo, s15, vcc_lo
	s_wait_dscnt 0x0
	v_dual_cndmask_b32 v24, 0, v24, s15 :: v_dual_cndmask_b32 v13, 0, v13, vcc_lo
	s_mov_b32 s15, 0
	s_delay_alu instid0(VALU_DEP_1)
	v_dual_add_nc_u32 v10, v24, v10 :: v_dual_add_nc_u32 v11, v13, v11
	ds_bpermute_b32 v24, v32, v10
	ds_bpermute_b32 v13, v32, v11
	v_cmp_eq_u32_e32 vcc_lo, 0, v10
	s_wait_dscnt 0x0
	v_cndmask_b32_e32 v13, 0, v13, vcc_lo
	v_cmp_gt_u32_e32 vcc_lo, v33, v25
	v_cndmask_b32_e64 v24, v24, 0, vcc_lo
	s_delay_alu instid0(VALU_DEP_1) | instskip(NEXT) | instid1(VALU_DEP_4)
	v_add_nc_u32_e32 v10, v10, v24
	v_cndmask_b32_e64 v13, v13, 0, vcc_lo
	s_delay_alu instid0(VALU_DEP_2) | instskip(NEXT) | instid1(VALU_DEP_2)
	v_cmp_eq_u32_e32 vcc_lo, 0, v10
	v_add_nc_u32_e32 v11, v13, v11
	ds_bpermute_b32 v24, v34, v10
	ds_bpermute_b32 v13, v34, v11
	s_wait_dscnt 0x0
	v_cndmask_b32_e32 v13, 0, v13, vcc_lo
	v_cmp_gt_u32_e32 vcc_lo, v35, v25
	s_delay_alu instid0(VALU_DEP_2) | instskip(SKIP_1) | instid1(VALU_DEP_1)
	v_cndmask_b32_e64 v13, v13, 0, vcc_lo
	v_cndmask_b32_e64 v24, v24, 0, vcc_lo
	v_dual_add_nc_u32 v11, v11, v13 :: v_dual_add_nc_u32 v10, v10, v24
	ds_bpermute_b32 v13, v36, v11
	ds_bpermute_b32 v24, v36, v10
	v_cmp_eq_u32_e32 vcc_lo, 0, v10
	s_wait_dscnt 0x1
	v_cndmask_b32_e32 v13, 0, v13, vcc_lo
	v_cmp_gt_u32_e32 vcc_lo, v37, v25
	s_wait_dscnt 0x0
	v_cndmask_b32_e64 v24, v24, 0, vcc_lo
	s_delay_alu instid0(VALU_DEP_1) | instskip(SKIP_1) | instid1(VALU_DEP_2)
	v_add_nc_u32_e32 v10, v10, v24
	v_cndmask_b32_e64 v13, v13, 0, vcc_lo
	v_cmp_eq_u32_e32 vcc_lo, 0, v10
	s_delay_alu instid0(VALU_DEP_2)
	v_add_nc_u32_e32 v11, v11, v13
	ds_bpermute_b32 v24, v38, v10
	ds_bpermute_b32 v13, v38, v11
	s_wait_dscnt 0x0
	v_cndmask_b32_e32 v13, 0, v13, vcc_lo
	v_cmp_gt_u32_e32 vcc_lo, v39, v25
	s_delay_alu instid0(VALU_DEP_2) | instskip(NEXT) | instid1(VALU_DEP_1)
	v_cndmask_b32_e64 v13, v13, 0, vcc_lo
	v_add_nc_u32_e32 v11, v13, v11
	v_cndmask_b32_e64 v13, v24, 0, vcc_lo
	v_cmp_eq_u32_e32 vcc_lo, 0, v8
	s_delay_alu instid0(VALU_DEP_2) | instskip(NEXT) | instid1(VALU_DEP_4)
	v_add3_u32 v10, v10, v8, v13
	v_cndmask_b32_e32 v11, 0, v11, vcc_lo
	s_delay_alu instid0(VALU_DEP_1)
	v_add_nc_u32_e32 v11, v11, v9
.LBB952_75:                             ;   in Loop: Header=BB952_76 Depth=1
	s_and_b32 vcc_lo, exec_lo, s15
	s_cbranch_vccnz .LBB952_81
.LBB952_76:                             ; =>This Loop Header: Depth=1
                                        ;     Child Loop BB952_79 Depth 2
	v_and_b32_e32 v8, 0xff, v12
	s_delay_alu instid0(VALU_DEP_2) | instskip(SKIP_1) | instid1(VALU_DEP_2)
	v_mov_b32_e32 v9, v11
	s_mov_b32 s15, -1
                                        ; implicit-def: $vgpr11
                                        ; implicit-def: $vgpr12
	v_cmp_ne_u16_e32 vcc_lo, 2, v8
	v_mov_b32_e32 v8, v10
                                        ; implicit-def: $vgpr10
	s_cmp_lg_u32 vcc_lo, exec_lo
	s_cbranch_scc1 .LBB952_75
; %bb.77:                               ;   in Loop: Header=BB952_76 Depth=1
	v_lshl_add_u64 v[24:25], v[22:23], 4, s[20:21]
	;;#ASMSTART
	global_load_b128 v[10:13], v[24:25] off scope:SCOPE_DEV	
s_wait_loadcnt 0x0
	;;#ASMEND
	v_and_b32_e32 v13, 0xff, v12
	s_mov_b32 s15, exec_lo
	s_delay_alu instid0(VALU_DEP_1)
	v_cmpx_eq_u16_e32 0, v13
	s_cbranch_execz .LBB952_74
; %bb.78:                               ;   in Loop: Header=BB952_76 Depth=1
	s_mov_b32 s16, 0
.LBB952_79:                             ;   Parent Loop BB952_76 Depth=1
                                        ; =>  This Inner Loop Header: Depth=2
	;;#ASMSTART
	global_load_b128 v[10:13], v[24:25] off scope:SCOPE_DEV	
s_wait_loadcnt 0x0
	;;#ASMEND
	v_and_b32_e32 v13, 0xff, v12
	s_delay_alu instid0(VALU_DEP_1) | instskip(SKIP_1) | instid1(SALU_CYCLE_1)
	v_cmp_ne_u16_e32 vcc_lo, 0, v13
	s_or_b32 s16, vcc_lo, s16
	s_and_not1_b32 exec_lo, exec_lo, s16
	s_cbranch_execnz .LBB952_79
	s_branch .LBB952_73
.LBB952_80:
                                        ; implicit-def: $vgpr6
                                        ; implicit-def: $vgpr18
                                        ; implicit-def: $vgpr22_vgpr23
                                        ; implicit-def: $vgpr30_vgpr31
                                        ; implicit-def: $vgpr36_vgpr37
                                        ; implicit-def: $vgpr32_vgpr33
                                        ; implicit-def: $vgpr52_vgpr53
                                        ; implicit-def: $vgpr56_vgpr57
                                        ; implicit-def: $vgpr54_vgpr55
                                        ; implicit-def: $vgpr50_vgpr51
                                        ; implicit-def: $vgpr42_vgpr43
                                        ; implicit-def: $vgpr38_vgpr39
                                        ; implicit-def: $vgpr34_vgpr35
                                        ; implicit-def: $vgpr40_vgpr41
                                        ; implicit-def: $vgpr44_vgpr45
                                        ; implicit-def: $vgpr24_vgpr25
                                        ; implicit-def: $vgpr28_vgpr29
	s_cbranch_execnz .LBB952_86
	s_branch .LBB952_97
.LBB952_81:
	s_and_saveexec_b32 s15, s14
	s_cbranch_execz .LBB952_83
; %bb.82:
	v_cmp_eq_u32_e32 vcc_lo, 0, v6
	s_mov_b32 s23, 0
	s_add_co_i32 s22, s24, 32
	v_mov_b32_e32 v13, 0
	s_lshl_b64 s[22:23], s[22:23], 4
	v_dual_cndmask_b32 v11, 0, v9 :: v_dual_add_nc_u32 v10, v8, v6
	s_add_nc_u64 s[22:23], s[20:21], s[22:23]
	v_mov_b32_e32 v12, 2
	v_mov_b64_e32 v[22:23], s[22:23]
	s_delay_alu instid0(VALU_DEP_3)
	v_add_nc_u32_e32 v11, v11, v7
	;;#ASMSTART
	global_store_b128 v[22:23], v[10:13] off scope:SCOPE_DEV	
s_wait_storecnt 0x0
	;;#ASMEND
	ds_store_b128 v13, v[6:9] offset:1024
.LBB952_83:
	s_or_b32 exec_lo, exec_lo, s15
	s_delay_alu instid0(SALU_CYCLE_1)
	s_and_b32 exec_lo, exec_lo, s2
; %bb.84:
	v_mov_b32_e32 v6, 0
	ds_store_b64 v6, v[8:9] offset:1096
.LBB952_85:
	s_or_b32 exec_lo, exec_lo, s18
	s_wait_dscnt 0x1
	v_dual_mov_b32 v8, 0 :: v_dual_cndmask_b32 v9, v28, v18, s14
	s_wait_dscnt 0x0
	s_barrier_signal -1
	s_barrier_wait -1
	ds_load_b64 v[6:7], v8 offset:1096
	v_cmp_eq_u32_e32 vcc_lo, 0, v9
	s_wait_dscnt 0x0
	s_barrier_signal -1
	s_barrier_wait -1
	v_cndmask_b32_e32 v11, 0, v7, vcc_lo
	v_cmp_eq_u32_e32 vcc_lo, 0, v84
	v_cndmask_b32_e64 v10, v29, v19, s14
	s_delay_alu instid0(VALU_DEP_1) | instskip(NEXT) | instid1(VALU_DEP_1)
	v_add_nc_u32_e32 v10, v11, v10
	v_cndmask_b32_e64 v53, v10, v7, s2
	s_delay_alu instid0(VALU_DEP_1) | instskip(NEXT) | instid1(VALU_DEP_1)
	v_cndmask_b32_e32 v7, 0, v53, vcc_lo
	v_add_nc_u32_e32 v57, v7, v62
	s_delay_alu instid0(VALU_DEP_1) | instskip(NEXT) | instid1(VALU_DEP_1)
	v_cndmask_b32_e64 v7, 0, v57, s13
	v_add_nc_u32_e32 v55, v7, v63
	s_delay_alu instid0(VALU_DEP_1) | instskip(NEXT) | instid1(VALU_DEP_1)
	v_cndmask_b32_e64 v7, 0, v55, s12
	;; [unrolled: 3-line block ×5, first 2 shown]
	v_add_nc_u32_e32 v35, v7, v59
	v_cndmask_b32_e64 v7, v9, 0, s2
	s_delay_alu instid0(VALU_DEP_2) | instskip(NEXT) | instid1(VALU_DEP_1)
	v_cndmask_b32_e64 v9, 0, v35, s8
	v_dual_add_nc_u32 v52, v6, v7 :: v_dual_add_nc_u32 v41, v9, v48
	s_delay_alu instid0(VALU_DEP_1) | instskip(NEXT) | instid1(VALU_DEP_1)
	v_cndmask_b32_e64 v6, 0, v41, s7
	v_add_nc_u32_e32 v45, v6, v49
	s_delay_alu instid0(VALU_DEP_1) | instskip(NEXT) | instid1(VALU_DEP_1)
	v_dual_cndmask_b32 v6, 0, v45, s6 :: v_dual_add_nc_u32 v56, v52, v84
	v_dual_add_nc_u32 v25, v6, v46 :: v_dual_add_nc_u32 v54, v56, v76
	s_delay_alu instid0(VALU_DEP_1) | instskip(NEXT) | instid1(VALU_DEP_1)
	v_dual_cndmask_b32 v6, 0, v25, s5 :: v_dual_add_nc_u32 v50, v54, v75
	v_add_nc_u32_e32 v29, v6, v47
	s_delay_alu instid0(VALU_DEP_1) | instskip(NEXT) | instid1(VALU_DEP_1)
	v_dual_add_nc_u32 v42, v50, v74 :: v_dual_cndmask_b32 v6, 0, v29, s4
	v_add_nc_u32_e32 v38, v42, v72
	s_delay_alu instid0(VALU_DEP_1) | instskip(NEXT) | instid1(VALU_DEP_1)
	v_add_nc_u32_e32 v34, v38, v71
	v_add_nc_u32_e32 v40, v34, v73
	s_delay_alu instid0(VALU_DEP_1) | instskip(NEXT) | instid1(VALU_DEP_1)
	v_add_nc_u32_e32 v44, v40, v68
	v_add_nc_u32_e32 v24, v44, v66
	;; [unrolled: 1-line block ×3, first 2 shown]
	ds_load_b128 v[6:9], v8 offset:1024
	v_add_nc_u32_e32 v28, v24, v65
	s_delay_alu instid0(VALU_DEP_1) | instskip(NEXT) | instid1(VALU_DEP_1)
	v_add_nc_u32_e32 v32, v28, v17
	v_dual_add_nc_u32 v36, v32, v64 :: v_dual_cndmask_b32 v10, 0, v33, s3
	s_delay_alu instid0(VALU_DEP_1) | instskip(SKIP_2) | instid1(VALU_DEP_2)
	v_dual_add_nc_u32 v30, v36, v70 :: v_dual_add_nc_u32 v37, v10, v27
	s_wait_dscnt 0x0
	v_cmp_eq_u32_e32 vcc_lo, 0, v6
	v_add_nc_u32_e32 v22, v30, v69
	v_cndmask_b32_e32 v9, 0, v9, vcc_lo
	s_delay_alu instid0(VALU_DEP_1) | instskip(NEXT) | instid1(VALU_DEP_1)
	v_dual_cndmask_b32 v10, 0, v37, s1 :: v_dual_add_nc_u32 v18, v9, v7
	v_add_nc_u32_e32 v31, v10, v20
	s_delay_alu instid0(VALU_DEP_1) | instskip(NEXT) | instid1(VALU_DEP_1)
	v_cndmask_b32_e64 v10, 0, v31, s0
	v_add_nc_u32_e32 v23, v10, v21
	s_branch .LBB952_97
.LBB952_86:
	s_cmp_eq_u64 s[40:41], 0
	v_mov_b32_e32 v10, v62
	s_cselect_b32 s0, -1, 0
	s_delay_alu instid0(SALU_CYCLE_1) | instskip(NEXT) | instid1(SALU_CYCLE_1)
	s_or_b32 s0, s17, s0
	s_and_b32 vcc_lo, exec_lo, s0
	s_cbranch_vccnz .LBB952_88
; %bb.87:
	v_mov_b32_e32 v6, 0
	global_load_b32 v10, v6, s[40:41]
.LBB952_88:
	v_add3_u32 v7, v89, v71, v73
	v_cmp_eq_u32_e64 s7, 0, v76
	v_cmp_eq_u32_e64 s8, 0, v75
	;; [unrolled: 1-line block ×4, first 2 shown]
	v_add3_u32 v7, v7, v68, v66
	s_wait_xcnt 0x0
	v_cndmask_b32_e64 v6, 0, v62, s7
	v_cmp_eq_u32_e64 s11, 0, v71
	v_cmp_eq_u32_e64 s12, 0, v73
	;; [unrolled: 1-line block ×3, first 2 shown]
	v_add3_u32 v7, v7, v65, v17
	v_dual_add_nc_u32 v6, v6, v63 :: v_dual_bitop2_b32 v9, 15, v86 bitop3:0x40
	v_cmp_eq_u32_e64 s5, 0, v66
	v_cmp_eq_u32_e64 s4, 0, v65
	s_delay_alu instid0(VALU_DEP_4)
	v_add3_u32 v7, v7, v64, v70
	v_cmp_eq_u32_e64 s3, 0, v17
	v_cmp_eq_u32_e64 s1, 0, v64
	v_cmp_eq_u32_e32 vcc_lo, 0, v70
	v_cmp_eq_u32_e64 s0, 0, v69
	v_add3_u32 v7, v7, v69, v67
	v_cndmask_b32_e64 v6, 0, v6, s8
	v_cmp_eq_u32_e64 s13, 0, v67
	s_delay_alu instid0(VALU_DEP_3) | instskip(NEXT) | instid1(VALU_DEP_3)
	v_mov_b32_dpp v11, v7 row_shr:1 row_mask:0xf bank_mask:0xf
	v_add_nc_u32_e32 v6, v6, v60
	s_delay_alu instid0(VALU_DEP_1) | instskip(NEXT) | instid1(VALU_DEP_1)
	v_cndmask_b32_e64 v6, 0, v6, s9
	v_add_nc_u32_e32 v6, v6, v61
	s_delay_alu instid0(VALU_DEP_1) | instskip(NEXT) | instid1(VALU_DEP_1)
	v_cndmask_b32_e64 v6, 0, v6, s10
	v_add_nc_u32_e32 v6, v6, v58
	s_delay_alu instid0(VALU_DEP_1) | instskip(NEXT) | instid1(VALU_DEP_1)
	v_cndmask_b32_e64 v6, 0, v6, s11
	v_add_nc_u32_e32 v6, v6, v59
	s_delay_alu instid0(VALU_DEP_1) | instskip(NEXT) | instid1(VALU_DEP_1)
	v_cndmask_b32_e64 v6, 0, v6, s12
	v_add_nc_u32_e32 v6, v6, v48
	s_delay_alu instid0(VALU_DEP_1) | instskip(NEXT) | instid1(VALU_DEP_1)
	v_cndmask_b32_e64 v6, 0, v6, s6
	v_add_nc_u32_e32 v6, v6, v49
	s_delay_alu instid0(VALU_DEP_1) | instskip(NEXT) | instid1(VALU_DEP_1)
	v_cndmask_b32_e64 v6, 0, v6, s5
	v_add_nc_u32_e32 v6, v6, v46
	s_delay_alu instid0(VALU_DEP_1) | instskip(NEXT) | instid1(VALU_DEP_1)
	v_cndmask_b32_e64 v6, 0, v6, s4
	v_add_nc_u32_e32 v6, v6, v47
	s_delay_alu instid0(VALU_DEP_1) | instskip(NEXT) | instid1(VALU_DEP_1)
	v_cndmask_b32_e64 v6, 0, v6, s3
	v_add_nc_u32_e32 v6, v6, v26
	s_delay_alu instid0(VALU_DEP_1) | instskip(NEXT) | instid1(VALU_DEP_1)
	v_cndmask_b32_e64 v6, 0, v6, s1
	v_add_nc_u32_e32 v6, v6, v27
	s_delay_alu instid0(VALU_DEP_1) | instskip(NEXT) | instid1(VALU_DEP_1)
	v_cndmask_b32_e32 v6, 0, v6, vcc_lo
	v_add_nc_u32_e32 v6, v6, v20
	s_delay_alu instid0(VALU_DEP_1) | instskip(NEXT) | instid1(VALU_DEP_1)
	v_cndmask_b32_e64 v6, 0, v6, s0
	v_add_nc_u32_e32 v6, v6, v21
	s_delay_alu instid0(VALU_DEP_1) | instskip(SKIP_1) | instid1(VALU_DEP_2)
	v_cndmask_b32_e64 v6, 0, v6, s13
	v_cmp_eq_u32_e64 s13, 0, v7
	v_add_nc_u32_e32 v6, v6, v85
	s_delay_alu instid0(VALU_DEP_1) | instskip(NEXT) | instid1(VALU_DEP_1)
	v_mov_b32_dpp v8, v6 row_shr:1 row_mask:0xf bank_mask:0xf
	v_cndmask_b32_e64 v8, 0, v8, s13
	v_cmp_eq_u32_e64 s13, 0, v9
	s_delay_alu instid0(VALU_DEP_1) | instskip(NEXT) | instid1(VALU_DEP_3)
	v_cndmask_b32_e64 v11, v11, 0, s13
	v_cndmask_b32_e64 v8, v8, 0, s13
	v_cmp_lt_u32_e64 s13, 1, v9
	s_delay_alu instid0(VALU_DEP_2) | instskip(NEXT) | instid1(VALU_DEP_1)
	v_dual_add_nc_u32 v7, v11, v7 :: v_dual_add_nc_u32 v6, v8, v6
	v_mov_b32_dpp v8, v7 row_shr:2 row_mask:0xf bank_mask:0xf
	v_cmp_eq_u32_e64 s14, 0, v7
	s_delay_alu instid0(VALU_DEP_3) | instskip(NEXT) | instid1(VALU_DEP_3)
	v_mov_b32_dpp v11, v6 row_shr:2 row_mask:0xf bank_mask:0xf
	v_cndmask_b32_e64 v8, 0, v8, s13
	s_and_b32 s13, s13, s14
	s_delay_alu instid0(VALU_DEP_2) | instid1(SALU_CYCLE_1)
	v_cndmask_b32_e64 v11, 0, v11, s13
	v_cmp_lt_u32_e64 s13, 3, v9
	s_delay_alu instid0(VALU_DEP_3) | instskip(NEXT) | instid1(VALU_DEP_3)
	v_add_nc_u32_e32 v7, v7, v8
	v_add_nc_u32_e32 v6, v11, v6
	s_delay_alu instid0(VALU_DEP_2) | instskip(SKIP_1) | instid1(VALU_DEP_3)
	v_mov_b32_dpp v8, v7 row_shr:4 row_mask:0xf bank_mask:0xf
	v_cmp_eq_u32_e64 s14, 0, v7
	v_mov_b32_dpp v11, v6 row_shr:4 row_mask:0xf bank_mask:0xf
	s_delay_alu instid0(VALU_DEP_3)
	v_cndmask_b32_e64 v8, 0, v8, s13
	s_and_b32 s13, s13, s14
	s_delay_alu instid0(VALU_DEP_2) | instid1(SALU_CYCLE_1)
	v_cndmask_b32_e64 v11, 0, v11, s13
	v_cmp_lt_u32_e64 s13, 7, v9
	s_delay_alu instid0(VALU_DEP_3) | instskip(NEXT) | instid1(VALU_DEP_3)
	v_add_nc_u32_e32 v7, v8, v7
	v_add_nc_u32_e32 v6, v6, v11
	v_bfe_i32 v11, v86, 4, 1
	s_delay_alu instid0(VALU_DEP_3) | instskip(SKIP_1) | instid1(VALU_DEP_4)
	v_mov_b32_dpp v8, v7 row_shr:8 row_mask:0xf bank_mask:0xf
	v_cmp_eq_u32_e64 s14, 0, v7
	v_mov_b32_dpp v9, v6 row_shr:8 row_mask:0xf bank_mask:0xf
	s_delay_alu instid0(VALU_DEP_3) | instskip(SKIP_2) | instid1(VALU_DEP_2)
	v_cndmask_b32_e64 v8, 0, v8, s13
	s_and_b32 s13, s13, s14
	s_mov_b32 s14, exec_lo
	v_cndmask_b32_e64 v9, 0, v9, s13
	s_delay_alu instid0(VALU_DEP_1) | instskip(SKIP_4) | instid1(VALU_DEP_1)
	v_dual_add_nc_u32 v9, v9, v6 :: v_dual_add_nc_u32 v6, v8, v7
	ds_swizzle_b32 v7, v9 offset:swizzle(BROADCAST,32,15)
	ds_swizzle_b32 v8, v6 offset:swizzle(BROADCAST,32,15)
	v_cmp_eq_u32_e64 s13, 0, v6
	s_wait_dscnt 0x0
	v_dual_cndmask_b32 v7, 0, v7, s13 :: v_dual_bitop2_b32 v8, v11, v8 bitop3:0x40
	s_delay_alu instid0(VALU_DEP_1) | instskip(NEXT) | instid1(VALU_DEP_1)
	v_dual_add_nc_u32 v6, v8, v6 :: v_dual_bitop2_b32 v7, v11, v7 bitop3:0x40
	v_dual_add_nc_u32 v7, v7, v9 :: v_dual_lshlrev_b32 v9, 3, v87
	v_cmpx_eq_u32_e64 v0, v88
; %bb.89:
	ds_store_b64 v9, v[6:7] offset:1040
; %bb.90:
	s_or_b32 exec_lo, exec_lo, s14
	s_delay_alu instid0(SALU_CYCLE_1)
	s_mov_b32 s15, exec_lo
	s_wait_loadcnt_dscnt 0x0
	s_barrier_signal -1
	s_barrier_wait -1
	v_cmpx_gt_u32_e32 8, v0
	s_cbranch_execz .LBB952_92
; %bb.91:
	v_dual_lshlrev_b32 v8, 3, v0 :: v_dual_bitop2_b32 v18, 7, v86 bitop3:0x40
	ds_load_b64 v[12:13], v8 offset:1040
	s_wait_dscnt 0x0
	v_mov_b32_dpp v11, v13 row_shr:1 row_mask:0xf bank_mask:0xf
	v_cmp_eq_u32_e64 s13, 0, v12
	v_mov_b32_dpp v19, v12 row_shr:1 row_mask:0xf bank_mask:0xf
	s_delay_alu instid0(VALU_DEP_2) | instskip(SKIP_1) | instid1(VALU_DEP_1)
	v_cndmask_b32_e64 v11, 0, v11, s13
	v_cmp_eq_u32_e64 s13, 0, v18
	v_cndmask_b32_e64 v19, v19, 0, s13
	s_delay_alu instid0(VALU_DEP_1) | instskip(NEXT) | instid1(VALU_DEP_4)
	v_add_nc_u32_e32 v12, v19, v12
	v_cndmask_b32_e64 v11, v11, 0, s13
	v_cmp_lt_u32_e64 s13, 1, v18
	s_delay_alu instid0(VALU_DEP_3) | instskip(NEXT) | instid1(VALU_DEP_3)
	v_cmp_eq_u32_e64 s14, 0, v12
	v_add_nc_u32_e32 v11, v11, v13
	v_mov_b32_dpp v13, v12 row_shr:2 row_mask:0xf bank_mask:0xf
	s_delay_alu instid0(VALU_DEP_1) | instskip(NEXT) | instid1(VALU_DEP_3)
	v_cndmask_b32_e64 v13, 0, v13, s13
	v_mov_b32_dpp v19, v11 row_shr:2 row_mask:0xf bank_mask:0xf
	s_and_b32 s13, s13, s14
	s_delay_alu instid0(VALU_DEP_1) | instid1(SALU_CYCLE_1)
	v_dual_add_nc_u32 v12, v13, v12 :: v_dual_cndmask_b32 v19, 0, v19, s13
	v_cmp_lt_u32_e64 s13, 3, v18
	s_delay_alu instid0(VALU_DEP_2) | instskip(NEXT) | instid1(VALU_DEP_3)
	v_mov_b32_dpp v13, v12 row_shr:4 row_mask:0xf bank_mask:0xf
	v_add_nc_u32_e32 v11, v19, v11
	v_cmp_eq_u32_e64 s14, 0, v12
	s_delay_alu instid0(VALU_DEP_3) | instskip(NEXT) | instid1(VALU_DEP_3)
	v_cndmask_b32_e64 v13, 0, v13, s13
	v_mov_b32_dpp v18, v11 row_shr:4 row_mask:0xf bank_mask:0xf
	s_and_b32 s13, s13, s14
	s_delay_alu instid0(VALU_DEP_1) | instid1(SALU_CYCLE_1)
	v_dual_add_nc_u32 v12, v13, v12 :: v_dual_cndmask_b32 v18, 0, v18, s13
	s_delay_alu instid0(VALU_DEP_1)
	v_add_nc_u32_e32 v13, v18, v11
	ds_store_b64 v8, v[12:13] offset:1040
.LBB952_92:
	s_or_b32 exec_lo, exec_lo, s15
	v_dual_mov_b32 v11, 0 :: v_dual_mov_b32 v8, 0
	v_mov_b32_e32 v12, v10
	s_mov_b32 s14, exec_lo
	s_wait_dscnt 0x0
	s_barrier_signal -1
	s_barrier_wait -1
	v_cmpx_lt_u32_e32 31, v0
	s_cbranch_execz .LBB952_94
; %bb.93:
	ds_load_b64 v[8:9], v9 offset:1032
	s_wait_dscnt 0x0
	v_cmp_eq_u32_e64 s13, 0, v8
	s_delay_alu instid0(VALU_DEP_1) | instskip(NEXT) | instid1(VALU_DEP_1)
	v_cndmask_b32_e64 v12, 0, v10, s13
	v_add_nc_u32_e32 v12, v12, v9
.LBB952_94:
	s_or_b32 exec_lo, exec_lo, s14
	v_sub_co_u32 v9, s13, v86, 1
	s_delay_alu instid0(VALU_DEP_1) | instskip(NEXT) | instid1(VALU_DEP_1)
	v_cmp_gt_i32_e64 s14, 0, v9
	v_cndmask_b32_e64 v9, v9, v86, s14
	v_cmp_eq_u32_e64 s14, 0, v6
	s_delay_alu instid0(VALU_DEP_1) | instskip(NEXT) | instid1(VALU_DEP_3)
	v_dual_cndmask_b32 v13, 0, v12, s14 :: v_dual_add_nc_u32 v6, v8, v6
	v_lshlrev_b32_e32 v9, 2, v9
	ds_bpermute_b32 v6, v9, v6
	s_wait_dscnt 0x0
	v_dual_add_nc_u32 v7, v13, v7 :: v_dual_cndmask_b32 v6, v6, v8, s13
	ds_bpermute_b32 v7, v9, v7
	v_cndmask_b32_e64 v52, v6, 0, s2
	s_delay_alu instid0(VALU_DEP_1) | instskip(NEXT) | instid1(VALU_DEP_1)
	v_add_nc_u32_e32 v56, v52, v84
	v_add_nc_u32_e32 v54, v56, v76
	s_wait_dscnt 0x0
	s_delay_alu instid0(VALU_DEP_1) | instskip(SKIP_1) | instid1(VALU_DEP_2)
	v_dual_add_nc_u32 v50, v54, v75 :: v_dual_cndmask_b32 v7, v7, v12, s13
	v_cmp_eq_u32_e64 s13, 0, v84
	v_add_nc_u32_e32 v42, v50, v74
	s_delay_alu instid0(VALU_DEP_1) | instskip(NEXT) | instid1(VALU_DEP_1)
	v_dual_cndmask_b32 v53, v7, v10, s2 :: v_dual_add_nc_u32 v38, v42, v72
	v_dual_cndmask_b32 v7, 0, v53, s13 :: v_dual_add_nc_u32 v34, v38, v71
	s_delay_alu instid0(VALU_DEP_1) | instskip(NEXT) | instid1(VALU_DEP_1)
	v_add_nc_u32_e32 v57, v7, v62
	v_cndmask_b32_e64 v7, 0, v57, s7
	s_delay_alu instid0(VALU_DEP_1) | instskip(NEXT) | instid1(VALU_DEP_1)
	v_add_nc_u32_e32 v55, v7, v63
	v_cndmask_b32_e64 v7, 0, v55, s8
	;; [unrolled: 3-line block ×10, first 2 shown]
	s_delay_alu instid0(VALU_DEP_1) | instskip(SKIP_2) | instid1(VALU_DEP_1)
	v_add_nc_u32_e32 v33, v6, v26
	ds_load_b64 v[6:7], v11 offset:1096
	v_cndmask_b32_e64 v8, 0, v33, s1
	v_dual_add_nc_u32 v40, v34, v73 :: v_dual_add_nc_u32 v37, v8, v27
	s_delay_alu instid0(VALU_DEP_1) | instskip(NEXT) | instid1(VALU_DEP_1)
	v_dual_add_nc_u32 v44, v40, v68 :: v_dual_cndmask_b32 v8, 0, v37, vcc_lo
	v_add_nc_u32_e32 v24, v44, v66
	s_delay_alu instid0(VALU_DEP_2) | instskip(NEXT) | instid1(VALU_DEP_2)
	v_add_nc_u32_e32 v31, v8, v20
	v_add_nc_u32_e32 v28, v24, v65
	s_wait_dscnt 0x0
	v_cmp_eq_u32_e32 vcc_lo, 0, v6
	s_delay_alu instid0(VALU_DEP_2) | instskip(NEXT) | instid1(VALU_DEP_1)
	v_dual_cndmask_b32 v8, 0, v31, s0 :: v_dual_add_nc_u32 v32, v28, v17
	v_dual_cndmask_b32 v9, 0, v10, vcc_lo :: v_dual_add_nc_u32 v23, v8, v21
	s_delay_alu instid0(VALU_DEP_1) | instskip(NEXT) | instid1(VALU_DEP_1)
	v_dual_add_nc_u32 v36, v32, v64 :: v_dual_add_nc_u32 v18, v9, v7
	v_add_nc_u32_e32 v30, v36, v70
	s_delay_alu instid0(VALU_DEP_1)
	v_add_nc_u32_e32 v22, v30, v69
	s_and_saveexec_b32 s0, s2
	s_cbranch_execz .LBB952_96
; %bb.95:
	s_add_nc_u64 s[4:5], s[20:21], 0x200
	v_dual_mov_b32 v8, 2 :: v_dual_mov_b32 v9, 0
	v_mov_b32_e32 v7, v18
	v_mov_b64_e32 v[10:11], s[4:5]
	;;#ASMSTART
	global_store_b128 v[10:11], v[6:9] off scope:SCOPE_DEV	
s_wait_storecnt 0x0
	;;#ASMEND
.LBB952_96:
	s_or_b32 exec_lo, exec_lo, s0
	v_mov_b32_e32 v8, 0
.LBB952_97:
	s_cmp_eq_u64 s[38:39], 0
	v_mov_b64_e32 v[20:21], 0
	s_cselect_b32 s0, -1, 0
	s_delay_alu instid0(SALU_CYCLE_1)
	s_or_b32 s0, s17, s0
	s_barrier_signal -1
	s_and_b32 vcc_lo, exec_lo, s0
	s_barrier_wait -1
	s_cbranch_vccnz .LBB952_99
; %bb.98:
	v_mov_b32_e32 v7, 0
	global_load_b64 v[20:21], v7, s[38:39]
.LBB952_99:
	v_cmp_eq_u32_e32 vcc_lo, 0, v84
	v_cmp_ne_u32_e64 s15, 0, v84
	v_cmp_ne_u32_e64 s14, 0, v76
	;; [unrolled: 1-line block ×4, first 2 shown]
	s_wait_xcnt 0x0
	v_cndmask_b32_e64 v7, 1, 2, vcc_lo
	v_cmp_eq_u32_e32 vcc_lo, 0, v76
	v_cmp_ne_u32_e64 s11, 0, v72
	v_cmp_ne_u32_e64 s10, 0, v71
	;; [unrolled: 1-line block ×4, first 2 shown]
	v_cndmask_b32_e64 v9, 1, 2, vcc_lo
	v_cmp_eq_u32_e32 vcc_lo, 0, v75
	v_cmp_ne_u32_e64 s7, 0, v66
	v_cmp_ne_u32_e64 s6, 0, v65
	;; [unrolled: 1-line block ×4, first 2 shown]
	v_cndmask_b32_e64 v10, 1, 2, vcc_lo
	v_cmp_eq_u32_e32 vcc_lo, 0, v74
	v_cmp_ne_u32_e64 s3, 0, v70
	v_cmp_ne_u32_e64 s1, 0, v69
	;; [unrolled: 1-line block ×3, first 2 shown]
	v_bitop3_b16 v7, v9, v10, v7 bitop3:0x80
	v_cndmask_b32_e64 v12, 1, 2, vcc_lo
	v_cmp_eq_u32_e32 vcc_lo, 0, v72
	s_wait_loadcnt 0x0
	v_lshlrev_b64_e32 v[10:11], 1, v[20:21]
	v_mov_b32_e32 v9, 0
	s_mov_b32 s17, -1
	v_cndmask_b32_e64 v13, 1, 2, vcc_lo
	v_cmp_eq_u32_e32 vcc_lo, 0, v71
	s_delay_alu instid0(VALU_DEP_4) | instskip(NEXT) | instid1(VALU_DEP_3)
	v_add_nc_u64_e32 v[10:11], s[28:29], v[10:11]
	v_bitop3_b16 v7, v7, v13, v12 bitop3:0x80
	v_cndmask_b32_e64 v19, 1, 2, vcc_lo
	v_cmp_eq_u32_e32 vcc_lo, 0, v73
	v_lshlrev_b64_e32 v[12:13], 1, v[8:9]
	v_cndmask_b32_e64 v26, 1, 2, vcc_lo
	v_cmp_eq_u32_e32 vcc_lo, 0, v68
	s_delay_alu instid0(VALU_DEP_2)
	v_bitop3_b16 v7, v7, v26, v19 bitop3:0x80
	v_cndmask_b32_e64 v19, 1, 2, vcc_lo
	v_cmp_eq_u32_e32 vcc_lo, 0, v66
	v_add_nc_u64_e32 v[26:27], v[10:11], v[12:13]
	v_cndmask_b32_e64 v46, 1, 2, vcc_lo
	v_cmp_eq_u32_e32 vcc_lo, 0, v65
	s_delay_alu instid0(VALU_DEP_2) | instskip(SKIP_4) | instid1(VALU_DEP_2)
	v_bitop3_b16 v7, v7, v46, v19 bitop3:0x80
	v_cndmask_b32_e64 v10, 1, 2, vcc_lo
	v_cmp_eq_u32_e32 vcc_lo, 0, v17
	v_cndmask_b32_e64 v11, 1, 2, vcc_lo
	v_cmp_eq_u32_e32 vcc_lo, 0, v64
	v_bitop3_b16 v7, v7, v11, v10 bitop3:0x80
	v_cndmask_b32_e64 v10, 1, 2, vcc_lo
	v_cmp_eq_u32_e32 vcc_lo, 0, v70
	v_cndmask_b32_e64 v11, 1, 2, vcc_lo
	v_cmp_eq_u32_e32 vcc_lo, 0, v69
	s_delay_alu instid0(VALU_DEP_2) | instskip(SKIP_4) | instid1(VALU_DEP_2)
	v_bitop3_b16 v7, v7, v11, v10 bitop3:0x80
	v_cndmask_b32_e64 v10, 1, 2, vcc_lo
	v_cmp_eq_u32_e32 vcc_lo, 0, v67
	v_cndmask_b32_e64 v11, 1, 2, vcc_lo
	v_cmp_gt_u32_e32 vcc_lo, 0x100, v6
	v_bitop3_b16 v7, v7, v11, v10 bitop3:0x80
	s_delay_alu instid0(VALU_DEP_1)
	v_cmp_gt_i16_e64 s16, 2, v7
	s_cbranch_vccz .LBB952_106
; %bb.100:
	s_and_saveexec_b32 s17, s16
	s_cbranch_execz .LBB952_105
; %bb.101:
	s_mov_b32 s18, 0
	s_mov_b32 s16, exec_lo
	v_cmpx_ne_u16_e32 1, v7
	s_xor_b32 s16, exec_lo, s16
	s_cbranch_execnz .LBB952_149
; %bb.102:
	s_and_not1_saveexec_b32 s16, s16
	s_cbranch_execnz .LBB952_165
.LBB952_103:
	s_or_b32 exec_lo, exec_lo, s16
	s_delay_alu instid0(SALU_CYCLE_1)
	s_and_b32 exec_lo, exec_lo, s18
	s_cbranch_execz .LBB952_105
.LBB952_104:
	v_sub_nc_u32_e32 v10, v22, v8
	v_readfirstlane_b32 s20, v26
	v_readfirstlane_b32 s21, v27
	global_store_b16 v10, v1, s[20:21] scale_offset
.LBB952_105:
	s_wait_xcnt 0x0
	s_or_b32 exec_lo, exec_lo, s17
	s_mov_b32 s17, 0
.LBB952_106:
	s_delay_alu instid0(SALU_CYCLE_1)
	s_and_b32 vcc_lo, exec_lo, s17
	s_cbranch_vccz .LBB952_128
; %bb.107:
	s_mov_b32 s16, exec_lo
	v_cmpx_gt_i16_e32 2, v7
	s_cbranch_execz .LBB952_112
; %bb.108:
	s_mov_b32 s18, 0
	s_mov_b32 s17, exec_lo
	v_cmpx_ne_u16_e32 1, v7
	s_xor_b32 s17, exec_lo, s17
	s_cbranch_execnz .LBB952_166
; %bb.109:
	s_and_not1_saveexec_b32 s0, s17
	s_cbranch_execnz .LBB952_182
.LBB952_110:
	s_or_b32 exec_lo, exec_lo, s0
	s_delay_alu instid0(SALU_CYCLE_1)
	s_and_b32 exec_lo, exec_lo, s18
.LBB952_111:
	v_sub_nc_u32_e32 v2, v22, v8
	s_delay_alu instid0(VALU_DEP_1)
	v_lshlrev_b32_e32 v2, 1, v2
	ds_store_b16 v2, v1
.LBB952_112:
	s_or_b32 exec_lo, exec_lo, s16
	s_delay_alu instid0(SALU_CYCLE_1)
	s_mov_b32 s0, exec_lo
	s_wait_storecnt_dscnt 0x0
	s_barrier_signal -1
	s_barrier_wait -1
	v_cmpx_lt_u32_e64 v0, v6
	s_cbranch_execz .LBB952_127
; %bb.113:
	v_xad_u32 v2, v0, -1, v6
	v_mov_b32_e32 v1, v0
	s_mov_b32 s5, -1
	s_mov_b32 s3, exec_lo
	s_delay_alu instid0(VALU_DEP_2)
	v_cmp_gt_u32_e64 s1, 0x1b00, v2
	v_cmpx_lt_u32_e32 0x1aff, v2
	s_cbranch_execz .LBB952_124
; %bb.114:
	v_sub_nc_u32_e32 v1, v0, v6
	s_delay_alu instid0(VALU_DEP_1) | instskip(NEXT) | instid1(VALU_DEP_1)
	v_or_b32_e32 v1, 0xff, v1
	v_cmp_ge_u32_e32 vcc_lo, v1, v0
	v_mov_b32_e32 v1, v0
	s_and_saveexec_b32 s4, vcc_lo
	s_cbranch_execz .LBB952_123
; %bb.115:
	v_lshrrev_b32_e32 v7, 8, v2
	v_or_b32_e32 v3, 0x300, v0
	v_or_b32_e32 v2, 0x200, v0
	;; [unrolled: 1-line block ×3, first 2 shown]
	s_mov_b32 s5, exec_lo
	v_dual_add_nc_u32 v4, -3, v7 :: v_dual_mov_b32 v46, 0
	s_delay_alu instid0(VALU_DEP_3) | instskip(NEXT) | instid1(VALU_DEP_3)
	v_mov_b64_e32 v[12:13], v[2:3]
	v_mov_b64_e32 v[10:11], v[0:1]
	s_delay_alu instid0(VALU_DEP_3) | instskip(NEXT) | instid1(VALU_DEP_1)
	v_lshrrev_b32_e32 v5, 2, v4
	v_dual_lshlrev_b32 v14, 1, v0 :: v_dual_add_nc_u32 v15, 1, v5
	v_cmpx_lt_u32_e32 11, v4
	s_cbranch_execz .LBB952_119
; %bb.116:
	v_mov_b64_e32 v[12:13], v[2:3]
	v_mov_b64_e32 v[10:11], v[0:1]
	v_and_b32_e32 v16, 0x7ffffffc, v15
	v_dual_mov_b32 v5, 0 :: v_dual_mov_b32 v19, v14
	s_mov_b32 s6, 0
	s_mov_b32 s7, 0
.LBB952_117:                            ; =>This Inner Loop Header: Depth=1
	s_delay_alu instid0(VALU_DEP_1) | instskip(SKIP_2) | instid1(VALU_DEP_3)
	v_dual_mov_b32 v4, v10 :: v_dual_mov_b32 v59, v5
	v_add_nc_u32_e32 v16, -4, v16
	v_dual_mov_b32 v79, v5 :: v_dual_add_nc_u32 v58, 0x400, v11
	v_lshl_add_u64 v[88:89], v[4:5], 1, v[26:27]
	v_mov_b32_e32 v4, v11
	ds_load_u16 v1, v19
	ds_load_u16 v47, v19 offset:512
	ds_load_u16 v77, v19 offset:1024
	;; [unrolled: 1-line block ×7, first 2 shown]
	v_dual_mov_b32 v87, v5 :: v_dual_add_nc_u32 v78, 0x800, v11
	v_add_nc_u32_e32 v86, 0xc00, v11
	v_add_nc_u32_e32 v11, 0x1000, v11
	v_lshl_add_u64 v[90:91], v[4:5], 1, v[26:27]
	v_mov_b32_e32 v4, v12
	ds_load_u16 v100, v19 offset:4096
	ds_load_u16 v101, v19 offset:4608
	;; [unrolled: 1-line block ×8, first 2 shown]
	v_dual_mov_b32 v49, v5 :: v_dual_add_nc_u32 v2, 0x400, v13
	v_dual_mov_b32 v63, v5 :: v_dual_add_nc_u32 v60, 0x800, v13
	v_lshl_add_u64 v[92:93], v[4:5], 1, v[26:27]
	v_mov_b32_e32 v4, v13
	v_dual_mov_b32 v83, v5 :: v_dual_add_nc_u32 v80, 0xc00, v13
	v_add_nc_u32_e32 v13, 0x1000, v13
	s_wait_dscnt 0xf
	global_store_b16 v[88:89], v1, off
	s_wait_dscnt 0xe
	global_store_b16 v[90:91], v47, off
	;; [unrolled: 2-line block ×3, first 2 shown]
	v_lshl_add_u64 v[94:95], v[4:5], 1, v[26:27]
	v_add_nc_u32_e32 v4, 0x400, v10
	v_dual_mov_b32 v3, v5 :: v_dual_add_nc_u32 v48, 0x400, v12
	v_dual_mov_b32 v61, v5 :: v_dual_add_nc_u32 v62, 0x800, v12
	s_wait_xcnt 0x2
	s_delay_alu instid0(VALU_DEP_3)
	v_lshl_add_u64 v[88:89], v[4:5], 1, v[26:27]
	v_add_nc_u32_e32 v4, 0x800, v10
	s_add_co_i32 s7, s7, 16
	v_cmp_eq_u32_e32 vcc_lo, 0, v16
	v_lshl_add_u64 v[58:59], v[58:59], 1, v[26:27]
	s_wait_dscnt 0xc
	global_store_b16 v[94:95], v85, off
	s_wait_dscnt 0xb
	global_store_b16 v[88:89], v96, off
	s_wait_xcnt 0x0
	v_lshl_add_u64 v[88:89], v[4:5], 1, v[26:27]
	v_add_nc_u32_e32 v4, 0xc00, v10
	v_dual_mov_b32 v81, v5 :: v_dual_add_nc_u32 v82, 0xc00, v12
	v_dual_mov_b32 v46, s7 :: v_dual_add_nc_u32 v19, 0x2000, v19
	v_lshl_add_u64 v[48:49], v[48:49], 1, v[26:27]
	v_add_nc_u32_e32 v12, 0x1000, v12
	v_add_nc_u32_e32 v10, 0x1000, v10
	v_lshl_add_u64 v[2:3], v[2:3], 1, v[26:27]
	v_lshl_add_u64 v[78:79], v[78:79], 1, v[26:27]
	;; [unrolled: 1-line block ×4, first 2 shown]
	s_or_b32 s6, vcc_lo, s6
	s_wait_dscnt 0xa
	global_store_b16 v[58:59], v97, off
	s_wait_dscnt 0x9
	global_store_b16 v[48:49], v98, off
	;; [unrolled: 2-line block ×3, first 2 shown]
	s_wait_xcnt 0x0
	v_lshl_add_u64 v[2:3], v[4:5], 1, v[26:27]
	v_lshl_add_u64 v[86:87], v[86:87], 1, v[26:27]
	;; [unrolled: 1-line block ×4, first 2 shown]
	s_wait_dscnt 0x7
	global_store_b16 v[88:89], v100, off
	s_wait_dscnt 0x6
	global_store_b16 v[78:79], v101, off
	s_wait_dscnt 0x5
	global_store_b16 v[62:63], v102, off
	s_wait_dscnt 0x4
	global_store_b16 v[60:61], v103, off
	s_wait_dscnt 0x3
	global_store_b16 v[2:3], v104, off
	s_wait_dscnt 0x2
	global_store_b16 v[86:87], v105, off
	s_wait_dscnt 0x1
	global_store_b16 v[82:83], v106, off
	s_wait_dscnt 0x0
	global_store_b16 v[80:81], v107, off
	s_wait_xcnt 0x0
	s_and_not1_b32 exec_lo, exec_lo, s6
	s_cbranch_execnz .LBB952_117
; %bb.118:
	s_or_b32 exec_lo, exec_lo, s6
.LBB952_119:
	s_delay_alu instid0(SALU_CYCLE_1) | instskip(NEXT) | instid1(VALU_DEP_2)
	s_or_b32 exec_lo, exec_lo, s5
	v_and_b32_e32 v1, 3, v15
	s_mov_b32 s6, 0
	s_mov_b32 s5, exec_lo
	s_delay_alu instid0(VALU_DEP_1)
	v_cmpx_ne_u32_e32 0, v1
	s_cbranch_execz .LBB952_122
; %bb.120:
	v_lshl_or_b32 v4, v46, 9, v14
	v_mov_b32_e32 v3, 0
.LBB952_121:                            ; =>This Inner Loop Header: Depth=1
	v_dual_mov_b32 v2, v10 :: v_dual_add_nc_u32 v1, -1, v1
	ds_load_u16 v5, v4
	ds_load_u16 v16, v4 offset:512
	ds_load_u16 v19, v4 offset:1024
	ds_load_u16 v60, v4 offset:1536
	v_add_nc_u32_e32 v10, 0x400, v10
	v_add_nc_u32_e32 v4, 0x800, v4
	v_lshl_add_u64 v[14:15], v[2:3], 1, v[26:27]
	v_dual_mov_b32 v2, v11 :: v_dual_add_nc_u32 v11, 0x400, v11
	v_cmp_eq_u32_e32 vcc_lo, 0, v1
	s_delay_alu instid0(VALU_DEP_2) | instskip(SKIP_3) | instid1(VALU_DEP_2)
	v_lshl_add_u64 v[46:47], v[2:3], 1, v[26:27]
	v_mov_b32_e32 v2, v12
	v_add_nc_u32_e32 v12, 0x400, v12
	s_or_b32 s6, vcc_lo, s6
	v_lshl_add_u64 v[48:49], v[2:3], 1, v[26:27]
	v_dual_mov_b32 v2, v13 :: v_dual_add_nc_u32 v13, 0x400, v13
	s_delay_alu instid0(VALU_DEP_1)
	v_lshl_add_u64 v[58:59], v[2:3], 1, v[26:27]
	s_wait_dscnt 0x3
	global_store_b16 v[14:15], v5, off
	s_wait_dscnt 0x2
	global_store_b16 v[46:47], v16, off
	;; [unrolled: 2-line block ×4, first 2 shown]
	s_wait_xcnt 0x0
	s_and_not1_b32 exec_lo, exec_lo, s6
	s_cbranch_execnz .LBB952_121
.LBB952_122:
	s_or_b32 exec_lo, exec_lo, s5
	v_add_nc_u32_e32 v1, 1, v7
	s_delay_alu instid0(VALU_DEP_1) | instskip(NEXT) | instid1(VALU_DEP_1)
	v_and_b32_e32 v2, 0x1fffffc, v1
	v_cmp_ne_u32_e32 vcc_lo, v1, v2
	v_lshl_or_b32 v1, v2, 8, v0
	s_or_not1_b32 s5, vcc_lo, exec_lo
.LBB952_123:
	s_or_b32 exec_lo, exec_lo, s4
	s_delay_alu instid0(SALU_CYCLE_1) | instskip(SKIP_1) | instid1(SALU_CYCLE_1)
	s_and_not1_b32 s1, s1, exec_lo
	s_and_b32 s4, s5, exec_lo
	s_or_b32 s1, s1, s4
.LBB952_124:
	s_or_b32 exec_lo, exec_lo, s3
	s_delay_alu instid0(SALU_CYCLE_1)
	s_and_b32 exec_lo, exec_lo, s1
	s_cbranch_execz .LBB952_127
; %bb.125:
	v_lshlrev_b32_e32 v2, 1, v1
	s_mov_b32 s1, 0
.LBB952_126:                            ; =>This Inner Loop Header: Depth=1
	ds_load_u16 v3, v2
	v_readfirstlane_b32 s4, v26
	v_readfirstlane_b32 s5, v27
	v_add_nc_u32_e32 v2, 0x200, v2
	s_wait_dscnt 0x0
	global_store_b16 v1, v3, s[4:5] scale_offset
	s_wait_xcnt 0x0
	v_add_nc_u32_e32 v1, 0x100, v1
	s_delay_alu instid0(VALU_DEP_1) | instskip(SKIP_1) | instid1(SALU_CYCLE_1)
	v_cmp_ge_u32_e32 vcc_lo, v1, v6
	s_or_b32 s1, vcc_lo, s1
	s_and_not1_b32 exec_lo, exec_lo, s1
	s_cbranch_execnz .LBB952_126
.LBB952_127:
	s_or_b32 exec_lo, exec_lo, s0
.LBB952_128:
	s_cmp_lg_u32 s25, 0xf00
	v_cndmask_b32_e64 v7, 0, 1, s33
	s_cselect_b32 s0, -1, 0
	v_mad_i32_i24 v3, v0, -15, s25
	s_and_b32 s0, s0, s19
	s_and_b32 s1, s2, s33
	v_cndmask_b32_e64 v2, 0, 1, s0
	s_mul_hi_u32 s0, s25, 0x88888889
	v_cndmask_b32_e64 v4, v84, 0, s1
	s_lshr_b32 s0, s0, 3
	s_mov_b32 s16, -1
	v_cmp_eq_u32_e32 vcc_lo, s0, v0
	v_cmp_ne_u32_e64 s0, 0, v3
	v_sub_nc_u32_e32 v1, v6, v7
	s_wait_storecnt 0x0
	s_barrier_signal -1
	s_and_b32 vcc_lo, vcc_lo, s19
	s_barrier_wait -1
	v_dual_add_nc_u32 v1, v1, v2 :: v_dual_cndmask_b32 v2, 1, v4, s0
	v_cmp_ne_u32_e64 s0, 1, v3
	s_delay_alu instid0(VALU_DEP_1) | instskip(SKIP_1) | instid1(VALU_DEP_2)
	v_dual_cndmask_b32 v49, v4, v2, vcc_lo :: v_dual_cndmask_b32 v5, 1, v76, s0
	v_cmp_ne_u32_e64 s0, 2, v3
	v_cmp_ne_u32_e64 s14, 0, v49
	s_delay_alu instid0(VALU_DEP_2) | instskip(SKIP_1) | instid1(VALU_DEP_1)
	v_cndmask_b32_e64 v10, 1, v75, s0
	v_cmp_ne_u32_e64 s0, 3, v3
	v_cndmask_b32_e64 v11, 1, v74, s0
	v_cmp_ne_u32_e64 s0, 4, v3
	s_delay_alu instid0(VALU_DEP_4) | instskip(SKIP_1) | instid1(VALU_DEP_3)
	v_dual_cndmask_b32 v58, v76, v5, vcc_lo :: v_dual_cndmask_b32 v10, v75, v10, vcc_lo
	v_lshlrev_b64_e32 v[4:5], 3, v[8:9]
	v_cndmask_b32_e64 v12, 1, v72, s0
	v_cmp_ne_u32_e64 s0, 5, v3
	s_delay_alu instid0(VALU_DEP_4) | instskip(SKIP_1) | instid1(VALU_DEP_3)
	v_cmp_ne_u32_e64 s12, 0, v10
	v_cmp_ne_u32_e64 s13, 0, v58
	v_cndmask_b32_e64 v13, 1, v71, s0
	v_cmp_ne_u32_e64 s0, 6, v3
	v_dual_cndmask_b32 v11, v74, v11 :: v_dual_cndmask_b32 v12, v72, v12
	s_delay_alu instid0(VALU_DEP_3) | instskip(NEXT) | instid1(VALU_DEP_3)
	v_cndmask_b32_e32 v13, v71, v13, vcc_lo
	v_cndmask_b32_e64 v14, 1, v73, s0
	v_cmp_ne_u32_e64 s0, 7, v3
	s_delay_alu instid0(VALU_DEP_4) | instskip(SKIP_1) | instid1(VALU_DEP_3)
	v_cmp_ne_u32_e64 s11, 0, v11
	v_cmp_ne_u32_e64 s10, 0, v12
	v_cndmask_b32_e64 v15, 1, v68, s0
	v_cmp_ne_u32_e64 s0, 8, v3
	s_delay_alu instid0(VALU_DEP_2) | instskip(NEXT) | instid1(VALU_DEP_2)
	v_dual_cndmask_b32 v14, v73, v14 :: v_dual_cndmask_b32 v15, v68, v15
	v_cndmask_b32_e64 v16, 1, v66, s0
	v_cmp_ne_u32_e64 s0, 9, v3
	s_delay_alu instid0(VALU_DEP_3) | instskip(NEXT) | instid1(VALU_DEP_4)
	v_cmp_ne_u32_e64 s8, 0, v14
	v_cmp_ne_u32_e64 s7, 0, v15
	s_delay_alu instid0(VALU_DEP_3) | instskip(SKIP_1) | instid1(VALU_DEP_1)
	v_cndmask_b32_e64 v19, 1, v65, s0
	v_cmp_ne_u32_e64 s0, 10, v3
	v_dual_cndmask_b32 v19, v65, v19, vcc_lo :: v_dual_cndmask_b32 v26, 1, v17, s0
	v_cmp_ne_u32_e64 s0, 12, v3
	s_delay_alu instid0(VALU_DEP_2) | instskip(NEXT) | instid1(VALU_DEP_2)
	v_cmp_ne_u32_e64 s5, 0, v19
	v_cndmask_b32_e64 v27, 1, v70, s0
	v_cmp_ne_u32_e64 s0, 14, v3
	v_dual_cndmask_b32 v16, v66, v16 :: v_dual_cndmask_b32 v17, v17, v26
	s_delay_alu instid0(VALU_DEP_3) | instskip(NEXT) | instid1(VALU_DEP_3)
	v_cndmask_b32_e32 v27, v70, v27, vcc_lo
	v_cndmask_b32_e64 v46, 1, v67, s0
	v_cmp_ne_u32_e64 s0, 13, v3
	s_delay_alu instid0(VALU_DEP_4) | instskip(SKIP_2) | instid1(VALU_DEP_4)
	v_cmp_ne_u32_e64 s6, 0, v16
	v_cmp_ne_u32_e64 s4, 0, v17
	;; [unrolled: 1-line block ×3, first 2 shown]
	v_cndmask_b32_e64 v47, 1, v69, s0
	v_cmp_ne_u32_e64 s0, 11, v3
	v_lshlrev_b64_e32 v[2:3], 3, v[20:21]
	s_delay_alu instid0(VALU_DEP_3) | instskip(NEXT) | instid1(VALU_DEP_3)
	v_dual_cndmask_b32 v46, v67, v46 :: v_dual_cndmask_b32 v47, v69, v47
	v_cndmask_b32_e64 v48, 1, v64, s0
	v_cmp_eq_u32_e64 s0, 0, v49
	s_delay_alu instid0(VALU_DEP_4) | instskip(NEXT) | instid1(VALU_DEP_4)
	v_add_nc_u64_e32 v[2:3], s[30:31], v[2:3]
	v_cmp_ne_u32_e64 s1, 0, v47
	s_delay_alu instid0(VALU_DEP_4) | instskip(NEXT) | instid1(VALU_DEP_4)
	v_cndmask_b32_e32 v48, v64, v48, vcc_lo
	v_cndmask_b32_e64 v59, 1, 2, s0
	v_cmp_eq_u32_e64 s0, 0, v58
	v_cmp_eq_u32_e32 vcc_lo, 0, v19
	v_add_nc_u64_e32 v[2:3], v[2:3], v[4:5]
	v_lshlrev_b32_e32 v4, 3, v7
	s_delay_alu instid0(VALU_DEP_4) | instskip(SKIP_4) | instid1(VALU_DEP_4)
	v_cndmask_b32_e64 v60, 1, 2, s0
	v_cmp_eq_u32_e64 s0, 0, v10
	v_dual_mov_b32 v5, 0 :: v_dual_add_nc_u32 v7, v8, v7
	v_cmp_ne_u32_e64 s9, 0, v13
	v_cmp_ne_u32_e64 s3, 0, v48
	v_cndmask_b32_e64 v61, 1, 2, s0
	v_cmp_eq_u32_e64 s0, 0, v11
	v_add_nc_u64_e32 v[4:5], v[2:3], v[4:5]
	s_delay_alu instid0(VALU_DEP_3) | instskip(NEXT) | instid1(VALU_DEP_3)
	v_bitop3_b16 v59, v60, v61, v59 bitop3:0x80
	v_cndmask_b32_e64 v60, 1, 2, s0
	v_cmp_eq_u32_e64 s0, 0, v12
	s_delay_alu instid0(VALU_DEP_4) | instskip(NEXT) | instid1(VALU_DEP_2)
	v_add_nc_u64_e32 v[4:5], -8, v[4:5]
	v_cndmask_b32_e64 v61, 1, 2, s0
	v_cmp_eq_u32_e64 s0, 0, v13
	s_delay_alu instid0(VALU_DEP_2) | instskip(NEXT) | instid1(VALU_DEP_2)
	v_bitop3_b16 v59, v59, v61, v60 bitop3:0x80
	v_cndmask_b32_e64 v60, 1, 2, s0
	v_cmp_eq_u32_e64 s0, 0, v14
	s_delay_alu instid0(VALU_DEP_1) | instskip(SKIP_1) | instid1(VALU_DEP_2)
	v_cndmask_b32_e64 v61, 1, 2, s0
	v_cmp_eq_u32_e64 s0, 0, v15
	v_bitop3_b16 v59, v59, v61, v60 bitop3:0x80
	s_delay_alu instid0(VALU_DEP_2) | instskip(SKIP_1) | instid1(VALU_DEP_1)
	v_cndmask_b32_e64 v60, 1, 2, s0
	v_cmp_eq_u32_e64 s0, 0, v16
	v_cndmask_b32_e64 v61, 1, 2, s0
	v_cmp_ne_u32_e64 s0, 0, v46
	s_delay_alu instid0(VALU_DEP_2) | instskip(SKIP_4) | instid1(VALU_DEP_2)
	v_bitop3_b16 v26, v59, v61, v60 bitop3:0x80
	v_cndmask_b32_e64 v59, 1, 2, vcc_lo
	v_cmp_eq_u32_e32 vcc_lo, 0, v17
	v_cndmask_b32_e64 v60, 1, 2, vcc_lo
	v_cmp_eq_u32_e32 vcc_lo, 0, v48
	v_bitop3_b16 v10, v26, v60, v59 bitop3:0x80
	v_cndmask_b32_e64 v11, 1, 2, vcc_lo
	v_cmp_eq_u32_e32 vcc_lo, 0, v27
	v_cndmask_b32_e64 v26, 1, 2, vcc_lo
	v_cmp_eq_u32_e32 vcc_lo, 0, v47
	s_delay_alu instid0(VALU_DEP_2) | instskip(SKIP_4) | instid1(VALU_DEP_2)
	v_bitop3_b16 v10, v10, v26, v11 bitop3:0x80
	v_cndmask_b32_e64 v11, 1, 2, vcc_lo
	v_cmp_eq_u32_e32 vcc_lo, 0, v46
	v_cndmask_b32_e64 v12, 1, 2, vcc_lo
	v_cmp_gt_u32_e32 vcc_lo, 0x100, v1
	v_bitop3_b16 v10, v10, v12, v11 bitop3:0x80
	s_delay_alu instid0(VALU_DEP_1)
	v_cmp_gt_i16_e64 s15, 2, v10
	s_cbranch_vccnz .LBB952_132
; %bb.129:
	s_and_b32 vcc_lo, exec_lo, s16
	s_cbranch_vccnz .LBB952_138
.LBB952_130:
	v_cmp_eq_u32_e32 vcc_lo, 0xff, v0
	s_and_b32 s0, vcc_lo, s19
	s_delay_alu instid0(SALU_CYCLE_1)
	s_and_saveexec_b32 s1, s0
	s_cbranch_execnz .LBB952_147
.LBB952_131:
	s_sendmsg sendmsg(MSG_DEALLOC_VGPRS)
	s_endpgm
.LBB952_132:
	s_and_saveexec_b32 s16, s15
	s_cbranch_execz .LBB952_137
; %bb.133:
	s_mov_b32 s17, 0
	s_mov_b32 s15, exec_lo
	v_cmpx_ne_u16_e32 1, v10
	s_xor_b32 s15, exec_lo, s15
	s_cbranch_execnz .LBB952_183
; %bb.134:
	s_and_not1_saveexec_b32 s15, s15
	s_cbranch_execnz .LBB952_199
.LBB952_135:
	s_or_b32 exec_lo, exec_lo, s15
	s_delay_alu instid0(SALU_CYCLE_1)
	s_and_b32 exec_lo, exec_lo, s17
	s_cbranch_execz .LBB952_137
.LBB952_136:
	v_dual_mov_b32 v13, 0 :: v_dual_mov_b32 v12, v23
	v_sub_nc_u32_e32 v11, v22, v7
	v_readfirstlane_b32 s20, v4
	v_readfirstlane_b32 s21, v5
	global_store_b64 v11, v[12:13], s[20:21] scale_offset
.LBB952_137:
	s_wait_xcnt 0x0
	s_or_b32 exec_lo, exec_lo, s16
	s_branch .LBB952_130
.LBB952_138:
	s_mov_b32 s15, exec_lo
	v_cmpx_gt_i16_e32 2, v10
	s_cbranch_execz .LBB952_143
; %bb.139:
	s_mov_b32 s17, 0
	s_mov_b32 s16, exec_lo
	v_cmpx_ne_u16_e32 1, v10
	s_xor_b32 s16, exec_lo, s16
	s_cbranch_execnz .LBB952_200
; %bb.140:
	s_and_not1_saveexec_b32 s0, s16
	s_cbranch_execnz .LBB952_216
.LBB952_141:
	s_or_b32 exec_lo, exec_lo, s0
	s_delay_alu instid0(SALU_CYCLE_1)
	s_and_b32 exec_lo, exec_lo, s17
.LBB952_142:
	v_sub_nc_u32_e32 v7, v22, v7
	s_delay_alu instid0(VALU_DEP_1)
	v_lshlrev_b32_e32 v7, 2, v7
	ds_store_b32 v7, v23
.LBB952_143:
	s_or_b32 exec_lo, exec_lo, s15
	s_delay_alu instid0(SALU_CYCLE_1)
	s_mov_b32 s0, exec_lo
	s_wait_storecnt_dscnt 0x0
	s_barrier_signal -1
	s_barrier_wait -1
	v_cmpx_lt_u32_e64 v0, v1
	s_cbranch_execz .LBB952_146
; %bb.144:
	v_dual_lshlrev_b32 v7, 2, v0 :: v_dual_mov_b32 v11, 0
	v_mov_b32_e32 v12, v0
	s_mov_b32 s1, 0
.LBB952_145:                            ; =>This Inner Loop Header: Depth=1
	ds_load_b32 v10, v7
	v_readfirstlane_b32 s2, v4
	v_readfirstlane_b32 s3, v5
	v_add_nc_u32_e32 v7, 0x400, v7
	s_wait_dscnt 0x0
	global_store_b64 v12, v[10:11], s[2:3] scale_offset
	s_wait_xcnt 0x0
	v_add_nc_u32_e32 v12, 0x100, v12
	s_delay_alu instid0(VALU_DEP_1) | instskip(SKIP_1) | instid1(SALU_CYCLE_1)
	v_cmp_ge_u32_e32 vcc_lo, v12, v1
	s_or_b32 s1, vcc_lo, s1
	s_and_not1_b32 exec_lo, exec_lo, s1
	s_cbranch_execnz .LBB952_145
.LBB952_146:
	s_or_b32 exec_lo, exec_lo, s0
	v_cmp_eq_u32_e32 vcc_lo, 0xff, v0
	s_and_b32 s0, vcc_lo, s19
	s_delay_alu instid0(SALU_CYCLE_1)
	s_and_saveexec_b32 s1, s0
	s_cbranch_execz .LBB952_131
.LBB952_147:
	v_mov_b32_e32 v7, 0
	s_cmp_lg_u32 s25, 0xf00
	s_delay_alu instid0(VALU_DEP_1) | instskip(NEXT) | instid1(VALU_DEP_1)
	v_add_nc_u64_e32 v[0:1], v[6:7], v[8:9]
	v_add_nc_u64_e32 v[0:1], v[0:1], v[20:21]
	global_store_b64 v7, v[0:1], s[34:35]
	s_cbranch_scc1 .LBB952_131
; %bb.148:
	s_wait_xcnt 0x0
	v_lshlrev_b64_e32 v[0:1], 3, v[6:7]
	v_mov_b32_e32 v19, v7
	s_delay_alu instid0(VALU_DEP_2)
	v_add_nc_u64_e32 v[0:1], v[2:3], v[0:1]
	global_store_b64 v[0:1], v[18:19], off offset:-8
	s_sendmsg sendmsg(MSG_DEALLOC_VGPRS)
	s_endpgm
.LBB952_149:
	s_and_saveexec_b32 s18, s15
	s_cbranch_execnz .LBB952_217
; %bb.150:
	s_or_b32 exec_lo, exec_lo, s18
	s_and_saveexec_b32 s18, s14
	s_cbranch_execnz .LBB952_218
.LBB952_151:
	s_or_b32 exec_lo, exec_lo, s18
	s_and_saveexec_b32 s18, s13
	s_cbranch_execnz .LBB952_219
.LBB952_152:
	s_or_b32 exec_lo, exec_lo, s18
	s_and_saveexec_b32 s18, s12
	s_cbranch_execnz .LBB952_220
.LBB952_153:
	s_or_b32 exec_lo, exec_lo, s18
	s_and_saveexec_b32 s18, s11
	s_cbranch_execnz .LBB952_221
.LBB952_154:
	s_or_b32 exec_lo, exec_lo, s18
	s_and_saveexec_b32 s18, s10
	s_cbranch_execnz .LBB952_222
.LBB952_155:
	s_or_b32 exec_lo, exec_lo, s18
	s_and_saveexec_b32 s18, s9
	s_cbranch_execnz .LBB952_223
.LBB952_156:
	s_or_b32 exec_lo, exec_lo, s18
	s_and_saveexec_b32 s18, s8
	s_cbranch_execnz .LBB952_224
.LBB952_157:
	s_or_b32 exec_lo, exec_lo, s18
	s_and_saveexec_b32 s18, s7
	s_cbranch_execnz .LBB952_225
.LBB952_158:
	s_or_b32 exec_lo, exec_lo, s18
	s_and_saveexec_b32 s18, s6
	s_cbranch_execnz .LBB952_226
.LBB952_159:
	s_or_b32 exec_lo, exec_lo, s18
	s_and_saveexec_b32 s18, s5
	s_cbranch_execnz .LBB952_227
.LBB952_160:
	s_or_b32 exec_lo, exec_lo, s18
	s_and_saveexec_b32 s18, s4
	s_cbranch_execnz .LBB952_228
.LBB952_161:
	s_or_b32 exec_lo, exec_lo, s18
	s_and_saveexec_b32 s18, s3
	s_cbranch_execnz .LBB952_229
.LBB952_162:
	s_or_b32 exec_lo, exec_lo, s18
	s_and_saveexec_b32 s18, s1
	s_cbranch_execz .LBB952_164
.LBB952_163:
	v_sub_nc_u32_e32 v10, v30, v8
	v_readfirstlane_b32 s20, v26
	v_readfirstlane_b32 s21, v27
	global_store_b16 v10, v16, s[20:21] scale_offset
.LBB952_164:
	s_wait_xcnt 0x0
	s_or_b32 exec_lo, exec_lo, s18
	s_delay_alu instid0(SALU_CYCLE_1)
	s_and_b32 s18, s0, exec_lo
	s_and_not1_saveexec_b32 s16, s16
	s_cbranch_execz .LBB952_103
.LBB952_165:
	v_dual_sub_nc_u32 v10, v52, v8 :: v_dual_sub_nc_u32 v12, v54, v8
	v_readfirstlane_b32 s20, v26
	v_readfirstlane_b32 s21, v27
	v_dual_sub_nc_u32 v11, v56, v8 :: v_dual_sub_nc_u32 v13, v50, v8
	s_clause 0x2
	global_store_b16 v10, v78, s[20:21] scale_offset
	global_store_b16 v11, v2, s[20:21] scale_offset
	;; [unrolled: 1-line block ×3, first 2 shown]
	s_wait_xcnt 0x2
	v_sub_nc_u32_e32 v10, v42, v8
	s_wait_xcnt 0x1
	v_sub_nc_u32_e32 v11, v38, v8
	;; [unrolled: 2-line block ×3, first 2 shown]
	global_store_b16 v13, v3, s[20:21] scale_offset
	s_wait_xcnt 0x0
	v_sub_nc_u32_e32 v13, v40, v8
	global_store_b16 v10, v82, s[20:21] scale_offset
	s_wait_xcnt 0x0
	v_sub_nc_u32_e32 v10, v44, v8
	s_clause 0x2
	global_store_b16 v11, v4, s[20:21] scale_offset
	global_store_b16 v12, v81, s[20:21] scale_offset
	;; [unrolled: 1-line block ×3, first 2 shown]
	s_wait_xcnt 0x2
	v_sub_nc_u32_e32 v11, v24, v8
	s_wait_xcnt 0x1
	v_sub_nc_u32_e32 v12, v32, v8
	;; [unrolled: 2-line block ×3, first 2 shown]
	global_store_b16 v10, v80, s[20:21] scale_offset
	s_wait_xcnt 0x0
	v_sub_nc_u32_e32 v10, v28, v8
	global_store_b16 v11, v14, s[20:21] scale_offset
	s_wait_xcnt 0x0
	v_sub_nc_u32_e32 v11, v30, v8
	s_or_b32 s18, s18, exec_lo
	s_clause 0x3
	global_store_b16 v10, v79, s[20:21] scale_offset
	global_store_b16 v12, v15, s[20:21] scale_offset
	;; [unrolled: 1-line block ×4, first 2 shown]
	s_wait_xcnt 0x0
	s_or_b32 exec_lo, exec_lo, s16
	s_delay_alu instid0(SALU_CYCLE_1)
	s_and_b32 exec_lo, exec_lo, s18
	s_cbranch_execnz .LBB952_104
	s_branch .LBB952_105
.LBB952_166:
	s_and_saveexec_b32 s18, s15
	s_cbranch_execnz .LBB952_230
; %bb.167:
	s_or_b32 exec_lo, exec_lo, s18
	s_and_saveexec_b32 s15, s14
	s_cbranch_execnz .LBB952_231
.LBB952_168:
	s_or_b32 exec_lo, exec_lo, s15
	s_and_saveexec_b32 s14, s13
	s_cbranch_execnz .LBB952_232
.LBB952_169:
	s_or_b32 exec_lo, exec_lo, s14
	s_and_saveexec_b32 s13, s12
	s_cbranch_execnz .LBB952_233
.LBB952_170:
	s_or_b32 exec_lo, exec_lo, s13
	s_and_saveexec_b32 s12, s11
	s_cbranch_execnz .LBB952_234
.LBB952_171:
	s_or_b32 exec_lo, exec_lo, s12
	s_and_saveexec_b32 s11, s10
	s_cbranch_execnz .LBB952_235
.LBB952_172:
	s_or_b32 exec_lo, exec_lo, s11
	s_and_saveexec_b32 s10, s9
	s_cbranch_execnz .LBB952_236
.LBB952_173:
	s_or_b32 exec_lo, exec_lo, s10
	s_and_saveexec_b32 s9, s8
	s_cbranch_execnz .LBB952_237
.LBB952_174:
	s_or_b32 exec_lo, exec_lo, s9
	s_and_saveexec_b32 s8, s7
	s_cbranch_execnz .LBB952_238
.LBB952_175:
	s_or_b32 exec_lo, exec_lo, s8
	s_and_saveexec_b32 s7, s6
	s_cbranch_execnz .LBB952_239
.LBB952_176:
	s_or_b32 exec_lo, exec_lo, s7
	s_and_saveexec_b32 s6, s5
	s_cbranch_execnz .LBB952_240
.LBB952_177:
	s_or_b32 exec_lo, exec_lo, s6
	s_and_saveexec_b32 s5, s4
	s_cbranch_execnz .LBB952_241
.LBB952_178:
	s_or_b32 exec_lo, exec_lo, s5
	s_and_saveexec_b32 s4, s3
	s_cbranch_execnz .LBB952_242
.LBB952_179:
	s_or_b32 exec_lo, exec_lo, s4
	s_and_saveexec_b32 s3, s1
.LBB952_180:
	v_sub_nc_u32_e32 v2, v30, v8
	s_delay_alu instid0(VALU_DEP_1)
	v_lshlrev_b32_e32 v2, 1, v2
	ds_store_b16 v2, v16
.LBB952_181:
	s_or_b32 exec_lo, exec_lo, s3
	s_delay_alu instid0(SALU_CYCLE_1)
	s_and_b32 s18, s0, exec_lo
                                        ; implicit-def: $vgpr2
                                        ; implicit-def: $vgpr14
                                        ; implicit-def: $vgpr78
                                        ; implicit-def: $vgpr83
                                        ; implicit-def: $vgpr82
                                        ; implicit-def: $vgpr81
                                        ; implicit-def: $vgpr80
                                        ; implicit-def: $vgpr79
                                        ; implicit-def: $vgpr77
	s_and_not1_saveexec_b32 s0, s17
	s_cbranch_execz .LBB952_110
.LBB952_182:
	v_dual_sub_nc_u32 v7, v52, v8 :: v_dual_sub_nc_u32 v11, v54, v8
	v_dual_sub_nc_u32 v10, v56, v8 :: v_dual_sub_nc_u32 v12, v50, v8
	s_or_b32 s18, s18, exec_lo
	s_delay_alu instid0(VALU_DEP_2) | instskip(NEXT) | instid1(VALU_DEP_2)
	v_lshlrev_b32_e32 v7, 1, v7
	v_dual_lshlrev_b32 v11, 1, v11 :: v_dual_lshlrev_b32 v10, 1, v10
	s_delay_alu instid0(VALU_DEP_3)
	v_lshlrev_b32_e32 v12, 1, v12
	ds_store_b16 v7, v78
	ds_store_b16 v10, v2
	;; [unrolled: 1-line block ×3, first 2 shown]
	v_dual_sub_nc_u32 v2, v42, v8 :: v_dual_sub_nc_u32 v10, v40, v8
	ds_store_b16 v12, v3
	v_sub_nc_u32_e32 v3, v38, v8
	v_dual_sub_nc_u32 v7, v34, v8 :: v_dual_sub_nc_u32 v11, v44, v8
	v_lshlrev_b32_e32 v2, 1, v2
	s_delay_alu instid0(VALU_DEP_3) | instskip(NEXT) | instid1(VALU_DEP_3)
	v_dual_lshlrev_b32 v10, 1, v10 :: v_dual_lshlrev_b32 v3, 1, v3
	v_lshlrev_b32_e32 v7, 1, v7
	ds_store_b16 v2, v82
	v_lshlrev_b32_e32 v2, 1, v11
	ds_store_b16 v3, v4
	ds_store_b16 v7, v81
	;; [unrolled: 1-line block ×3, first 2 shown]
	v_sub_nc_u32_e32 v3, v24, v8
	v_sub_nc_u32_e32 v4, v32, v8
	v_dual_sub_nc_u32 v5, v36, v8 :: v_dual_sub_nc_u32 v7, v30, v8
	ds_store_b16 v2, v80
	v_dual_sub_nc_u32 v2, v28, v8 :: v_dual_lshlrev_b32 v3, 1, v3
	v_dual_lshlrev_b32 v5, 1, v5 :: v_dual_lshlrev_b32 v4, 1, v4
	s_delay_alu instid0(VALU_DEP_2)
	v_lshlrev_b32_e32 v2, 1, v2
	ds_store_b16 v3, v14
	v_lshlrev_b32_e32 v3, 1, v7
	ds_store_b16 v2, v79
	ds_store_b16 v4, v15
	;; [unrolled: 1-line block ×4, first 2 shown]
	s_or_b32 exec_lo, exec_lo, s0
	s_delay_alu instid0(SALU_CYCLE_1)
	s_and_b32 exec_lo, exec_lo, s18
	s_cbranch_execnz .LBB952_111
	s_branch .LBB952_112
.LBB952_183:
	s_and_saveexec_b32 s17, s14
	s_cbranch_execnz .LBB952_243
; %bb.184:
	s_or_b32 exec_lo, exec_lo, s17
	s_and_saveexec_b32 s17, s13
	s_cbranch_execnz .LBB952_244
.LBB952_185:
	s_or_b32 exec_lo, exec_lo, s17
	s_and_saveexec_b32 s17, s12
	s_cbranch_execnz .LBB952_245
.LBB952_186:
	s_or_b32 exec_lo, exec_lo, s17
	s_and_saveexec_b32 s17, s11
	s_cbranch_execnz .LBB952_246
.LBB952_187:
	s_or_b32 exec_lo, exec_lo, s17
	s_and_saveexec_b32 s17, s10
	s_cbranch_execnz .LBB952_247
.LBB952_188:
	s_or_b32 exec_lo, exec_lo, s17
	s_and_saveexec_b32 s17, s9
	s_cbranch_execnz .LBB952_248
.LBB952_189:
	s_or_b32 exec_lo, exec_lo, s17
	s_and_saveexec_b32 s17, s8
	s_cbranch_execnz .LBB952_249
.LBB952_190:
	s_or_b32 exec_lo, exec_lo, s17
	s_and_saveexec_b32 s17, s7
	s_cbranch_execnz .LBB952_250
.LBB952_191:
	s_or_b32 exec_lo, exec_lo, s17
	s_and_saveexec_b32 s17, s6
	s_cbranch_execnz .LBB952_251
.LBB952_192:
	s_or_b32 exec_lo, exec_lo, s17
	s_and_saveexec_b32 s17, s5
	s_cbranch_execnz .LBB952_252
.LBB952_193:
	s_or_b32 exec_lo, exec_lo, s17
	s_and_saveexec_b32 s17, s4
	s_cbranch_execnz .LBB952_253
.LBB952_194:
	s_or_b32 exec_lo, exec_lo, s17
	s_and_saveexec_b32 s17, s3
	s_cbranch_execnz .LBB952_254
.LBB952_195:
	s_or_b32 exec_lo, exec_lo, s17
	s_and_saveexec_b32 s17, s2
	s_cbranch_execnz .LBB952_255
.LBB952_196:
	s_or_b32 exec_lo, exec_lo, s17
	s_and_saveexec_b32 s17, s1
	s_cbranch_execz .LBB952_198
.LBB952_197:
	v_dual_sub_nc_u32 v11, v30, v7 :: v_dual_mov_b32 v13, 0
	v_mov_b32_e32 v12, v31
	v_readfirstlane_b32 s20, v4
	v_readfirstlane_b32 s21, v5
	global_store_b64 v11, v[12:13], s[20:21] scale_offset
.LBB952_198:
	s_wait_xcnt 0x0
	s_or_b32 exec_lo, exec_lo, s17
	s_delay_alu instid0(SALU_CYCLE_1)
	s_and_b32 s17, s0, exec_lo
	s_and_not1_saveexec_b32 s15, s15
	s_cbranch_execz .LBB952_135
.LBB952_199:
	v_dual_mov_b32 v13, 0 :: v_dual_mov_b32 v12, v53
	v_sub_nc_u32_e32 v11, v52, v7
	v_readfirstlane_b32 s20, v4
	v_readfirstlane_b32 s21, v5
	v_sub_nc_u32_e32 v14, v54, v7
	s_or_b32 s17, s17, exec_lo
	global_store_b64 v11, v[12:13], s[20:21] scale_offset
	s_wait_xcnt 0x0
	v_dual_mov_b32 v12, v57 :: v_dual_sub_nc_u32 v11, v56, v7
	global_store_b64 v11, v[12:13], s[20:21] scale_offset
	s_wait_xcnt 0x0
	v_dual_mov_b32 v12, v55 :: v_dual_sub_nc_u32 v11, v50, v7
	;; [unrolled: 3-line block ×12, first 2 shown]
	global_store_b64 v14, v[12:13], s[20:21] scale_offset
	s_wait_xcnt 0x0
	v_mov_b32_e32 v12, v31
	global_store_b64 v11, v[12:13], s[20:21] scale_offset
	s_wait_xcnt 0x0
	s_or_b32 exec_lo, exec_lo, s15
	s_delay_alu instid0(SALU_CYCLE_1)
	s_and_b32 exec_lo, exec_lo, s17
	s_cbranch_execnz .LBB952_136
	s_branch .LBB952_137
.LBB952_200:
	s_and_saveexec_b32 s17, s14
	s_cbranch_execnz .LBB952_256
; %bb.201:
	s_or_b32 exec_lo, exec_lo, s17
	s_and_saveexec_b32 s14, s13
	s_cbranch_execnz .LBB952_257
.LBB952_202:
	s_or_b32 exec_lo, exec_lo, s14
	s_and_saveexec_b32 s13, s12
	s_cbranch_execnz .LBB952_258
.LBB952_203:
	s_or_b32 exec_lo, exec_lo, s13
	s_and_saveexec_b32 s12, s11
	s_cbranch_execnz .LBB952_259
.LBB952_204:
	s_or_b32 exec_lo, exec_lo, s12
	s_and_saveexec_b32 s11, s10
	s_cbranch_execnz .LBB952_260
.LBB952_205:
	s_or_b32 exec_lo, exec_lo, s11
	s_and_saveexec_b32 s10, s9
	s_cbranch_execnz .LBB952_261
.LBB952_206:
	s_or_b32 exec_lo, exec_lo, s10
	s_and_saveexec_b32 s9, s8
	s_cbranch_execnz .LBB952_262
.LBB952_207:
	s_or_b32 exec_lo, exec_lo, s9
	s_and_saveexec_b32 s8, s7
	s_cbranch_execnz .LBB952_263
.LBB952_208:
	s_or_b32 exec_lo, exec_lo, s8
	s_and_saveexec_b32 s7, s6
	s_cbranch_execnz .LBB952_264
.LBB952_209:
	s_or_b32 exec_lo, exec_lo, s7
	s_and_saveexec_b32 s6, s5
	s_cbranch_execnz .LBB952_265
.LBB952_210:
	s_or_b32 exec_lo, exec_lo, s6
	s_and_saveexec_b32 s5, s4
	s_cbranch_execnz .LBB952_266
.LBB952_211:
	s_or_b32 exec_lo, exec_lo, s5
	s_and_saveexec_b32 s4, s3
	s_cbranch_execnz .LBB952_267
.LBB952_212:
	s_or_b32 exec_lo, exec_lo, s4
	s_and_saveexec_b32 s3, s2
	s_cbranch_execnz .LBB952_268
.LBB952_213:
	s_or_b32 exec_lo, exec_lo, s3
	s_and_saveexec_b32 s2, s1
.LBB952_214:
	v_sub_nc_u32_e32 v10, v30, v7
	s_delay_alu instid0(VALU_DEP_1)
	v_lshlrev_b32_e32 v10, 2, v10
	ds_store_b32 v10, v31
.LBB952_215:
	s_or_b32 exec_lo, exec_lo, s2
	s_delay_alu instid0(SALU_CYCLE_1)
	s_and_b32 s17, s0, exec_lo
                                        ; implicit-def: $vgpr30_vgpr31
                                        ; implicit-def: $vgpr36_vgpr37
                                        ; implicit-def: $vgpr32_vgpr33
                                        ; implicit-def: $vgpr52_vgpr53
                                        ; implicit-def: $vgpr56_vgpr57
                                        ; implicit-def: $vgpr54_vgpr55
                                        ; implicit-def: $vgpr50_vgpr51
                                        ; implicit-def: $vgpr42_vgpr43
                                        ; implicit-def: $vgpr38_vgpr39
                                        ; implicit-def: $vgpr34_vgpr35
                                        ; implicit-def: $vgpr40_vgpr41
                                        ; implicit-def: $vgpr44_vgpr45
                                        ; implicit-def: $vgpr24_vgpr25
                                        ; implicit-def: $vgpr28_vgpr29
	s_and_not1_saveexec_b32 s0, s16
	s_cbranch_execz .LBB952_141
.LBB952_216:
	v_dual_sub_nc_u32 v10, v52, v7 :: v_dual_sub_nc_u32 v12, v54, v7
	v_dual_sub_nc_u32 v11, v56, v7 :: v_dual_sub_nc_u32 v13, v50, v7
	s_or_b32 s17, s17, exec_lo
	s_delay_alu instid0(VALU_DEP_2) | instskip(NEXT) | instid1(VALU_DEP_2)
	v_dual_lshlrev_b32 v10, 2, v10 :: v_dual_lshlrev_b32 v12, 2, v12
	v_dual_lshlrev_b32 v11, 2, v11 :: v_dual_lshlrev_b32 v13, 2, v13
	ds_store_b32 v10, v53
	ds_store_b32 v11, v57
	;; [unrolled: 1-line block ×3, first 2 shown]
	v_sub_nc_u32_e32 v10, v42, v7
	ds_store_b32 v13, v51
	v_dual_sub_nc_u32 v13, v40, v7 :: v_dual_sub_nc_u32 v11, v38, v7
	v_dual_sub_nc_u32 v12, v34, v7 :: v_dual_sub_nc_u32 v14, v44, v7
	s_delay_alu instid0(VALU_DEP_2) | instskip(NEXT) | instid1(VALU_DEP_2)
	v_dual_lshlrev_b32 v10, 2, v10 :: v_dual_lshlrev_b32 v13, 2, v13
	v_dual_lshlrev_b32 v11, 2, v11 :: v_dual_lshlrev_b32 v12, 2, v12
	ds_store_b32 v10, v43
	v_lshlrev_b32_e32 v10, 2, v14
	ds_store_b32 v11, v39
	ds_store_b32 v12, v35
	;; [unrolled: 1-line block ×3, first 2 shown]
	v_dual_sub_nc_u32 v11, v24, v7 :: v_dual_sub_nc_u32 v14, v30, v7
	v_sub_nc_u32_e32 v12, v32, v7
	ds_store_b32 v10, v45
	v_sub_nc_u32_e32 v10, v28, v7
	v_sub_nc_u32_e32 v13, v36, v7
	v_dual_lshlrev_b32 v11, 2, v11 :: v_dual_lshlrev_b32 v12, 2, v12
	s_delay_alu instid0(VALU_DEP_3)
	v_lshlrev_b32_e32 v10, 2, v10
	ds_store_b32 v11, v25
	v_dual_lshlrev_b32 v11, 2, v14 :: v_dual_lshlrev_b32 v13, 2, v13
	ds_store_b32 v10, v29
	ds_store_b32 v12, v33
	;; [unrolled: 1-line block ×4, first 2 shown]
	s_or_b32 exec_lo, exec_lo, s0
	s_delay_alu instid0(SALU_CYCLE_1)
	s_and_b32 exec_lo, exec_lo, s17
	s_cbranch_execnz .LBB952_142
	s_branch .LBB952_143
.LBB952_217:
	v_sub_nc_u32_e32 v10, v52, v8
	v_readfirstlane_b32 s20, v26
	v_readfirstlane_b32 s21, v27
	global_store_b16 v10, v78, s[20:21] scale_offset
	s_wait_xcnt 0x0
	s_or_b32 exec_lo, exec_lo, s18
	s_and_saveexec_b32 s18, s14
	s_cbranch_execz .LBB952_151
.LBB952_218:
	v_sub_nc_u32_e32 v10, v56, v8
	v_readfirstlane_b32 s20, v26
	v_readfirstlane_b32 s21, v27
	global_store_b16 v10, v2, s[20:21] scale_offset
	s_wait_xcnt 0x0
	s_or_b32 exec_lo, exec_lo, s18
	s_and_saveexec_b32 s18, s13
	s_cbranch_execz .LBB952_152
.LBB952_219:
	v_sub_nc_u32_e32 v10, v54, v8
	v_readfirstlane_b32 s20, v26
	v_readfirstlane_b32 s21, v27
	global_store_b16 v10, v83, s[20:21] scale_offset
	s_wait_xcnt 0x0
	s_or_b32 exec_lo, exec_lo, s18
	s_and_saveexec_b32 s18, s12
	s_cbranch_execz .LBB952_153
.LBB952_220:
	v_sub_nc_u32_e32 v10, v50, v8
	v_readfirstlane_b32 s20, v26
	v_readfirstlane_b32 s21, v27
	global_store_b16 v10, v3, s[20:21] scale_offset
	s_wait_xcnt 0x0
	s_or_b32 exec_lo, exec_lo, s18
	s_and_saveexec_b32 s18, s11
	s_cbranch_execz .LBB952_154
.LBB952_221:
	v_sub_nc_u32_e32 v10, v42, v8
	v_readfirstlane_b32 s20, v26
	v_readfirstlane_b32 s21, v27
	global_store_b16 v10, v82, s[20:21] scale_offset
	s_wait_xcnt 0x0
	s_or_b32 exec_lo, exec_lo, s18
	s_and_saveexec_b32 s18, s10
	s_cbranch_execz .LBB952_155
.LBB952_222:
	v_sub_nc_u32_e32 v10, v38, v8
	v_readfirstlane_b32 s20, v26
	v_readfirstlane_b32 s21, v27
	global_store_b16 v10, v4, s[20:21] scale_offset
	s_wait_xcnt 0x0
	s_or_b32 exec_lo, exec_lo, s18
	s_and_saveexec_b32 s18, s9
	s_cbranch_execz .LBB952_156
.LBB952_223:
	v_sub_nc_u32_e32 v10, v34, v8
	v_readfirstlane_b32 s20, v26
	v_readfirstlane_b32 s21, v27
	global_store_b16 v10, v81, s[20:21] scale_offset
	s_wait_xcnt 0x0
	s_or_b32 exec_lo, exec_lo, s18
	s_and_saveexec_b32 s18, s8
	s_cbranch_execz .LBB952_157
.LBB952_224:
	v_sub_nc_u32_e32 v10, v40, v8
	v_readfirstlane_b32 s20, v26
	v_readfirstlane_b32 s21, v27
	global_store_b16 v10, v5, s[20:21] scale_offset
	s_wait_xcnt 0x0
	s_or_b32 exec_lo, exec_lo, s18
	s_and_saveexec_b32 s18, s7
	s_cbranch_execz .LBB952_158
.LBB952_225:
	v_sub_nc_u32_e32 v10, v44, v8
	v_readfirstlane_b32 s20, v26
	v_readfirstlane_b32 s21, v27
	global_store_b16 v10, v80, s[20:21] scale_offset
	s_wait_xcnt 0x0
	s_or_b32 exec_lo, exec_lo, s18
	s_and_saveexec_b32 s18, s6
	s_cbranch_execz .LBB952_159
.LBB952_226:
	v_sub_nc_u32_e32 v10, v24, v8
	v_readfirstlane_b32 s20, v26
	v_readfirstlane_b32 s21, v27
	global_store_b16 v10, v14, s[20:21] scale_offset
	s_wait_xcnt 0x0
	s_or_b32 exec_lo, exec_lo, s18
	s_and_saveexec_b32 s18, s5
	s_cbranch_execz .LBB952_160
.LBB952_227:
	v_sub_nc_u32_e32 v10, v28, v8
	v_readfirstlane_b32 s20, v26
	v_readfirstlane_b32 s21, v27
	global_store_b16 v10, v79, s[20:21] scale_offset
	s_wait_xcnt 0x0
	s_or_b32 exec_lo, exec_lo, s18
	s_and_saveexec_b32 s18, s4
	s_cbranch_execz .LBB952_161
.LBB952_228:
	v_sub_nc_u32_e32 v10, v32, v8
	v_readfirstlane_b32 s20, v26
	v_readfirstlane_b32 s21, v27
	global_store_b16 v10, v15, s[20:21] scale_offset
	s_wait_xcnt 0x0
	s_or_b32 exec_lo, exec_lo, s18
	s_and_saveexec_b32 s18, s3
	s_cbranch_execz .LBB952_162
.LBB952_229:
	v_sub_nc_u32_e32 v10, v36, v8
	v_readfirstlane_b32 s20, v26
	v_readfirstlane_b32 s21, v27
	global_store_b16 v10, v77, s[20:21] scale_offset
	s_wait_xcnt 0x0
	s_or_b32 exec_lo, exec_lo, s18
	s_and_saveexec_b32 s18, s1
	s_cbranch_execnz .LBB952_163
	s_branch .LBB952_164
.LBB952_230:
	v_sub_nc_u32_e32 v7, v52, v8
	s_delay_alu instid0(VALU_DEP_1)
	v_lshlrev_b32_e32 v7, 1, v7
	ds_store_b16 v7, v78
	s_or_b32 exec_lo, exec_lo, s18
	s_and_saveexec_b32 s15, s14
	s_cbranch_execz .LBB952_168
.LBB952_231:
	v_sub_nc_u32_e32 v7, v56, v8
	s_delay_alu instid0(VALU_DEP_1)
	v_lshlrev_b32_e32 v7, 1, v7
	ds_store_b16 v7, v2
	s_or_b32 exec_lo, exec_lo, s15
	s_and_saveexec_b32 s14, s13
	s_cbranch_execz .LBB952_169
.LBB952_232:
	v_sub_nc_u32_e32 v2, v54, v8
	s_delay_alu instid0(VALU_DEP_1)
	v_lshlrev_b32_e32 v2, 1, v2
	ds_store_b16 v2, v83
	s_or_b32 exec_lo, exec_lo, s14
	s_and_saveexec_b32 s13, s12
	s_cbranch_execz .LBB952_170
.LBB952_233:
	v_sub_nc_u32_e32 v2, v50, v8
	s_delay_alu instid0(VALU_DEP_1)
	v_lshlrev_b32_e32 v2, 1, v2
	ds_store_b16 v2, v3
	s_or_b32 exec_lo, exec_lo, s13
	s_and_saveexec_b32 s12, s11
	s_cbranch_execz .LBB952_171
.LBB952_234:
	v_sub_nc_u32_e32 v2, v42, v8
	s_delay_alu instid0(VALU_DEP_1)
	v_lshlrev_b32_e32 v2, 1, v2
	ds_store_b16 v2, v82
	s_or_b32 exec_lo, exec_lo, s12
	s_and_saveexec_b32 s11, s10
	s_cbranch_execz .LBB952_172
.LBB952_235:
	v_sub_nc_u32_e32 v2, v38, v8
	s_delay_alu instid0(VALU_DEP_1)
	v_lshlrev_b32_e32 v2, 1, v2
	ds_store_b16 v2, v4
	s_or_b32 exec_lo, exec_lo, s11
	s_and_saveexec_b32 s10, s9
	s_cbranch_execz .LBB952_173
.LBB952_236:
	v_sub_nc_u32_e32 v2, v34, v8
	s_delay_alu instid0(VALU_DEP_1)
	v_lshlrev_b32_e32 v2, 1, v2
	ds_store_b16 v2, v81
	s_or_b32 exec_lo, exec_lo, s10
	s_and_saveexec_b32 s9, s8
	s_cbranch_execz .LBB952_174
.LBB952_237:
	v_sub_nc_u32_e32 v2, v40, v8
	s_delay_alu instid0(VALU_DEP_1)
	v_lshlrev_b32_e32 v2, 1, v2
	ds_store_b16 v2, v5
	s_or_b32 exec_lo, exec_lo, s9
	s_and_saveexec_b32 s8, s7
	s_cbranch_execz .LBB952_175
.LBB952_238:
	v_sub_nc_u32_e32 v2, v44, v8
	s_delay_alu instid0(VALU_DEP_1)
	v_lshlrev_b32_e32 v2, 1, v2
	ds_store_b16 v2, v80
	s_or_b32 exec_lo, exec_lo, s8
	s_and_saveexec_b32 s7, s6
	s_cbranch_execz .LBB952_176
.LBB952_239:
	v_sub_nc_u32_e32 v2, v24, v8
	s_delay_alu instid0(VALU_DEP_1)
	v_lshlrev_b32_e32 v2, 1, v2
	ds_store_b16 v2, v14
	s_or_b32 exec_lo, exec_lo, s7
	s_and_saveexec_b32 s6, s5
	s_cbranch_execz .LBB952_177
.LBB952_240:
	v_sub_nc_u32_e32 v2, v28, v8
	s_delay_alu instid0(VALU_DEP_1)
	v_lshlrev_b32_e32 v2, 1, v2
	ds_store_b16 v2, v79
	s_or_b32 exec_lo, exec_lo, s6
	s_and_saveexec_b32 s5, s4
	s_cbranch_execz .LBB952_178
.LBB952_241:
	v_sub_nc_u32_e32 v2, v32, v8
	s_delay_alu instid0(VALU_DEP_1)
	v_lshlrev_b32_e32 v2, 1, v2
	ds_store_b16 v2, v15
	s_or_b32 exec_lo, exec_lo, s5
	s_and_saveexec_b32 s4, s3
	s_cbranch_execz .LBB952_179
.LBB952_242:
	v_sub_nc_u32_e32 v2, v36, v8
	s_delay_alu instid0(VALU_DEP_1)
	v_lshlrev_b32_e32 v2, 1, v2
	ds_store_b16 v2, v77
	s_or_b32 exec_lo, exec_lo, s4
	s_and_saveexec_b32 s3, s1
	s_cbranch_execnz .LBB952_180
	s_branch .LBB952_181
.LBB952_243:
	v_dual_sub_nc_u32 v11, v52, v7 :: v_dual_mov_b32 v13, 0
	v_mov_b32_e32 v12, v53
	v_readfirstlane_b32 s20, v4
	v_readfirstlane_b32 s21, v5
	global_store_b64 v11, v[12:13], s[20:21] scale_offset
	s_wait_xcnt 0x0
	s_or_b32 exec_lo, exec_lo, s17
	s_and_saveexec_b32 s17, s13
	s_cbranch_execz .LBB952_185
.LBB952_244:
	v_dual_sub_nc_u32 v11, v56, v7 :: v_dual_mov_b32 v13, 0
	v_mov_b32_e32 v12, v57
	v_readfirstlane_b32 s20, v4
	v_readfirstlane_b32 s21, v5
	global_store_b64 v11, v[12:13], s[20:21] scale_offset
	s_wait_xcnt 0x0
	s_or_b32 exec_lo, exec_lo, s17
	s_and_saveexec_b32 s17, s12
	s_cbranch_execz .LBB952_186
.LBB952_245:
	v_dual_sub_nc_u32 v11, v54, v7 :: v_dual_mov_b32 v13, 0
	v_mov_b32_e32 v12, v55
	v_readfirstlane_b32 s20, v4
	v_readfirstlane_b32 s21, v5
	global_store_b64 v11, v[12:13], s[20:21] scale_offset
	s_wait_xcnt 0x0
	s_or_b32 exec_lo, exec_lo, s17
	s_and_saveexec_b32 s17, s11
	s_cbranch_execz .LBB952_187
.LBB952_246:
	v_dual_sub_nc_u32 v11, v50, v7 :: v_dual_mov_b32 v13, 0
	v_mov_b32_e32 v12, v51
	v_readfirstlane_b32 s20, v4
	v_readfirstlane_b32 s21, v5
	global_store_b64 v11, v[12:13], s[20:21] scale_offset
	s_wait_xcnt 0x0
	s_or_b32 exec_lo, exec_lo, s17
	s_and_saveexec_b32 s17, s10
	s_cbranch_execz .LBB952_188
.LBB952_247:
	v_dual_sub_nc_u32 v11, v42, v7 :: v_dual_mov_b32 v13, 0
	v_mov_b32_e32 v12, v43
	v_readfirstlane_b32 s20, v4
	v_readfirstlane_b32 s21, v5
	global_store_b64 v11, v[12:13], s[20:21] scale_offset
	s_wait_xcnt 0x0
	s_or_b32 exec_lo, exec_lo, s17
	s_and_saveexec_b32 s17, s9
	s_cbranch_execz .LBB952_189
.LBB952_248:
	v_dual_sub_nc_u32 v11, v38, v7 :: v_dual_mov_b32 v13, 0
	v_mov_b32_e32 v12, v39
	v_readfirstlane_b32 s20, v4
	v_readfirstlane_b32 s21, v5
	global_store_b64 v11, v[12:13], s[20:21] scale_offset
	s_wait_xcnt 0x0
	s_or_b32 exec_lo, exec_lo, s17
	s_and_saveexec_b32 s17, s8
	s_cbranch_execz .LBB952_190
.LBB952_249:
	v_dual_sub_nc_u32 v11, v34, v7 :: v_dual_mov_b32 v13, 0
	v_mov_b32_e32 v12, v35
	v_readfirstlane_b32 s20, v4
	v_readfirstlane_b32 s21, v5
	global_store_b64 v11, v[12:13], s[20:21] scale_offset
	s_wait_xcnt 0x0
	s_or_b32 exec_lo, exec_lo, s17
	s_and_saveexec_b32 s17, s7
	s_cbranch_execz .LBB952_191
.LBB952_250:
	v_dual_sub_nc_u32 v11, v40, v7 :: v_dual_mov_b32 v13, 0
	v_mov_b32_e32 v12, v41
	v_readfirstlane_b32 s20, v4
	v_readfirstlane_b32 s21, v5
	global_store_b64 v11, v[12:13], s[20:21] scale_offset
	s_wait_xcnt 0x0
	s_or_b32 exec_lo, exec_lo, s17
	s_and_saveexec_b32 s17, s6
	s_cbranch_execz .LBB952_192
.LBB952_251:
	v_dual_sub_nc_u32 v11, v44, v7 :: v_dual_mov_b32 v13, 0
	v_mov_b32_e32 v12, v45
	v_readfirstlane_b32 s20, v4
	v_readfirstlane_b32 s21, v5
	global_store_b64 v11, v[12:13], s[20:21] scale_offset
	s_wait_xcnt 0x0
	s_or_b32 exec_lo, exec_lo, s17
	s_and_saveexec_b32 s17, s5
	s_cbranch_execz .LBB952_193
.LBB952_252:
	v_dual_sub_nc_u32 v11, v24, v7 :: v_dual_mov_b32 v13, 0
	v_mov_b32_e32 v12, v25
	v_readfirstlane_b32 s20, v4
	v_readfirstlane_b32 s21, v5
	global_store_b64 v11, v[12:13], s[20:21] scale_offset
	s_wait_xcnt 0x0
	s_or_b32 exec_lo, exec_lo, s17
	s_and_saveexec_b32 s17, s4
	s_cbranch_execz .LBB952_194
.LBB952_253:
	v_dual_sub_nc_u32 v11, v28, v7 :: v_dual_mov_b32 v13, 0
	v_mov_b32_e32 v12, v29
	v_readfirstlane_b32 s20, v4
	v_readfirstlane_b32 s21, v5
	global_store_b64 v11, v[12:13], s[20:21] scale_offset
	s_wait_xcnt 0x0
	s_or_b32 exec_lo, exec_lo, s17
	s_and_saveexec_b32 s17, s3
	s_cbranch_execz .LBB952_195
.LBB952_254:
	v_dual_sub_nc_u32 v11, v32, v7 :: v_dual_mov_b32 v13, 0
	v_mov_b32_e32 v12, v33
	v_readfirstlane_b32 s20, v4
	v_readfirstlane_b32 s21, v5
	global_store_b64 v11, v[12:13], s[20:21] scale_offset
	s_wait_xcnt 0x0
	s_or_b32 exec_lo, exec_lo, s17
	s_and_saveexec_b32 s17, s2
	s_cbranch_execz .LBB952_196
.LBB952_255:
	v_dual_sub_nc_u32 v11, v36, v7 :: v_dual_mov_b32 v13, 0
	v_mov_b32_e32 v12, v37
	v_readfirstlane_b32 s20, v4
	v_readfirstlane_b32 s21, v5
	global_store_b64 v11, v[12:13], s[20:21] scale_offset
	s_wait_xcnt 0x0
	s_or_b32 exec_lo, exec_lo, s17
	s_and_saveexec_b32 s17, s1
	s_cbranch_execnz .LBB952_197
	s_branch .LBB952_198
.LBB952_256:
	v_sub_nc_u32_e32 v10, v52, v7
	s_delay_alu instid0(VALU_DEP_1)
	v_lshlrev_b32_e32 v10, 2, v10
	ds_store_b32 v10, v53
	s_or_b32 exec_lo, exec_lo, s17
	s_and_saveexec_b32 s14, s13
	s_cbranch_execz .LBB952_202
.LBB952_257:
	v_sub_nc_u32_e32 v10, v56, v7
	s_delay_alu instid0(VALU_DEP_1)
	v_lshlrev_b32_e32 v10, 2, v10
	ds_store_b32 v10, v57
	s_or_b32 exec_lo, exec_lo, s14
	s_and_saveexec_b32 s13, s12
	s_cbranch_execz .LBB952_203
.LBB952_258:
	v_sub_nc_u32_e32 v10, v54, v7
	s_delay_alu instid0(VALU_DEP_1)
	v_lshlrev_b32_e32 v10, 2, v10
	ds_store_b32 v10, v55
	s_or_b32 exec_lo, exec_lo, s13
	s_and_saveexec_b32 s12, s11
	s_cbranch_execz .LBB952_204
.LBB952_259:
	v_sub_nc_u32_e32 v10, v50, v7
	s_delay_alu instid0(VALU_DEP_1)
	v_lshlrev_b32_e32 v10, 2, v10
	ds_store_b32 v10, v51
	s_or_b32 exec_lo, exec_lo, s12
	s_and_saveexec_b32 s11, s10
	s_cbranch_execz .LBB952_205
.LBB952_260:
	v_sub_nc_u32_e32 v10, v42, v7
	s_delay_alu instid0(VALU_DEP_1)
	v_lshlrev_b32_e32 v10, 2, v10
	ds_store_b32 v10, v43
	s_or_b32 exec_lo, exec_lo, s11
	s_and_saveexec_b32 s10, s9
	s_cbranch_execz .LBB952_206
.LBB952_261:
	v_sub_nc_u32_e32 v10, v38, v7
	s_delay_alu instid0(VALU_DEP_1)
	v_lshlrev_b32_e32 v10, 2, v10
	ds_store_b32 v10, v39
	s_or_b32 exec_lo, exec_lo, s10
	s_and_saveexec_b32 s9, s8
	s_cbranch_execz .LBB952_207
.LBB952_262:
	v_sub_nc_u32_e32 v10, v34, v7
	s_delay_alu instid0(VALU_DEP_1)
	v_lshlrev_b32_e32 v10, 2, v10
	ds_store_b32 v10, v35
	s_or_b32 exec_lo, exec_lo, s9
	s_and_saveexec_b32 s8, s7
	s_cbranch_execz .LBB952_208
.LBB952_263:
	v_sub_nc_u32_e32 v10, v40, v7
	s_delay_alu instid0(VALU_DEP_1)
	v_lshlrev_b32_e32 v10, 2, v10
	ds_store_b32 v10, v41
	s_or_b32 exec_lo, exec_lo, s8
	s_and_saveexec_b32 s7, s6
	s_cbranch_execz .LBB952_209
.LBB952_264:
	v_sub_nc_u32_e32 v10, v44, v7
	s_delay_alu instid0(VALU_DEP_1)
	v_lshlrev_b32_e32 v10, 2, v10
	ds_store_b32 v10, v45
	s_or_b32 exec_lo, exec_lo, s7
	s_and_saveexec_b32 s6, s5
	s_cbranch_execz .LBB952_210
.LBB952_265:
	v_sub_nc_u32_e32 v10, v24, v7
	s_delay_alu instid0(VALU_DEP_1)
	v_lshlrev_b32_e32 v10, 2, v10
	ds_store_b32 v10, v25
	s_or_b32 exec_lo, exec_lo, s6
	s_and_saveexec_b32 s5, s4
	s_cbranch_execz .LBB952_211
.LBB952_266:
	v_sub_nc_u32_e32 v10, v28, v7
	s_delay_alu instid0(VALU_DEP_1)
	v_lshlrev_b32_e32 v10, 2, v10
	ds_store_b32 v10, v29
	s_or_b32 exec_lo, exec_lo, s5
	s_and_saveexec_b32 s4, s3
	s_cbranch_execz .LBB952_212
.LBB952_267:
	v_sub_nc_u32_e32 v10, v32, v7
	s_delay_alu instid0(VALU_DEP_1)
	v_lshlrev_b32_e32 v10, 2, v10
	ds_store_b32 v10, v33
	s_or_b32 exec_lo, exec_lo, s4
	s_and_saveexec_b32 s3, s2
	s_cbranch_execz .LBB952_213
.LBB952_268:
	v_sub_nc_u32_e32 v10, v36, v7
	s_delay_alu instid0(VALU_DEP_1)
	v_lshlrev_b32_e32 v10, 2, v10
	ds_store_b32 v10, v37
	s_or_b32 exec_lo, exec_lo, s3
	s_and_saveexec_b32 s2, s1
	s_cbranch_execnz .LBB952_214
	s_branch .LBB952_215
	.section	.rodata,"a",@progbits
	.p2align	6, 0x0
	.amdhsa_kernel _ZN7rocprim17ROCPRIM_400000_NS6detail17trampoline_kernelINS0_14default_configENS1_33run_length_encode_config_selectorIN3c104HalfEjNS0_4plusIjEEEEZZNS1_33reduce_by_key_impl_wrapped_configILNS1_25lookback_scan_determinismE0ES3_S9_PKS6_NS0_17constant_iteratorIjlEEPS6_PlSH_S8_NS0_8equal_toIS6_EEEE10hipError_tPvRmT2_T3_mT4_T5_T6_T7_T8_P12ihipStream_tbENKUlT_T0_E_clISt17integral_constantIbLb0EES10_IbLb1EEEEDaSW_SX_EUlSW_E_NS1_11comp_targetILNS1_3genE0ELNS1_11target_archE4294967295ELNS1_3gpuE0ELNS1_3repE0EEENS1_30default_config_static_selectorELNS0_4arch9wavefront6targetE0EEEvT1_
		.amdhsa_group_segment_fixed_size 15360
		.amdhsa_private_segment_fixed_size 0
		.amdhsa_kernarg_size 128
		.amdhsa_user_sgpr_count 2
		.amdhsa_user_sgpr_dispatch_ptr 0
		.amdhsa_user_sgpr_queue_ptr 0
		.amdhsa_user_sgpr_kernarg_segment_ptr 1
		.amdhsa_user_sgpr_dispatch_id 0
		.amdhsa_user_sgpr_kernarg_preload_length 0
		.amdhsa_user_sgpr_kernarg_preload_offset 0
		.amdhsa_user_sgpr_private_segment_size 0
		.amdhsa_wavefront_size32 1
		.amdhsa_uses_dynamic_stack 0
		.amdhsa_enable_private_segment 0
		.amdhsa_system_sgpr_workgroup_id_x 1
		.amdhsa_system_sgpr_workgroup_id_y 0
		.amdhsa_system_sgpr_workgroup_id_z 0
		.amdhsa_system_sgpr_workgroup_info 0
		.amdhsa_system_vgpr_workitem_id 0
		.amdhsa_next_free_vgpr 108
		.amdhsa_next_free_sgpr 44
		.amdhsa_named_barrier_count 0
		.amdhsa_reserve_vcc 1
		.amdhsa_float_round_mode_32 0
		.amdhsa_float_round_mode_16_64 0
		.amdhsa_float_denorm_mode_32 3
		.amdhsa_float_denorm_mode_16_64 3
		.amdhsa_fp16_overflow 0
		.amdhsa_memory_ordered 1
		.amdhsa_forward_progress 1
		.amdhsa_inst_pref_size 128
		.amdhsa_round_robin_scheduling 0
		.amdhsa_exception_fp_ieee_invalid_op 0
		.amdhsa_exception_fp_denorm_src 0
		.amdhsa_exception_fp_ieee_div_zero 0
		.amdhsa_exception_fp_ieee_overflow 0
		.amdhsa_exception_fp_ieee_underflow 0
		.amdhsa_exception_fp_ieee_inexact 0
		.amdhsa_exception_int_div_zero 0
	.end_amdhsa_kernel
	.section	.text._ZN7rocprim17ROCPRIM_400000_NS6detail17trampoline_kernelINS0_14default_configENS1_33run_length_encode_config_selectorIN3c104HalfEjNS0_4plusIjEEEEZZNS1_33reduce_by_key_impl_wrapped_configILNS1_25lookback_scan_determinismE0ES3_S9_PKS6_NS0_17constant_iteratorIjlEEPS6_PlSH_S8_NS0_8equal_toIS6_EEEE10hipError_tPvRmT2_T3_mT4_T5_T6_T7_T8_P12ihipStream_tbENKUlT_T0_E_clISt17integral_constantIbLb0EES10_IbLb1EEEEDaSW_SX_EUlSW_E_NS1_11comp_targetILNS1_3genE0ELNS1_11target_archE4294967295ELNS1_3gpuE0ELNS1_3repE0EEENS1_30default_config_static_selectorELNS0_4arch9wavefront6targetE0EEEvT1_,"axG",@progbits,_ZN7rocprim17ROCPRIM_400000_NS6detail17trampoline_kernelINS0_14default_configENS1_33run_length_encode_config_selectorIN3c104HalfEjNS0_4plusIjEEEEZZNS1_33reduce_by_key_impl_wrapped_configILNS1_25lookback_scan_determinismE0ES3_S9_PKS6_NS0_17constant_iteratorIjlEEPS6_PlSH_S8_NS0_8equal_toIS6_EEEE10hipError_tPvRmT2_T3_mT4_T5_T6_T7_T8_P12ihipStream_tbENKUlT_T0_E_clISt17integral_constantIbLb0EES10_IbLb1EEEEDaSW_SX_EUlSW_E_NS1_11comp_targetILNS1_3genE0ELNS1_11target_archE4294967295ELNS1_3gpuE0ELNS1_3repE0EEENS1_30default_config_static_selectorELNS0_4arch9wavefront6targetE0EEEvT1_,comdat
.Lfunc_end952:
	.size	_ZN7rocprim17ROCPRIM_400000_NS6detail17trampoline_kernelINS0_14default_configENS1_33run_length_encode_config_selectorIN3c104HalfEjNS0_4plusIjEEEEZZNS1_33reduce_by_key_impl_wrapped_configILNS1_25lookback_scan_determinismE0ES3_S9_PKS6_NS0_17constant_iteratorIjlEEPS6_PlSH_S8_NS0_8equal_toIS6_EEEE10hipError_tPvRmT2_T3_mT4_T5_T6_T7_T8_P12ihipStream_tbENKUlT_T0_E_clISt17integral_constantIbLb0EES10_IbLb1EEEEDaSW_SX_EUlSW_E_NS1_11comp_targetILNS1_3genE0ELNS1_11target_archE4294967295ELNS1_3gpuE0ELNS1_3repE0EEENS1_30default_config_static_selectorELNS0_4arch9wavefront6targetE0EEEvT1_, .Lfunc_end952-_ZN7rocprim17ROCPRIM_400000_NS6detail17trampoline_kernelINS0_14default_configENS1_33run_length_encode_config_selectorIN3c104HalfEjNS0_4plusIjEEEEZZNS1_33reduce_by_key_impl_wrapped_configILNS1_25lookback_scan_determinismE0ES3_S9_PKS6_NS0_17constant_iteratorIjlEEPS6_PlSH_S8_NS0_8equal_toIS6_EEEE10hipError_tPvRmT2_T3_mT4_T5_T6_T7_T8_P12ihipStream_tbENKUlT_T0_E_clISt17integral_constantIbLb0EES10_IbLb1EEEEDaSW_SX_EUlSW_E_NS1_11comp_targetILNS1_3genE0ELNS1_11target_archE4294967295ELNS1_3gpuE0ELNS1_3repE0EEENS1_30default_config_static_selectorELNS0_4arch9wavefront6targetE0EEEvT1_
                                        ; -- End function
	.set _ZN7rocprim17ROCPRIM_400000_NS6detail17trampoline_kernelINS0_14default_configENS1_33run_length_encode_config_selectorIN3c104HalfEjNS0_4plusIjEEEEZZNS1_33reduce_by_key_impl_wrapped_configILNS1_25lookback_scan_determinismE0ES3_S9_PKS6_NS0_17constant_iteratorIjlEEPS6_PlSH_S8_NS0_8equal_toIS6_EEEE10hipError_tPvRmT2_T3_mT4_T5_T6_T7_T8_P12ihipStream_tbENKUlT_T0_E_clISt17integral_constantIbLb0EES10_IbLb1EEEEDaSW_SX_EUlSW_E_NS1_11comp_targetILNS1_3genE0ELNS1_11target_archE4294967295ELNS1_3gpuE0ELNS1_3repE0EEENS1_30default_config_static_selectorELNS0_4arch9wavefront6targetE0EEEvT1_.num_vgpr, 108
	.set _ZN7rocprim17ROCPRIM_400000_NS6detail17trampoline_kernelINS0_14default_configENS1_33run_length_encode_config_selectorIN3c104HalfEjNS0_4plusIjEEEEZZNS1_33reduce_by_key_impl_wrapped_configILNS1_25lookback_scan_determinismE0ES3_S9_PKS6_NS0_17constant_iteratorIjlEEPS6_PlSH_S8_NS0_8equal_toIS6_EEEE10hipError_tPvRmT2_T3_mT4_T5_T6_T7_T8_P12ihipStream_tbENKUlT_T0_E_clISt17integral_constantIbLb0EES10_IbLb1EEEEDaSW_SX_EUlSW_E_NS1_11comp_targetILNS1_3genE0ELNS1_11target_archE4294967295ELNS1_3gpuE0ELNS1_3repE0EEENS1_30default_config_static_selectorELNS0_4arch9wavefront6targetE0EEEvT1_.num_agpr, 0
	.set _ZN7rocprim17ROCPRIM_400000_NS6detail17trampoline_kernelINS0_14default_configENS1_33run_length_encode_config_selectorIN3c104HalfEjNS0_4plusIjEEEEZZNS1_33reduce_by_key_impl_wrapped_configILNS1_25lookback_scan_determinismE0ES3_S9_PKS6_NS0_17constant_iteratorIjlEEPS6_PlSH_S8_NS0_8equal_toIS6_EEEE10hipError_tPvRmT2_T3_mT4_T5_T6_T7_T8_P12ihipStream_tbENKUlT_T0_E_clISt17integral_constantIbLb0EES10_IbLb1EEEEDaSW_SX_EUlSW_E_NS1_11comp_targetILNS1_3genE0ELNS1_11target_archE4294967295ELNS1_3gpuE0ELNS1_3repE0EEENS1_30default_config_static_selectorELNS0_4arch9wavefront6targetE0EEEvT1_.numbered_sgpr, 44
	.set _ZN7rocprim17ROCPRIM_400000_NS6detail17trampoline_kernelINS0_14default_configENS1_33run_length_encode_config_selectorIN3c104HalfEjNS0_4plusIjEEEEZZNS1_33reduce_by_key_impl_wrapped_configILNS1_25lookback_scan_determinismE0ES3_S9_PKS6_NS0_17constant_iteratorIjlEEPS6_PlSH_S8_NS0_8equal_toIS6_EEEE10hipError_tPvRmT2_T3_mT4_T5_T6_T7_T8_P12ihipStream_tbENKUlT_T0_E_clISt17integral_constantIbLb0EES10_IbLb1EEEEDaSW_SX_EUlSW_E_NS1_11comp_targetILNS1_3genE0ELNS1_11target_archE4294967295ELNS1_3gpuE0ELNS1_3repE0EEENS1_30default_config_static_selectorELNS0_4arch9wavefront6targetE0EEEvT1_.num_named_barrier, 0
	.set _ZN7rocprim17ROCPRIM_400000_NS6detail17trampoline_kernelINS0_14default_configENS1_33run_length_encode_config_selectorIN3c104HalfEjNS0_4plusIjEEEEZZNS1_33reduce_by_key_impl_wrapped_configILNS1_25lookback_scan_determinismE0ES3_S9_PKS6_NS0_17constant_iteratorIjlEEPS6_PlSH_S8_NS0_8equal_toIS6_EEEE10hipError_tPvRmT2_T3_mT4_T5_T6_T7_T8_P12ihipStream_tbENKUlT_T0_E_clISt17integral_constantIbLb0EES10_IbLb1EEEEDaSW_SX_EUlSW_E_NS1_11comp_targetILNS1_3genE0ELNS1_11target_archE4294967295ELNS1_3gpuE0ELNS1_3repE0EEENS1_30default_config_static_selectorELNS0_4arch9wavefront6targetE0EEEvT1_.private_seg_size, 0
	.set _ZN7rocprim17ROCPRIM_400000_NS6detail17trampoline_kernelINS0_14default_configENS1_33run_length_encode_config_selectorIN3c104HalfEjNS0_4plusIjEEEEZZNS1_33reduce_by_key_impl_wrapped_configILNS1_25lookback_scan_determinismE0ES3_S9_PKS6_NS0_17constant_iteratorIjlEEPS6_PlSH_S8_NS0_8equal_toIS6_EEEE10hipError_tPvRmT2_T3_mT4_T5_T6_T7_T8_P12ihipStream_tbENKUlT_T0_E_clISt17integral_constantIbLb0EES10_IbLb1EEEEDaSW_SX_EUlSW_E_NS1_11comp_targetILNS1_3genE0ELNS1_11target_archE4294967295ELNS1_3gpuE0ELNS1_3repE0EEENS1_30default_config_static_selectorELNS0_4arch9wavefront6targetE0EEEvT1_.uses_vcc, 1
	.set _ZN7rocprim17ROCPRIM_400000_NS6detail17trampoline_kernelINS0_14default_configENS1_33run_length_encode_config_selectorIN3c104HalfEjNS0_4plusIjEEEEZZNS1_33reduce_by_key_impl_wrapped_configILNS1_25lookback_scan_determinismE0ES3_S9_PKS6_NS0_17constant_iteratorIjlEEPS6_PlSH_S8_NS0_8equal_toIS6_EEEE10hipError_tPvRmT2_T3_mT4_T5_T6_T7_T8_P12ihipStream_tbENKUlT_T0_E_clISt17integral_constantIbLb0EES10_IbLb1EEEEDaSW_SX_EUlSW_E_NS1_11comp_targetILNS1_3genE0ELNS1_11target_archE4294967295ELNS1_3gpuE0ELNS1_3repE0EEENS1_30default_config_static_selectorELNS0_4arch9wavefront6targetE0EEEvT1_.uses_flat_scratch, 0
	.set _ZN7rocprim17ROCPRIM_400000_NS6detail17trampoline_kernelINS0_14default_configENS1_33run_length_encode_config_selectorIN3c104HalfEjNS0_4plusIjEEEEZZNS1_33reduce_by_key_impl_wrapped_configILNS1_25lookback_scan_determinismE0ES3_S9_PKS6_NS0_17constant_iteratorIjlEEPS6_PlSH_S8_NS0_8equal_toIS6_EEEE10hipError_tPvRmT2_T3_mT4_T5_T6_T7_T8_P12ihipStream_tbENKUlT_T0_E_clISt17integral_constantIbLb0EES10_IbLb1EEEEDaSW_SX_EUlSW_E_NS1_11comp_targetILNS1_3genE0ELNS1_11target_archE4294967295ELNS1_3gpuE0ELNS1_3repE0EEENS1_30default_config_static_selectorELNS0_4arch9wavefront6targetE0EEEvT1_.has_dyn_sized_stack, 0
	.set _ZN7rocprim17ROCPRIM_400000_NS6detail17trampoline_kernelINS0_14default_configENS1_33run_length_encode_config_selectorIN3c104HalfEjNS0_4plusIjEEEEZZNS1_33reduce_by_key_impl_wrapped_configILNS1_25lookback_scan_determinismE0ES3_S9_PKS6_NS0_17constant_iteratorIjlEEPS6_PlSH_S8_NS0_8equal_toIS6_EEEE10hipError_tPvRmT2_T3_mT4_T5_T6_T7_T8_P12ihipStream_tbENKUlT_T0_E_clISt17integral_constantIbLb0EES10_IbLb1EEEEDaSW_SX_EUlSW_E_NS1_11comp_targetILNS1_3genE0ELNS1_11target_archE4294967295ELNS1_3gpuE0ELNS1_3repE0EEENS1_30default_config_static_selectorELNS0_4arch9wavefront6targetE0EEEvT1_.has_recursion, 0
	.set _ZN7rocprim17ROCPRIM_400000_NS6detail17trampoline_kernelINS0_14default_configENS1_33run_length_encode_config_selectorIN3c104HalfEjNS0_4plusIjEEEEZZNS1_33reduce_by_key_impl_wrapped_configILNS1_25lookback_scan_determinismE0ES3_S9_PKS6_NS0_17constant_iteratorIjlEEPS6_PlSH_S8_NS0_8equal_toIS6_EEEE10hipError_tPvRmT2_T3_mT4_T5_T6_T7_T8_P12ihipStream_tbENKUlT_T0_E_clISt17integral_constantIbLb0EES10_IbLb1EEEEDaSW_SX_EUlSW_E_NS1_11comp_targetILNS1_3genE0ELNS1_11target_archE4294967295ELNS1_3gpuE0ELNS1_3repE0EEENS1_30default_config_static_selectorELNS0_4arch9wavefront6targetE0EEEvT1_.has_indirect_call, 0
	.section	.AMDGPU.csdata,"",@progbits
; Kernel info:
; codeLenInByte = 16308
; TotalNumSgprs: 46
; NumVgprs: 108
; ScratchSize: 0
; MemoryBound: 0
; FloatMode: 240
; IeeeMode: 1
; LDSByteSize: 15360 bytes/workgroup (compile time only)
; SGPRBlocks: 0
; VGPRBlocks: 6
; NumSGPRsForWavesPerEU: 46
; NumVGPRsForWavesPerEU: 108
; NamedBarCnt: 0
; Occupancy: 9
; WaveLimiterHint : 1
; COMPUTE_PGM_RSRC2:SCRATCH_EN: 0
; COMPUTE_PGM_RSRC2:USER_SGPR: 2
; COMPUTE_PGM_RSRC2:TRAP_HANDLER: 0
; COMPUTE_PGM_RSRC2:TGID_X_EN: 1
; COMPUTE_PGM_RSRC2:TGID_Y_EN: 0
; COMPUTE_PGM_RSRC2:TGID_Z_EN: 0
; COMPUTE_PGM_RSRC2:TIDIG_COMP_CNT: 0
	.section	.text._ZN7rocprim17ROCPRIM_400000_NS6detail17trampoline_kernelINS0_14default_configENS1_33run_length_encode_config_selectorIN3c104HalfEjNS0_4plusIjEEEEZZNS1_33reduce_by_key_impl_wrapped_configILNS1_25lookback_scan_determinismE0ES3_S9_PKS6_NS0_17constant_iteratorIjlEEPS6_PlSH_S8_NS0_8equal_toIS6_EEEE10hipError_tPvRmT2_T3_mT4_T5_T6_T7_T8_P12ihipStream_tbENKUlT_T0_E_clISt17integral_constantIbLb0EES10_IbLb1EEEEDaSW_SX_EUlSW_E_NS1_11comp_targetILNS1_3genE5ELNS1_11target_archE942ELNS1_3gpuE9ELNS1_3repE0EEENS1_30default_config_static_selectorELNS0_4arch9wavefront6targetE0EEEvT1_,"axG",@progbits,_ZN7rocprim17ROCPRIM_400000_NS6detail17trampoline_kernelINS0_14default_configENS1_33run_length_encode_config_selectorIN3c104HalfEjNS0_4plusIjEEEEZZNS1_33reduce_by_key_impl_wrapped_configILNS1_25lookback_scan_determinismE0ES3_S9_PKS6_NS0_17constant_iteratorIjlEEPS6_PlSH_S8_NS0_8equal_toIS6_EEEE10hipError_tPvRmT2_T3_mT4_T5_T6_T7_T8_P12ihipStream_tbENKUlT_T0_E_clISt17integral_constantIbLb0EES10_IbLb1EEEEDaSW_SX_EUlSW_E_NS1_11comp_targetILNS1_3genE5ELNS1_11target_archE942ELNS1_3gpuE9ELNS1_3repE0EEENS1_30default_config_static_selectorELNS0_4arch9wavefront6targetE0EEEvT1_,comdat
	.protected	_ZN7rocprim17ROCPRIM_400000_NS6detail17trampoline_kernelINS0_14default_configENS1_33run_length_encode_config_selectorIN3c104HalfEjNS0_4plusIjEEEEZZNS1_33reduce_by_key_impl_wrapped_configILNS1_25lookback_scan_determinismE0ES3_S9_PKS6_NS0_17constant_iteratorIjlEEPS6_PlSH_S8_NS0_8equal_toIS6_EEEE10hipError_tPvRmT2_T3_mT4_T5_T6_T7_T8_P12ihipStream_tbENKUlT_T0_E_clISt17integral_constantIbLb0EES10_IbLb1EEEEDaSW_SX_EUlSW_E_NS1_11comp_targetILNS1_3genE5ELNS1_11target_archE942ELNS1_3gpuE9ELNS1_3repE0EEENS1_30default_config_static_selectorELNS0_4arch9wavefront6targetE0EEEvT1_ ; -- Begin function _ZN7rocprim17ROCPRIM_400000_NS6detail17trampoline_kernelINS0_14default_configENS1_33run_length_encode_config_selectorIN3c104HalfEjNS0_4plusIjEEEEZZNS1_33reduce_by_key_impl_wrapped_configILNS1_25lookback_scan_determinismE0ES3_S9_PKS6_NS0_17constant_iteratorIjlEEPS6_PlSH_S8_NS0_8equal_toIS6_EEEE10hipError_tPvRmT2_T3_mT4_T5_T6_T7_T8_P12ihipStream_tbENKUlT_T0_E_clISt17integral_constantIbLb0EES10_IbLb1EEEEDaSW_SX_EUlSW_E_NS1_11comp_targetILNS1_3genE5ELNS1_11target_archE942ELNS1_3gpuE9ELNS1_3repE0EEENS1_30default_config_static_selectorELNS0_4arch9wavefront6targetE0EEEvT1_
	.globl	_ZN7rocprim17ROCPRIM_400000_NS6detail17trampoline_kernelINS0_14default_configENS1_33run_length_encode_config_selectorIN3c104HalfEjNS0_4plusIjEEEEZZNS1_33reduce_by_key_impl_wrapped_configILNS1_25lookback_scan_determinismE0ES3_S9_PKS6_NS0_17constant_iteratorIjlEEPS6_PlSH_S8_NS0_8equal_toIS6_EEEE10hipError_tPvRmT2_T3_mT4_T5_T6_T7_T8_P12ihipStream_tbENKUlT_T0_E_clISt17integral_constantIbLb0EES10_IbLb1EEEEDaSW_SX_EUlSW_E_NS1_11comp_targetILNS1_3genE5ELNS1_11target_archE942ELNS1_3gpuE9ELNS1_3repE0EEENS1_30default_config_static_selectorELNS0_4arch9wavefront6targetE0EEEvT1_
	.p2align	8
	.type	_ZN7rocprim17ROCPRIM_400000_NS6detail17trampoline_kernelINS0_14default_configENS1_33run_length_encode_config_selectorIN3c104HalfEjNS0_4plusIjEEEEZZNS1_33reduce_by_key_impl_wrapped_configILNS1_25lookback_scan_determinismE0ES3_S9_PKS6_NS0_17constant_iteratorIjlEEPS6_PlSH_S8_NS0_8equal_toIS6_EEEE10hipError_tPvRmT2_T3_mT4_T5_T6_T7_T8_P12ihipStream_tbENKUlT_T0_E_clISt17integral_constantIbLb0EES10_IbLb1EEEEDaSW_SX_EUlSW_E_NS1_11comp_targetILNS1_3genE5ELNS1_11target_archE942ELNS1_3gpuE9ELNS1_3repE0EEENS1_30default_config_static_selectorELNS0_4arch9wavefront6targetE0EEEvT1_,@function
_ZN7rocprim17ROCPRIM_400000_NS6detail17trampoline_kernelINS0_14default_configENS1_33run_length_encode_config_selectorIN3c104HalfEjNS0_4plusIjEEEEZZNS1_33reduce_by_key_impl_wrapped_configILNS1_25lookback_scan_determinismE0ES3_S9_PKS6_NS0_17constant_iteratorIjlEEPS6_PlSH_S8_NS0_8equal_toIS6_EEEE10hipError_tPvRmT2_T3_mT4_T5_T6_T7_T8_P12ihipStream_tbENKUlT_T0_E_clISt17integral_constantIbLb0EES10_IbLb1EEEEDaSW_SX_EUlSW_E_NS1_11comp_targetILNS1_3genE5ELNS1_11target_archE942ELNS1_3gpuE9ELNS1_3repE0EEENS1_30default_config_static_selectorELNS0_4arch9wavefront6targetE0EEEvT1_: ; @_ZN7rocprim17ROCPRIM_400000_NS6detail17trampoline_kernelINS0_14default_configENS1_33run_length_encode_config_selectorIN3c104HalfEjNS0_4plusIjEEEEZZNS1_33reduce_by_key_impl_wrapped_configILNS1_25lookback_scan_determinismE0ES3_S9_PKS6_NS0_17constant_iteratorIjlEEPS6_PlSH_S8_NS0_8equal_toIS6_EEEE10hipError_tPvRmT2_T3_mT4_T5_T6_T7_T8_P12ihipStream_tbENKUlT_T0_E_clISt17integral_constantIbLb0EES10_IbLb1EEEEDaSW_SX_EUlSW_E_NS1_11comp_targetILNS1_3genE5ELNS1_11target_archE942ELNS1_3gpuE9ELNS1_3repE0EEENS1_30default_config_static_selectorELNS0_4arch9wavefront6targetE0EEEvT1_
; %bb.0:
	.section	.rodata,"a",@progbits
	.p2align	6, 0x0
	.amdhsa_kernel _ZN7rocprim17ROCPRIM_400000_NS6detail17trampoline_kernelINS0_14default_configENS1_33run_length_encode_config_selectorIN3c104HalfEjNS0_4plusIjEEEEZZNS1_33reduce_by_key_impl_wrapped_configILNS1_25lookback_scan_determinismE0ES3_S9_PKS6_NS0_17constant_iteratorIjlEEPS6_PlSH_S8_NS0_8equal_toIS6_EEEE10hipError_tPvRmT2_T3_mT4_T5_T6_T7_T8_P12ihipStream_tbENKUlT_T0_E_clISt17integral_constantIbLb0EES10_IbLb1EEEEDaSW_SX_EUlSW_E_NS1_11comp_targetILNS1_3genE5ELNS1_11target_archE942ELNS1_3gpuE9ELNS1_3repE0EEENS1_30default_config_static_selectorELNS0_4arch9wavefront6targetE0EEEvT1_
		.amdhsa_group_segment_fixed_size 0
		.amdhsa_private_segment_fixed_size 0
		.amdhsa_kernarg_size 128
		.amdhsa_user_sgpr_count 2
		.amdhsa_user_sgpr_dispatch_ptr 0
		.amdhsa_user_sgpr_queue_ptr 0
		.amdhsa_user_sgpr_kernarg_segment_ptr 1
		.amdhsa_user_sgpr_dispatch_id 0
		.amdhsa_user_sgpr_kernarg_preload_length 0
		.amdhsa_user_sgpr_kernarg_preload_offset 0
		.amdhsa_user_sgpr_private_segment_size 0
		.amdhsa_wavefront_size32 1
		.amdhsa_uses_dynamic_stack 0
		.amdhsa_enable_private_segment 0
		.amdhsa_system_sgpr_workgroup_id_x 1
		.amdhsa_system_sgpr_workgroup_id_y 0
		.amdhsa_system_sgpr_workgroup_id_z 0
		.amdhsa_system_sgpr_workgroup_info 0
		.amdhsa_system_vgpr_workitem_id 0
		.amdhsa_next_free_vgpr 1
		.amdhsa_next_free_sgpr 1
		.amdhsa_named_barrier_count 0
		.amdhsa_reserve_vcc 0
		.amdhsa_float_round_mode_32 0
		.amdhsa_float_round_mode_16_64 0
		.amdhsa_float_denorm_mode_32 3
		.amdhsa_float_denorm_mode_16_64 3
		.amdhsa_fp16_overflow 0
		.amdhsa_memory_ordered 1
		.amdhsa_forward_progress 1
		.amdhsa_inst_pref_size 0
		.amdhsa_round_robin_scheduling 0
		.amdhsa_exception_fp_ieee_invalid_op 0
		.amdhsa_exception_fp_denorm_src 0
		.amdhsa_exception_fp_ieee_div_zero 0
		.amdhsa_exception_fp_ieee_overflow 0
		.amdhsa_exception_fp_ieee_underflow 0
		.amdhsa_exception_fp_ieee_inexact 0
		.amdhsa_exception_int_div_zero 0
	.end_amdhsa_kernel
	.section	.text._ZN7rocprim17ROCPRIM_400000_NS6detail17trampoline_kernelINS0_14default_configENS1_33run_length_encode_config_selectorIN3c104HalfEjNS0_4plusIjEEEEZZNS1_33reduce_by_key_impl_wrapped_configILNS1_25lookback_scan_determinismE0ES3_S9_PKS6_NS0_17constant_iteratorIjlEEPS6_PlSH_S8_NS0_8equal_toIS6_EEEE10hipError_tPvRmT2_T3_mT4_T5_T6_T7_T8_P12ihipStream_tbENKUlT_T0_E_clISt17integral_constantIbLb0EES10_IbLb1EEEEDaSW_SX_EUlSW_E_NS1_11comp_targetILNS1_3genE5ELNS1_11target_archE942ELNS1_3gpuE9ELNS1_3repE0EEENS1_30default_config_static_selectorELNS0_4arch9wavefront6targetE0EEEvT1_,"axG",@progbits,_ZN7rocprim17ROCPRIM_400000_NS6detail17trampoline_kernelINS0_14default_configENS1_33run_length_encode_config_selectorIN3c104HalfEjNS0_4plusIjEEEEZZNS1_33reduce_by_key_impl_wrapped_configILNS1_25lookback_scan_determinismE0ES3_S9_PKS6_NS0_17constant_iteratorIjlEEPS6_PlSH_S8_NS0_8equal_toIS6_EEEE10hipError_tPvRmT2_T3_mT4_T5_T6_T7_T8_P12ihipStream_tbENKUlT_T0_E_clISt17integral_constantIbLb0EES10_IbLb1EEEEDaSW_SX_EUlSW_E_NS1_11comp_targetILNS1_3genE5ELNS1_11target_archE942ELNS1_3gpuE9ELNS1_3repE0EEENS1_30default_config_static_selectorELNS0_4arch9wavefront6targetE0EEEvT1_,comdat
.Lfunc_end953:
	.size	_ZN7rocprim17ROCPRIM_400000_NS6detail17trampoline_kernelINS0_14default_configENS1_33run_length_encode_config_selectorIN3c104HalfEjNS0_4plusIjEEEEZZNS1_33reduce_by_key_impl_wrapped_configILNS1_25lookback_scan_determinismE0ES3_S9_PKS6_NS0_17constant_iteratorIjlEEPS6_PlSH_S8_NS0_8equal_toIS6_EEEE10hipError_tPvRmT2_T3_mT4_T5_T6_T7_T8_P12ihipStream_tbENKUlT_T0_E_clISt17integral_constantIbLb0EES10_IbLb1EEEEDaSW_SX_EUlSW_E_NS1_11comp_targetILNS1_3genE5ELNS1_11target_archE942ELNS1_3gpuE9ELNS1_3repE0EEENS1_30default_config_static_selectorELNS0_4arch9wavefront6targetE0EEEvT1_, .Lfunc_end953-_ZN7rocprim17ROCPRIM_400000_NS6detail17trampoline_kernelINS0_14default_configENS1_33run_length_encode_config_selectorIN3c104HalfEjNS0_4plusIjEEEEZZNS1_33reduce_by_key_impl_wrapped_configILNS1_25lookback_scan_determinismE0ES3_S9_PKS6_NS0_17constant_iteratorIjlEEPS6_PlSH_S8_NS0_8equal_toIS6_EEEE10hipError_tPvRmT2_T3_mT4_T5_T6_T7_T8_P12ihipStream_tbENKUlT_T0_E_clISt17integral_constantIbLb0EES10_IbLb1EEEEDaSW_SX_EUlSW_E_NS1_11comp_targetILNS1_3genE5ELNS1_11target_archE942ELNS1_3gpuE9ELNS1_3repE0EEENS1_30default_config_static_selectorELNS0_4arch9wavefront6targetE0EEEvT1_
                                        ; -- End function
	.set _ZN7rocprim17ROCPRIM_400000_NS6detail17trampoline_kernelINS0_14default_configENS1_33run_length_encode_config_selectorIN3c104HalfEjNS0_4plusIjEEEEZZNS1_33reduce_by_key_impl_wrapped_configILNS1_25lookback_scan_determinismE0ES3_S9_PKS6_NS0_17constant_iteratorIjlEEPS6_PlSH_S8_NS0_8equal_toIS6_EEEE10hipError_tPvRmT2_T3_mT4_T5_T6_T7_T8_P12ihipStream_tbENKUlT_T0_E_clISt17integral_constantIbLb0EES10_IbLb1EEEEDaSW_SX_EUlSW_E_NS1_11comp_targetILNS1_3genE5ELNS1_11target_archE942ELNS1_3gpuE9ELNS1_3repE0EEENS1_30default_config_static_selectorELNS0_4arch9wavefront6targetE0EEEvT1_.num_vgpr, 0
	.set _ZN7rocprim17ROCPRIM_400000_NS6detail17trampoline_kernelINS0_14default_configENS1_33run_length_encode_config_selectorIN3c104HalfEjNS0_4plusIjEEEEZZNS1_33reduce_by_key_impl_wrapped_configILNS1_25lookback_scan_determinismE0ES3_S9_PKS6_NS0_17constant_iteratorIjlEEPS6_PlSH_S8_NS0_8equal_toIS6_EEEE10hipError_tPvRmT2_T3_mT4_T5_T6_T7_T8_P12ihipStream_tbENKUlT_T0_E_clISt17integral_constantIbLb0EES10_IbLb1EEEEDaSW_SX_EUlSW_E_NS1_11comp_targetILNS1_3genE5ELNS1_11target_archE942ELNS1_3gpuE9ELNS1_3repE0EEENS1_30default_config_static_selectorELNS0_4arch9wavefront6targetE0EEEvT1_.num_agpr, 0
	.set _ZN7rocprim17ROCPRIM_400000_NS6detail17trampoline_kernelINS0_14default_configENS1_33run_length_encode_config_selectorIN3c104HalfEjNS0_4plusIjEEEEZZNS1_33reduce_by_key_impl_wrapped_configILNS1_25lookback_scan_determinismE0ES3_S9_PKS6_NS0_17constant_iteratorIjlEEPS6_PlSH_S8_NS0_8equal_toIS6_EEEE10hipError_tPvRmT2_T3_mT4_T5_T6_T7_T8_P12ihipStream_tbENKUlT_T0_E_clISt17integral_constantIbLb0EES10_IbLb1EEEEDaSW_SX_EUlSW_E_NS1_11comp_targetILNS1_3genE5ELNS1_11target_archE942ELNS1_3gpuE9ELNS1_3repE0EEENS1_30default_config_static_selectorELNS0_4arch9wavefront6targetE0EEEvT1_.numbered_sgpr, 0
	.set _ZN7rocprim17ROCPRIM_400000_NS6detail17trampoline_kernelINS0_14default_configENS1_33run_length_encode_config_selectorIN3c104HalfEjNS0_4plusIjEEEEZZNS1_33reduce_by_key_impl_wrapped_configILNS1_25lookback_scan_determinismE0ES3_S9_PKS6_NS0_17constant_iteratorIjlEEPS6_PlSH_S8_NS0_8equal_toIS6_EEEE10hipError_tPvRmT2_T3_mT4_T5_T6_T7_T8_P12ihipStream_tbENKUlT_T0_E_clISt17integral_constantIbLb0EES10_IbLb1EEEEDaSW_SX_EUlSW_E_NS1_11comp_targetILNS1_3genE5ELNS1_11target_archE942ELNS1_3gpuE9ELNS1_3repE0EEENS1_30default_config_static_selectorELNS0_4arch9wavefront6targetE0EEEvT1_.num_named_barrier, 0
	.set _ZN7rocprim17ROCPRIM_400000_NS6detail17trampoline_kernelINS0_14default_configENS1_33run_length_encode_config_selectorIN3c104HalfEjNS0_4plusIjEEEEZZNS1_33reduce_by_key_impl_wrapped_configILNS1_25lookback_scan_determinismE0ES3_S9_PKS6_NS0_17constant_iteratorIjlEEPS6_PlSH_S8_NS0_8equal_toIS6_EEEE10hipError_tPvRmT2_T3_mT4_T5_T6_T7_T8_P12ihipStream_tbENKUlT_T0_E_clISt17integral_constantIbLb0EES10_IbLb1EEEEDaSW_SX_EUlSW_E_NS1_11comp_targetILNS1_3genE5ELNS1_11target_archE942ELNS1_3gpuE9ELNS1_3repE0EEENS1_30default_config_static_selectorELNS0_4arch9wavefront6targetE0EEEvT1_.private_seg_size, 0
	.set _ZN7rocprim17ROCPRIM_400000_NS6detail17trampoline_kernelINS0_14default_configENS1_33run_length_encode_config_selectorIN3c104HalfEjNS0_4plusIjEEEEZZNS1_33reduce_by_key_impl_wrapped_configILNS1_25lookback_scan_determinismE0ES3_S9_PKS6_NS0_17constant_iteratorIjlEEPS6_PlSH_S8_NS0_8equal_toIS6_EEEE10hipError_tPvRmT2_T3_mT4_T5_T6_T7_T8_P12ihipStream_tbENKUlT_T0_E_clISt17integral_constantIbLb0EES10_IbLb1EEEEDaSW_SX_EUlSW_E_NS1_11comp_targetILNS1_3genE5ELNS1_11target_archE942ELNS1_3gpuE9ELNS1_3repE0EEENS1_30default_config_static_selectorELNS0_4arch9wavefront6targetE0EEEvT1_.uses_vcc, 0
	.set _ZN7rocprim17ROCPRIM_400000_NS6detail17trampoline_kernelINS0_14default_configENS1_33run_length_encode_config_selectorIN3c104HalfEjNS0_4plusIjEEEEZZNS1_33reduce_by_key_impl_wrapped_configILNS1_25lookback_scan_determinismE0ES3_S9_PKS6_NS0_17constant_iteratorIjlEEPS6_PlSH_S8_NS0_8equal_toIS6_EEEE10hipError_tPvRmT2_T3_mT4_T5_T6_T7_T8_P12ihipStream_tbENKUlT_T0_E_clISt17integral_constantIbLb0EES10_IbLb1EEEEDaSW_SX_EUlSW_E_NS1_11comp_targetILNS1_3genE5ELNS1_11target_archE942ELNS1_3gpuE9ELNS1_3repE0EEENS1_30default_config_static_selectorELNS0_4arch9wavefront6targetE0EEEvT1_.uses_flat_scratch, 0
	.set _ZN7rocprim17ROCPRIM_400000_NS6detail17trampoline_kernelINS0_14default_configENS1_33run_length_encode_config_selectorIN3c104HalfEjNS0_4plusIjEEEEZZNS1_33reduce_by_key_impl_wrapped_configILNS1_25lookback_scan_determinismE0ES3_S9_PKS6_NS0_17constant_iteratorIjlEEPS6_PlSH_S8_NS0_8equal_toIS6_EEEE10hipError_tPvRmT2_T3_mT4_T5_T6_T7_T8_P12ihipStream_tbENKUlT_T0_E_clISt17integral_constantIbLb0EES10_IbLb1EEEEDaSW_SX_EUlSW_E_NS1_11comp_targetILNS1_3genE5ELNS1_11target_archE942ELNS1_3gpuE9ELNS1_3repE0EEENS1_30default_config_static_selectorELNS0_4arch9wavefront6targetE0EEEvT1_.has_dyn_sized_stack, 0
	.set _ZN7rocprim17ROCPRIM_400000_NS6detail17trampoline_kernelINS0_14default_configENS1_33run_length_encode_config_selectorIN3c104HalfEjNS0_4plusIjEEEEZZNS1_33reduce_by_key_impl_wrapped_configILNS1_25lookback_scan_determinismE0ES3_S9_PKS6_NS0_17constant_iteratorIjlEEPS6_PlSH_S8_NS0_8equal_toIS6_EEEE10hipError_tPvRmT2_T3_mT4_T5_T6_T7_T8_P12ihipStream_tbENKUlT_T0_E_clISt17integral_constantIbLb0EES10_IbLb1EEEEDaSW_SX_EUlSW_E_NS1_11comp_targetILNS1_3genE5ELNS1_11target_archE942ELNS1_3gpuE9ELNS1_3repE0EEENS1_30default_config_static_selectorELNS0_4arch9wavefront6targetE0EEEvT1_.has_recursion, 0
	.set _ZN7rocprim17ROCPRIM_400000_NS6detail17trampoline_kernelINS0_14default_configENS1_33run_length_encode_config_selectorIN3c104HalfEjNS0_4plusIjEEEEZZNS1_33reduce_by_key_impl_wrapped_configILNS1_25lookback_scan_determinismE0ES3_S9_PKS6_NS0_17constant_iteratorIjlEEPS6_PlSH_S8_NS0_8equal_toIS6_EEEE10hipError_tPvRmT2_T3_mT4_T5_T6_T7_T8_P12ihipStream_tbENKUlT_T0_E_clISt17integral_constantIbLb0EES10_IbLb1EEEEDaSW_SX_EUlSW_E_NS1_11comp_targetILNS1_3genE5ELNS1_11target_archE942ELNS1_3gpuE9ELNS1_3repE0EEENS1_30default_config_static_selectorELNS0_4arch9wavefront6targetE0EEEvT1_.has_indirect_call, 0
	.section	.AMDGPU.csdata,"",@progbits
; Kernel info:
; codeLenInByte = 0
; TotalNumSgprs: 0
; NumVgprs: 0
; ScratchSize: 0
; MemoryBound: 0
; FloatMode: 240
; IeeeMode: 1
; LDSByteSize: 0 bytes/workgroup (compile time only)
; SGPRBlocks: 0
; VGPRBlocks: 0
; NumSGPRsForWavesPerEU: 1
; NumVGPRsForWavesPerEU: 1
; NamedBarCnt: 0
; Occupancy: 16
; WaveLimiterHint : 0
; COMPUTE_PGM_RSRC2:SCRATCH_EN: 0
; COMPUTE_PGM_RSRC2:USER_SGPR: 2
; COMPUTE_PGM_RSRC2:TRAP_HANDLER: 0
; COMPUTE_PGM_RSRC2:TGID_X_EN: 1
; COMPUTE_PGM_RSRC2:TGID_Y_EN: 0
; COMPUTE_PGM_RSRC2:TGID_Z_EN: 0
; COMPUTE_PGM_RSRC2:TIDIG_COMP_CNT: 0
	.section	.text._ZN7rocprim17ROCPRIM_400000_NS6detail17trampoline_kernelINS0_14default_configENS1_33run_length_encode_config_selectorIN3c104HalfEjNS0_4plusIjEEEEZZNS1_33reduce_by_key_impl_wrapped_configILNS1_25lookback_scan_determinismE0ES3_S9_PKS6_NS0_17constant_iteratorIjlEEPS6_PlSH_S8_NS0_8equal_toIS6_EEEE10hipError_tPvRmT2_T3_mT4_T5_T6_T7_T8_P12ihipStream_tbENKUlT_T0_E_clISt17integral_constantIbLb0EES10_IbLb1EEEEDaSW_SX_EUlSW_E_NS1_11comp_targetILNS1_3genE4ELNS1_11target_archE910ELNS1_3gpuE8ELNS1_3repE0EEENS1_30default_config_static_selectorELNS0_4arch9wavefront6targetE0EEEvT1_,"axG",@progbits,_ZN7rocprim17ROCPRIM_400000_NS6detail17trampoline_kernelINS0_14default_configENS1_33run_length_encode_config_selectorIN3c104HalfEjNS0_4plusIjEEEEZZNS1_33reduce_by_key_impl_wrapped_configILNS1_25lookback_scan_determinismE0ES3_S9_PKS6_NS0_17constant_iteratorIjlEEPS6_PlSH_S8_NS0_8equal_toIS6_EEEE10hipError_tPvRmT2_T3_mT4_T5_T6_T7_T8_P12ihipStream_tbENKUlT_T0_E_clISt17integral_constantIbLb0EES10_IbLb1EEEEDaSW_SX_EUlSW_E_NS1_11comp_targetILNS1_3genE4ELNS1_11target_archE910ELNS1_3gpuE8ELNS1_3repE0EEENS1_30default_config_static_selectorELNS0_4arch9wavefront6targetE0EEEvT1_,comdat
	.protected	_ZN7rocprim17ROCPRIM_400000_NS6detail17trampoline_kernelINS0_14default_configENS1_33run_length_encode_config_selectorIN3c104HalfEjNS0_4plusIjEEEEZZNS1_33reduce_by_key_impl_wrapped_configILNS1_25lookback_scan_determinismE0ES3_S9_PKS6_NS0_17constant_iteratorIjlEEPS6_PlSH_S8_NS0_8equal_toIS6_EEEE10hipError_tPvRmT2_T3_mT4_T5_T6_T7_T8_P12ihipStream_tbENKUlT_T0_E_clISt17integral_constantIbLb0EES10_IbLb1EEEEDaSW_SX_EUlSW_E_NS1_11comp_targetILNS1_3genE4ELNS1_11target_archE910ELNS1_3gpuE8ELNS1_3repE0EEENS1_30default_config_static_selectorELNS0_4arch9wavefront6targetE0EEEvT1_ ; -- Begin function _ZN7rocprim17ROCPRIM_400000_NS6detail17trampoline_kernelINS0_14default_configENS1_33run_length_encode_config_selectorIN3c104HalfEjNS0_4plusIjEEEEZZNS1_33reduce_by_key_impl_wrapped_configILNS1_25lookback_scan_determinismE0ES3_S9_PKS6_NS0_17constant_iteratorIjlEEPS6_PlSH_S8_NS0_8equal_toIS6_EEEE10hipError_tPvRmT2_T3_mT4_T5_T6_T7_T8_P12ihipStream_tbENKUlT_T0_E_clISt17integral_constantIbLb0EES10_IbLb1EEEEDaSW_SX_EUlSW_E_NS1_11comp_targetILNS1_3genE4ELNS1_11target_archE910ELNS1_3gpuE8ELNS1_3repE0EEENS1_30default_config_static_selectorELNS0_4arch9wavefront6targetE0EEEvT1_
	.globl	_ZN7rocprim17ROCPRIM_400000_NS6detail17trampoline_kernelINS0_14default_configENS1_33run_length_encode_config_selectorIN3c104HalfEjNS0_4plusIjEEEEZZNS1_33reduce_by_key_impl_wrapped_configILNS1_25lookback_scan_determinismE0ES3_S9_PKS6_NS0_17constant_iteratorIjlEEPS6_PlSH_S8_NS0_8equal_toIS6_EEEE10hipError_tPvRmT2_T3_mT4_T5_T6_T7_T8_P12ihipStream_tbENKUlT_T0_E_clISt17integral_constantIbLb0EES10_IbLb1EEEEDaSW_SX_EUlSW_E_NS1_11comp_targetILNS1_3genE4ELNS1_11target_archE910ELNS1_3gpuE8ELNS1_3repE0EEENS1_30default_config_static_selectorELNS0_4arch9wavefront6targetE0EEEvT1_
	.p2align	8
	.type	_ZN7rocprim17ROCPRIM_400000_NS6detail17trampoline_kernelINS0_14default_configENS1_33run_length_encode_config_selectorIN3c104HalfEjNS0_4plusIjEEEEZZNS1_33reduce_by_key_impl_wrapped_configILNS1_25lookback_scan_determinismE0ES3_S9_PKS6_NS0_17constant_iteratorIjlEEPS6_PlSH_S8_NS0_8equal_toIS6_EEEE10hipError_tPvRmT2_T3_mT4_T5_T6_T7_T8_P12ihipStream_tbENKUlT_T0_E_clISt17integral_constantIbLb0EES10_IbLb1EEEEDaSW_SX_EUlSW_E_NS1_11comp_targetILNS1_3genE4ELNS1_11target_archE910ELNS1_3gpuE8ELNS1_3repE0EEENS1_30default_config_static_selectorELNS0_4arch9wavefront6targetE0EEEvT1_,@function
_ZN7rocprim17ROCPRIM_400000_NS6detail17trampoline_kernelINS0_14default_configENS1_33run_length_encode_config_selectorIN3c104HalfEjNS0_4plusIjEEEEZZNS1_33reduce_by_key_impl_wrapped_configILNS1_25lookback_scan_determinismE0ES3_S9_PKS6_NS0_17constant_iteratorIjlEEPS6_PlSH_S8_NS0_8equal_toIS6_EEEE10hipError_tPvRmT2_T3_mT4_T5_T6_T7_T8_P12ihipStream_tbENKUlT_T0_E_clISt17integral_constantIbLb0EES10_IbLb1EEEEDaSW_SX_EUlSW_E_NS1_11comp_targetILNS1_3genE4ELNS1_11target_archE910ELNS1_3gpuE8ELNS1_3repE0EEENS1_30default_config_static_selectorELNS0_4arch9wavefront6targetE0EEEvT1_: ; @_ZN7rocprim17ROCPRIM_400000_NS6detail17trampoline_kernelINS0_14default_configENS1_33run_length_encode_config_selectorIN3c104HalfEjNS0_4plusIjEEEEZZNS1_33reduce_by_key_impl_wrapped_configILNS1_25lookback_scan_determinismE0ES3_S9_PKS6_NS0_17constant_iteratorIjlEEPS6_PlSH_S8_NS0_8equal_toIS6_EEEE10hipError_tPvRmT2_T3_mT4_T5_T6_T7_T8_P12ihipStream_tbENKUlT_T0_E_clISt17integral_constantIbLb0EES10_IbLb1EEEEDaSW_SX_EUlSW_E_NS1_11comp_targetILNS1_3genE4ELNS1_11target_archE910ELNS1_3gpuE8ELNS1_3repE0EEENS1_30default_config_static_selectorELNS0_4arch9wavefront6targetE0EEEvT1_
; %bb.0:
	.section	.rodata,"a",@progbits
	.p2align	6, 0x0
	.amdhsa_kernel _ZN7rocprim17ROCPRIM_400000_NS6detail17trampoline_kernelINS0_14default_configENS1_33run_length_encode_config_selectorIN3c104HalfEjNS0_4plusIjEEEEZZNS1_33reduce_by_key_impl_wrapped_configILNS1_25lookback_scan_determinismE0ES3_S9_PKS6_NS0_17constant_iteratorIjlEEPS6_PlSH_S8_NS0_8equal_toIS6_EEEE10hipError_tPvRmT2_T3_mT4_T5_T6_T7_T8_P12ihipStream_tbENKUlT_T0_E_clISt17integral_constantIbLb0EES10_IbLb1EEEEDaSW_SX_EUlSW_E_NS1_11comp_targetILNS1_3genE4ELNS1_11target_archE910ELNS1_3gpuE8ELNS1_3repE0EEENS1_30default_config_static_selectorELNS0_4arch9wavefront6targetE0EEEvT1_
		.amdhsa_group_segment_fixed_size 0
		.amdhsa_private_segment_fixed_size 0
		.amdhsa_kernarg_size 128
		.amdhsa_user_sgpr_count 2
		.amdhsa_user_sgpr_dispatch_ptr 0
		.amdhsa_user_sgpr_queue_ptr 0
		.amdhsa_user_sgpr_kernarg_segment_ptr 1
		.amdhsa_user_sgpr_dispatch_id 0
		.amdhsa_user_sgpr_kernarg_preload_length 0
		.amdhsa_user_sgpr_kernarg_preload_offset 0
		.amdhsa_user_sgpr_private_segment_size 0
		.amdhsa_wavefront_size32 1
		.amdhsa_uses_dynamic_stack 0
		.amdhsa_enable_private_segment 0
		.amdhsa_system_sgpr_workgroup_id_x 1
		.amdhsa_system_sgpr_workgroup_id_y 0
		.amdhsa_system_sgpr_workgroup_id_z 0
		.amdhsa_system_sgpr_workgroup_info 0
		.amdhsa_system_vgpr_workitem_id 0
		.amdhsa_next_free_vgpr 1
		.amdhsa_next_free_sgpr 1
		.amdhsa_named_barrier_count 0
		.amdhsa_reserve_vcc 0
		.amdhsa_float_round_mode_32 0
		.amdhsa_float_round_mode_16_64 0
		.amdhsa_float_denorm_mode_32 3
		.amdhsa_float_denorm_mode_16_64 3
		.amdhsa_fp16_overflow 0
		.amdhsa_memory_ordered 1
		.amdhsa_forward_progress 1
		.amdhsa_inst_pref_size 0
		.amdhsa_round_robin_scheduling 0
		.amdhsa_exception_fp_ieee_invalid_op 0
		.amdhsa_exception_fp_denorm_src 0
		.amdhsa_exception_fp_ieee_div_zero 0
		.amdhsa_exception_fp_ieee_overflow 0
		.amdhsa_exception_fp_ieee_underflow 0
		.amdhsa_exception_fp_ieee_inexact 0
		.amdhsa_exception_int_div_zero 0
	.end_amdhsa_kernel
	.section	.text._ZN7rocprim17ROCPRIM_400000_NS6detail17trampoline_kernelINS0_14default_configENS1_33run_length_encode_config_selectorIN3c104HalfEjNS0_4plusIjEEEEZZNS1_33reduce_by_key_impl_wrapped_configILNS1_25lookback_scan_determinismE0ES3_S9_PKS6_NS0_17constant_iteratorIjlEEPS6_PlSH_S8_NS0_8equal_toIS6_EEEE10hipError_tPvRmT2_T3_mT4_T5_T6_T7_T8_P12ihipStream_tbENKUlT_T0_E_clISt17integral_constantIbLb0EES10_IbLb1EEEEDaSW_SX_EUlSW_E_NS1_11comp_targetILNS1_3genE4ELNS1_11target_archE910ELNS1_3gpuE8ELNS1_3repE0EEENS1_30default_config_static_selectorELNS0_4arch9wavefront6targetE0EEEvT1_,"axG",@progbits,_ZN7rocprim17ROCPRIM_400000_NS6detail17trampoline_kernelINS0_14default_configENS1_33run_length_encode_config_selectorIN3c104HalfEjNS0_4plusIjEEEEZZNS1_33reduce_by_key_impl_wrapped_configILNS1_25lookback_scan_determinismE0ES3_S9_PKS6_NS0_17constant_iteratorIjlEEPS6_PlSH_S8_NS0_8equal_toIS6_EEEE10hipError_tPvRmT2_T3_mT4_T5_T6_T7_T8_P12ihipStream_tbENKUlT_T0_E_clISt17integral_constantIbLb0EES10_IbLb1EEEEDaSW_SX_EUlSW_E_NS1_11comp_targetILNS1_3genE4ELNS1_11target_archE910ELNS1_3gpuE8ELNS1_3repE0EEENS1_30default_config_static_selectorELNS0_4arch9wavefront6targetE0EEEvT1_,comdat
.Lfunc_end954:
	.size	_ZN7rocprim17ROCPRIM_400000_NS6detail17trampoline_kernelINS0_14default_configENS1_33run_length_encode_config_selectorIN3c104HalfEjNS0_4plusIjEEEEZZNS1_33reduce_by_key_impl_wrapped_configILNS1_25lookback_scan_determinismE0ES3_S9_PKS6_NS0_17constant_iteratorIjlEEPS6_PlSH_S8_NS0_8equal_toIS6_EEEE10hipError_tPvRmT2_T3_mT4_T5_T6_T7_T8_P12ihipStream_tbENKUlT_T0_E_clISt17integral_constantIbLb0EES10_IbLb1EEEEDaSW_SX_EUlSW_E_NS1_11comp_targetILNS1_3genE4ELNS1_11target_archE910ELNS1_3gpuE8ELNS1_3repE0EEENS1_30default_config_static_selectorELNS0_4arch9wavefront6targetE0EEEvT1_, .Lfunc_end954-_ZN7rocprim17ROCPRIM_400000_NS6detail17trampoline_kernelINS0_14default_configENS1_33run_length_encode_config_selectorIN3c104HalfEjNS0_4plusIjEEEEZZNS1_33reduce_by_key_impl_wrapped_configILNS1_25lookback_scan_determinismE0ES3_S9_PKS6_NS0_17constant_iteratorIjlEEPS6_PlSH_S8_NS0_8equal_toIS6_EEEE10hipError_tPvRmT2_T3_mT4_T5_T6_T7_T8_P12ihipStream_tbENKUlT_T0_E_clISt17integral_constantIbLb0EES10_IbLb1EEEEDaSW_SX_EUlSW_E_NS1_11comp_targetILNS1_3genE4ELNS1_11target_archE910ELNS1_3gpuE8ELNS1_3repE0EEENS1_30default_config_static_selectorELNS0_4arch9wavefront6targetE0EEEvT1_
                                        ; -- End function
	.set _ZN7rocprim17ROCPRIM_400000_NS6detail17trampoline_kernelINS0_14default_configENS1_33run_length_encode_config_selectorIN3c104HalfEjNS0_4plusIjEEEEZZNS1_33reduce_by_key_impl_wrapped_configILNS1_25lookback_scan_determinismE0ES3_S9_PKS6_NS0_17constant_iteratorIjlEEPS6_PlSH_S8_NS0_8equal_toIS6_EEEE10hipError_tPvRmT2_T3_mT4_T5_T6_T7_T8_P12ihipStream_tbENKUlT_T0_E_clISt17integral_constantIbLb0EES10_IbLb1EEEEDaSW_SX_EUlSW_E_NS1_11comp_targetILNS1_3genE4ELNS1_11target_archE910ELNS1_3gpuE8ELNS1_3repE0EEENS1_30default_config_static_selectorELNS0_4arch9wavefront6targetE0EEEvT1_.num_vgpr, 0
	.set _ZN7rocprim17ROCPRIM_400000_NS6detail17trampoline_kernelINS0_14default_configENS1_33run_length_encode_config_selectorIN3c104HalfEjNS0_4plusIjEEEEZZNS1_33reduce_by_key_impl_wrapped_configILNS1_25lookback_scan_determinismE0ES3_S9_PKS6_NS0_17constant_iteratorIjlEEPS6_PlSH_S8_NS0_8equal_toIS6_EEEE10hipError_tPvRmT2_T3_mT4_T5_T6_T7_T8_P12ihipStream_tbENKUlT_T0_E_clISt17integral_constantIbLb0EES10_IbLb1EEEEDaSW_SX_EUlSW_E_NS1_11comp_targetILNS1_3genE4ELNS1_11target_archE910ELNS1_3gpuE8ELNS1_3repE0EEENS1_30default_config_static_selectorELNS0_4arch9wavefront6targetE0EEEvT1_.num_agpr, 0
	.set _ZN7rocprim17ROCPRIM_400000_NS6detail17trampoline_kernelINS0_14default_configENS1_33run_length_encode_config_selectorIN3c104HalfEjNS0_4plusIjEEEEZZNS1_33reduce_by_key_impl_wrapped_configILNS1_25lookback_scan_determinismE0ES3_S9_PKS6_NS0_17constant_iteratorIjlEEPS6_PlSH_S8_NS0_8equal_toIS6_EEEE10hipError_tPvRmT2_T3_mT4_T5_T6_T7_T8_P12ihipStream_tbENKUlT_T0_E_clISt17integral_constantIbLb0EES10_IbLb1EEEEDaSW_SX_EUlSW_E_NS1_11comp_targetILNS1_3genE4ELNS1_11target_archE910ELNS1_3gpuE8ELNS1_3repE0EEENS1_30default_config_static_selectorELNS0_4arch9wavefront6targetE0EEEvT1_.numbered_sgpr, 0
	.set _ZN7rocprim17ROCPRIM_400000_NS6detail17trampoline_kernelINS0_14default_configENS1_33run_length_encode_config_selectorIN3c104HalfEjNS0_4plusIjEEEEZZNS1_33reduce_by_key_impl_wrapped_configILNS1_25lookback_scan_determinismE0ES3_S9_PKS6_NS0_17constant_iteratorIjlEEPS6_PlSH_S8_NS0_8equal_toIS6_EEEE10hipError_tPvRmT2_T3_mT4_T5_T6_T7_T8_P12ihipStream_tbENKUlT_T0_E_clISt17integral_constantIbLb0EES10_IbLb1EEEEDaSW_SX_EUlSW_E_NS1_11comp_targetILNS1_3genE4ELNS1_11target_archE910ELNS1_3gpuE8ELNS1_3repE0EEENS1_30default_config_static_selectorELNS0_4arch9wavefront6targetE0EEEvT1_.num_named_barrier, 0
	.set _ZN7rocprim17ROCPRIM_400000_NS6detail17trampoline_kernelINS0_14default_configENS1_33run_length_encode_config_selectorIN3c104HalfEjNS0_4plusIjEEEEZZNS1_33reduce_by_key_impl_wrapped_configILNS1_25lookback_scan_determinismE0ES3_S9_PKS6_NS0_17constant_iteratorIjlEEPS6_PlSH_S8_NS0_8equal_toIS6_EEEE10hipError_tPvRmT2_T3_mT4_T5_T6_T7_T8_P12ihipStream_tbENKUlT_T0_E_clISt17integral_constantIbLb0EES10_IbLb1EEEEDaSW_SX_EUlSW_E_NS1_11comp_targetILNS1_3genE4ELNS1_11target_archE910ELNS1_3gpuE8ELNS1_3repE0EEENS1_30default_config_static_selectorELNS0_4arch9wavefront6targetE0EEEvT1_.private_seg_size, 0
	.set _ZN7rocprim17ROCPRIM_400000_NS6detail17trampoline_kernelINS0_14default_configENS1_33run_length_encode_config_selectorIN3c104HalfEjNS0_4plusIjEEEEZZNS1_33reduce_by_key_impl_wrapped_configILNS1_25lookback_scan_determinismE0ES3_S9_PKS6_NS0_17constant_iteratorIjlEEPS6_PlSH_S8_NS0_8equal_toIS6_EEEE10hipError_tPvRmT2_T3_mT4_T5_T6_T7_T8_P12ihipStream_tbENKUlT_T0_E_clISt17integral_constantIbLb0EES10_IbLb1EEEEDaSW_SX_EUlSW_E_NS1_11comp_targetILNS1_3genE4ELNS1_11target_archE910ELNS1_3gpuE8ELNS1_3repE0EEENS1_30default_config_static_selectorELNS0_4arch9wavefront6targetE0EEEvT1_.uses_vcc, 0
	.set _ZN7rocprim17ROCPRIM_400000_NS6detail17trampoline_kernelINS0_14default_configENS1_33run_length_encode_config_selectorIN3c104HalfEjNS0_4plusIjEEEEZZNS1_33reduce_by_key_impl_wrapped_configILNS1_25lookback_scan_determinismE0ES3_S9_PKS6_NS0_17constant_iteratorIjlEEPS6_PlSH_S8_NS0_8equal_toIS6_EEEE10hipError_tPvRmT2_T3_mT4_T5_T6_T7_T8_P12ihipStream_tbENKUlT_T0_E_clISt17integral_constantIbLb0EES10_IbLb1EEEEDaSW_SX_EUlSW_E_NS1_11comp_targetILNS1_3genE4ELNS1_11target_archE910ELNS1_3gpuE8ELNS1_3repE0EEENS1_30default_config_static_selectorELNS0_4arch9wavefront6targetE0EEEvT1_.uses_flat_scratch, 0
	.set _ZN7rocprim17ROCPRIM_400000_NS6detail17trampoline_kernelINS0_14default_configENS1_33run_length_encode_config_selectorIN3c104HalfEjNS0_4plusIjEEEEZZNS1_33reduce_by_key_impl_wrapped_configILNS1_25lookback_scan_determinismE0ES3_S9_PKS6_NS0_17constant_iteratorIjlEEPS6_PlSH_S8_NS0_8equal_toIS6_EEEE10hipError_tPvRmT2_T3_mT4_T5_T6_T7_T8_P12ihipStream_tbENKUlT_T0_E_clISt17integral_constantIbLb0EES10_IbLb1EEEEDaSW_SX_EUlSW_E_NS1_11comp_targetILNS1_3genE4ELNS1_11target_archE910ELNS1_3gpuE8ELNS1_3repE0EEENS1_30default_config_static_selectorELNS0_4arch9wavefront6targetE0EEEvT1_.has_dyn_sized_stack, 0
	.set _ZN7rocprim17ROCPRIM_400000_NS6detail17trampoline_kernelINS0_14default_configENS1_33run_length_encode_config_selectorIN3c104HalfEjNS0_4plusIjEEEEZZNS1_33reduce_by_key_impl_wrapped_configILNS1_25lookback_scan_determinismE0ES3_S9_PKS6_NS0_17constant_iteratorIjlEEPS6_PlSH_S8_NS0_8equal_toIS6_EEEE10hipError_tPvRmT2_T3_mT4_T5_T6_T7_T8_P12ihipStream_tbENKUlT_T0_E_clISt17integral_constantIbLb0EES10_IbLb1EEEEDaSW_SX_EUlSW_E_NS1_11comp_targetILNS1_3genE4ELNS1_11target_archE910ELNS1_3gpuE8ELNS1_3repE0EEENS1_30default_config_static_selectorELNS0_4arch9wavefront6targetE0EEEvT1_.has_recursion, 0
	.set _ZN7rocprim17ROCPRIM_400000_NS6detail17trampoline_kernelINS0_14default_configENS1_33run_length_encode_config_selectorIN3c104HalfEjNS0_4plusIjEEEEZZNS1_33reduce_by_key_impl_wrapped_configILNS1_25lookback_scan_determinismE0ES3_S9_PKS6_NS0_17constant_iteratorIjlEEPS6_PlSH_S8_NS0_8equal_toIS6_EEEE10hipError_tPvRmT2_T3_mT4_T5_T6_T7_T8_P12ihipStream_tbENKUlT_T0_E_clISt17integral_constantIbLb0EES10_IbLb1EEEEDaSW_SX_EUlSW_E_NS1_11comp_targetILNS1_3genE4ELNS1_11target_archE910ELNS1_3gpuE8ELNS1_3repE0EEENS1_30default_config_static_selectorELNS0_4arch9wavefront6targetE0EEEvT1_.has_indirect_call, 0
	.section	.AMDGPU.csdata,"",@progbits
; Kernel info:
; codeLenInByte = 0
; TotalNumSgprs: 0
; NumVgprs: 0
; ScratchSize: 0
; MemoryBound: 0
; FloatMode: 240
; IeeeMode: 1
; LDSByteSize: 0 bytes/workgroup (compile time only)
; SGPRBlocks: 0
; VGPRBlocks: 0
; NumSGPRsForWavesPerEU: 1
; NumVGPRsForWavesPerEU: 1
; NamedBarCnt: 0
; Occupancy: 16
; WaveLimiterHint : 0
; COMPUTE_PGM_RSRC2:SCRATCH_EN: 0
; COMPUTE_PGM_RSRC2:USER_SGPR: 2
; COMPUTE_PGM_RSRC2:TRAP_HANDLER: 0
; COMPUTE_PGM_RSRC2:TGID_X_EN: 1
; COMPUTE_PGM_RSRC2:TGID_Y_EN: 0
; COMPUTE_PGM_RSRC2:TGID_Z_EN: 0
; COMPUTE_PGM_RSRC2:TIDIG_COMP_CNT: 0
	.section	.text._ZN7rocprim17ROCPRIM_400000_NS6detail17trampoline_kernelINS0_14default_configENS1_33run_length_encode_config_selectorIN3c104HalfEjNS0_4plusIjEEEEZZNS1_33reduce_by_key_impl_wrapped_configILNS1_25lookback_scan_determinismE0ES3_S9_PKS6_NS0_17constant_iteratorIjlEEPS6_PlSH_S8_NS0_8equal_toIS6_EEEE10hipError_tPvRmT2_T3_mT4_T5_T6_T7_T8_P12ihipStream_tbENKUlT_T0_E_clISt17integral_constantIbLb0EES10_IbLb1EEEEDaSW_SX_EUlSW_E_NS1_11comp_targetILNS1_3genE3ELNS1_11target_archE908ELNS1_3gpuE7ELNS1_3repE0EEENS1_30default_config_static_selectorELNS0_4arch9wavefront6targetE0EEEvT1_,"axG",@progbits,_ZN7rocprim17ROCPRIM_400000_NS6detail17trampoline_kernelINS0_14default_configENS1_33run_length_encode_config_selectorIN3c104HalfEjNS0_4plusIjEEEEZZNS1_33reduce_by_key_impl_wrapped_configILNS1_25lookback_scan_determinismE0ES3_S9_PKS6_NS0_17constant_iteratorIjlEEPS6_PlSH_S8_NS0_8equal_toIS6_EEEE10hipError_tPvRmT2_T3_mT4_T5_T6_T7_T8_P12ihipStream_tbENKUlT_T0_E_clISt17integral_constantIbLb0EES10_IbLb1EEEEDaSW_SX_EUlSW_E_NS1_11comp_targetILNS1_3genE3ELNS1_11target_archE908ELNS1_3gpuE7ELNS1_3repE0EEENS1_30default_config_static_selectorELNS0_4arch9wavefront6targetE0EEEvT1_,comdat
	.protected	_ZN7rocprim17ROCPRIM_400000_NS6detail17trampoline_kernelINS0_14default_configENS1_33run_length_encode_config_selectorIN3c104HalfEjNS0_4plusIjEEEEZZNS1_33reduce_by_key_impl_wrapped_configILNS1_25lookback_scan_determinismE0ES3_S9_PKS6_NS0_17constant_iteratorIjlEEPS6_PlSH_S8_NS0_8equal_toIS6_EEEE10hipError_tPvRmT2_T3_mT4_T5_T6_T7_T8_P12ihipStream_tbENKUlT_T0_E_clISt17integral_constantIbLb0EES10_IbLb1EEEEDaSW_SX_EUlSW_E_NS1_11comp_targetILNS1_3genE3ELNS1_11target_archE908ELNS1_3gpuE7ELNS1_3repE0EEENS1_30default_config_static_selectorELNS0_4arch9wavefront6targetE0EEEvT1_ ; -- Begin function _ZN7rocprim17ROCPRIM_400000_NS6detail17trampoline_kernelINS0_14default_configENS1_33run_length_encode_config_selectorIN3c104HalfEjNS0_4plusIjEEEEZZNS1_33reduce_by_key_impl_wrapped_configILNS1_25lookback_scan_determinismE0ES3_S9_PKS6_NS0_17constant_iteratorIjlEEPS6_PlSH_S8_NS0_8equal_toIS6_EEEE10hipError_tPvRmT2_T3_mT4_T5_T6_T7_T8_P12ihipStream_tbENKUlT_T0_E_clISt17integral_constantIbLb0EES10_IbLb1EEEEDaSW_SX_EUlSW_E_NS1_11comp_targetILNS1_3genE3ELNS1_11target_archE908ELNS1_3gpuE7ELNS1_3repE0EEENS1_30default_config_static_selectorELNS0_4arch9wavefront6targetE0EEEvT1_
	.globl	_ZN7rocprim17ROCPRIM_400000_NS6detail17trampoline_kernelINS0_14default_configENS1_33run_length_encode_config_selectorIN3c104HalfEjNS0_4plusIjEEEEZZNS1_33reduce_by_key_impl_wrapped_configILNS1_25lookback_scan_determinismE0ES3_S9_PKS6_NS0_17constant_iteratorIjlEEPS6_PlSH_S8_NS0_8equal_toIS6_EEEE10hipError_tPvRmT2_T3_mT4_T5_T6_T7_T8_P12ihipStream_tbENKUlT_T0_E_clISt17integral_constantIbLb0EES10_IbLb1EEEEDaSW_SX_EUlSW_E_NS1_11comp_targetILNS1_3genE3ELNS1_11target_archE908ELNS1_3gpuE7ELNS1_3repE0EEENS1_30default_config_static_selectorELNS0_4arch9wavefront6targetE0EEEvT1_
	.p2align	8
	.type	_ZN7rocprim17ROCPRIM_400000_NS6detail17trampoline_kernelINS0_14default_configENS1_33run_length_encode_config_selectorIN3c104HalfEjNS0_4plusIjEEEEZZNS1_33reduce_by_key_impl_wrapped_configILNS1_25lookback_scan_determinismE0ES3_S9_PKS6_NS0_17constant_iteratorIjlEEPS6_PlSH_S8_NS0_8equal_toIS6_EEEE10hipError_tPvRmT2_T3_mT4_T5_T6_T7_T8_P12ihipStream_tbENKUlT_T0_E_clISt17integral_constantIbLb0EES10_IbLb1EEEEDaSW_SX_EUlSW_E_NS1_11comp_targetILNS1_3genE3ELNS1_11target_archE908ELNS1_3gpuE7ELNS1_3repE0EEENS1_30default_config_static_selectorELNS0_4arch9wavefront6targetE0EEEvT1_,@function
_ZN7rocprim17ROCPRIM_400000_NS6detail17trampoline_kernelINS0_14default_configENS1_33run_length_encode_config_selectorIN3c104HalfEjNS0_4plusIjEEEEZZNS1_33reduce_by_key_impl_wrapped_configILNS1_25lookback_scan_determinismE0ES3_S9_PKS6_NS0_17constant_iteratorIjlEEPS6_PlSH_S8_NS0_8equal_toIS6_EEEE10hipError_tPvRmT2_T3_mT4_T5_T6_T7_T8_P12ihipStream_tbENKUlT_T0_E_clISt17integral_constantIbLb0EES10_IbLb1EEEEDaSW_SX_EUlSW_E_NS1_11comp_targetILNS1_3genE3ELNS1_11target_archE908ELNS1_3gpuE7ELNS1_3repE0EEENS1_30default_config_static_selectorELNS0_4arch9wavefront6targetE0EEEvT1_: ; @_ZN7rocprim17ROCPRIM_400000_NS6detail17trampoline_kernelINS0_14default_configENS1_33run_length_encode_config_selectorIN3c104HalfEjNS0_4plusIjEEEEZZNS1_33reduce_by_key_impl_wrapped_configILNS1_25lookback_scan_determinismE0ES3_S9_PKS6_NS0_17constant_iteratorIjlEEPS6_PlSH_S8_NS0_8equal_toIS6_EEEE10hipError_tPvRmT2_T3_mT4_T5_T6_T7_T8_P12ihipStream_tbENKUlT_T0_E_clISt17integral_constantIbLb0EES10_IbLb1EEEEDaSW_SX_EUlSW_E_NS1_11comp_targetILNS1_3genE3ELNS1_11target_archE908ELNS1_3gpuE7ELNS1_3repE0EEENS1_30default_config_static_selectorELNS0_4arch9wavefront6targetE0EEEvT1_
; %bb.0:
	.section	.rodata,"a",@progbits
	.p2align	6, 0x0
	.amdhsa_kernel _ZN7rocprim17ROCPRIM_400000_NS6detail17trampoline_kernelINS0_14default_configENS1_33run_length_encode_config_selectorIN3c104HalfEjNS0_4plusIjEEEEZZNS1_33reduce_by_key_impl_wrapped_configILNS1_25lookback_scan_determinismE0ES3_S9_PKS6_NS0_17constant_iteratorIjlEEPS6_PlSH_S8_NS0_8equal_toIS6_EEEE10hipError_tPvRmT2_T3_mT4_T5_T6_T7_T8_P12ihipStream_tbENKUlT_T0_E_clISt17integral_constantIbLb0EES10_IbLb1EEEEDaSW_SX_EUlSW_E_NS1_11comp_targetILNS1_3genE3ELNS1_11target_archE908ELNS1_3gpuE7ELNS1_3repE0EEENS1_30default_config_static_selectorELNS0_4arch9wavefront6targetE0EEEvT1_
		.amdhsa_group_segment_fixed_size 0
		.amdhsa_private_segment_fixed_size 0
		.amdhsa_kernarg_size 128
		.amdhsa_user_sgpr_count 2
		.amdhsa_user_sgpr_dispatch_ptr 0
		.amdhsa_user_sgpr_queue_ptr 0
		.amdhsa_user_sgpr_kernarg_segment_ptr 1
		.amdhsa_user_sgpr_dispatch_id 0
		.amdhsa_user_sgpr_kernarg_preload_length 0
		.amdhsa_user_sgpr_kernarg_preload_offset 0
		.amdhsa_user_sgpr_private_segment_size 0
		.amdhsa_wavefront_size32 1
		.amdhsa_uses_dynamic_stack 0
		.amdhsa_enable_private_segment 0
		.amdhsa_system_sgpr_workgroup_id_x 1
		.amdhsa_system_sgpr_workgroup_id_y 0
		.amdhsa_system_sgpr_workgroup_id_z 0
		.amdhsa_system_sgpr_workgroup_info 0
		.amdhsa_system_vgpr_workitem_id 0
		.amdhsa_next_free_vgpr 1
		.amdhsa_next_free_sgpr 1
		.amdhsa_named_barrier_count 0
		.amdhsa_reserve_vcc 0
		.amdhsa_float_round_mode_32 0
		.amdhsa_float_round_mode_16_64 0
		.amdhsa_float_denorm_mode_32 3
		.amdhsa_float_denorm_mode_16_64 3
		.amdhsa_fp16_overflow 0
		.amdhsa_memory_ordered 1
		.amdhsa_forward_progress 1
		.amdhsa_inst_pref_size 0
		.amdhsa_round_robin_scheduling 0
		.amdhsa_exception_fp_ieee_invalid_op 0
		.amdhsa_exception_fp_denorm_src 0
		.amdhsa_exception_fp_ieee_div_zero 0
		.amdhsa_exception_fp_ieee_overflow 0
		.amdhsa_exception_fp_ieee_underflow 0
		.amdhsa_exception_fp_ieee_inexact 0
		.amdhsa_exception_int_div_zero 0
	.end_amdhsa_kernel
	.section	.text._ZN7rocprim17ROCPRIM_400000_NS6detail17trampoline_kernelINS0_14default_configENS1_33run_length_encode_config_selectorIN3c104HalfEjNS0_4plusIjEEEEZZNS1_33reduce_by_key_impl_wrapped_configILNS1_25lookback_scan_determinismE0ES3_S9_PKS6_NS0_17constant_iteratorIjlEEPS6_PlSH_S8_NS0_8equal_toIS6_EEEE10hipError_tPvRmT2_T3_mT4_T5_T6_T7_T8_P12ihipStream_tbENKUlT_T0_E_clISt17integral_constantIbLb0EES10_IbLb1EEEEDaSW_SX_EUlSW_E_NS1_11comp_targetILNS1_3genE3ELNS1_11target_archE908ELNS1_3gpuE7ELNS1_3repE0EEENS1_30default_config_static_selectorELNS0_4arch9wavefront6targetE0EEEvT1_,"axG",@progbits,_ZN7rocprim17ROCPRIM_400000_NS6detail17trampoline_kernelINS0_14default_configENS1_33run_length_encode_config_selectorIN3c104HalfEjNS0_4plusIjEEEEZZNS1_33reduce_by_key_impl_wrapped_configILNS1_25lookback_scan_determinismE0ES3_S9_PKS6_NS0_17constant_iteratorIjlEEPS6_PlSH_S8_NS0_8equal_toIS6_EEEE10hipError_tPvRmT2_T3_mT4_T5_T6_T7_T8_P12ihipStream_tbENKUlT_T0_E_clISt17integral_constantIbLb0EES10_IbLb1EEEEDaSW_SX_EUlSW_E_NS1_11comp_targetILNS1_3genE3ELNS1_11target_archE908ELNS1_3gpuE7ELNS1_3repE0EEENS1_30default_config_static_selectorELNS0_4arch9wavefront6targetE0EEEvT1_,comdat
.Lfunc_end955:
	.size	_ZN7rocprim17ROCPRIM_400000_NS6detail17trampoline_kernelINS0_14default_configENS1_33run_length_encode_config_selectorIN3c104HalfEjNS0_4plusIjEEEEZZNS1_33reduce_by_key_impl_wrapped_configILNS1_25lookback_scan_determinismE0ES3_S9_PKS6_NS0_17constant_iteratorIjlEEPS6_PlSH_S8_NS0_8equal_toIS6_EEEE10hipError_tPvRmT2_T3_mT4_T5_T6_T7_T8_P12ihipStream_tbENKUlT_T0_E_clISt17integral_constantIbLb0EES10_IbLb1EEEEDaSW_SX_EUlSW_E_NS1_11comp_targetILNS1_3genE3ELNS1_11target_archE908ELNS1_3gpuE7ELNS1_3repE0EEENS1_30default_config_static_selectorELNS0_4arch9wavefront6targetE0EEEvT1_, .Lfunc_end955-_ZN7rocprim17ROCPRIM_400000_NS6detail17trampoline_kernelINS0_14default_configENS1_33run_length_encode_config_selectorIN3c104HalfEjNS0_4plusIjEEEEZZNS1_33reduce_by_key_impl_wrapped_configILNS1_25lookback_scan_determinismE0ES3_S9_PKS6_NS0_17constant_iteratorIjlEEPS6_PlSH_S8_NS0_8equal_toIS6_EEEE10hipError_tPvRmT2_T3_mT4_T5_T6_T7_T8_P12ihipStream_tbENKUlT_T0_E_clISt17integral_constantIbLb0EES10_IbLb1EEEEDaSW_SX_EUlSW_E_NS1_11comp_targetILNS1_3genE3ELNS1_11target_archE908ELNS1_3gpuE7ELNS1_3repE0EEENS1_30default_config_static_selectorELNS0_4arch9wavefront6targetE0EEEvT1_
                                        ; -- End function
	.set _ZN7rocprim17ROCPRIM_400000_NS6detail17trampoline_kernelINS0_14default_configENS1_33run_length_encode_config_selectorIN3c104HalfEjNS0_4plusIjEEEEZZNS1_33reduce_by_key_impl_wrapped_configILNS1_25lookback_scan_determinismE0ES3_S9_PKS6_NS0_17constant_iteratorIjlEEPS6_PlSH_S8_NS0_8equal_toIS6_EEEE10hipError_tPvRmT2_T3_mT4_T5_T6_T7_T8_P12ihipStream_tbENKUlT_T0_E_clISt17integral_constantIbLb0EES10_IbLb1EEEEDaSW_SX_EUlSW_E_NS1_11comp_targetILNS1_3genE3ELNS1_11target_archE908ELNS1_3gpuE7ELNS1_3repE0EEENS1_30default_config_static_selectorELNS0_4arch9wavefront6targetE0EEEvT1_.num_vgpr, 0
	.set _ZN7rocprim17ROCPRIM_400000_NS6detail17trampoline_kernelINS0_14default_configENS1_33run_length_encode_config_selectorIN3c104HalfEjNS0_4plusIjEEEEZZNS1_33reduce_by_key_impl_wrapped_configILNS1_25lookback_scan_determinismE0ES3_S9_PKS6_NS0_17constant_iteratorIjlEEPS6_PlSH_S8_NS0_8equal_toIS6_EEEE10hipError_tPvRmT2_T3_mT4_T5_T6_T7_T8_P12ihipStream_tbENKUlT_T0_E_clISt17integral_constantIbLb0EES10_IbLb1EEEEDaSW_SX_EUlSW_E_NS1_11comp_targetILNS1_3genE3ELNS1_11target_archE908ELNS1_3gpuE7ELNS1_3repE0EEENS1_30default_config_static_selectorELNS0_4arch9wavefront6targetE0EEEvT1_.num_agpr, 0
	.set _ZN7rocprim17ROCPRIM_400000_NS6detail17trampoline_kernelINS0_14default_configENS1_33run_length_encode_config_selectorIN3c104HalfEjNS0_4plusIjEEEEZZNS1_33reduce_by_key_impl_wrapped_configILNS1_25lookback_scan_determinismE0ES3_S9_PKS6_NS0_17constant_iteratorIjlEEPS6_PlSH_S8_NS0_8equal_toIS6_EEEE10hipError_tPvRmT2_T3_mT4_T5_T6_T7_T8_P12ihipStream_tbENKUlT_T0_E_clISt17integral_constantIbLb0EES10_IbLb1EEEEDaSW_SX_EUlSW_E_NS1_11comp_targetILNS1_3genE3ELNS1_11target_archE908ELNS1_3gpuE7ELNS1_3repE0EEENS1_30default_config_static_selectorELNS0_4arch9wavefront6targetE0EEEvT1_.numbered_sgpr, 0
	.set _ZN7rocprim17ROCPRIM_400000_NS6detail17trampoline_kernelINS0_14default_configENS1_33run_length_encode_config_selectorIN3c104HalfEjNS0_4plusIjEEEEZZNS1_33reduce_by_key_impl_wrapped_configILNS1_25lookback_scan_determinismE0ES3_S9_PKS6_NS0_17constant_iteratorIjlEEPS6_PlSH_S8_NS0_8equal_toIS6_EEEE10hipError_tPvRmT2_T3_mT4_T5_T6_T7_T8_P12ihipStream_tbENKUlT_T0_E_clISt17integral_constantIbLb0EES10_IbLb1EEEEDaSW_SX_EUlSW_E_NS1_11comp_targetILNS1_3genE3ELNS1_11target_archE908ELNS1_3gpuE7ELNS1_3repE0EEENS1_30default_config_static_selectorELNS0_4arch9wavefront6targetE0EEEvT1_.num_named_barrier, 0
	.set _ZN7rocprim17ROCPRIM_400000_NS6detail17trampoline_kernelINS0_14default_configENS1_33run_length_encode_config_selectorIN3c104HalfEjNS0_4plusIjEEEEZZNS1_33reduce_by_key_impl_wrapped_configILNS1_25lookback_scan_determinismE0ES3_S9_PKS6_NS0_17constant_iteratorIjlEEPS6_PlSH_S8_NS0_8equal_toIS6_EEEE10hipError_tPvRmT2_T3_mT4_T5_T6_T7_T8_P12ihipStream_tbENKUlT_T0_E_clISt17integral_constantIbLb0EES10_IbLb1EEEEDaSW_SX_EUlSW_E_NS1_11comp_targetILNS1_3genE3ELNS1_11target_archE908ELNS1_3gpuE7ELNS1_3repE0EEENS1_30default_config_static_selectorELNS0_4arch9wavefront6targetE0EEEvT1_.private_seg_size, 0
	.set _ZN7rocprim17ROCPRIM_400000_NS6detail17trampoline_kernelINS0_14default_configENS1_33run_length_encode_config_selectorIN3c104HalfEjNS0_4plusIjEEEEZZNS1_33reduce_by_key_impl_wrapped_configILNS1_25lookback_scan_determinismE0ES3_S9_PKS6_NS0_17constant_iteratorIjlEEPS6_PlSH_S8_NS0_8equal_toIS6_EEEE10hipError_tPvRmT2_T3_mT4_T5_T6_T7_T8_P12ihipStream_tbENKUlT_T0_E_clISt17integral_constantIbLb0EES10_IbLb1EEEEDaSW_SX_EUlSW_E_NS1_11comp_targetILNS1_3genE3ELNS1_11target_archE908ELNS1_3gpuE7ELNS1_3repE0EEENS1_30default_config_static_selectorELNS0_4arch9wavefront6targetE0EEEvT1_.uses_vcc, 0
	.set _ZN7rocprim17ROCPRIM_400000_NS6detail17trampoline_kernelINS0_14default_configENS1_33run_length_encode_config_selectorIN3c104HalfEjNS0_4plusIjEEEEZZNS1_33reduce_by_key_impl_wrapped_configILNS1_25lookback_scan_determinismE0ES3_S9_PKS6_NS0_17constant_iteratorIjlEEPS6_PlSH_S8_NS0_8equal_toIS6_EEEE10hipError_tPvRmT2_T3_mT4_T5_T6_T7_T8_P12ihipStream_tbENKUlT_T0_E_clISt17integral_constantIbLb0EES10_IbLb1EEEEDaSW_SX_EUlSW_E_NS1_11comp_targetILNS1_3genE3ELNS1_11target_archE908ELNS1_3gpuE7ELNS1_3repE0EEENS1_30default_config_static_selectorELNS0_4arch9wavefront6targetE0EEEvT1_.uses_flat_scratch, 0
	.set _ZN7rocprim17ROCPRIM_400000_NS6detail17trampoline_kernelINS0_14default_configENS1_33run_length_encode_config_selectorIN3c104HalfEjNS0_4plusIjEEEEZZNS1_33reduce_by_key_impl_wrapped_configILNS1_25lookback_scan_determinismE0ES3_S9_PKS6_NS0_17constant_iteratorIjlEEPS6_PlSH_S8_NS0_8equal_toIS6_EEEE10hipError_tPvRmT2_T3_mT4_T5_T6_T7_T8_P12ihipStream_tbENKUlT_T0_E_clISt17integral_constantIbLb0EES10_IbLb1EEEEDaSW_SX_EUlSW_E_NS1_11comp_targetILNS1_3genE3ELNS1_11target_archE908ELNS1_3gpuE7ELNS1_3repE0EEENS1_30default_config_static_selectorELNS0_4arch9wavefront6targetE0EEEvT1_.has_dyn_sized_stack, 0
	.set _ZN7rocprim17ROCPRIM_400000_NS6detail17trampoline_kernelINS0_14default_configENS1_33run_length_encode_config_selectorIN3c104HalfEjNS0_4plusIjEEEEZZNS1_33reduce_by_key_impl_wrapped_configILNS1_25lookback_scan_determinismE0ES3_S9_PKS6_NS0_17constant_iteratorIjlEEPS6_PlSH_S8_NS0_8equal_toIS6_EEEE10hipError_tPvRmT2_T3_mT4_T5_T6_T7_T8_P12ihipStream_tbENKUlT_T0_E_clISt17integral_constantIbLb0EES10_IbLb1EEEEDaSW_SX_EUlSW_E_NS1_11comp_targetILNS1_3genE3ELNS1_11target_archE908ELNS1_3gpuE7ELNS1_3repE0EEENS1_30default_config_static_selectorELNS0_4arch9wavefront6targetE0EEEvT1_.has_recursion, 0
	.set _ZN7rocprim17ROCPRIM_400000_NS6detail17trampoline_kernelINS0_14default_configENS1_33run_length_encode_config_selectorIN3c104HalfEjNS0_4plusIjEEEEZZNS1_33reduce_by_key_impl_wrapped_configILNS1_25lookback_scan_determinismE0ES3_S9_PKS6_NS0_17constant_iteratorIjlEEPS6_PlSH_S8_NS0_8equal_toIS6_EEEE10hipError_tPvRmT2_T3_mT4_T5_T6_T7_T8_P12ihipStream_tbENKUlT_T0_E_clISt17integral_constantIbLb0EES10_IbLb1EEEEDaSW_SX_EUlSW_E_NS1_11comp_targetILNS1_3genE3ELNS1_11target_archE908ELNS1_3gpuE7ELNS1_3repE0EEENS1_30default_config_static_selectorELNS0_4arch9wavefront6targetE0EEEvT1_.has_indirect_call, 0
	.section	.AMDGPU.csdata,"",@progbits
; Kernel info:
; codeLenInByte = 0
; TotalNumSgprs: 0
; NumVgprs: 0
; ScratchSize: 0
; MemoryBound: 0
; FloatMode: 240
; IeeeMode: 1
; LDSByteSize: 0 bytes/workgroup (compile time only)
; SGPRBlocks: 0
; VGPRBlocks: 0
; NumSGPRsForWavesPerEU: 1
; NumVGPRsForWavesPerEU: 1
; NamedBarCnt: 0
; Occupancy: 16
; WaveLimiterHint : 0
; COMPUTE_PGM_RSRC2:SCRATCH_EN: 0
; COMPUTE_PGM_RSRC2:USER_SGPR: 2
; COMPUTE_PGM_RSRC2:TRAP_HANDLER: 0
; COMPUTE_PGM_RSRC2:TGID_X_EN: 1
; COMPUTE_PGM_RSRC2:TGID_Y_EN: 0
; COMPUTE_PGM_RSRC2:TGID_Z_EN: 0
; COMPUTE_PGM_RSRC2:TIDIG_COMP_CNT: 0
	.section	.text._ZN7rocprim17ROCPRIM_400000_NS6detail17trampoline_kernelINS0_14default_configENS1_33run_length_encode_config_selectorIN3c104HalfEjNS0_4plusIjEEEEZZNS1_33reduce_by_key_impl_wrapped_configILNS1_25lookback_scan_determinismE0ES3_S9_PKS6_NS0_17constant_iteratorIjlEEPS6_PlSH_S8_NS0_8equal_toIS6_EEEE10hipError_tPvRmT2_T3_mT4_T5_T6_T7_T8_P12ihipStream_tbENKUlT_T0_E_clISt17integral_constantIbLb0EES10_IbLb1EEEEDaSW_SX_EUlSW_E_NS1_11comp_targetILNS1_3genE2ELNS1_11target_archE906ELNS1_3gpuE6ELNS1_3repE0EEENS1_30default_config_static_selectorELNS0_4arch9wavefront6targetE0EEEvT1_,"axG",@progbits,_ZN7rocprim17ROCPRIM_400000_NS6detail17trampoline_kernelINS0_14default_configENS1_33run_length_encode_config_selectorIN3c104HalfEjNS0_4plusIjEEEEZZNS1_33reduce_by_key_impl_wrapped_configILNS1_25lookback_scan_determinismE0ES3_S9_PKS6_NS0_17constant_iteratorIjlEEPS6_PlSH_S8_NS0_8equal_toIS6_EEEE10hipError_tPvRmT2_T3_mT4_T5_T6_T7_T8_P12ihipStream_tbENKUlT_T0_E_clISt17integral_constantIbLb0EES10_IbLb1EEEEDaSW_SX_EUlSW_E_NS1_11comp_targetILNS1_3genE2ELNS1_11target_archE906ELNS1_3gpuE6ELNS1_3repE0EEENS1_30default_config_static_selectorELNS0_4arch9wavefront6targetE0EEEvT1_,comdat
	.protected	_ZN7rocprim17ROCPRIM_400000_NS6detail17trampoline_kernelINS0_14default_configENS1_33run_length_encode_config_selectorIN3c104HalfEjNS0_4plusIjEEEEZZNS1_33reduce_by_key_impl_wrapped_configILNS1_25lookback_scan_determinismE0ES3_S9_PKS6_NS0_17constant_iteratorIjlEEPS6_PlSH_S8_NS0_8equal_toIS6_EEEE10hipError_tPvRmT2_T3_mT4_T5_T6_T7_T8_P12ihipStream_tbENKUlT_T0_E_clISt17integral_constantIbLb0EES10_IbLb1EEEEDaSW_SX_EUlSW_E_NS1_11comp_targetILNS1_3genE2ELNS1_11target_archE906ELNS1_3gpuE6ELNS1_3repE0EEENS1_30default_config_static_selectorELNS0_4arch9wavefront6targetE0EEEvT1_ ; -- Begin function _ZN7rocprim17ROCPRIM_400000_NS6detail17trampoline_kernelINS0_14default_configENS1_33run_length_encode_config_selectorIN3c104HalfEjNS0_4plusIjEEEEZZNS1_33reduce_by_key_impl_wrapped_configILNS1_25lookback_scan_determinismE0ES3_S9_PKS6_NS0_17constant_iteratorIjlEEPS6_PlSH_S8_NS0_8equal_toIS6_EEEE10hipError_tPvRmT2_T3_mT4_T5_T6_T7_T8_P12ihipStream_tbENKUlT_T0_E_clISt17integral_constantIbLb0EES10_IbLb1EEEEDaSW_SX_EUlSW_E_NS1_11comp_targetILNS1_3genE2ELNS1_11target_archE906ELNS1_3gpuE6ELNS1_3repE0EEENS1_30default_config_static_selectorELNS0_4arch9wavefront6targetE0EEEvT1_
	.globl	_ZN7rocprim17ROCPRIM_400000_NS6detail17trampoline_kernelINS0_14default_configENS1_33run_length_encode_config_selectorIN3c104HalfEjNS0_4plusIjEEEEZZNS1_33reduce_by_key_impl_wrapped_configILNS1_25lookback_scan_determinismE0ES3_S9_PKS6_NS0_17constant_iteratorIjlEEPS6_PlSH_S8_NS0_8equal_toIS6_EEEE10hipError_tPvRmT2_T3_mT4_T5_T6_T7_T8_P12ihipStream_tbENKUlT_T0_E_clISt17integral_constantIbLb0EES10_IbLb1EEEEDaSW_SX_EUlSW_E_NS1_11comp_targetILNS1_3genE2ELNS1_11target_archE906ELNS1_3gpuE6ELNS1_3repE0EEENS1_30default_config_static_selectorELNS0_4arch9wavefront6targetE0EEEvT1_
	.p2align	8
	.type	_ZN7rocprim17ROCPRIM_400000_NS6detail17trampoline_kernelINS0_14default_configENS1_33run_length_encode_config_selectorIN3c104HalfEjNS0_4plusIjEEEEZZNS1_33reduce_by_key_impl_wrapped_configILNS1_25lookback_scan_determinismE0ES3_S9_PKS6_NS0_17constant_iteratorIjlEEPS6_PlSH_S8_NS0_8equal_toIS6_EEEE10hipError_tPvRmT2_T3_mT4_T5_T6_T7_T8_P12ihipStream_tbENKUlT_T0_E_clISt17integral_constantIbLb0EES10_IbLb1EEEEDaSW_SX_EUlSW_E_NS1_11comp_targetILNS1_3genE2ELNS1_11target_archE906ELNS1_3gpuE6ELNS1_3repE0EEENS1_30default_config_static_selectorELNS0_4arch9wavefront6targetE0EEEvT1_,@function
_ZN7rocprim17ROCPRIM_400000_NS6detail17trampoline_kernelINS0_14default_configENS1_33run_length_encode_config_selectorIN3c104HalfEjNS0_4plusIjEEEEZZNS1_33reduce_by_key_impl_wrapped_configILNS1_25lookback_scan_determinismE0ES3_S9_PKS6_NS0_17constant_iteratorIjlEEPS6_PlSH_S8_NS0_8equal_toIS6_EEEE10hipError_tPvRmT2_T3_mT4_T5_T6_T7_T8_P12ihipStream_tbENKUlT_T0_E_clISt17integral_constantIbLb0EES10_IbLb1EEEEDaSW_SX_EUlSW_E_NS1_11comp_targetILNS1_3genE2ELNS1_11target_archE906ELNS1_3gpuE6ELNS1_3repE0EEENS1_30default_config_static_selectorELNS0_4arch9wavefront6targetE0EEEvT1_: ; @_ZN7rocprim17ROCPRIM_400000_NS6detail17trampoline_kernelINS0_14default_configENS1_33run_length_encode_config_selectorIN3c104HalfEjNS0_4plusIjEEEEZZNS1_33reduce_by_key_impl_wrapped_configILNS1_25lookback_scan_determinismE0ES3_S9_PKS6_NS0_17constant_iteratorIjlEEPS6_PlSH_S8_NS0_8equal_toIS6_EEEE10hipError_tPvRmT2_T3_mT4_T5_T6_T7_T8_P12ihipStream_tbENKUlT_T0_E_clISt17integral_constantIbLb0EES10_IbLb1EEEEDaSW_SX_EUlSW_E_NS1_11comp_targetILNS1_3genE2ELNS1_11target_archE906ELNS1_3gpuE6ELNS1_3repE0EEENS1_30default_config_static_selectorELNS0_4arch9wavefront6targetE0EEEvT1_
; %bb.0:
	.section	.rodata,"a",@progbits
	.p2align	6, 0x0
	.amdhsa_kernel _ZN7rocprim17ROCPRIM_400000_NS6detail17trampoline_kernelINS0_14default_configENS1_33run_length_encode_config_selectorIN3c104HalfEjNS0_4plusIjEEEEZZNS1_33reduce_by_key_impl_wrapped_configILNS1_25lookback_scan_determinismE0ES3_S9_PKS6_NS0_17constant_iteratorIjlEEPS6_PlSH_S8_NS0_8equal_toIS6_EEEE10hipError_tPvRmT2_T3_mT4_T5_T6_T7_T8_P12ihipStream_tbENKUlT_T0_E_clISt17integral_constantIbLb0EES10_IbLb1EEEEDaSW_SX_EUlSW_E_NS1_11comp_targetILNS1_3genE2ELNS1_11target_archE906ELNS1_3gpuE6ELNS1_3repE0EEENS1_30default_config_static_selectorELNS0_4arch9wavefront6targetE0EEEvT1_
		.amdhsa_group_segment_fixed_size 0
		.amdhsa_private_segment_fixed_size 0
		.amdhsa_kernarg_size 128
		.amdhsa_user_sgpr_count 2
		.amdhsa_user_sgpr_dispatch_ptr 0
		.amdhsa_user_sgpr_queue_ptr 0
		.amdhsa_user_sgpr_kernarg_segment_ptr 1
		.amdhsa_user_sgpr_dispatch_id 0
		.amdhsa_user_sgpr_kernarg_preload_length 0
		.amdhsa_user_sgpr_kernarg_preload_offset 0
		.amdhsa_user_sgpr_private_segment_size 0
		.amdhsa_wavefront_size32 1
		.amdhsa_uses_dynamic_stack 0
		.amdhsa_enable_private_segment 0
		.amdhsa_system_sgpr_workgroup_id_x 1
		.amdhsa_system_sgpr_workgroup_id_y 0
		.amdhsa_system_sgpr_workgroup_id_z 0
		.amdhsa_system_sgpr_workgroup_info 0
		.amdhsa_system_vgpr_workitem_id 0
		.amdhsa_next_free_vgpr 1
		.amdhsa_next_free_sgpr 1
		.amdhsa_named_barrier_count 0
		.amdhsa_reserve_vcc 0
		.amdhsa_float_round_mode_32 0
		.amdhsa_float_round_mode_16_64 0
		.amdhsa_float_denorm_mode_32 3
		.amdhsa_float_denorm_mode_16_64 3
		.amdhsa_fp16_overflow 0
		.amdhsa_memory_ordered 1
		.amdhsa_forward_progress 1
		.amdhsa_inst_pref_size 0
		.amdhsa_round_robin_scheduling 0
		.amdhsa_exception_fp_ieee_invalid_op 0
		.amdhsa_exception_fp_denorm_src 0
		.amdhsa_exception_fp_ieee_div_zero 0
		.amdhsa_exception_fp_ieee_overflow 0
		.amdhsa_exception_fp_ieee_underflow 0
		.amdhsa_exception_fp_ieee_inexact 0
		.amdhsa_exception_int_div_zero 0
	.end_amdhsa_kernel
	.section	.text._ZN7rocprim17ROCPRIM_400000_NS6detail17trampoline_kernelINS0_14default_configENS1_33run_length_encode_config_selectorIN3c104HalfEjNS0_4plusIjEEEEZZNS1_33reduce_by_key_impl_wrapped_configILNS1_25lookback_scan_determinismE0ES3_S9_PKS6_NS0_17constant_iteratorIjlEEPS6_PlSH_S8_NS0_8equal_toIS6_EEEE10hipError_tPvRmT2_T3_mT4_T5_T6_T7_T8_P12ihipStream_tbENKUlT_T0_E_clISt17integral_constantIbLb0EES10_IbLb1EEEEDaSW_SX_EUlSW_E_NS1_11comp_targetILNS1_3genE2ELNS1_11target_archE906ELNS1_3gpuE6ELNS1_3repE0EEENS1_30default_config_static_selectorELNS0_4arch9wavefront6targetE0EEEvT1_,"axG",@progbits,_ZN7rocprim17ROCPRIM_400000_NS6detail17trampoline_kernelINS0_14default_configENS1_33run_length_encode_config_selectorIN3c104HalfEjNS0_4plusIjEEEEZZNS1_33reduce_by_key_impl_wrapped_configILNS1_25lookback_scan_determinismE0ES3_S9_PKS6_NS0_17constant_iteratorIjlEEPS6_PlSH_S8_NS0_8equal_toIS6_EEEE10hipError_tPvRmT2_T3_mT4_T5_T6_T7_T8_P12ihipStream_tbENKUlT_T0_E_clISt17integral_constantIbLb0EES10_IbLb1EEEEDaSW_SX_EUlSW_E_NS1_11comp_targetILNS1_3genE2ELNS1_11target_archE906ELNS1_3gpuE6ELNS1_3repE0EEENS1_30default_config_static_selectorELNS0_4arch9wavefront6targetE0EEEvT1_,comdat
.Lfunc_end956:
	.size	_ZN7rocprim17ROCPRIM_400000_NS6detail17trampoline_kernelINS0_14default_configENS1_33run_length_encode_config_selectorIN3c104HalfEjNS0_4plusIjEEEEZZNS1_33reduce_by_key_impl_wrapped_configILNS1_25lookback_scan_determinismE0ES3_S9_PKS6_NS0_17constant_iteratorIjlEEPS6_PlSH_S8_NS0_8equal_toIS6_EEEE10hipError_tPvRmT2_T3_mT4_T5_T6_T7_T8_P12ihipStream_tbENKUlT_T0_E_clISt17integral_constantIbLb0EES10_IbLb1EEEEDaSW_SX_EUlSW_E_NS1_11comp_targetILNS1_3genE2ELNS1_11target_archE906ELNS1_3gpuE6ELNS1_3repE0EEENS1_30default_config_static_selectorELNS0_4arch9wavefront6targetE0EEEvT1_, .Lfunc_end956-_ZN7rocprim17ROCPRIM_400000_NS6detail17trampoline_kernelINS0_14default_configENS1_33run_length_encode_config_selectorIN3c104HalfEjNS0_4plusIjEEEEZZNS1_33reduce_by_key_impl_wrapped_configILNS1_25lookback_scan_determinismE0ES3_S9_PKS6_NS0_17constant_iteratorIjlEEPS6_PlSH_S8_NS0_8equal_toIS6_EEEE10hipError_tPvRmT2_T3_mT4_T5_T6_T7_T8_P12ihipStream_tbENKUlT_T0_E_clISt17integral_constantIbLb0EES10_IbLb1EEEEDaSW_SX_EUlSW_E_NS1_11comp_targetILNS1_3genE2ELNS1_11target_archE906ELNS1_3gpuE6ELNS1_3repE0EEENS1_30default_config_static_selectorELNS0_4arch9wavefront6targetE0EEEvT1_
                                        ; -- End function
	.set _ZN7rocprim17ROCPRIM_400000_NS6detail17trampoline_kernelINS0_14default_configENS1_33run_length_encode_config_selectorIN3c104HalfEjNS0_4plusIjEEEEZZNS1_33reduce_by_key_impl_wrapped_configILNS1_25lookback_scan_determinismE0ES3_S9_PKS6_NS0_17constant_iteratorIjlEEPS6_PlSH_S8_NS0_8equal_toIS6_EEEE10hipError_tPvRmT2_T3_mT4_T5_T6_T7_T8_P12ihipStream_tbENKUlT_T0_E_clISt17integral_constantIbLb0EES10_IbLb1EEEEDaSW_SX_EUlSW_E_NS1_11comp_targetILNS1_3genE2ELNS1_11target_archE906ELNS1_3gpuE6ELNS1_3repE0EEENS1_30default_config_static_selectorELNS0_4arch9wavefront6targetE0EEEvT1_.num_vgpr, 0
	.set _ZN7rocprim17ROCPRIM_400000_NS6detail17trampoline_kernelINS0_14default_configENS1_33run_length_encode_config_selectorIN3c104HalfEjNS0_4plusIjEEEEZZNS1_33reduce_by_key_impl_wrapped_configILNS1_25lookback_scan_determinismE0ES3_S9_PKS6_NS0_17constant_iteratorIjlEEPS6_PlSH_S8_NS0_8equal_toIS6_EEEE10hipError_tPvRmT2_T3_mT4_T5_T6_T7_T8_P12ihipStream_tbENKUlT_T0_E_clISt17integral_constantIbLb0EES10_IbLb1EEEEDaSW_SX_EUlSW_E_NS1_11comp_targetILNS1_3genE2ELNS1_11target_archE906ELNS1_3gpuE6ELNS1_3repE0EEENS1_30default_config_static_selectorELNS0_4arch9wavefront6targetE0EEEvT1_.num_agpr, 0
	.set _ZN7rocprim17ROCPRIM_400000_NS6detail17trampoline_kernelINS0_14default_configENS1_33run_length_encode_config_selectorIN3c104HalfEjNS0_4plusIjEEEEZZNS1_33reduce_by_key_impl_wrapped_configILNS1_25lookback_scan_determinismE0ES3_S9_PKS6_NS0_17constant_iteratorIjlEEPS6_PlSH_S8_NS0_8equal_toIS6_EEEE10hipError_tPvRmT2_T3_mT4_T5_T6_T7_T8_P12ihipStream_tbENKUlT_T0_E_clISt17integral_constantIbLb0EES10_IbLb1EEEEDaSW_SX_EUlSW_E_NS1_11comp_targetILNS1_3genE2ELNS1_11target_archE906ELNS1_3gpuE6ELNS1_3repE0EEENS1_30default_config_static_selectorELNS0_4arch9wavefront6targetE0EEEvT1_.numbered_sgpr, 0
	.set _ZN7rocprim17ROCPRIM_400000_NS6detail17trampoline_kernelINS0_14default_configENS1_33run_length_encode_config_selectorIN3c104HalfEjNS0_4plusIjEEEEZZNS1_33reduce_by_key_impl_wrapped_configILNS1_25lookback_scan_determinismE0ES3_S9_PKS6_NS0_17constant_iteratorIjlEEPS6_PlSH_S8_NS0_8equal_toIS6_EEEE10hipError_tPvRmT2_T3_mT4_T5_T6_T7_T8_P12ihipStream_tbENKUlT_T0_E_clISt17integral_constantIbLb0EES10_IbLb1EEEEDaSW_SX_EUlSW_E_NS1_11comp_targetILNS1_3genE2ELNS1_11target_archE906ELNS1_3gpuE6ELNS1_3repE0EEENS1_30default_config_static_selectorELNS0_4arch9wavefront6targetE0EEEvT1_.num_named_barrier, 0
	.set _ZN7rocprim17ROCPRIM_400000_NS6detail17trampoline_kernelINS0_14default_configENS1_33run_length_encode_config_selectorIN3c104HalfEjNS0_4plusIjEEEEZZNS1_33reduce_by_key_impl_wrapped_configILNS1_25lookback_scan_determinismE0ES3_S9_PKS6_NS0_17constant_iteratorIjlEEPS6_PlSH_S8_NS0_8equal_toIS6_EEEE10hipError_tPvRmT2_T3_mT4_T5_T6_T7_T8_P12ihipStream_tbENKUlT_T0_E_clISt17integral_constantIbLb0EES10_IbLb1EEEEDaSW_SX_EUlSW_E_NS1_11comp_targetILNS1_3genE2ELNS1_11target_archE906ELNS1_3gpuE6ELNS1_3repE0EEENS1_30default_config_static_selectorELNS0_4arch9wavefront6targetE0EEEvT1_.private_seg_size, 0
	.set _ZN7rocprim17ROCPRIM_400000_NS6detail17trampoline_kernelINS0_14default_configENS1_33run_length_encode_config_selectorIN3c104HalfEjNS0_4plusIjEEEEZZNS1_33reduce_by_key_impl_wrapped_configILNS1_25lookback_scan_determinismE0ES3_S9_PKS6_NS0_17constant_iteratorIjlEEPS6_PlSH_S8_NS0_8equal_toIS6_EEEE10hipError_tPvRmT2_T3_mT4_T5_T6_T7_T8_P12ihipStream_tbENKUlT_T0_E_clISt17integral_constantIbLb0EES10_IbLb1EEEEDaSW_SX_EUlSW_E_NS1_11comp_targetILNS1_3genE2ELNS1_11target_archE906ELNS1_3gpuE6ELNS1_3repE0EEENS1_30default_config_static_selectorELNS0_4arch9wavefront6targetE0EEEvT1_.uses_vcc, 0
	.set _ZN7rocprim17ROCPRIM_400000_NS6detail17trampoline_kernelINS0_14default_configENS1_33run_length_encode_config_selectorIN3c104HalfEjNS0_4plusIjEEEEZZNS1_33reduce_by_key_impl_wrapped_configILNS1_25lookback_scan_determinismE0ES3_S9_PKS6_NS0_17constant_iteratorIjlEEPS6_PlSH_S8_NS0_8equal_toIS6_EEEE10hipError_tPvRmT2_T3_mT4_T5_T6_T7_T8_P12ihipStream_tbENKUlT_T0_E_clISt17integral_constantIbLb0EES10_IbLb1EEEEDaSW_SX_EUlSW_E_NS1_11comp_targetILNS1_3genE2ELNS1_11target_archE906ELNS1_3gpuE6ELNS1_3repE0EEENS1_30default_config_static_selectorELNS0_4arch9wavefront6targetE0EEEvT1_.uses_flat_scratch, 0
	.set _ZN7rocprim17ROCPRIM_400000_NS6detail17trampoline_kernelINS0_14default_configENS1_33run_length_encode_config_selectorIN3c104HalfEjNS0_4plusIjEEEEZZNS1_33reduce_by_key_impl_wrapped_configILNS1_25lookback_scan_determinismE0ES3_S9_PKS6_NS0_17constant_iteratorIjlEEPS6_PlSH_S8_NS0_8equal_toIS6_EEEE10hipError_tPvRmT2_T3_mT4_T5_T6_T7_T8_P12ihipStream_tbENKUlT_T0_E_clISt17integral_constantIbLb0EES10_IbLb1EEEEDaSW_SX_EUlSW_E_NS1_11comp_targetILNS1_3genE2ELNS1_11target_archE906ELNS1_3gpuE6ELNS1_3repE0EEENS1_30default_config_static_selectorELNS0_4arch9wavefront6targetE0EEEvT1_.has_dyn_sized_stack, 0
	.set _ZN7rocprim17ROCPRIM_400000_NS6detail17trampoline_kernelINS0_14default_configENS1_33run_length_encode_config_selectorIN3c104HalfEjNS0_4plusIjEEEEZZNS1_33reduce_by_key_impl_wrapped_configILNS1_25lookback_scan_determinismE0ES3_S9_PKS6_NS0_17constant_iteratorIjlEEPS6_PlSH_S8_NS0_8equal_toIS6_EEEE10hipError_tPvRmT2_T3_mT4_T5_T6_T7_T8_P12ihipStream_tbENKUlT_T0_E_clISt17integral_constantIbLb0EES10_IbLb1EEEEDaSW_SX_EUlSW_E_NS1_11comp_targetILNS1_3genE2ELNS1_11target_archE906ELNS1_3gpuE6ELNS1_3repE0EEENS1_30default_config_static_selectorELNS0_4arch9wavefront6targetE0EEEvT1_.has_recursion, 0
	.set _ZN7rocprim17ROCPRIM_400000_NS6detail17trampoline_kernelINS0_14default_configENS1_33run_length_encode_config_selectorIN3c104HalfEjNS0_4plusIjEEEEZZNS1_33reduce_by_key_impl_wrapped_configILNS1_25lookback_scan_determinismE0ES3_S9_PKS6_NS0_17constant_iteratorIjlEEPS6_PlSH_S8_NS0_8equal_toIS6_EEEE10hipError_tPvRmT2_T3_mT4_T5_T6_T7_T8_P12ihipStream_tbENKUlT_T0_E_clISt17integral_constantIbLb0EES10_IbLb1EEEEDaSW_SX_EUlSW_E_NS1_11comp_targetILNS1_3genE2ELNS1_11target_archE906ELNS1_3gpuE6ELNS1_3repE0EEENS1_30default_config_static_selectorELNS0_4arch9wavefront6targetE0EEEvT1_.has_indirect_call, 0
	.section	.AMDGPU.csdata,"",@progbits
; Kernel info:
; codeLenInByte = 0
; TotalNumSgprs: 0
; NumVgprs: 0
; ScratchSize: 0
; MemoryBound: 0
; FloatMode: 240
; IeeeMode: 1
; LDSByteSize: 0 bytes/workgroup (compile time only)
; SGPRBlocks: 0
; VGPRBlocks: 0
; NumSGPRsForWavesPerEU: 1
; NumVGPRsForWavesPerEU: 1
; NamedBarCnt: 0
; Occupancy: 16
; WaveLimiterHint : 0
; COMPUTE_PGM_RSRC2:SCRATCH_EN: 0
; COMPUTE_PGM_RSRC2:USER_SGPR: 2
; COMPUTE_PGM_RSRC2:TRAP_HANDLER: 0
; COMPUTE_PGM_RSRC2:TGID_X_EN: 1
; COMPUTE_PGM_RSRC2:TGID_Y_EN: 0
; COMPUTE_PGM_RSRC2:TGID_Z_EN: 0
; COMPUTE_PGM_RSRC2:TIDIG_COMP_CNT: 0
	.section	.text._ZN7rocprim17ROCPRIM_400000_NS6detail17trampoline_kernelINS0_14default_configENS1_33run_length_encode_config_selectorIN3c104HalfEjNS0_4plusIjEEEEZZNS1_33reduce_by_key_impl_wrapped_configILNS1_25lookback_scan_determinismE0ES3_S9_PKS6_NS0_17constant_iteratorIjlEEPS6_PlSH_S8_NS0_8equal_toIS6_EEEE10hipError_tPvRmT2_T3_mT4_T5_T6_T7_T8_P12ihipStream_tbENKUlT_T0_E_clISt17integral_constantIbLb0EES10_IbLb1EEEEDaSW_SX_EUlSW_E_NS1_11comp_targetILNS1_3genE10ELNS1_11target_archE1201ELNS1_3gpuE5ELNS1_3repE0EEENS1_30default_config_static_selectorELNS0_4arch9wavefront6targetE0EEEvT1_,"axG",@progbits,_ZN7rocprim17ROCPRIM_400000_NS6detail17trampoline_kernelINS0_14default_configENS1_33run_length_encode_config_selectorIN3c104HalfEjNS0_4plusIjEEEEZZNS1_33reduce_by_key_impl_wrapped_configILNS1_25lookback_scan_determinismE0ES3_S9_PKS6_NS0_17constant_iteratorIjlEEPS6_PlSH_S8_NS0_8equal_toIS6_EEEE10hipError_tPvRmT2_T3_mT4_T5_T6_T7_T8_P12ihipStream_tbENKUlT_T0_E_clISt17integral_constantIbLb0EES10_IbLb1EEEEDaSW_SX_EUlSW_E_NS1_11comp_targetILNS1_3genE10ELNS1_11target_archE1201ELNS1_3gpuE5ELNS1_3repE0EEENS1_30default_config_static_selectorELNS0_4arch9wavefront6targetE0EEEvT1_,comdat
	.protected	_ZN7rocprim17ROCPRIM_400000_NS6detail17trampoline_kernelINS0_14default_configENS1_33run_length_encode_config_selectorIN3c104HalfEjNS0_4plusIjEEEEZZNS1_33reduce_by_key_impl_wrapped_configILNS1_25lookback_scan_determinismE0ES3_S9_PKS6_NS0_17constant_iteratorIjlEEPS6_PlSH_S8_NS0_8equal_toIS6_EEEE10hipError_tPvRmT2_T3_mT4_T5_T6_T7_T8_P12ihipStream_tbENKUlT_T0_E_clISt17integral_constantIbLb0EES10_IbLb1EEEEDaSW_SX_EUlSW_E_NS1_11comp_targetILNS1_3genE10ELNS1_11target_archE1201ELNS1_3gpuE5ELNS1_3repE0EEENS1_30default_config_static_selectorELNS0_4arch9wavefront6targetE0EEEvT1_ ; -- Begin function _ZN7rocprim17ROCPRIM_400000_NS6detail17trampoline_kernelINS0_14default_configENS1_33run_length_encode_config_selectorIN3c104HalfEjNS0_4plusIjEEEEZZNS1_33reduce_by_key_impl_wrapped_configILNS1_25lookback_scan_determinismE0ES3_S9_PKS6_NS0_17constant_iteratorIjlEEPS6_PlSH_S8_NS0_8equal_toIS6_EEEE10hipError_tPvRmT2_T3_mT4_T5_T6_T7_T8_P12ihipStream_tbENKUlT_T0_E_clISt17integral_constantIbLb0EES10_IbLb1EEEEDaSW_SX_EUlSW_E_NS1_11comp_targetILNS1_3genE10ELNS1_11target_archE1201ELNS1_3gpuE5ELNS1_3repE0EEENS1_30default_config_static_selectorELNS0_4arch9wavefront6targetE0EEEvT1_
	.globl	_ZN7rocprim17ROCPRIM_400000_NS6detail17trampoline_kernelINS0_14default_configENS1_33run_length_encode_config_selectorIN3c104HalfEjNS0_4plusIjEEEEZZNS1_33reduce_by_key_impl_wrapped_configILNS1_25lookback_scan_determinismE0ES3_S9_PKS6_NS0_17constant_iteratorIjlEEPS6_PlSH_S8_NS0_8equal_toIS6_EEEE10hipError_tPvRmT2_T3_mT4_T5_T6_T7_T8_P12ihipStream_tbENKUlT_T0_E_clISt17integral_constantIbLb0EES10_IbLb1EEEEDaSW_SX_EUlSW_E_NS1_11comp_targetILNS1_3genE10ELNS1_11target_archE1201ELNS1_3gpuE5ELNS1_3repE0EEENS1_30default_config_static_selectorELNS0_4arch9wavefront6targetE0EEEvT1_
	.p2align	8
	.type	_ZN7rocprim17ROCPRIM_400000_NS6detail17trampoline_kernelINS0_14default_configENS1_33run_length_encode_config_selectorIN3c104HalfEjNS0_4plusIjEEEEZZNS1_33reduce_by_key_impl_wrapped_configILNS1_25lookback_scan_determinismE0ES3_S9_PKS6_NS0_17constant_iteratorIjlEEPS6_PlSH_S8_NS0_8equal_toIS6_EEEE10hipError_tPvRmT2_T3_mT4_T5_T6_T7_T8_P12ihipStream_tbENKUlT_T0_E_clISt17integral_constantIbLb0EES10_IbLb1EEEEDaSW_SX_EUlSW_E_NS1_11comp_targetILNS1_3genE10ELNS1_11target_archE1201ELNS1_3gpuE5ELNS1_3repE0EEENS1_30default_config_static_selectorELNS0_4arch9wavefront6targetE0EEEvT1_,@function
_ZN7rocprim17ROCPRIM_400000_NS6detail17trampoline_kernelINS0_14default_configENS1_33run_length_encode_config_selectorIN3c104HalfEjNS0_4plusIjEEEEZZNS1_33reduce_by_key_impl_wrapped_configILNS1_25lookback_scan_determinismE0ES3_S9_PKS6_NS0_17constant_iteratorIjlEEPS6_PlSH_S8_NS0_8equal_toIS6_EEEE10hipError_tPvRmT2_T3_mT4_T5_T6_T7_T8_P12ihipStream_tbENKUlT_T0_E_clISt17integral_constantIbLb0EES10_IbLb1EEEEDaSW_SX_EUlSW_E_NS1_11comp_targetILNS1_3genE10ELNS1_11target_archE1201ELNS1_3gpuE5ELNS1_3repE0EEENS1_30default_config_static_selectorELNS0_4arch9wavefront6targetE0EEEvT1_: ; @_ZN7rocprim17ROCPRIM_400000_NS6detail17trampoline_kernelINS0_14default_configENS1_33run_length_encode_config_selectorIN3c104HalfEjNS0_4plusIjEEEEZZNS1_33reduce_by_key_impl_wrapped_configILNS1_25lookback_scan_determinismE0ES3_S9_PKS6_NS0_17constant_iteratorIjlEEPS6_PlSH_S8_NS0_8equal_toIS6_EEEE10hipError_tPvRmT2_T3_mT4_T5_T6_T7_T8_P12ihipStream_tbENKUlT_T0_E_clISt17integral_constantIbLb0EES10_IbLb1EEEEDaSW_SX_EUlSW_E_NS1_11comp_targetILNS1_3genE10ELNS1_11target_archE1201ELNS1_3gpuE5ELNS1_3repE0EEENS1_30default_config_static_selectorELNS0_4arch9wavefront6targetE0EEEvT1_
; %bb.0:
	.section	.rodata,"a",@progbits
	.p2align	6, 0x0
	.amdhsa_kernel _ZN7rocprim17ROCPRIM_400000_NS6detail17trampoline_kernelINS0_14default_configENS1_33run_length_encode_config_selectorIN3c104HalfEjNS0_4plusIjEEEEZZNS1_33reduce_by_key_impl_wrapped_configILNS1_25lookback_scan_determinismE0ES3_S9_PKS6_NS0_17constant_iteratorIjlEEPS6_PlSH_S8_NS0_8equal_toIS6_EEEE10hipError_tPvRmT2_T3_mT4_T5_T6_T7_T8_P12ihipStream_tbENKUlT_T0_E_clISt17integral_constantIbLb0EES10_IbLb1EEEEDaSW_SX_EUlSW_E_NS1_11comp_targetILNS1_3genE10ELNS1_11target_archE1201ELNS1_3gpuE5ELNS1_3repE0EEENS1_30default_config_static_selectorELNS0_4arch9wavefront6targetE0EEEvT1_
		.amdhsa_group_segment_fixed_size 0
		.amdhsa_private_segment_fixed_size 0
		.amdhsa_kernarg_size 128
		.amdhsa_user_sgpr_count 2
		.amdhsa_user_sgpr_dispatch_ptr 0
		.amdhsa_user_sgpr_queue_ptr 0
		.amdhsa_user_sgpr_kernarg_segment_ptr 1
		.amdhsa_user_sgpr_dispatch_id 0
		.amdhsa_user_sgpr_kernarg_preload_length 0
		.amdhsa_user_sgpr_kernarg_preload_offset 0
		.amdhsa_user_sgpr_private_segment_size 0
		.amdhsa_wavefront_size32 1
		.amdhsa_uses_dynamic_stack 0
		.amdhsa_enable_private_segment 0
		.amdhsa_system_sgpr_workgroup_id_x 1
		.amdhsa_system_sgpr_workgroup_id_y 0
		.amdhsa_system_sgpr_workgroup_id_z 0
		.amdhsa_system_sgpr_workgroup_info 0
		.amdhsa_system_vgpr_workitem_id 0
		.amdhsa_next_free_vgpr 1
		.amdhsa_next_free_sgpr 1
		.amdhsa_named_barrier_count 0
		.amdhsa_reserve_vcc 0
		.amdhsa_float_round_mode_32 0
		.amdhsa_float_round_mode_16_64 0
		.amdhsa_float_denorm_mode_32 3
		.amdhsa_float_denorm_mode_16_64 3
		.amdhsa_fp16_overflow 0
		.amdhsa_memory_ordered 1
		.amdhsa_forward_progress 1
		.amdhsa_inst_pref_size 0
		.amdhsa_round_robin_scheduling 0
		.amdhsa_exception_fp_ieee_invalid_op 0
		.amdhsa_exception_fp_denorm_src 0
		.amdhsa_exception_fp_ieee_div_zero 0
		.amdhsa_exception_fp_ieee_overflow 0
		.amdhsa_exception_fp_ieee_underflow 0
		.amdhsa_exception_fp_ieee_inexact 0
		.amdhsa_exception_int_div_zero 0
	.end_amdhsa_kernel
	.section	.text._ZN7rocprim17ROCPRIM_400000_NS6detail17trampoline_kernelINS0_14default_configENS1_33run_length_encode_config_selectorIN3c104HalfEjNS0_4plusIjEEEEZZNS1_33reduce_by_key_impl_wrapped_configILNS1_25lookback_scan_determinismE0ES3_S9_PKS6_NS0_17constant_iteratorIjlEEPS6_PlSH_S8_NS0_8equal_toIS6_EEEE10hipError_tPvRmT2_T3_mT4_T5_T6_T7_T8_P12ihipStream_tbENKUlT_T0_E_clISt17integral_constantIbLb0EES10_IbLb1EEEEDaSW_SX_EUlSW_E_NS1_11comp_targetILNS1_3genE10ELNS1_11target_archE1201ELNS1_3gpuE5ELNS1_3repE0EEENS1_30default_config_static_selectorELNS0_4arch9wavefront6targetE0EEEvT1_,"axG",@progbits,_ZN7rocprim17ROCPRIM_400000_NS6detail17trampoline_kernelINS0_14default_configENS1_33run_length_encode_config_selectorIN3c104HalfEjNS0_4plusIjEEEEZZNS1_33reduce_by_key_impl_wrapped_configILNS1_25lookback_scan_determinismE0ES3_S9_PKS6_NS0_17constant_iteratorIjlEEPS6_PlSH_S8_NS0_8equal_toIS6_EEEE10hipError_tPvRmT2_T3_mT4_T5_T6_T7_T8_P12ihipStream_tbENKUlT_T0_E_clISt17integral_constantIbLb0EES10_IbLb1EEEEDaSW_SX_EUlSW_E_NS1_11comp_targetILNS1_3genE10ELNS1_11target_archE1201ELNS1_3gpuE5ELNS1_3repE0EEENS1_30default_config_static_selectorELNS0_4arch9wavefront6targetE0EEEvT1_,comdat
.Lfunc_end957:
	.size	_ZN7rocprim17ROCPRIM_400000_NS6detail17trampoline_kernelINS0_14default_configENS1_33run_length_encode_config_selectorIN3c104HalfEjNS0_4plusIjEEEEZZNS1_33reduce_by_key_impl_wrapped_configILNS1_25lookback_scan_determinismE0ES3_S9_PKS6_NS0_17constant_iteratorIjlEEPS6_PlSH_S8_NS0_8equal_toIS6_EEEE10hipError_tPvRmT2_T3_mT4_T5_T6_T7_T8_P12ihipStream_tbENKUlT_T0_E_clISt17integral_constantIbLb0EES10_IbLb1EEEEDaSW_SX_EUlSW_E_NS1_11comp_targetILNS1_3genE10ELNS1_11target_archE1201ELNS1_3gpuE5ELNS1_3repE0EEENS1_30default_config_static_selectorELNS0_4arch9wavefront6targetE0EEEvT1_, .Lfunc_end957-_ZN7rocprim17ROCPRIM_400000_NS6detail17trampoline_kernelINS0_14default_configENS1_33run_length_encode_config_selectorIN3c104HalfEjNS0_4plusIjEEEEZZNS1_33reduce_by_key_impl_wrapped_configILNS1_25lookback_scan_determinismE0ES3_S9_PKS6_NS0_17constant_iteratorIjlEEPS6_PlSH_S8_NS0_8equal_toIS6_EEEE10hipError_tPvRmT2_T3_mT4_T5_T6_T7_T8_P12ihipStream_tbENKUlT_T0_E_clISt17integral_constantIbLb0EES10_IbLb1EEEEDaSW_SX_EUlSW_E_NS1_11comp_targetILNS1_3genE10ELNS1_11target_archE1201ELNS1_3gpuE5ELNS1_3repE0EEENS1_30default_config_static_selectorELNS0_4arch9wavefront6targetE0EEEvT1_
                                        ; -- End function
	.set _ZN7rocprim17ROCPRIM_400000_NS6detail17trampoline_kernelINS0_14default_configENS1_33run_length_encode_config_selectorIN3c104HalfEjNS0_4plusIjEEEEZZNS1_33reduce_by_key_impl_wrapped_configILNS1_25lookback_scan_determinismE0ES3_S9_PKS6_NS0_17constant_iteratorIjlEEPS6_PlSH_S8_NS0_8equal_toIS6_EEEE10hipError_tPvRmT2_T3_mT4_T5_T6_T7_T8_P12ihipStream_tbENKUlT_T0_E_clISt17integral_constantIbLb0EES10_IbLb1EEEEDaSW_SX_EUlSW_E_NS1_11comp_targetILNS1_3genE10ELNS1_11target_archE1201ELNS1_3gpuE5ELNS1_3repE0EEENS1_30default_config_static_selectorELNS0_4arch9wavefront6targetE0EEEvT1_.num_vgpr, 0
	.set _ZN7rocprim17ROCPRIM_400000_NS6detail17trampoline_kernelINS0_14default_configENS1_33run_length_encode_config_selectorIN3c104HalfEjNS0_4plusIjEEEEZZNS1_33reduce_by_key_impl_wrapped_configILNS1_25lookback_scan_determinismE0ES3_S9_PKS6_NS0_17constant_iteratorIjlEEPS6_PlSH_S8_NS0_8equal_toIS6_EEEE10hipError_tPvRmT2_T3_mT4_T5_T6_T7_T8_P12ihipStream_tbENKUlT_T0_E_clISt17integral_constantIbLb0EES10_IbLb1EEEEDaSW_SX_EUlSW_E_NS1_11comp_targetILNS1_3genE10ELNS1_11target_archE1201ELNS1_3gpuE5ELNS1_3repE0EEENS1_30default_config_static_selectorELNS0_4arch9wavefront6targetE0EEEvT1_.num_agpr, 0
	.set _ZN7rocprim17ROCPRIM_400000_NS6detail17trampoline_kernelINS0_14default_configENS1_33run_length_encode_config_selectorIN3c104HalfEjNS0_4plusIjEEEEZZNS1_33reduce_by_key_impl_wrapped_configILNS1_25lookback_scan_determinismE0ES3_S9_PKS6_NS0_17constant_iteratorIjlEEPS6_PlSH_S8_NS0_8equal_toIS6_EEEE10hipError_tPvRmT2_T3_mT4_T5_T6_T7_T8_P12ihipStream_tbENKUlT_T0_E_clISt17integral_constantIbLb0EES10_IbLb1EEEEDaSW_SX_EUlSW_E_NS1_11comp_targetILNS1_3genE10ELNS1_11target_archE1201ELNS1_3gpuE5ELNS1_3repE0EEENS1_30default_config_static_selectorELNS0_4arch9wavefront6targetE0EEEvT1_.numbered_sgpr, 0
	.set _ZN7rocprim17ROCPRIM_400000_NS6detail17trampoline_kernelINS0_14default_configENS1_33run_length_encode_config_selectorIN3c104HalfEjNS0_4plusIjEEEEZZNS1_33reduce_by_key_impl_wrapped_configILNS1_25lookback_scan_determinismE0ES3_S9_PKS6_NS0_17constant_iteratorIjlEEPS6_PlSH_S8_NS0_8equal_toIS6_EEEE10hipError_tPvRmT2_T3_mT4_T5_T6_T7_T8_P12ihipStream_tbENKUlT_T0_E_clISt17integral_constantIbLb0EES10_IbLb1EEEEDaSW_SX_EUlSW_E_NS1_11comp_targetILNS1_3genE10ELNS1_11target_archE1201ELNS1_3gpuE5ELNS1_3repE0EEENS1_30default_config_static_selectorELNS0_4arch9wavefront6targetE0EEEvT1_.num_named_barrier, 0
	.set _ZN7rocprim17ROCPRIM_400000_NS6detail17trampoline_kernelINS0_14default_configENS1_33run_length_encode_config_selectorIN3c104HalfEjNS0_4plusIjEEEEZZNS1_33reduce_by_key_impl_wrapped_configILNS1_25lookback_scan_determinismE0ES3_S9_PKS6_NS0_17constant_iteratorIjlEEPS6_PlSH_S8_NS0_8equal_toIS6_EEEE10hipError_tPvRmT2_T3_mT4_T5_T6_T7_T8_P12ihipStream_tbENKUlT_T0_E_clISt17integral_constantIbLb0EES10_IbLb1EEEEDaSW_SX_EUlSW_E_NS1_11comp_targetILNS1_3genE10ELNS1_11target_archE1201ELNS1_3gpuE5ELNS1_3repE0EEENS1_30default_config_static_selectorELNS0_4arch9wavefront6targetE0EEEvT1_.private_seg_size, 0
	.set _ZN7rocprim17ROCPRIM_400000_NS6detail17trampoline_kernelINS0_14default_configENS1_33run_length_encode_config_selectorIN3c104HalfEjNS0_4plusIjEEEEZZNS1_33reduce_by_key_impl_wrapped_configILNS1_25lookback_scan_determinismE0ES3_S9_PKS6_NS0_17constant_iteratorIjlEEPS6_PlSH_S8_NS0_8equal_toIS6_EEEE10hipError_tPvRmT2_T3_mT4_T5_T6_T7_T8_P12ihipStream_tbENKUlT_T0_E_clISt17integral_constantIbLb0EES10_IbLb1EEEEDaSW_SX_EUlSW_E_NS1_11comp_targetILNS1_3genE10ELNS1_11target_archE1201ELNS1_3gpuE5ELNS1_3repE0EEENS1_30default_config_static_selectorELNS0_4arch9wavefront6targetE0EEEvT1_.uses_vcc, 0
	.set _ZN7rocprim17ROCPRIM_400000_NS6detail17trampoline_kernelINS0_14default_configENS1_33run_length_encode_config_selectorIN3c104HalfEjNS0_4plusIjEEEEZZNS1_33reduce_by_key_impl_wrapped_configILNS1_25lookback_scan_determinismE0ES3_S9_PKS6_NS0_17constant_iteratorIjlEEPS6_PlSH_S8_NS0_8equal_toIS6_EEEE10hipError_tPvRmT2_T3_mT4_T5_T6_T7_T8_P12ihipStream_tbENKUlT_T0_E_clISt17integral_constantIbLb0EES10_IbLb1EEEEDaSW_SX_EUlSW_E_NS1_11comp_targetILNS1_3genE10ELNS1_11target_archE1201ELNS1_3gpuE5ELNS1_3repE0EEENS1_30default_config_static_selectorELNS0_4arch9wavefront6targetE0EEEvT1_.uses_flat_scratch, 0
	.set _ZN7rocprim17ROCPRIM_400000_NS6detail17trampoline_kernelINS0_14default_configENS1_33run_length_encode_config_selectorIN3c104HalfEjNS0_4plusIjEEEEZZNS1_33reduce_by_key_impl_wrapped_configILNS1_25lookback_scan_determinismE0ES3_S9_PKS6_NS0_17constant_iteratorIjlEEPS6_PlSH_S8_NS0_8equal_toIS6_EEEE10hipError_tPvRmT2_T3_mT4_T5_T6_T7_T8_P12ihipStream_tbENKUlT_T0_E_clISt17integral_constantIbLb0EES10_IbLb1EEEEDaSW_SX_EUlSW_E_NS1_11comp_targetILNS1_3genE10ELNS1_11target_archE1201ELNS1_3gpuE5ELNS1_3repE0EEENS1_30default_config_static_selectorELNS0_4arch9wavefront6targetE0EEEvT1_.has_dyn_sized_stack, 0
	.set _ZN7rocprim17ROCPRIM_400000_NS6detail17trampoline_kernelINS0_14default_configENS1_33run_length_encode_config_selectorIN3c104HalfEjNS0_4plusIjEEEEZZNS1_33reduce_by_key_impl_wrapped_configILNS1_25lookback_scan_determinismE0ES3_S9_PKS6_NS0_17constant_iteratorIjlEEPS6_PlSH_S8_NS0_8equal_toIS6_EEEE10hipError_tPvRmT2_T3_mT4_T5_T6_T7_T8_P12ihipStream_tbENKUlT_T0_E_clISt17integral_constantIbLb0EES10_IbLb1EEEEDaSW_SX_EUlSW_E_NS1_11comp_targetILNS1_3genE10ELNS1_11target_archE1201ELNS1_3gpuE5ELNS1_3repE0EEENS1_30default_config_static_selectorELNS0_4arch9wavefront6targetE0EEEvT1_.has_recursion, 0
	.set _ZN7rocprim17ROCPRIM_400000_NS6detail17trampoline_kernelINS0_14default_configENS1_33run_length_encode_config_selectorIN3c104HalfEjNS0_4plusIjEEEEZZNS1_33reduce_by_key_impl_wrapped_configILNS1_25lookback_scan_determinismE0ES3_S9_PKS6_NS0_17constant_iteratorIjlEEPS6_PlSH_S8_NS0_8equal_toIS6_EEEE10hipError_tPvRmT2_T3_mT4_T5_T6_T7_T8_P12ihipStream_tbENKUlT_T0_E_clISt17integral_constantIbLb0EES10_IbLb1EEEEDaSW_SX_EUlSW_E_NS1_11comp_targetILNS1_3genE10ELNS1_11target_archE1201ELNS1_3gpuE5ELNS1_3repE0EEENS1_30default_config_static_selectorELNS0_4arch9wavefront6targetE0EEEvT1_.has_indirect_call, 0
	.section	.AMDGPU.csdata,"",@progbits
; Kernel info:
; codeLenInByte = 0
; TotalNumSgprs: 0
; NumVgprs: 0
; ScratchSize: 0
; MemoryBound: 0
; FloatMode: 240
; IeeeMode: 1
; LDSByteSize: 0 bytes/workgroup (compile time only)
; SGPRBlocks: 0
; VGPRBlocks: 0
; NumSGPRsForWavesPerEU: 1
; NumVGPRsForWavesPerEU: 1
; NamedBarCnt: 0
; Occupancy: 16
; WaveLimiterHint : 0
; COMPUTE_PGM_RSRC2:SCRATCH_EN: 0
; COMPUTE_PGM_RSRC2:USER_SGPR: 2
; COMPUTE_PGM_RSRC2:TRAP_HANDLER: 0
; COMPUTE_PGM_RSRC2:TGID_X_EN: 1
; COMPUTE_PGM_RSRC2:TGID_Y_EN: 0
; COMPUTE_PGM_RSRC2:TGID_Z_EN: 0
; COMPUTE_PGM_RSRC2:TIDIG_COMP_CNT: 0
	.section	.text._ZN7rocprim17ROCPRIM_400000_NS6detail17trampoline_kernelINS0_14default_configENS1_33run_length_encode_config_selectorIN3c104HalfEjNS0_4plusIjEEEEZZNS1_33reduce_by_key_impl_wrapped_configILNS1_25lookback_scan_determinismE0ES3_S9_PKS6_NS0_17constant_iteratorIjlEEPS6_PlSH_S8_NS0_8equal_toIS6_EEEE10hipError_tPvRmT2_T3_mT4_T5_T6_T7_T8_P12ihipStream_tbENKUlT_T0_E_clISt17integral_constantIbLb0EES10_IbLb1EEEEDaSW_SX_EUlSW_E_NS1_11comp_targetILNS1_3genE10ELNS1_11target_archE1200ELNS1_3gpuE4ELNS1_3repE0EEENS1_30default_config_static_selectorELNS0_4arch9wavefront6targetE0EEEvT1_,"axG",@progbits,_ZN7rocprim17ROCPRIM_400000_NS6detail17trampoline_kernelINS0_14default_configENS1_33run_length_encode_config_selectorIN3c104HalfEjNS0_4plusIjEEEEZZNS1_33reduce_by_key_impl_wrapped_configILNS1_25lookback_scan_determinismE0ES3_S9_PKS6_NS0_17constant_iteratorIjlEEPS6_PlSH_S8_NS0_8equal_toIS6_EEEE10hipError_tPvRmT2_T3_mT4_T5_T6_T7_T8_P12ihipStream_tbENKUlT_T0_E_clISt17integral_constantIbLb0EES10_IbLb1EEEEDaSW_SX_EUlSW_E_NS1_11comp_targetILNS1_3genE10ELNS1_11target_archE1200ELNS1_3gpuE4ELNS1_3repE0EEENS1_30default_config_static_selectorELNS0_4arch9wavefront6targetE0EEEvT1_,comdat
	.protected	_ZN7rocprim17ROCPRIM_400000_NS6detail17trampoline_kernelINS0_14default_configENS1_33run_length_encode_config_selectorIN3c104HalfEjNS0_4plusIjEEEEZZNS1_33reduce_by_key_impl_wrapped_configILNS1_25lookback_scan_determinismE0ES3_S9_PKS6_NS0_17constant_iteratorIjlEEPS6_PlSH_S8_NS0_8equal_toIS6_EEEE10hipError_tPvRmT2_T3_mT4_T5_T6_T7_T8_P12ihipStream_tbENKUlT_T0_E_clISt17integral_constantIbLb0EES10_IbLb1EEEEDaSW_SX_EUlSW_E_NS1_11comp_targetILNS1_3genE10ELNS1_11target_archE1200ELNS1_3gpuE4ELNS1_3repE0EEENS1_30default_config_static_selectorELNS0_4arch9wavefront6targetE0EEEvT1_ ; -- Begin function _ZN7rocprim17ROCPRIM_400000_NS6detail17trampoline_kernelINS0_14default_configENS1_33run_length_encode_config_selectorIN3c104HalfEjNS0_4plusIjEEEEZZNS1_33reduce_by_key_impl_wrapped_configILNS1_25lookback_scan_determinismE0ES3_S9_PKS6_NS0_17constant_iteratorIjlEEPS6_PlSH_S8_NS0_8equal_toIS6_EEEE10hipError_tPvRmT2_T3_mT4_T5_T6_T7_T8_P12ihipStream_tbENKUlT_T0_E_clISt17integral_constantIbLb0EES10_IbLb1EEEEDaSW_SX_EUlSW_E_NS1_11comp_targetILNS1_3genE10ELNS1_11target_archE1200ELNS1_3gpuE4ELNS1_3repE0EEENS1_30default_config_static_selectorELNS0_4arch9wavefront6targetE0EEEvT1_
	.globl	_ZN7rocprim17ROCPRIM_400000_NS6detail17trampoline_kernelINS0_14default_configENS1_33run_length_encode_config_selectorIN3c104HalfEjNS0_4plusIjEEEEZZNS1_33reduce_by_key_impl_wrapped_configILNS1_25lookback_scan_determinismE0ES3_S9_PKS6_NS0_17constant_iteratorIjlEEPS6_PlSH_S8_NS0_8equal_toIS6_EEEE10hipError_tPvRmT2_T3_mT4_T5_T6_T7_T8_P12ihipStream_tbENKUlT_T0_E_clISt17integral_constantIbLb0EES10_IbLb1EEEEDaSW_SX_EUlSW_E_NS1_11comp_targetILNS1_3genE10ELNS1_11target_archE1200ELNS1_3gpuE4ELNS1_3repE0EEENS1_30default_config_static_selectorELNS0_4arch9wavefront6targetE0EEEvT1_
	.p2align	8
	.type	_ZN7rocprim17ROCPRIM_400000_NS6detail17trampoline_kernelINS0_14default_configENS1_33run_length_encode_config_selectorIN3c104HalfEjNS0_4plusIjEEEEZZNS1_33reduce_by_key_impl_wrapped_configILNS1_25lookback_scan_determinismE0ES3_S9_PKS6_NS0_17constant_iteratorIjlEEPS6_PlSH_S8_NS0_8equal_toIS6_EEEE10hipError_tPvRmT2_T3_mT4_T5_T6_T7_T8_P12ihipStream_tbENKUlT_T0_E_clISt17integral_constantIbLb0EES10_IbLb1EEEEDaSW_SX_EUlSW_E_NS1_11comp_targetILNS1_3genE10ELNS1_11target_archE1200ELNS1_3gpuE4ELNS1_3repE0EEENS1_30default_config_static_selectorELNS0_4arch9wavefront6targetE0EEEvT1_,@function
_ZN7rocprim17ROCPRIM_400000_NS6detail17trampoline_kernelINS0_14default_configENS1_33run_length_encode_config_selectorIN3c104HalfEjNS0_4plusIjEEEEZZNS1_33reduce_by_key_impl_wrapped_configILNS1_25lookback_scan_determinismE0ES3_S9_PKS6_NS0_17constant_iteratorIjlEEPS6_PlSH_S8_NS0_8equal_toIS6_EEEE10hipError_tPvRmT2_T3_mT4_T5_T6_T7_T8_P12ihipStream_tbENKUlT_T0_E_clISt17integral_constantIbLb0EES10_IbLb1EEEEDaSW_SX_EUlSW_E_NS1_11comp_targetILNS1_3genE10ELNS1_11target_archE1200ELNS1_3gpuE4ELNS1_3repE0EEENS1_30default_config_static_selectorELNS0_4arch9wavefront6targetE0EEEvT1_: ; @_ZN7rocprim17ROCPRIM_400000_NS6detail17trampoline_kernelINS0_14default_configENS1_33run_length_encode_config_selectorIN3c104HalfEjNS0_4plusIjEEEEZZNS1_33reduce_by_key_impl_wrapped_configILNS1_25lookback_scan_determinismE0ES3_S9_PKS6_NS0_17constant_iteratorIjlEEPS6_PlSH_S8_NS0_8equal_toIS6_EEEE10hipError_tPvRmT2_T3_mT4_T5_T6_T7_T8_P12ihipStream_tbENKUlT_T0_E_clISt17integral_constantIbLb0EES10_IbLb1EEEEDaSW_SX_EUlSW_E_NS1_11comp_targetILNS1_3genE10ELNS1_11target_archE1200ELNS1_3gpuE4ELNS1_3repE0EEENS1_30default_config_static_selectorELNS0_4arch9wavefront6targetE0EEEvT1_
; %bb.0:
	.section	.rodata,"a",@progbits
	.p2align	6, 0x0
	.amdhsa_kernel _ZN7rocprim17ROCPRIM_400000_NS6detail17trampoline_kernelINS0_14default_configENS1_33run_length_encode_config_selectorIN3c104HalfEjNS0_4plusIjEEEEZZNS1_33reduce_by_key_impl_wrapped_configILNS1_25lookback_scan_determinismE0ES3_S9_PKS6_NS0_17constant_iteratorIjlEEPS6_PlSH_S8_NS0_8equal_toIS6_EEEE10hipError_tPvRmT2_T3_mT4_T5_T6_T7_T8_P12ihipStream_tbENKUlT_T0_E_clISt17integral_constantIbLb0EES10_IbLb1EEEEDaSW_SX_EUlSW_E_NS1_11comp_targetILNS1_3genE10ELNS1_11target_archE1200ELNS1_3gpuE4ELNS1_3repE0EEENS1_30default_config_static_selectorELNS0_4arch9wavefront6targetE0EEEvT1_
		.amdhsa_group_segment_fixed_size 0
		.amdhsa_private_segment_fixed_size 0
		.amdhsa_kernarg_size 128
		.amdhsa_user_sgpr_count 2
		.amdhsa_user_sgpr_dispatch_ptr 0
		.amdhsa_user_sgpr_queue_ptr 0
		.amdhsa_user_sgpr_kernarg_segment_ptr 1
		.amdhsa_user_sgpr_dispatch_id 0
		.amdhsa_user_sgpr_kernarg_preload_length 0
		.amdhsa_user_sgpr_kernarg_preload_offset 0
		.amdhsa_user_sgpr_private_segment_size 0
		.amdhsa_wavefront_size32 1
		.amdhsa_uses_dynamic_stack 0
		.amdhsa_enable_private_segment 0
		.amdhsa_system_sgpr_workgroup_id_x 1
		.amdhsa_system_sgpr_workgroup_id_y 0
		.amdhsa_system_sgpr_workgroup_id_z 0
		.amdhsa_system_sgpr_workgroup_info 0
		.amdhsa_system_vgpr_workitem_id 0
		.amdhsa_next_free_vgpr 1
		.amdhsa_next_free_sgpr 1
		.amdhsa_named_barrier_count 0
		.amdhsa_reserve_vcc 0
		.amdhsa_float_round_mode_32 0
		.amdhsa_float_round_mode_16_64 0
		.amdhsa_float_denorm_mode_32 3
		.amdhsa_float_denorm_mode_16_64 3
		.amdhsa_fp16_overflow 0
		.amdhsa_memory_ordered 1
		.amdhsa_forward_progress 1
		.amdhsa_inst_pref_size 0
		.amdhsa_round_robin_scheduling 0
		.amdhsa_exception_fp_ieee_invalid_op 0
		.amdhsa_exception_fp_denorm_src 0
		.amdhsa_exception_fp_ieee_div_zero 0
		.amdhsa_exception_fp_ieee_overflow 0
		.amdhsa_exception_fp_ieee_underflow 0
		.amdhsa_exception_fp_ieee_inexact 0
		.amdhsa_exception_int_div_zero 0
	.end_amdhsa_kernel
	.section	.text._ZN7rocprim17ROCPRIM_400000_NS6detail17trampoline_kernelINS0_14default_configENS1_33run_length_encode_config_selectorIN3c104HalfEjNS0_4plusIjEEEEZZNS1_33reduce_by_key_impl_wrapped_configILNS1_25lookback_scan_determinismE0ES3_S9_PKS6_NS0_17constant_iteratorIjlEEPS6_PlSH_S8_NS0_8equal_toIS6_EEEE10hipError_tPvRmT2_T3_mT4_T5_T6_T7_T8_P12ihipStream_tbENKUlT_T0_E_clISt17integral_constantIbLb0EES10_IbLb1EEEEDaSW_SX_EUlSW_E_NS1_11comp_targetILNS1_3genE10ELNS1_11target_archE1200ELNS1_3gpuE4ELNS1_3repE0EEENS1_30default_config_static_selectorELNS0_4arch9wavefront6targetE0EEEvT1_,"axG",@progbits,_ZN7rocprim17ROCPRIM_400000_NS6detail17trampoline_kernelINS0_14default_configENS1_33run_length_encode_config_selectorIN3c104HalfEjNS0_4plusIjEEEEZZNS1_33reduce_by_key_impl_wrapped_configILNS1_25lookback_scan_determinismE0ES3_S9_PKS6_NS0_17constant_iteratorIjlEEPS6_PlSH_S8_NS0_8equal_toIS6_EEEE10hipError_tPvRmT2_T3_mT4_T5_T6_T7_T8_P12ihipStream_tbENKUlT_T0_E_clISt17integral_constantIbLb0EES10_IbLb1EEEEDaSW_SX_EUlSW_E_NS1_11comp_targetILNS1_3genE10ELNS1_11target_archE1200ELNS1_3gpuE4ELNS1_3repE0EEENS1_30default_config_static_selectorELNS0_4arch9wavefront6targetE0EEEvT1_,comdat
.Lfunc_end958:
	.size	_ZN7rocprim17ROCPRIM_400000_NS6detail17trampoline_kernelINS0_14default_configENS1_33run_length_encode_config_selectorIN3c104HalfEjNS0_4plusIjEEEEZZNS1_33reduce_by_key_impl_wrapped_configILNS1_25lookback_scan_determinismE0ES3_S9_PKS6_NS0_17constant_iteratorIjlEEPS6_PlSH_S8_NS0_8equal_toIS6_EEEE10hipError_tPvRmT2_T3_mT4_T5_T6_T7_T8_P12ihipStream_tbENKUlT_T0_E_clISt17integral_constantIbLb0EES10_IbLb1EEEEDaSW_SX_EUlSW_E_NS1_11comp_targetILNS1_3genE10ELNS1_11target_archE1200ELNS1_3gpuE4ELNS1_3repE0EEENS1_30default_config_static_selectorELNS0_4arch9wavefront6targetE0EEEvT1_, .Lfunc_end958-_ZN7rocprim17ROCPRIM_400000_NS6detail17trampoline_kernelINS0_14default_configENS1_33run_length_encode_config_selectorIN3c104HalfEjNS0_4plusIjEEEEZZNS1_33reduce_by_key_impl_wrapped_configILNS1_25lookback_scan_determinismE0ES3_S9_PKS6_NS0_17constant_iteratorIjlEEPS6_PlSH_S8_NS0_8equal_toIS6_EEEE10hipError_tPvRmT2_T3_mT4_T5_T6_T7_T8_P12ihipStream_tbENKUlT_T0_E_clISt17integral_constantIbLb0EES10_IbLb1EEEEDaSW_SX_EUlSW_E_NS1_11comp_targetILNS1_3genE10ELNS1_11target_archE1200ELNS1_3gpuE4ELNS1_3repE0EEENS1_30default_config_static_selectorELNS0_4arch9wavefront6targetE0EEEvT1_
                                        ; -- End function
	.set _ZN7rocprim17ROCPRIM_400000_NS6detail17trampoline_kernelINS0_14default_configENS1_33run_length_encode_config_selectorIN3c104HalfEjNS0_4plusIjEEEEZZNS1_33reduce_by_key_impl_wrapped_configILNS1_25lookback_scan_determinismE0ES3_S9_PKS6_NS0_17constant_iteratorIjlEEPS6_PlSH_S8_NS0_8equal_toIS6_EEEE10hipError_tPvRmT2_T3_mT4_T5_T6_T7_T8_P12ihipStream_tbENKUlT_T0_E_clISt17integral_constantIbLb0EES10_IbLb1EEEEDaSW_SX_EUlSW_E_NS1_11comp_targetILNS1_3genE10ELNS1_11target_archE1200ELNS1_3gpuE4ELNS1_3repE0EEENS1_30default_config_static_selectorELNS0_4arch9wavefront6targetE0EEEvT1_.num_vgpr, 0
	.set _ZN7rocprim17ROCPRIM_400000_NS6detail17trampoline_kernelINS0_14default_configENS1_33run_length_encode_config_selectorIN3c104HalfEjNS0_4plusIjEEEEZZNS1_33reduce_by_key_impl_wrapped_configILNS1_25lookback_scan_determinismE0ES3_S9_PKS6_NS0_17constant_iteratorIjlEEPS6_PlSH_S8_NS0_8equal_toIS6_EEEE10hipError_tPvRmT2_T3_mT4_T5_T6_T7_T8_P12ihipStream_tbENKUlT_T0_E_clISt17integral_constantIbLb0EES10_IbLb1EEEEDaSW_SX_EUlSW_E_NS1_11comp_targetILNS1_3genE10ELNS1_11target_archE1200ELNS1_3gpuE4ELNS1_3repE0EEENS1_30default_config_static_selectorELNS0_4arch9wavefront6targetE0EEEvT1_.num_agpr, 0
	.set _ZN7rocprim17ROCPRIM_400000_NS6detail17trampoline_kernelINS0_14default_configENS1_33run_length_encode_config_selectorIN3c104HalfEjNS0_4plusIjEEEEZZNS1_33reduce_by_key_impl_wrapped_configILNS1_25lookback_scan_determinismE0ES3_S9_PKS6_NS0_17constant_iteratorIjlEEPS6_PlSH_S8_NS0_8equal_toIS6_EEEE10hipError_tPvRmT2_T3_mT4_T5_T6_T7_T8_P12ihipStream_tbENKUlT_T0_E_clISt17integral_constantIbLb0EES10_IbLb1EEEEDaSW_SX_EUlSW_E_NS1_11comp_targetILNS1_3genE10ELNS1_11target_archE1200ELNS1_3gpuE4ELNS1_3repE0EEENS1_30default_config_static_selectorELNS0_4arch9wavefront6targetE0EEEvT1_.numbered_sgpr, 0
	.set _ZN7rocprim17ROCPRIM_400000_NS6detail17trampoline_kernelINS0_14default_configENS1_33run_length_encode_config_selectorIN3c104HalfEjNS0_4plusIjEEEEZZNS1_33reduce_by_key_impl_wrapped_configILNS1_25lookback_scan_determinismE0ES3_S9_PKS6_NS0_17constant_iteratorIjlEEPS6_PlSH_S8_NS0_8equal_toIS6_EEEE10hipError_tPvRmT2_T3_mT4_T5_T6_T7_T8_P12ihipStream_tbENKUlT_T0_E_clISt17integral_constantIbLb0EES10_IbLb1EEEEDaSW_SX_EUlSW_E_NS1_11comp_targetILNS1_3genE10ELNS1_11target_archE1200ELNS1_3gpuE4ELNS1_3repE0EEENS1_30default_config_static_selectorELNS0_4arch9wavefront6targetE0EEEvT1_.num_named_barrier, 0
	.set _ZN7rocprim17ROCPRIM_400000_NS6detail17trampoline_kernelINS0_14default_configENS1_33run_length_encode_config_selectorIN3c104HalfEjNS0_4plusIjEEEEZZNS1_33reduce_by_key_impl_wrapped_configILNS1_25lookback_scan_determinismE0ES3_S9_PKS6_NS0_17constant_iteratorIjlEEPS6_PlSH_S8_NS0_8equal_toIS6_EEEE10hipError_tPvRmT2_T3_mT4_T5_T6_T7_T8_P12ihipStream_tbENKUlT_T0_E_clISt17integral_constantIbLb0EES10_IbLb1EEEEDaSW_SX_EUlSW_E_NS1_11comp_targetILNS1_3genE10ELNS1_11target_archE1200ELNS1_3gpuE4ELNS1_3repE0EEENS1_30default_config_static_selectorELNS0_4arch9wavefront6targetE0EEEvT1_.private_seg_size, 0
	.set _ZN7rocprim17ROCPRIM_400000_NS6detail17trampoline_kernelINS0_14default_configENS1_33run_length_encode_config_selectorIN3c104HalfEjNS0_4plusIjEEEEZZNS1_33reduce_by_key_impl_wrapped_configILNS1_25lookback_scan_determinismE0ES3_S9_PKS6_NS0_17constant_iteratorIjlEEPS6_PlSH_S8_NS0_8equal_toIS6_EEEE10hipError_tPvRmT2_T3_mT4_T5_T6_T7_T8_P12ihipStream_tbENKUlT_T0_E_clISt17integral_constantIbLb0EES10_IbLb1EEEEDaSW_SX_EUlSW_E_NS1_11comp_targetILNS1_3genE10ELNS1_11target_archE1200ELNS1_3gpuE4ELNS1_3repE0EEENS1_30default_config_static_selectorELNS0_4arch9wavefront6targetE0EEEvT1_.uses_vcc, 0
	.set _ZN7rocprim17ROCPRIM_400000_NS6detail17trampoline_kernelINS0_14default_configENS1_33run_length_encode_config_selectorIN3c104HalfEjNS0_4plusIjEEEEZZNS1_33reduce_by_key_impl_wrapped_configILNS1_25lookback_scan_determinismE0ES3_S9_PKS6_NS0_17constant_iteratorIjlEEPS6_PlSH_S8_NS0_8equal_toIS6_EEEE10hipError_tPvRmT2_T3_mT4_T5_T6_T7_T8_P12ihipStream_tbENKUlT_T0_E_clISt17integral_constantIbLb0EES10_IbLb1EEEEDaSW_SX_EUlSW_E_NS1_11comp_targetILNS1_3genE10ELNS1_11target_archE1200ELNS1_3gpuE4ELNS1_3repE0EEENS1_30default_config_static_selectorELNS0_4arch9wavefront6targetE0EEEvT1_.uses_flat_scratch, 0
	.set _ZN7rocprim17ROCPRIM_400000_NS6detail17trampoline_kernelINS0_14default_configENS1_33run_length_encode_config_selectorIN3c104HalfEjNS0_4plusIjEEEEZZNS1_33reduce_by_key_impl_wrapped_configILNS1_25lookback_scan_determinismE0ES3_S9_PKS6_NS0_17constant_iteratorIjlEEPS6_PlSH_S8_NS0_8equal_toIS6_EEEE10hipError_tPvRmT2_T3_mT4_T5_T6_T7_T8_P12ihipStream_tbENKUlT_T0_E_clISt17integral_constantIbLb0EES10_IbLb1EEEEDaSW_SX_EUlSW_E_NS1_11comp_targetILNS1_3genE10ELNS1_11target_archE1200ELNS1_3gpuE4ELNS1_3repE0EEENS1_30default_config_static_selectorELNS0_4arch9wavefront6targetE0EEEvT1_.has_dyn_sized_stack, 0
	.set _ZN7rocprim17ROCPRIM_400000_NS6detail17trampoline_kernelINS0_14default_configENS1_33run_length_encode_config_selectorIN3c104HalfEjNS0_4plusIjEEEEZZNS1_33reduce_by_key_impl_wrapped_configILNS1_25lookback_scan_determinismE0ES3_S9_PKS6_NS0_17constant_iteratorIjlEEPS6_PlSH_S8_NS0_8equal_toIS6_EEEE10hipError_tPvRmT2_T3_mT4_T5_T6_T7_T8_P12ihipStream_tbENKUlT_T0_E_clISt17integral_constantIbLb0EES10_IbLb1EEEEDaSW_SX_EUlSW_E_NS1_11comp_targetILNS1_3genE10ELNS1_11target_archE1200ELNS1_3gpuE4ELNS1_3repE0EEENS1_30default_config_static_selectorELNS0_4arch9wavefront6targetE0EEEvT1_.has_recursion, 0
	.set _ZN7rocprim17ROCPRIM_400000_NS6detail17trampoline_kernelINS0_14default_configENS1_33run_length_encode_config_selectorIN3c104HalfEjNS0_4plusIjEEEEZZNS1_33reduce_by_key_impl_wrapped_configILNS1_25lookback_scan_determinismE0ES3_S9_PKS6_NS0_17constant_iteratorIjlEEPS6_PlSH_S8_NS0_8equal_toIS6_EEEE10hipError_tPvRmT2_T3_mT4_T5_T6_T7_T8_P12ihipStream_tbENKUlT_T0_E_clISt17integral_constantIbLb0EES10_IbLb1EEEEDaSW_SX_EUlSW_E_NS1_11comp_targetILNS1_3genE10ELNS1_11target_archE1200ELNS1_3gpuE4ELNS1_3repE0EEENS1_30default_config_static_selectorELNS0_4arch9wavefront6targetE0EEEvT1_.has_indirect_call, 0
	.section	.AMDGPU.csdata,"",@progbits
; Kernel info:
; codeLenInByte = 0
; TotalNumSgprs: 0
; NumVgprs: 0
; ScratchSize: 0
; MemoryBound: 0
; FloatMode: 240
; IeeeMode: 1
; LDSByteSize: 0 bytes/workgroup (compile time only)
; SGPRBlocks: 0
; VGPRBlocks: 0
; NumSGPRsForWavesPerEU: 1
; NumVGPRsForWavesPerEU: 1
; NamedBarCnt: 0
; Occupancy: 16
; WaveLimiterHint : 0
; COMPUTE_PGM_RSRC2:SCRATCH_EN: 0
; COMPUTE_PGM_RSRC2:USER_SGPR: 2
; COMPUTE_PGM_RSRC2:TRAP_HANDLER: 0
; COMPUTE_PGM_RSRC2:TGID_X_EN: 1
; COMPUTE_PGM_RSRC2:TGID_Y_EN: 0
; COMPUTE_PGM_RSRC2:TGID_Z_EN: 0
; COMPUTE_PGM_RSRC2:TIDIG_COMP_CNT: 0
	.section	.text._ZN7rocprim17ROCPRIM_400000_NS6detail17trampoline_kernelINS0_14default_configENS1_33run_length_encode_config_selectorIN3c104HalfEjNS0_4plusIjEEEEZZNS1_33reduce_by_key_impl_wrapped_configILNS1_25lookback_scan_determinismE0ES3_S9_PKS6_NS0_17constant_iteratorIjlEEPS6_PlSH_S8_NS0_8equal_toIS6_EEEE10hipError_tPvRmT2_T3_mT4_T5_T6_T7_T8_P12ihipStream_tbENKUlT_T0_E_clISt17integral_constantIbLb0EES10_IbLb1EEEEDaSW_SX_EUlSW_E_NS1_11comp_targetILNS1_3genE9ELNS1_11target_archE1100ELNS1_3gpuE3ELNS1_3repE0EEENS1_30default_config_static_selectorELNS0_4arch9wavefront6targetE0EEEvT1_,"axG",@progbits,_ZN7rocprim17ROCPRIM_400000_NS6detail17trampoline_kernelINS0_14default_configENS1_33run_length_encode_config_selectorIN3c104HalfEjNS0_4plusIjEEEEZZNS1_33reduce_by_key_impl_wrapped_configILNS1_25lookback_scan_determinismE0ES3_S9_PKS6_NS0_17constant_iteratorIjlEEPS6_PlSH_S8_NS0_8equal_toIS6_EEEE10hipError_tPvRmT2_T3_mT4_T5_T6_T7_T8_P12ihipStream_tbENKUlT_T0_E_clISt17integral_constantIbLb0EES10_IbLb1EEEEDaSW_SX_EUlSW_E_NS1_11comp_targetILNS1_3genE9ELNS1_11target_archE1100ELNS1_3gpuE3ELNS1_3repE0EEENS1_30default_config_static_selectorELNS0_4arch9wavefront6targetE0EEEvT1_,comdat
	.protected	_ZN7rocprim17ROCPRIM_400000_NS6detail17trampoline_kernelINS0_14default_configENS1_33run_length_encode_config_selectorIN3c104HalfEjNS0_4plusIjEEEEZZNS1_33reduce_by_key_impl_wrapped_configILNS1_25lookback_scan_determinismE0ES3_S9_PKS6_NS0_17constant_iteratorIjlEEPS6_PlSH_S8_NS0_8equal_toIS6_EEEE10hipError_tPvRmT2_T3_mT4_T5_T6_T7_T8_P12ihipStream_tbENKUlT_T0_E_clISt17integral_constantIbLb0EES10_IbLb1EEEEDaSW_SX_EUlSW_E_NS1_11comp_targetILNS1_3genE9ELNS1_11target_archE1100ELNS1_3gpuE3ELNS1_3repE0EEENS1_30default_config_static_selectorELNS0_4arch9wavefront6targetE0EEEvT1_ ; -- Begin function _ZN7rocprim17ROCPRIM_400000_NS6detail17trampoline_kernelINS0_14default_configENS1_33run_length_encode_config_selectorIN3c104HalfEjNS0_4plusIjEEEEZZNS1_33reduce_by_key_impl_wrapped_configILNS1_25lookback_scan_determinismE0ES3_S9_PKS6_NS0_17constant_iteratorIjlEEPS6_PlSH_S8_NS0_8equal_toIS6_EEEE10hipError_tPvRmT2_T3_mT4_T5_T6_T7_T8_P12ihipStream_tbENKUlT_T0_E_clISt17integral_constantIbLb0EES10_IbLb1EEEEDaSW_SX_EUlSW_E_NS1_11comp_targetILNS1_3genE9ELNS1_11target_archE1100ELNS1_3gpuE3ELNS1_3repE0EEENS1_30default_config_static_selectorELNS0_4arch9wavefront6targetE0EEEvT1_
	.globl	_ZN7rocprim17ROCPRIM_400000_NS6detail17trampoline_kernelINS0_14default_configENS1_33run_length_encode_config_selectorIN3c104HalfEjNS0_4plusIjEEEEZZNS1_33reduce_by_key_impl_wrapped_configILNS1_25lookback_scan_determinismE0ES3_S9_PKS6_NS0_17constant_iteratorIjlEEPS6_PlSH_S8_NS0_8equal_toIS6_EEEE10hipError_tPvRmT2_T3_mT4_T5_T6_T7_T8_P12ihipStream_tbENKUlT_T0_E_clISt17integral_constantIbLb0EES10_IbLb1EEEEDaSW_SX_EUlSW_E_NS1_11comp_targetILNS1_3genE9ELNS1_11target_archE1100ELNS1_3gpuE3ELNS1_3repE0EEENS1_30default_config_static_selectorELNS0_4arch9wavefront6targetE0EEEvT1_
	.p2align	8
	.type	_ZN7rocprim17ROCPRIM_400000_NS6detail17trampoline_kernelINS0_14default_configENS1_33run_length_encode_config_selectorIN3c104HalfEjNS0_4plusIjEEEEZZNS1_33reduce_by_key_impl_wrapped_configILNS1_25lookback_scan_determinismE0ES3_S9_PKS6_NS0_17constant_iteratorIjlEEPS6_PlSH_S8_NS0_8equal_toIS6_EEEE10hipError_tPvRmT2_T3_mT4_T5_T6_T7_T8_P12ihipStream_tbENKUlT_T0_E_clISt17integral_constantIbLb0EES10_IbLb1EEEEDaSW_SX_EUlSW_E_NS1_11comp_targetILNS1_3genE9ELNS1_11target_archE1100ELNS1_3gpuE3ELNS1_3repE0EEENS1_30default_config_static_selectorELNS0_4arch9wavefront6targetE0EEEvT1_,@function
_ZN7rocprim17ROCPRIM_400000_NS6detail17trampoline_kernelINS0_14default_configENS1_33run_length_encode_config_selectorIN3c104HalfEjNS0_4plusIjEEEEZZNS1_33reduce_by_key_impl_wrapped_configILNS1_25lookback_scan_determinismE0ES3_S9_PKS6_NS0_17constant_iteratorIjlEEPS6_PlSH_S8_NS0_8equal_toIS6_EEEE10hipError_tPvRmT2_T3_mT4_T5_T6_T7_T8_P12ihipStream_tbENKUlT_T0_E_clISt17integral_constantIbLb0EES10_IbLb1EEEEDaSW_SX_EUlSW_E_NS1_11comp_targetILNS1_3genE9ELNS1_11target_archE1100ELNS1_3gpuE3ELNS1_3repE0EEENS1_30default_config_static_selectorELNS0_4arch9wavefront6targetE0EEEvT1_: ; @_ZN7rocprim17ROCPRIM_400000_NS6detail17trampoline_kernelINS0_14default_configENS1_33run_length_encode_config_selectorIN3c104HalfEjNS0_4plusIjEEEEZZNS1_33reduce_by_key_impl_wrapped_configILNS1_25lookback_scan_determinismE0ES3_S9_PKS6_NS0_17constant_iteratorIjlEEPS6_PlSH_S8_NS0_8equal_toIS6_EEEE10hipError_tPvRmT2_T3_mT4_T5_T6_T7_T8_P12ihipStream_tbENKUlT_T0_E_clISt17integral_constantIbLb0EES10_IbLb1EEEEDaSW_SX_EUlSW_E_NS1_11comp_targetILNS1_3genE9ELNS1_11target_archE1100ELNS1_3gpuE3ELNS1_3repE0EEENS1_30default_config_static_selectorELNS0_4arch9wavefront6targetE0EEEvT1_
; %bb.0:
	.section	.rodata,"a",@progbits
	.p2align	6, 0x0
	.amdhsa_kernel _ZN7rocprim17ROCPRIM_400000_NS6detail17trampoline_kernelINS0_14default_configENS1_33run_length_encode_config_selectorIN3c104HalfEjNS0_4plusIjEEEEZZNS1_33reduce_by_key_impl_wrapped_configILNS1_25lookback_scan_determinismE0ES3_S9_PKS6_NS0_17constant_iteratorIjlEEPS6_PlSH_S8_NS0_8equal_toIS6_EEEE10hipError_tPvRmT2_T3_mT4_T5_T6_T7_T8_P12ihipStream_tbENKUlT_T0_E_clISt17integral_constantIbLb0EES10_IbLb1EEEEDaSW_SX_EUlSW_E_NS1_11comp_targetILNS1_3genE9ELNS1_11target_archE1100ELNS1_3gpuE3ELNS1_3repE0EEENS1_30default_config_static_selectorELNS0_4arch9wavefront6targetE0EEEvT1_
		.amdhsa_group_segment_fixed_size 0
		.amdhsa_private_segment_fixed_size 0
		.amdhsa_kernarg_size 128
		.amdhsa_user_sgpr_count 2
		.amdhsa_user_sgpr_dispatch_ptr 0
		.amdhsa_user_sgpr_queue_ptr 0
		.amdhsa_user_sgpr_kernarg_segment_ptr 1
		.amdhsa_user_sgpr_dispatch_id 0
		.amdhsa_user_sgpr_kernarg_preload_length 0
		.amdhsa_user_sgpr_kernarg_preload_offset 0
		.amdhsa_user_sgpr_private_segment_size 0
		.amdhsa_wavefront_size32 1
		.amdhsa_uses_dynamic_stack 0
		.amdhsa_enable_private_segment 0
		.amdhsa_system_sgpr_workgroup_id_x 1
		.amdhsa_system_sgpr_workgroup_id_y 0
		.amdhsa_system_sgpr_workgroup_id_z 0
		.amdhsa_system_sgpr_workgroup_info 0
		.amdhsa_system_vgpr_workitem_id 0
		.amdhsa_next_free_vgpr 1
		.amdhsa_next_free_sgpr 1
		.amdhsa_named_barrier_count 0
		.amdhsa_reserve_vcc 0
		.amdhsa_float_round_mode_32 0
		.amdhsa_float_round_mode_16_64 0
		.amdhsa_float_denorm_mode_32 3
		.amdhsa_float_denorm_mode_16_64 3
		.amdhsa_fp16_overflow 0
		.amdhsa_memory_ordered 1
		.amdhsa_forward_progress 1
		.amdhsa_inst_pref_size 0
		.amdhsa_round_robin_scheduling 0
		.amdhsa_exception_fp_ieee_invalid_op 0
		.amdhsa_exception_fp_denorm_src 0
		.amdhsa_exception_fp_ieee_div_zero 0
		.amdhsa_exception_fp_ieee_overflow 0
		.amdhsa_exception_fp_ieee_underflow 0
		.amdhsa_exception_fp_ieee_inexact 0
		.amdhsa_exception_int_div_zero 0
	.end_amdhsa_kernel
	.section	.text._ZN7rocprim17ROCPRIM_400000_NS6detail17trampoline_kernelINS0_14default_configENS1_33run_length_encode_config_selectorIN3c104HalfEjNS0_4plusIjEEEEZZNS1_33reduce_by_key_impl_wrapped_configILNS1_25lookback_scan_determinismE0ES3_S9_PKS6_NS0_17constant_iteratorIjlEEPS6_PlSH_S8_NS0_8equal_toIS6_EEEE10hipError_tPvRmT2_T3_mT4_T5_T6_T7_T8_P12ihipStream_tbENKUlT_T0_E_clISt17integral_constantIbLb0EES10_IbLb1EEEEDaSW_SX_EUlSW_E_NS1_11comp_targetILNS1_3genE9ELNS1_11target_archE1100ELNS1_3gpuE3ELNS1_3repE0EEENS1_30default_config_static_selectorELNS0_4arch9wavefront6targetE0EEEvT1_,"axG",@progbits,_ZN7rocprim17ROCPRIM_400000_NS6detail17trampoline_kernelINS0_14default_configENS1_33run_length_encode_config_selectorIN3c104HalfEjNS0_4plusIjEEEEZZNS1_33reduce_by_key_impl_wrapped_configILNS1_25lookback_scan_determinismE0ES3_S9_PKS6_NS0_17constant_iteratorIjlEEPS6_PlSH_S8_NS0_8equal_toIS6_EEEE10hipError_tPvRmT2_T3_mT4_T5_T6_T7_T8_P12ihipStream_tbENKUlT_T0_E_clISt17integral_constantIbLb0EES10_IbLb1EEEEDaSW_SX_EUlSW_E_NS1_11comp_targetILNS1_3genE9ELNS1_11target_archE1100ELNS1_3gpuE3ELNS1_3repE0EEENS1_30default_config_static_selectorELNS0_4arch9wavefront6targetE0EEEvT1_,comdat
.Lfunc_end959:
	.size	_ZN7rocprim17ROCPRIM_400000_NS6detail17trampoline_kernelINS0_14default_configENS1_33run_length_encode_config_selectorIN3c104HalfEjNS0_4plusIjEEEEZZNS1_33reduce_by_key_impl_wrapped_configILNS1_25lookback_scan_determinismE0ES3_S9_PKS6_NS0_17constant_iteratorIjlEEPS6_PlSH_S8_NS0_8equal_toIS6_EEEE10hipError_tPvRmT2_T3_mT4_T5_T6_T7_T8_P12ihipStream_tbENKUlT_T0_E_clISt17integral_constantIbLb0EES10_IbLb1EEEEDaSW_SX_EUlSW_E_NS1_11comp_targetILNS1_3genE9ELNS1_11target_archE1100ELNS1_3gpuE3ELNS1_3repE0EEENS1_30default_config_static_selectorELNS0_4arch9wavefront6targetE0EEEvT1_, .Lfunc_end959-_ZN7rocprim17ROCPRIM_400000_NS6detail17trampoline_kernelINS0_14default_configENS1_33run_length_encode_config_selectorIN3c104HalfEjNS0_4plusIjEEEEZZNS1_33reduce_by_key_impl_wrapped_configILNS1_25lookback_scan_determinismE0ES3_S9_PKS6_NS0_17constant_iteratorIjlEEPS6_PlSH_S8_NS0_8equal_toIS6_EEEE10hipError_tPvRmT2_T3_mT4_T5_T6_T7_T8_P12ihipStream_tbENKUlT_T0_E_clISt17integral_constantIbLb0EES10_IbLb1EEEEDaSW_SX_EUlSW_E_NS1_11comp_targetILNS1_3genE9ELNS1_11target_archE1100ELNS1_3gpuE3ELNS1_3repE0EEENS1_30default_config_static_selectorELNS0_4arch9wavefront6targetE0EEEvT1_
                                        ; -- End function
	.set _ZN7rocprim17ROCPRIM_400000_NS6detail17trampoline_kernelINS0_14default_configENS1_33run_length_encode_config_selectorIN3c104HalfEjNS0_4plusIjEEEEZZNS1_33reduce_by_key_impl_wrapped_configILNS1_25lookback_scan_determinismE0ES3_S9_PKS6_NS0_17constant_iteratorIjlEEPS6_PlSH_S8_NS0_8equal_toIS6_EEEE10hipError_tPvRmT2_T3_mT4_T5_T6_T7_T8_P12ihipStream_tbENKUlT_T0_E_clISt17integral_constantIbLb0EES10_IbLb1EEEEDaSW_SX_EUlSW_E_NS1_11comp_targetILNS1_3genE9ELNS1_11target_archE1100ELNS1_3gpuE3ELNS1_3repE0EEENS1_30default_config_static_selectorELNS0_4arch9wavefront6targetE0EEEvT1_.num_vgpr, 0
	.set _ZN7rocprim17ROCPRIM_400000_NS6detail17trampoline_kernelINS0_14default_configENS1_33run_length_encode_config_selectorIN3c104HalfEjNS0_4plusIjEEEEZZNS1_33reduce_by_key_impl_wrapped_configILNS1_25lookback_scan_determinismE0ES3_S9_PKS6_NS0_17constant_iteratorIjlEEPS6_PlSH_S8_NS0_8equal_toIS6_EEEE10hipError_tPvRmT2_T3_mT4_T5_T6_T7_T8_P12ihipStream_tbENKUlT_T0_E_clISt17integral_constantIbLb0EES10_IbLb1EEEEDaSW_SX_EUlSW_E_NS1_11comp_targetILNS1_3genE9ELNS1_11target_archE1100ELNS1_3gpuE3ELNS1_3repE0EEENS1_30default_config_static_selectorELNS0_4arch9wavefront6targetE0EEEvT1_.num_agpr, 0
	.set _ZN7rocprim17ROCPRIM_400000_NS6detail17trampoline_kernelINS0_14default_configENS1_33run_length_encode_config_selectorIN3c104HalfEjNS0_4plusIjEEEEZZNS1_33reduce_by_key_impl_wrapped_configILNS1_25lookback_scan_determinismE0ES3_S9_PKS6_NS0_17constant_iteratorIjlEEPS6_PlSH_S8_NS0_8equal_toIS6_EEEE10hipError_tPvRmT2_T3_mT4_T5_T6_T7_T8_P12ihipStream_tbENKUlT_T0_E_clISt17integral_constantIbLb0EES10_IbLb1EEEEDaSW_SX_EUlSW_E_NS1_11comp_targetILNS1_3genE9ELNS1_11target_archE1100ELNS1_3gpuE3ELNS1_3repE0EEENS1_30default_config_static_selectorELNS0_4arch9wavefront6targetE0EEEvT1_.numbered_sgpr, 0
	.set _ZN7rocprim17ROCPRIM_400000_NS6detail17trampoline_kernelINS0_14default_configENS1_33run_length_encode_config_selectorIN3c104HalfEjNS0_4plusIjEEEEZZNS1_33reduce_by_key_impl_wrapped_configILNS1_25lookback_scan_determinismE0ES3_S9_PKS6_NS0_17constant_iteratorIjlEEPS6_PlSH_S8_NS0_8equal_toIS6_EEEE10hipError_tPvRmT2_T3_mT4_T5_T6_T7_T8_P12ihipStream_tbENKUlT_T0_E_clISt17integral_constantIbLb0EES10_IbLb1EEEEDaSW_SX_EUlSW_E_NS1_11comp_targetILNS1_3genE9ELNS1_11target_archE1100ELNS1_3gpuE3ELNS1_3repE0EEENS1_30default_config_static_selectorELNS0_4arch9wavefront6targetE0EEEvT1_.num_named_barrier, 0
	.set _ZN7rocprim17ROCPRIM_400000_NS6detail17trampoline_kernelINS0_14default_configENS1_33run_length_encode_config_selectorIN3c104HalfEjNS0_4plusIjEEEEZZNS1_33reduce_by_key_impl_wrapped_configILNS1_25lookback_scan_determinismE0ES3_S9_PKS6_NS0_17constant_iteratorIjlEEPS6_PlSH_S8_NS0_8equal_toIS6_EEEE10hipError_tPvRmT2_T3_mT4_T5_T6_T7_T8_P12ihipStream_tbENKUlT_T0_E_clISt17integral_constantIbLb0EES10_IbLb1EEEEDaSW_SX_EUlSW_E_NS1_11comp_targetILNS1_3genE9ELNS1_11target_archE1100ELNS1_3gpuE3ELNS1_3repE0EEENS1_30default_config_static_selectorELNS0_4arch9wavefront6targetE0EEEvT1_.private_seg_size, 0
	.set _ZN7rocprim17ROCPRIM_400000_NS6detail17trampoline_kernelINS0_14default_configENS1_33run_length_encode_config_selectorIN3c104HalfEjNS0_4plusIjEEEEZZNS1_33reduce_by_key_impl_wrapped_configILNS1_25lookback_scan_determinismE0ES3_S9_PKS6_NS0_17constant_iteratorIjlEEPS6_PlSH_S8_NS0_8equal_toIS6_EEEE10hipError_tPvRmT2_T3_mT4_T5_T6_T7_T8_P12ihipStream_tbENKUlT_T0_E_clISt17integral_constantIbLb0EES10_IbLb1EEEEDaSW_SX_EUlSW_E_NS1_11comp_targetILNS1_3genE9ELNS1_11target_archE1100ELNS1_3gpuE3ELNS1_3repE0EEENS1_30default_config_static_selectorELNS0_4arch9wavefront6targetE0EEEvT1_.uses_vcc, 0
	.set _ZN7rocprim17ROCPRIM_400000_NS6detail17trampoline_kernelINS0_14default_configENS1_33run_length_encode_config_selectorIN3c104HalfEjNS0_4plusIjEEEEZZNS1_33reduce_by_key_impl_wrapped_configILNS1_25lookback_scan_determinismE0ES3_S9_PKS6_NS0_17constant_iteratorIjlEEPS6_PlSH_S8_NS0_8equal_toIS6_EEEE10hipError_tPvRmT2_T3_mT4_T5_T6_T7_T8_P12ihipStream_tbENKUlT_T0_E_clISt17integral_constantIbLb0EES10_IbLb1EEEEDaSW_SX_EUlSW_E_NS1_11comp_targetILNS1_3genE9ELNS1_11target_archE1100ELNS1_3gpuE3ELNS1_3repE0EEENS1_30default_config_static_selectorELNS0_4arch9wavefront6targetE0EEEvT1_.uses_flat_scratch, 0
	.set _ZN7rocprim17ROCPRIM_400000_NS6detail17trampoline_kernelINS0_14default_configENS1_33run_length_encode_config_selectorIN3c104HalfEjNS0_4plusIjEEEEZZNS1_33reduce_by_key_impl_wrapped_configILNS1_25lookback_scan_determinismE0ES3_S9_PKS6_NS0_17constant_iteratorIjlEEPS6_PlSH_S8_NS0_8equal_toIS6_EEEE10hipError_tPvRmT2_T3_mT4_T5_T6_T7_T8_P12ihipStream_tbENKUlT_T0_E_clISt17integral_constantIbLb0EES10_IbLb1EEEEDaSW_SX_EUlSW_E_NS1_11comp_targetILNS1_3genE9ELNS1_11target_archE1100ELNS1_3gpuE3ELNS1_3repE0EEENS1_30default_config_static_selectorELNS0_4arch9wavefront6targetE0EEEvT1_.has_dyn_sized_stack, 0
	.set _ZN7rocprim17ROCPRIM_400000_NS6detail17trampoline_kernelINS0_14default_configENS1_33run_length_encode_config_selectorIN3c104HalfEjNS0_4plusIjEEEEZZNS1_33reduce_by_key_impl_wrapped_configILNS1_25lookback_scan_determinismE0ES3_S9_PKS6_NS0_17constant_iteratorIjlEEPS6_PlSH_S8_NS0_8equal_toIS6_EEEE10hipError_tPvRmT2_T3_mT4_T5_T6_T7_T8_P12ihipStream_tbENKUlT_T0_E_clISt17integral_constantIbLb0EES10_IbLb1EEEEDaSW_SX_EUlSW_E_NS1_11comp_targetILNS1_3genE9ELNS1_11target_archE1100ELNS1_3gpuE3ELNS1_3repE0EEENS1_30default_config_static_selectorELNS0_4arch9wavefront6targetE0EEEvT1_.has_recursion, 0
	.set _ZN7rocprim17ROCPRIM_400000_NS6detail17trampoline_kernelINS0_14default_configENS1_33run_length_encode_config_selectorIN3c104HalfEjNS0_4plusIjEEEEZZNS1_33reduce_by_key_impl_wrapped_configILNS1_25lookback_scan_determinismE0ES3_S9_PKS6_NS0_17constant_iteratorIjlEEPS6_PlSH_S8_NS0_8equal_toIS6_EEEE10hipError_tPvRmT2_T3_mT4_T5_T6_T7_T8_P12ihipStream_tbENKUlT_T0_E_clISt17integral_constantIbLb0EES10_IbLb1EEEEDaSW_SX_EUlSW_E_NS1_11comp_targetILNS1_3genE9ELNS1_11target_archE1100ELNS1_3gpuE3ELNS1_3repE0EEENS1_30default_config_static_selectorELNS0_4arch9wavefront6targetE0EEEvT1_.has_indirect_call, 0
	.section	.AMDGPU.csdata,"",@progbits
; Kernel info:
; codeLenInByte = 0
; TotalNumSgprs: 0
; NumVgprs: 0
; ScratchSize: 0
; MemoryBound: 0
; FloatMode: 240
; IeeeMode: 1
; LDSByteSize: 0 bytes/workgroup (compile time only)
; SGPRBlocks: 0
; VGPRBlocks: 0
; NumSGPRsForWavesPerEU: 1
; NumVGPRsForWavesPerEU: 1
; NamedBarCnt: 0
; Occupancy: 16
; WaveLimiterHint : 0
; COMPUTE_PGM_RSRC2:SCRATCH_EN: 0
; COMPUTE_PGM_RSRC2:USER_SGPR: 2
; COMPUTE_PGM_RSRC2:TRAP_HANDLER: 0
; COMPUTE_PGM_RSRC2:TGID_X_EN: 1
; COMPUTE_PGM_RSRC2:TGID_Y_EN: 0
; COMPUTE_PGM_RSRC2:TGID_Z_EN: 0
; COMPUTE_PGM_RSRC2:TIDIG_COMP_CNT: 0
	.section	.text._ZN7rocprim17ROCPRIM_400000_NS6detail17trampoline_kernelINS0_14default_configENS1_33run_length_encode_config_selectorIN3c104HalfEjNS0_4plusIjEEEEZZNS1_33reduce_by_key_impl_wrapped_configILNS1_25lookback_scan_determinismE0ES3_S9_PKS6_NS0_17constant_iteratorIjlEEPS6_PlSH_S8_NS0_8equal_toIS6_EEEE10hipError_tPvRmT2_T3_mT4_T5_T6_T7_T8_P12ihipStream_tbENKUlT_T0_E_clISt17integral_constantIbLb0EES10_IbLb1EEEEDaSW_SX_EUlSW_E_NS1_11comp_targetILNS1_3genE8ELNS1_11target_archE1030ELNS1_3gpuE2ELNS1_3repE0EEENS1_30default_config_static_selectorELNS0_4arch9wavefront6targetE0EEEvT1_,"axG",@progbits,_ZN7rocprim17ROCPRIM_400000_NS6detail17trampoline_kernelINS0_14default_configENS1_33run_length_encode_config_selectorIN3c104HalfEjNS0_4plusIjEEEEZZNS1_33reduce_by_key_impl_wrapped_configILNS1_25lookback_scan_determinismE0ES3_S9_PKS6_NS0_17constant_iteratorIjlEEPS6_PlSH_S8_NS0_8equal_toIS6_EEEE10hipError_tPvRmT2_T3_mT4_T5_T6_T7_T8_P12ihipStream_tbENKUlT_T0_E_clISt17integral_constantIbLb0EES10_IbLb1EEEEDaSW_SX_EUlSW_E_NS1_11comp_targetILNS1_3genE8ELNS1_11target_archE1030ELNS1_3gpuE2ELNS1_3repE0EEENS1_30default_config_static_selectorELNS0_4arch9wavefront6targetE0EEEvT1_,comdat
	.protected	_ZN7rocprim17ROCPRIM_400000_NS6detail17trampoline_kernelINS0_14default_configENS1_33run_length_encode_config_selectorIN3c104HalfEjNS0_4plusIjEEEEZZNS1_33reduce_by_key_impl_wrapped_configILNS1_25lookback_scan_determinismE0ES3_S9_PKS6_NS0_17constant_iteratorIjlEEPS6_PlSH_S8_NS0_8equal_toIS6_EEEE10hipError_tPvRmT2_T3_mT4_T5_T6_T7_T8_P12ihipStream_tbENKUlT_T0_E_clISt17integral_constantIbLb0EES10_IbLb1EEEEDaSW_SX_EUlSW_E_NS1_11comp_targetILNS1_3genE8ELNS1_11target_archE1030ELNS1_3gpuE2ELNS1_3repE0EEENS1_30default_config_static_selectorELNS0_4arch9wavefront6targetE0EEEvT1_ ; -- Begin function _ZN7rocprim17ROCPRIM_400000_NS6detail17trampoline_kernelINS0_14default_configENS1_33run_length_encode_config_selectorIN3c104HalfEjNS0_4plusIjEEEEZZNS1_33reduce_by_key_impl_wrapped_configILNS1_25lookback_scan_determinismE0ES3_S9_PKS6_NS0_17constant_iteratorIjlEEPS6_PlSH_S8_NS0_8equal_toIS6_EEEE10hipError_tPvRmT2_T3_mT4_T5_T6_T7_T8_P12ihipStream_tbENKUlT_T0_E_clISt17integral_constantIbLb0EES10_IbLb1EEEEDaSW_SX_EUlSW_E_NS1_11comp_targetILNS1_3genE8ELNS1_11target_archE1030ELNS1_3gpuE2ELNS1_3repE0EEENS1_30default_config_static_selectorELNS0_4arch9wavefront6targetE0EEEvT1_
	.globl	_ZN7rocprim17ROCPRIM_400000_NS6detail17trampoline_kernelINS0_14default_configENS1_33run_length_encode_config_selectorIN3c104HalfEjNS0_4plusIjEEEEZZNS1_33reduce_by_key_impl_wrapped_configILNS1_25lookback_scan_determinismE0ES3_S9_PKS6_NS0_17constant_iteratorIjlEEPS6_PlSH_S8_NS0_8equal_toIS6_EEEE10hipError_tPvRmT2_T3_mT4_T5_T6_T7_T8_P12ihipStream_tbENKUlT_T0_E_clISt17integral_constantIbLb0EES10_IbLb1EEEEDaSW_SX_EUlSW_E_NS1_11comp_targetILNS1_3genE8ELNS1_11target_archE1030ELNS1_3gpuE2ELNS1_3repE0EEENS1_30default_config_static_selectorELNS0_4arch9wavefront6targetE0EEEvT1_
	.p2align	8
	.type	_ZN7rocprim17ROCPRIM_400000_NS6detail17trampoline_kernelINS0_14default_configENS1_33run_length_encode_config_selectorIN3c104HalfEjNS0_4plusIjEEEEZZNS1_33reduce_by_key_impl_wrapped_configILNS1_25lookback_scan_determinismE0ES3_S9_PKS6_NS0_17constant_iteratorIjlEEPS6_PlSH_S8_NS0_8equal_toIS6_EEEE10hipError_tPvRmT2_T3_mT4_T5_T6_T7_T8_P12ihipStream_tbENKUlT_T0_E_clISt17integral_constantIbLb0EES10_IbLb1EEEEDaSW_SX_EUlSW_E_NS1_11comp_targetILNS1_3genE8ELNS1_11target_archE1030ELNS1_3gpuE2ELNS1_3repE0EEENS1_30default_config_static_selectorELNS0_4arch9wavefront6targetE0EEEvT1_,@function
_ZN7rocprim17ROCPRIM_400000_NS6detail17trampoline_kernelINS0_14default_configENS1_33run_length_encode_config_selectorIN3c104HalfEjNS0_4plusIjEEEEZZNS1_33reduce_by_key_impl_wrapped_configILNS1_25lookback_scan_determinismE0ES3_S9_PKS6_NS0_17constant_iteratorIjlEEPS6_PlSH_S8_NS0_8equal_toIS6_EEEE10hipError_tPvRmT2_T3_mT4_T5_T6_T7_T8_P12ihipStream_tbENKUlT_T0_E_clISt17integral_constantIbLb0EES10_IbLb1EEEEDaSW_SX_EUlSW_E_NS1_11comp_targetILNS1_3genE8ELNS1_11target_archE1030ELNS1_3gpuE2ELNS1_3repE0EEENS1_30default_config_static_selectorELNS0_4arch9wavefront6targetE0EEEvT1_: ; @_ZN7rocprim17ROCPRIM_400000_NS6detail17trampoline_kernelINS0_14default_configENS1_33run_length_encode_config_selectorIN3c104HalfEjNS0_4plusIjEEEEZZNS1_33reduce_by_key_impl_wrapped_configILNS1_25lookback_scan_determinismE0ES3_S9_PKS6_NS0_17constant_iteratorIjlEEPS6_PlSH_S8_NS0_8equal_toIS6_EEEE10hipError_tPvRmT2_T3_mT4_T5_T6_T7_T8_P12ihipStream_tbENKUlT_T0_E_clISt17integral_constantIbLb0EES10_IbLb1EEEEDaSW_SX_EUlSW_E_NS1_11comp_targetILNS1_3genE8ELNS1_11target_archE1030ELNS1_3gpuE2ELNS1_3repE0EEENS1_30default_config_static_selectorELNS0_4arch9wavefront6targetE0EEEvT1_
; %bb.0:
	.section	.rodata,"a",@progbits
	.p2align	6, 0x0
	.amdhsa_kernel _ZN7rocprim17ROCPRIM_400000_NS6detail17trampoline_kernelINS0_14default_configENS1_33run_length_encode_config_selectorIN3c104HalfEjNS0_4plusIjEEEEZZNS1_33reduce_by_key_impl_wrapped_configILNS1_25lookback_scan_determinismE0ES3_S9_PKS6_NS0_17constant_iteratorIjlEEPS6_PlSH_S8_NS0_8equal_toIS6_EEEE10hipError_tPvRmT2_T3_mT4_T5_T6_T7_T8_P12ihipStream_tbENKUlT_T0_E_clISt17integral_constantIbLb0EES10_IbLb1EEEEDaSW_SX_EUlSW_E_NS1_11comp_targetILNS1_3genE8ELNS1_11target_archE1030ELNS1_3gpuE2ELNS1_3repE0EEENS1_30default_config_static_selectorELNS0_4arch9wavefront6targetE0EEEvT1_
		.amdhsa_group_segment_fixed_size 0
		.amdhsa_private_segment_fixed_size 0
		.amdhsa_kernarg_size 128
		.amdhsa_user_sgpr_count 2
		.amdhsa_user_sgpr_dispatch_ptr 0
		.amdhsa_user_sgpr_queue_ptr 0
		.amdhsa_user_sgpr_kernarg_segment_ptr 1
		.amdhsa_user_sgpr_dispatch_id 0
		.amdhsa_user_sgpr_kernarg_preload_length 0
		.amdhsa_user_sgpr_kernarg_preload_offset 0
		.amdhsa_user_sgpr_private_segment_size 0
		.amdhsa_wavefront_size32 1
		.amdhsa_uses_dynamic_stack 0
		.amdhsa_enable_private_segment 0
		.amdhsa_system_sgpr_workgroup_id_x 1
		.amdhsa_system_sgpr_workgroup_id_y 0
		.amdhsa_system_sgpr_workgroup_id_z 0
		.amdhsa_system_sgpr_workgroup_info 0
		.amdhsa_system_vgpr_workitem_id 0
		.amdhsa_next_free_vgpr 1
		.amdhsa_next_free_sgpr 1
		.amdhsa_named_barrier_count 0
		.amdhsa_reserve_vcc 0
		.amdhsa_float_round_mode_32 0
		.amdhsa_float_round_mode_16_64 0
		.amdhsa_float_denorm_mode_32 3
		.amdhsa_float_denorm_mode_16_64 3
		.amdhsa_fp16_overflow 0
		.amdhsa_memory_ordered 1
		.amdhsa_forward_progress 1
		.amdhsa_inst_pref_size 0
		.amdhsa_round_robin_scheduling 0
		.amdhsa_exception_fp_ieee_invalid_op 0
		.amdhsa_exception_fp_denorm_src 0
		.amdhsa_exception_fp_ieee_div_zero 0
		.amdhsa_exception_fp_ieee_overflow 0
		.amdhsa_exception_fp_ieee_underflow 0
		.amdhsa_exception_fp_ieee_inexact 0
		.amdhsa_exception_int_div_zero 0
	.end_amdhsa_kernel
	.section	.text._ZN7rocprim17ROCPRIM_400000_NS6detail17trampoline_kernelINS0_14default_configENS1_33run_length_encode_config_selectorIN3c104HalfEjNS0_4plusIjEEEEZZNS1_33reduce_by_key_impl_wrapped_configILNS1_25lookback_scan_determinismE0ES3_S9_PKS6_NS0_17constant_iteratorIjlEEPS6_PlSH_S8_NS0_8equal_toIS6_EEEE10hipError_tPvRmT2_T3_mT4_T5_T6_T7_T8_P12ihipStream_tbENKUlT_T0_E_clISt17integral_constantIbLb0EES10_IbLb1EEEEDaSW_SX_EUlSW_E_NS1_11comp_targetILNS1_3genE8ELNS1_11target_archE1030ELNS1_3gpuE2ELNS1_3repE0EEENS1_30default_config_static_selectorELNS0_4arch9wavefront6targetE0EEEvT1_,"axG",@progbits,_ZN7rocprim17ROCPRIM_400000_NS6detail17trampoline_kernelINS0_14default_configENS1_33run_length_encode_config_selectorIN3c104HalfEjNS0_4plusIjEEEEZZNS1_33reduce_by_key_impl_wrapped_configILNS1_25lookback_scan_determinismE0ES3_S9_PKS6_NS0_17constant_iteratorIjlEEPS6_PlSH_S8_NS0_8equal_toIS6_EEEE10hipError_tPvRmT2_T3_mT4_T5_T6_T7_T8_P12ihipStream_tbENKUlT_T0_E_clISt17integral_constantIbLb0EES10_IbLb1EEEEDaSW_SX_EUlSW_E_NS1_11comp_targetILNS1_3genE8ELNS1_11target_archE1030ELNS1_3gpuE2ELNS1_3repE0EEENS1_30default_config_static_selectorELNS0_4arch9wavefront6targetE0EEEvT1_,comdat
.Lfunc_end960:
	.size	_ZN7rocprim17ROCPRIM_400000_NS6detail17trampoline_kernelINS0_14default_configENS1_33run_length_encode_config_selectorIN3c104HalfEjNS0_4plusIjEEEEZZNS1_33reduce_by_key_impl_wrapped_configILNS1_25lookback_scan_determinismE0ES3_S9_PKS6_NS0_17constant_iteratorIjlEEPS6_PlSH_S8_NS0_8equal_toIS6_EEEE10hipError_tPvRmT2_T3_mT4_T5_T6_T7_T8_P12ihipStream_tbENKUlT_T0_E_clISt17integral_constantIbLb0EES10_IbLb1EEEEDaSW_SX_EUlSW_E_NS1_11comp_targetILNS1_3genE8ELNS1_11target_archE1030ELNS1_3gpuE2ELNS1_3repE0EEENS1_30default_config_static_selectorELNS0_4arch9wavefront6targetE0EEEvT1_, .Lfunc_end960-_ZN7rocprim17ROCPRIM_400000_NS6detail17trampoline_kernelINS0_14default_configENS1_33run_length_encode_config_selectorIN3c104HalfEjNS0_4plusIjEEEEZZNS1_33reduce_by_key_impl_wrapped_configILNS1_25lookback_scan_determinismE0ES3_S9_PKS6_NS0_17constant_iteratorIjlEEPS6_PlSH_S8_NS0_8equal_toIS6_EEEE10hipError_tPvRmT2_T3_mT4_T5_T6_T7_T8_P12ihipStream_tbENKUlT_T0_E_clISt17integral_constantIbLb0EES10_IbLb1EEEEDaSW_SX_EUlSW_E_NS1_11comp_targetILNS1_3genE8ELNS1_11target_archE1030ELNS1_3gpuE2ELNS1_3repE0EEENS1_30default_config_static_selectorELNS0_4arch9wavefront6targetE0EEEvT1_
                                        ; -- End function
	.set _ZN7rocprim17ROCPRIM_400000_NS6detail17trampoline_kernelINS0_14default_configENS1_33run_length_encode_config_selectorIN3c104HalfEjNS0_4plusIjEEEEZZNS1_33reduce_by_key_impl_wrapped_configILNS1_25lookback_scan_determinismE0ES3_S9_PKS6_NS0_17constant_iteratorIjlEEPS6_PlSH_S8_NS0_8equal_toIS6_EEEE10hipError_tPvRmT2_T3_mT4_T5_T6_T7_T8_P12ihipStream_tbENKUlT_T0_E_clISt17integral_constantIbLb0EES10_IbLb1EEEEDaSW_SX_EUlSW_E_NS1_11comp_targetILNS1_3genE8ELNS1_11target_archE1030ELNS1_3gpuE2ELNS1_3repE0EEENS1_30default_config_static_selectorELNS0_4arch9wavefront6targetE0EEEvT1_.num_vgpr, 0
	.set _ZN7rocprim17ROCPRIM_400000_NS6detail17trampoline_kernelINS0_14default_configENS1_33run_length_encode_config_selectorIN3c104HalfEjNS0_4plusIjEEEEZZNS1_33reduce_by_key_impl_wrapped_configILNS1_25lookback_scan_determinismE0ES3_S9_PKS6_NS0_17constant_iteratorIjlEEPS6_PlSH_S8_NS0_8equal_toIS6_EEEE10hipError_tPvRmT2_T3_mT4_T5_T6_T7_T8_P12ihipStream_tbENKUlT_T0_E_clISt17integral_constantIbLb0EES10_IbLb1EEEEDaSW_SX_EUlSW_E_NS1_11comp_targetILNS1_3genE8ELNS1_11target_archE1030ELNS1_3gpuE2ELNS1_3repE0EEENS1_30default_config_static_selectorELNS0_4arch9wavefront6targetE0EEEvT1_.num_agpr, 0
	.set _ZN7rocprim17ROCPRIM_400000_NS6detail17trampoline_kernelINS0_14default_configENS1_33run_length_encode_config_selectorIN3c104HalfEjNS0_4plusIjEEEEZZNS1_33reduce_by_key_impl_wrapped_configILNS1_25lookback_scan_determinismE0ES3_S9_PKS6_NS0_17constant_iteratorIjlEEPS6_PlSH_S8_NS0_8equal_toIS6_EEEE10hipError_tPvRmT2_T3_mT4_T5_T6_T7_T8_P12ihipStream_tbENKUlT_T0_E_clISt17integral_constantIbLb0EES10_IbLb1EEEEDaSW_SX_EUlSW_E_NS1_11comp_targetILNS1_3genE8ELNS1_11target_archE1030ELNS1_3gpuE2ELNS1_3repE0EEENS1_30default_config_static_selectorELNS0_4arch9wavefront6targetE0EEEvT1_.numbered_sgpr, 0
	.set _ZN7rocprim17ROCPRIM_400000_NS6detail17trampoline_kernelINS0_14default_configENS1_33run_length_encode_config_selectorIN3c104HalfEjNS0_4plusIjEEEEZZNS1_33reduce_by_key_impl_wrapped_configILNS1_25lookback_scan_determinismE0ES3_S9_PKS6_NS0_17constant_iteratorIjlEEPS6_PlSH_S8_NS0_8equal_toIS6_EEEE10hipError_tPvRmT2_T3_mT4_T5_T6_T7_T8_P12ihipStream_tbENKUlT_T0_E_clISt17integral_constantIbLb0EES10_IbLb1EEEEDaSW_SX_EUlSW_E_NS1_11comp_targetILNS1_3genE8ELNS1_11target_archE1030ELNS1_3gpuE2ELNS1_3repE0EEENS1_30default_config_static_selectorELNS0_4arch9wavefront6targetE0EEEvT1_.num_named_barrier, 0
	.set _ZN7rocprim17ROCPRIM_400000_NS6detail17trampoline_kernelINS0_14default_configENS1_33run_length_encode_config_selectorIN3c104HalfEjNS0_4plusIjEEEEZZNS1_33reduce_by_key_impl_wrapped_configILNS1_25lookback_scan_determinismE0ES3_S9_PKS6_NS0_17constant_iteratorIjlEEPS6_PlSH_S8_NS0_8equal_toIS6_EEEE10hipError_tPvRmT2_T3_mT4_T5_T6_T7_T8_P12ihipStream_tbENKUlT_T0_E_clISt17integral_constantIbLb0EES10_IbLb1EEEEDaSW_SX_EUlSW_E_NS1_11comp_targetILNS1_3genE8ELNS1_11target_archE1030ELNS1_3gpuE2ELNS1_3repE0EEENS1_30default_config_static_selectorELNS0_4arch9wavefront6targetE0EEEvT1_.private_seg_size, 0
	.set _ZN7rocprim17ROCPRIM_400000_NS6detail17trampoline_kernelINS0_14default_configENS1_33run_length_encode_config_selectorIN3c104HalfEjNS0_4plusIjEEEEZZNS1_33reduce_by_key_impl_wrapped_configILNS1_25lookback_scan_determinismE0ES3_S9_PKS6_NS0_17constant_iteratorIjlEEPS6_PlSH_S8_NS0_8equal_toIS6_EEEE10hipError_tPvRmT2_T3_mT4_T5_T6_T7_T8_P12ihipStream_tbENKUlT_T0_E_clISt17integral_constantIbLb0EES10_IbLb1EEEEDaSW_SX_EUlSW_E_NS1_11comp_targetILNS1_3genE8ELNS1_11target_archE1030ELNS1_3gpuE2ELNS1_3repE0EEENS1_30default_config_static_selectorELNS0_4arch9wavefront6targetE0EEEvT1_.uses_vcc, 0
	.set _ZN7rocprim17ROCPRIM_400000_NS6detail17trampoline_kernelINS0_14default_configENS1_33run_length_encode_config_selectorIN3c104HalfEjNS0_4plusIjEEEEZZNS1_33reduce_by_key_impl_wrapped_configILNS1_25lookback_scan_determinismE0ES3_S9_PKS6_NS0_17constant_iteratorIjlEEPS6_PlSH_S8_NS0_8equal_toIS6_EEEE10hipError_tPvRmT2_T3_mT4_T5_T6_T7_T8_P12ihipStream_tbENKUlT_T0_E_clISt17integral_constantIbLb0EES10_IbLb1EEEEDaSW_SX_EUlSW_E_NS1_11comp_targetILNS1_3genE8ELNS1_11target_archE1030ELNS1_3gpuE2ELNS1_3repE0EEENS1_30default_config_static_selectorELNS0_4arch9wavefront6targetE0EEEvT1_.uses_flat_scratch, 0
	.set _ZN7rocprim17ROCPRIM_400000_NS6detail17trampoline_kernelINS0_14default_configENS1_33run_length_encode_config_selectorIN3c104HalfEjNS0_4plusIjEEEEZZNS1_33reduce_by_key_impl_wrapped_configILNS1_25lookback_scan_determinismE0ES3_S9_PKS6_NS0_17constant_iteratorIjlEEPS6_PlSH_S8_NS0_8equal_toIS6_EEEE10hipError_tPvRmT2_T3_mT4_T5_T6_T7_T8_P12ihipStream_tbENKUlT_T0_E_clISt17integral_constantIbLb0EES10_IbLb1EEEEDaSW_SX_EUlSW_E_NS1_11comp_targetILNS1_3genE8ELNS1_11target_archE1030ELNS1_3gpuE2ELNS1_3repE0EEENS1_30default_config_static_selectorELNS0_4arch9wavefront6targetE0EEEvT1_.has_dyn_sized_stack, 0
	.set _ZN7rocprim17ROCPRIM_400000_NS6detail17trampoline_kernelINS0_14default_configENS1_33run_length_encode_config_selectorIN3c104HalfEjNS0_4plusIjEEEEZZNS1_33reduce_by_key_impl_wrapped_configILNS1_25lookback_scan_determinismE0ES3_S9_PKS6_NS0_17constant_iteratorIjlEEPS6_PlSH_S8_NS0_8equal_toIS6_EEEE10hipError_tPvRmT2_T3_mT4_T5_T6_T7_T8_P12ihipStream_tbENKUlT_T0_E_clISt17integral_constantIbLb0EES10_IbLb1EEEEDaSW_SX_EUlSW_E_NS1_11comp_targetILNS1_3genE8ELNS1_11target_archE1030ELNS1_3gpuE2ELNS1_3repE0EEENS1_30default_config_static_selectorELNS0_4arch9wavefront6targetE0EEEvT1_.has_recursion, 0
	.set _ZN7rocprim17ROCPRIM_400000_NS6detail17trampoline_kernelINS0_14default_configENS1_33run_length_encode_config_selectorIN3c104HalfEjNS0_4plusIjEEEEZZNS1_33reduce_by_key_impl_wrapped_configILNS1_25lookback_scan_determinismE0ES3_S9_PKS6_NS0_17constant_iteratorIjlEEPS6_PlSH_S8_NS0_8equal_toIS6_EEEE10hipError_tPvRmT2_T3_mT4_T5_T6_T7_T8_P12ihipStream_tbENKUlT_T0_E_clISt17integral_constantIbLb0EES10_IbLb1EEEEDaSW_SX_EUlSW_E_NS1_11comp_targetILNS1_3genE8ELNS1_11target_archE1030ELNS1_3gpuE2ELNS1_3repE0EEENS1_30default_config_static_selectorELNS0_4arch9wavefront6targetE0EEEvT1_.has_indirect_call, 0
	.section	.AMDGPU.csdata,"",@progbits
; Kernel info:
; codeLenInByte = 0
; TotalNumSgprs: 0
; NumVgprs: 0
; ScratchSize: 0
; MemoryBound: 0
; FloatMode: 240
; IeeeMode: 1
; LDSByteSize: 0 bytes/workgroup (compile time only)
; SGPRBlocks: 0
; VGPRBlocks: 0
; NumSGPRsForWavesPerEU: 1
; NumVGPRsForWavesPerEU: 1
; NamedBarCnt: 0
; Occupancy: 16
; WaveLimiterHint : 0
; COMPUTE_PGM_RSRC2:SCRATCH_EN: 0
; COMPUTE_PGM_RSRC2:USER_SGPR: 2
; COMPUTE_PGM_RSRC2:TRAP_HANDLER: 0
; COMPUTE_PGM_RSRC2:TGID_X_EN: 1
; COMPUTE_PGM_RSRC2:TGID_Y_EN: 0
; COMPUTE_PGM_RSRC2:TGID_Z_EN: 0
; COMPUTE_PGM_RSRC2:TIDIG_COMP_CNT: 0
	.text
	.p2alignl 7, 3214868480
	.fill 96, 4, 3214868480
	.section	.AMDGPU.gpr_maximums,"",@progbits
	.set amdgpu.max_num_vgpr, 0
	.set amdgpu.max_num_agpr, 0
	.set amdgpu.max_num_sgpr, 0
	.text
	.type	__hip_cuid_d1bbf4c35ce5769d,@object ; @__hip_cuid_d1bbf4c35ce5769d
	.section	.bss,"aw",@nobits
	.globl	__hip_cuid_d1bbf4c35ce5769d
__hip_cuid_d1bbf4c35ce5769d:
	.byte	0                               ; 0x0
	.size	__hip_cuid_d1bbf4c35ce5769d, 1

	.ident	"AMD clang version 22.0.0git (https://github.com/RadeonOpenCompute/llvm-project roc-7.2.4 26084 f58b06dce1f9c15707c5f808fd002e18c2accf7e)"
	.section	".note.GNU-stack","",@progbits
	.addrsig
	.addrsig_sym __hip_cuid_d1bbf4c35ce5769d
	.amdgpu_metadata
---
amdhsa.kernels:
  - .args:
      - .offset:         0
        .size:           8
        .value_kind:     by_value
      - .address_space:  global
        .offset:         8
        .size:           8
        .value_kind:     global_buffer
      - .address_space:  global
        .offset:         16
        .size:           8
        .value_kind:     global_buffer
      - .address_space:  global
        .offset:         24
        .size:           8
        .value_kind:     global_buffer
      - .offset:         32
        .size:           4
        .value_kind:     hidden_block_count_x
      - .offset:         36
        .size:           4
        .value_kind:     hidden_block_count_y
      - .offset:         40
        .size:           4
        .value_kind:     hidden_block_count_z
      - .offset:         44
        .size:           2
        .value_kind:     hidden_group_size_x
      - .offset:         46
        .size:           2
        .value_kind:     hidden_group_size_y
      - .offset:         48
        .size:           2
        .value_kind:     hidden_group_size_z
      - .offset:         50
        .size:           2
        .value_kind:     hidden_remainder_x
      - .offset:         52
        .size:           2
        .value_kind:     hidden_remainder_y
      - .offset:         54
        .size:           2
        .value_kind:     hidden_remainder_z
      - .offset:         72
        .size:           8
        .value_kind:     hidden_global_offset_x
      - .offset:         80
        .size:           8
        .value_kind:     hidden_global_offset_y
      - .offset:         88
        .size:           8
        .value_kind:     hidden_global_offset_z
      - .offset:         96
        .size:           2
        .value_kind:     hidden_grid_dims
    .group_segment_fixed_size: 0
    .kernarg_segment_align: 8
    .kernarg_segment_size: 288
    .language:       OpenCL C
    .language_version:
      - 2
      - 0
    .max_flat_workgroup_size: 1024
    .name:           _ZN2at6native8internal12_GLOBAL__N_114scatter_kernelElPKlS4_Pl
    .private_segment_fixed_size: 0
    .sgpr_count:     16
    .sgpr_spill_count: 0
    .symbol:         _ZN2at6native8internal12_GLOBAL__N_114scatter_kernelElPKlS4_Pl.kd
    .uniform_work_group_size: 1
    .uses_dynamic_stack: false
    .vgpr_count:     12
    .vgpr_spill_count: 0
    .wavefront_size: 32
  - .args:
      - .offset:         0
        .size:           4
        .value_kind:     by_value
      - .address_space:  global
        .offset:         8
        .size:           8
        .value_kind:     global_buffer
      - .address_space:  global
        .offset:         16
        .size:           8
        .value_kind:     global_buffer
      - .address_space:  global
        .offset:         24
        .size:           8
        .value_kind:     global_buffer
      - .offset:         32
        .size:           4
        .value_kind:     hidden_block_count_x
      - .offset:         36
        .size:           4
        .value_kind:     hidden_block_count_y
      - .offset:         40
        .size:           4
        .value_kind:     hidden_block_count_z
      - .offset:         44
        .size:           2
        .value_kind:     hidden_group_size_x
      - .offset:         46
        .size:           2
        .value_kind:     hidden_group_size_y
      - .offset:         48
        .size:           2
        .value_kind:     hidden_group_size_z
      - .offset:         50
        .size:           2
        .value_kind:     hidden_remainder_x
      - .offset:         52
        .size:           2
        .value_kind:     hidden_remainder_y
      - .offset:         54
        .size:           2
        .value_kind:     hidden_remainder_z
      - .offset:         72
        .size:           8
        .value_kind:     hidden_global_offset_x
      - .offset:         80
        .size:           8
        .value_kind:     hidden_global_offset_y
      - .offset:         88
        .size:           8
        .value_kind:     hidden_global_offset_z
      - .offset:         96
        .size:           2
        .value_kind:     hidden_grid_dims
    .group_segment_fixed_size: 0
    .kernarg_segment_align: 8
    .kernarg_segment_size: 288
    .language:       OpenCL C
    .language_version:
      - 2
      - 0
    .max_flat_workgroup_size: 1024
    .name:           _ZN2at6native8internal33unique_bool_write_inverse_indicesEiPKiPKbPl
    .private_segment_fixed_size: 0
    .sgpr_count:     18
    .sgpr_spill_count: 0
    .symbol:         _ZN2at6native8internal33unique_bool_write_inverse_indicesEiPKiPKbPl.kd
    .uniform_work_group_size: 1
    .uses_dynamic_stack: false
    .vgpr_count:     8
    .vgpr_spill_count: 0
    .wavefront_size: 32
  - .args:
      - .offset:         0
        .size:           4
        .value_kind:     by_value
      - .address_space:  global
        .offset:         8
        .size:           8
        .value_kind:     global_buffer
      - .address_space:  global
        .offset:         16
        .size:           8
        .value_kind:     global_buffer
      - .address_space:  global
        .offset:         24
        .size:           8
        .value_kind:     global_buffer
    .group_segment_fixed_size: 0
    .kernarg_segment_align: 8
    .kernarg_segment_size: 32
    .language:       OpenCL C
    .language_version:
      - 2
      - 0
    .max_flat_workgroup_size: 1
    .name:           _ZN2at6native8internal24unique_bool_write_outputEiPKiPbPl
    .private_segment_fixed_size: 0
    .sgpr_count:     10
    .sgpr_spill_count: 0
    .symbol:         _ZN2at6native8internal24unique_bool_write_outputEiPKiPbPl.kd
    .uniform_work_group_size: 1
    .uses_dynamic_stack: false
    .vgpr_count:     6
    .vgpr_spill_count: 0
    .wavefront_size: 32
  - .args:
      - .offset:         0
        .size:           8
        .value_kind:     by_value
      - .offset:         8
        .size:           16
        .value_kind:     by_value
      - .address_space:  global
        .offset:         24
        .size:           8
        .value_kind:     global_buffer
      - .offset:         32
        .size:           4
        .value_kind:     hidden_block_count_x
      - .offset:         36
        .size:           4
        .value_kind:     hidden_block_count_y
      - .offset:         40
        .size:           4
        .value_kind:     hidden_block_count_z
      - .offset:         44
        .size:           2
        .value_kind:     hidden_group_size_x
      - .offset:         46
        .size:           2
        .value_kind:     hidden_group_size_y
      - .offset:         48
        .size:           2
        .value_kind:     hidden_group_size_z
      - .offset:         50
        .size:           2
        .value_kind:     hidden_remainder_x
      - .offset:         52
        .size:           2
        .value_kind:     hidden_remainder_y
      - .offset:         54
        .size:           2
        .value_kind:     hidden_remainder_z
      - .offset:         72
        .size:           8
        .value_kind:     hidden_global_offset_x
      - .offset:         80
        .size:           8
        .value_kind:     hidden_global_offset_y
      - .offset:         88
        .size:           8
        .value_kind:     hidden_global_offset_z
      - .offset:         96
        .size:           2
        .value_kind:     hidden_grid_dims
    .group_segment_fixed_size: 0
    .kernarg_segment_align: 8
    .kernarg_segment_size: 288
    .language:       OpenCL C
    .language_version:
      - 2
      - 0
    .max_flat_workgroup_size: 1024
    .name:           _ZN2at6native8internal12_GLOBAL__N_126adjacent_difference_kernelIN6hipcub16HIPCUB_304000_NS22TransformInputIteratorIbNS2_10LoadBoolOpEPKhlEEEEvlT_Pi
    .private_segment_fixed_size: 0
    .sgpr_count:     20
    .sgpr_spill_count: 0
    .symbol:         _ZN2at6native8internal12_GLOBAL__N_126adjacent_difference_kernelIN6hipcub16HIPCUB_304000_NS22TransformInputIteratorIbNS2_10LoadBoolOpEPKhlEEEEvlT_Pi.kd
    .uniform_work_group_size: 1
    .uses_dynamic_stack: false
    .vgpr_count:     10
    .vgpr_spill_count: 0
    .wavefront_size: 32
  - .args:
      - .address_space:  global
        .offset:         0
        .size:           8
        .value_kind:     global_buffer
      - .offset:         8
        .size:           4
        .value_kind:     by_value
      - .offset:         12
        .size:           1
        .value_kind:     by_value
      - .offset:         16
        .size:           4
        .value_kind:     by_value
      - .address_space:  global
        .offset:         24
        .size:           8
        .value_kind:     global_buffer
      - .offset:         32
        .size:           4
        .value_kind:     hidden_block_count_x
      - .offset:         36
        .size:           4
        .value_kind:     hidden_block_count_y
      - .offset:         40
        .size:           4
        .value_kind:     hidden_block_count_z
      - .offset:         44
        .size:           2
        .value_kind:     hidden_group_size_x
      - .offset:         46
        .size:           2
        .value_kind:     hidden_group_size_y
      - .offset:         48
        .size:           2
        .value_kind:     hidden_group_size_z
      - .offset:         50
        .size:           2
        .value_kind:     hidden_remainder_x
      - .offset:         52
        .size:           2
        .value_kind:     hidden_remainder_y
      - .offset:         54
        .size:           2
        .value_kind:     hidden_remainder_z
      - .offset:         72
        .size:           8
        .value_kind:     hidden_global_offset_x
      - .offset:         80
        .size:           8
        .value_kind:     hidden_global_offset_y
      - .offset:         88
        .size:           8
        .value_kind:     hidden_global_offset_z
      - .offset:         96
        .size:           2
        .value_kind:     hidden_grid_dims
    .group_segment_fixed_size: 0
    .kernarg_segment_align: 8
    .kernarg_segment_size: 288
    .language:       OpenCL C
    .language_version:
      - 2
      - 0
    .max_flat_workgroup_size: 256
    .name:           _ZN7rocprim17ROCPRIM_400000_NS6detail31init_lookback_scan_state_kernelINS1_19lookback_scan_stateIjLb0ELb1EEENS1_16block_id_wrapperIjLb0EEEEEvT_jT0_jPNS7_10value_typeE
    .private_segment_fixed_size: 0
    .sgpr_count:     13
    .sgpr_spill_count: 0
    .symbol:         _ZN7rocprim17ROCPRIM_400000_NS6detail31init_lookback_scan_state_kernelINS1_19lookback_scan_stateIjLb0ELb1EEENS1_16block_id_wrapperIjLb0EEEEEvT_jT0_jPNS7_10value_typeE.kd
    .uniform_work_group_size: 1
    .uses_dynamic_stack: false
    .vgpr_count:     5
    .vgpr_spill_count: 0
    .wavefront_size: 32
  - .args:
      - .offset:         0
        .size:           120
        .value_kind:     by_value
    .group_segment_fixed_size: 7176
    .kernarg_segment_align: 8
    .kernarg_segment_size: 120
    .language:       OpenCL C
    .language_version:
      - 2
      - 0
    .max_flat_workgroup_size: 256
    .name:           _ZN7rocprim17ROCPRIM_400000_NS6detail17trampoline_kernelINS0_14default_configENS1_25partition_config_selectorILNS1_17partition_subalgoE8EbNS0_10empty_typeEbEEZZNS1_14partition_implILS5_8ELb0ES3_jN6hipcub16HIPCUB_304000_NS22TransformInputIteratorIbN2at6native8internal12_GLOBAL__N_110LoadBoolOpEPKhlEEPS6_PKS6_NS0_5tupleIJPbS6_EEENSN_IJSK_SK_EEENS0_18inequality_wrapperINSA_8EqualityEEEPlJS6_EEE10hipError_tPvRmT3_T4_T5_T6_T7_T9_mT8_P12ihipStream_tbDpT10_ENKUlT_T0_E_clISt17integral_constantIbLb0EES1E_EEDaS19_S1A_EUlS19_E_NS1_11comp_targetILNS1_3genE0ELNS1_11target_archE4294967295ELNS1_3gpuE0ELNS1_3repE0EEENS1_30default_config_static_selectorELNS0_4arch9wavefront6targetE0EEEvT1_
    .private_segment_fixed_size: 0
    .sgpr_count:     49
    .sgpr_spill_count: 0
    .symbol:         _ZN7rocprim17ROCPRIM_400000_NS6detail17trampoline_kernelINS0_14default_configENS1_25partition_config_selectorILNS1_17partition_subalgoE8EbNS0_10empty_typeEbEEZZNS1_14partition_implILS5_8ELb0ES3_jN6hipcub16HIPCUB_304000_NS22TransformInputIteratorIbN2at6native8internal12_GLOBAL__N_110LoadBoolOpEPKhlEEPS6_PKS6_NS0_5tupleIJPbS6_EEENSN_IJSK_SK_EEENS0_18inequality_wrapperINSA_8EqualityEEEPlJS6_EEE10hipError_tPvRmT3_T4_T5_T6_T7_T9_mT8_P12ihipStream_tbDpT10_ENKUlT_T0_E_clISt17integral_constantIbLb0EES1E_EEDaS19_S1A_EUlS19_E_NS1_11comp_targetILNS1_3genE0ELNS1_11target_archE4294967295ELNS1_3gpuE0ELNS1_3repE0EEENS1_30default_config_static_selectorELNS0_4arch9wavefront6targetE0EEEvT1_.kd
    .uniform_work_group_size: 1
    .uses_dynamic_stack: false
    .vgpr_count:     109
    .vgpr_spill_count: 0
    .wavefront_size: 32
  - .args:
      - .offset:         0
        .size:           120
        .value_kind:     by_value
    .group_segment_fixed_size: 0
    .kernarg_segment_align: 8
    .kernarg_segment_size: 120
    .language:       OpenCL C
    .language_version:
      - 2
      - 0
    .max_flat_workgroup_size: 512
    .name:           _ZN7rocprim17ROCPRIM_400000_NS6detail17trampoline_kernelINS0_14default_configENS1_25partition_config_selectorILNS1_17partition_subalgoE8EbNS0_10empty_typeEbEEZZNS1_14partition_implILS5_8ELb0ES3_jN6hipcub16HIPCUB_304000_NS22TransformInputIteratorIbN2at6native8internal12_GLOBAL__N_110LoadBoolOpEPKhlEEPS6_PKS6_NS0_5tupleIJPbS6_EEENSN_IJSK_SK_EEENS0_18inequality_wrapperINSA_8EqualityEEEPlJS6_EEE10hipError_tPvRmT3_T4_T5_T6_T7_T9_mT8_P12ihipStream_tbDpT10_ENKUlT_T0_E_clISt17integral_constantIbLb0EES1E_EEDaS19_S1A_EUlS19_E_NS1_11comp_targetILNS1_3genE5ELNS1_11target_archE942ELNS1_3gpuE9ELNS1_3repE0EEENS1_30default_config_static_selectorELNS0_4arch9wavefront6targetE0EEEvT1_
    .private_segment_fixed_size: 0
    .sgpr_count:     0
    .sgpr_spill_count: 0
    .symbol:         _ZN7rocprim17ROCPRIM_400000_NS6detail17trampoline_kernelINS0_14default_configENS1_25partition_config_selectorILNS1_17partition_subalgoE8EbNS0_10empty_typeEbEEZZNS1_14partition_implILS5_8ELb0ES3_jN6hipcub16HIPCUB_304000_NS22TransformInputIteratorIbN2at6native8internal12_GLOBAL__N_110LoadBoolOpEPKhlEEPS6_PKS6_NS0_5tupleIJPbS6_EEENSN_IJSK_SK_EEENS0_18inequality_wrapperINSA_8EqualityEEEPlJS6_EEE10hipError_tPvRmT3_T4_T5_T6_T7_T9_mT8_P12ihipStream_tbDpT10_ENKUlT_T0_E_clISt17integral_constantIbLb0EES1E_EEDaS19_S1A_EUlS19_E_NS1_11comp_targetILNS1_3genE5ELNS1_11target_archE942ELNS1_3gpuE9ELNS1_3repE0EEENS1_30default_config_static_selectorELNS0_4arch9wavefront6targetE0EEEvT1_.kd
    .uniform_work_group_size: 1
    .uses_dynamic_stack: false
    .vgpr_count:     0
    .vgpr_spill_count: 0
    .wavefront_size: 32
  - .args:
      - .offset:         0
        .size:           120
        .value_kind:     by_value
    .group_segment_fixed_size: 0
    .kernarg_segment_align: 8
    .kernarg_segment_size: 120
    .language:       OpenCL C
    .language_version:
      - 2
      - 0
    .max_flat_workgroup_size: 128
    .name:           _ZN7rocprim17ROCPRIM_400000_NS6detail17trampoline_kernelINS0_14default_configENS1_25partition_config_selectorILNS1_17partition_subalgoE8EbNS0_10empty_typeEbEEZZNS1_14partition_implILS5_8ELb0ES3_jN6hipcub16HIPCUB_304000_NS22TransformInputIteratorIbN2at6native8internal12_GLOBAL__N_110LoadBoolOpEPKhlEEPS6_PKS6_NS0_5tupleIJPbS6_EEENSN_IJSK_SK_EEENS0_18inequality_wrapperINSA_8EqualityEEEPlJS6_EEE10hipError_tPvRmT3_T4_T5_T6_T7_T9_mT8_P12ihipStream_tbDpT10_ENKUlT_T0_E_clISt17integral_constantIbLb0EES1E_EEDaS19_S1A_EUlS19_E_NS1_11comp_targetILNS1_3genE4ELNS1_11target_archE910ELNS1_3gpuE8ELNS1_3repE0EEENS1_30default_config_static_selectorELNS0_4arch9wavefront6targetE0EEEvT1_
    .private_segment_fixed_size: 0
    .sgpr_count:     0
    .sgpr_spill_count: 0
    .symbol:         _ZN7rocprim17ROCPRIM_400000_NS6detail17trampoline_kernelINS0_14default_configENS1_25partition_config_selectorILNS1_17partition_subalgoE8EbNS0_10empty_typeEbEEZZNS1_14partition_implILS5_8ELb0ES3_jN6hipcub16HIPCUB_304000_NS22TransformInputIteratorIbN2at6native8internal12_GLOBAL__N_110LoadBoolOpEPKhlEEPS6_PKS6_NS0_5tupleIJPbS6_EEENSN_IJSK_SK_EEENS0_18inequality_wrapperINSA_8EqualityEEEPlJS6_EEE10hipError_tPvRmT3_T4_T5_T6_T7_T9_mT8_P12ihipStream_tbDpT10_ENKUlT_T0_E_clISt17integral_constantIbLb0EES1E_EEDaS19_S1A_EUlS19_E_NS1_11comp_targetILNS1_3genE4ELNS1_11target_archE910ELNS1_3gpuE8ELNS1_3repE0EEENS1_30default_config_static_selectorELNS0_4arch9wavefront6targetE0EEEvT1_.kd
    .uniform_work_group_size: 1
    .uses_dynamic_stack: false
    .vgpr_count:     0
    .vgpr_spill_count: 0
    .wavefront_size: 32
  - .args:
      - .offset:         0
        .size:           120
        .value_kind:     by_value
    .group_segment_fixed_size: 0
    .kernarg_segment_align: 8
    .kernarg_segment_size: 120
    .language:       OpenCL C
    .language_version:
      - 2
      - 0
    .max_flat_workgroup_size: 256
    .name:           _ZN7rocprim17ROCPRIM_400000_NS6detail17trampoline_kernelINS0_14default_configENS1_25partition_config_selectorILNS1_17partition_subalgoE8EbNS0_10empty_typeEbEEZZNS1_14partition_implILS5_8ELb0ES3_jN6hipcub16HIPCUB_304000_NS22TransformInputIteratorIbN2at6native8internal12_GLOBAL__N_110LoadBoolOpEPKhlEEPS6_PKS6_NS0_5tupleIJPbS6_EEENSN_IJSK_SK_EEENS0_18inequality_wrapperINSA_8EqualityEEEPlJS6_EEE10hipError_tPvRmT3_T4_T5_T6_T7_T9_mT8_P12ihipStream_tbDpT10_ENKUlT_T0_E_clISt17integral_constantIbLb0EES1E_EEDaS19_S1A_EUlS19_E_NS1_11comp_targetILNS1_3genE3ELNS1_11target_archE908ELNS1_3gpuE7ELNS1_3repE0EEENS1_30default_config_static_selectorELNS0_4arch9wavefront6targetE0EEEvT1_
    .private_segment_fixed_size: 0
    .sgpr_count:     0
    .sgpr_spill_count: 0
    .symbol:         _ZN7rocprim17ROCPRIM_400000_NS6detail17trampoline_kernelINS0_14default_configENS1_25partition_config_selectorILNS1_17partition_subalgoE8EbNS0_10empty_typeEbEEZZNS1_14partition_implILS5_8ELb0ES3_jN6hipcub16HIPCUB_304000_NS22TransformInputIteratorIbN2at6native8internal12_GLOBAL__N_110LoadBoolOpEPKhlEEPS6_PKS6_NS0_5tupleIJPbS6_EEENSN_IJSK_SK_EEENS0_18inequality_wrapperINSA_8EqualityEEEPlJS6_EEE10hipError_tPvRmT3_T4_T5_T6_T7_T9_mT8_P12ihipStream_tbDpT10_ENKUlT_T0_E_clISt17integral_constantIbLb0EES1E_EEDaS19_S1A_EUlS19_E_NS1_11comp_targetILNS1_3genE3ELNS1_11target_archE908ELNS1_3gpuE7ELNS1_3repE0EEENS1_30default_config_static_selectorELNS0_4arch9wavefront6targetE0EEEvT1_.kd
    .uniform_work_group_size: 1
    .uses_dynamic_stack: false
    .vgpr_count:     0
    .vgpr_spill_count: 0
    .wavefront_size: 32
  - .args:
      - .offset:         0
        .size:           120
        .value_kind:     by_value
    .group_segment_fixed_size: 0
    .kernarg_segment_align: 8
    .kernarg_segment_size: 120
    .language:       OpenCL C
    .language_version:
      - 2
      - 0
    .max_flat_workgroup_size: 192
    .name:           _ZN7rocprim17ROCPRIM_400000_NS6detail17trampoline_kernelINS0_14default_configENS1_25partition_config_selectorILNS1_17partition_subalgoE8EbNS0_10empty_typeEbEEZZNS1_14partition_implILS5_8ELb0ES3_jN6hipcub16HIPCUB_304000_NS22TransformInputIteratorIbN2at6native8internal12_GLOBAL__N_110LoadBoolOpEPKhlEEPS6_PKS6_NS0_5tupleIJPbS6_EEENSN_IJSK_SK_EEENS0_18inequality_wrapperINSA_8EqualityEEEPlJS6_EEE10hipError_tPvRmT3_T4_T5_T6_T7_T9_mT8_P12ihipStream_tbDpT10_ENKUlT_T0_E_clISt17integral_constantIbLb0EES1E_EEDaS19_S1A_EUlS19_E_NS1_11comp_targetILNS1_3genE2ELNS1_11target_archE906ELNS1_3gpuE6ELNS1_3repE0EEENS1_30default_config_static_selectorELNS0_4arch9wavefront6targetE0EEEvT1_
    .private_segment_fixed_size: 0
    .sgpr_count:     0
    .sgpr_spill_count: 0
    .symbol:         _ZN7rocprim17ROCPRIM_400000_NS6detail17trampoline_kernelINS0_14default_configENS1_25partition_config_selectorILNS1_17partition_subalgoE8EbNS0_10empty_typeEbEEZZNS1_14partition_implILS5_8ELb0ES3_jN6hipcub16HIPCUB_304000_NS22TransformInputIteratorIbN2at6native8internal12_GLOBAL__N_110LoadBoolOpEPKhlEEPS6_PKS6_NS0_5tupleIJPbS6_EEENSN_IJSK_SK_EEENS0_18inequality_wrapperINSA_8EqualityEEEPlJS6_EEE10hipError_tPvRmT3_T4_T5_T6_T7_T9_mT8_P12ihipStream_tbDpT10_ENKUlT_T0_E_clISt17integral_constantIbLb0EES1E_EEDaS19_S1A_EUlS19_E_NS1_11comp_targetILNS1_3genE2ELNS1_11target_archE906ELNS1_3gpuE6ELNS1_3repE0EEENS1_30default_config_static_selectorELNS0_4arch9wavefront6targetE0EEEvT1_.kd
    .uniform_work_group_size: 1
    .uses_dynamic_stack: false
    .vgpr_count:     0
    .vgpr_spill_count: 0
    .wavefront_size: 32
  - .args:
      - .offset:         0
        .size:           120
        .value_kind:     by_value
    .group_segment_fixed_size: 0
    .kernarg_segment_align: 8
    .kernarg_segment_size: 120
    .language:       OpenCL C
    .language_version:
      - 2
      - 0
    .max_flat_workgroup_size: 256
    .name:           _ZN7rocprim17ROCPRIM_400000_NS6detail17trampoline_kernelINS0_14default_configENS1_25partition_config_selectorILNS1_17partition_subalgoE8EbNS0_10empty_typeEbEEZZNS1_14partition_implILS5_8ELb0ES3_jN6hipcub16HIPCUB_304000_NS22TransformInputIteratorIbN2at6native8internal12_GLOBAL__N_110LoadBoolOpEPKhlEEPS6_PKS6_NS0_5tupleIJPbS6_EEENSN_IJSK_SK_EEENS0_18inequality_wrapperINSA_8EqualityEEEPlJS6_EEE10hipError_tPvRmT3_T4_T5_T6_T7_T9_mT8_P12ihipStream_tbDpT10_ENKUlT_T0_E_clISt17integral_constantIbLb0EES1E_EEDaS19_S1A_EUlS19_E_NS1_11comp_targetILNS1_3genE10ELNS1_11target_archE1200ELNS1_3gpuE4ELNS1_3repE0EEENS1_30default_config_static_selectorELNS0_4arch9wavefront6targetE0EEEvT1_
    .private_segment_fixed_size: 0
    .sgpr_count:     0
    .sgpr_spill_count: 0
    .symbol:         _ZN7rocprim17ROCPRIM_400000_NS6detail17trampoline_kernelINS0_14default_configENS1_25partition_config_selectorILNS1_17partition_subalgoE8EbNS0_10empty_typeEbEEZZNS1_14partition_implILS5_8ELb0ES3_jN6hipcub16HIPCUB_304000_NS22TransformInputIteratorIbN2at6native8internal12_GLOBAL__N_110LoadBoolOpEPKhlEEPS6_PKS6_NS0_5tupleIJPbS6_EEENSN_IJSK_SK_EEENS0_18inequality_wrapperINSA_8EqualityEEEPlJS6_EEE10hipError_tPvRmT3_T4_T5_T6_T7_T9_mT8_P12ihipStream_tbDpT10_ENKUlT_T0_E_clISt17integral_constantIbLb0EES1E_EEDaS19_S1A_EUlS19_E_NS1_11comp_targetILNS1_3genE10ELNS1_11target_archE1200ELNS1_3gpuE4ELNS1_3repE0EEENS1_30default_config_static_selectorELNS0_4arch9wavefront6targetE0EEEvT1_.kd
    .uniform_work_group_size: 1
    .uses_dynamic_stack: false
    .vgpr_count:     0
    .vgpr_spill_count: 0
    .wavefront_size: 32
  - .args:
      - .offset:         0
        .size:           120
        .value_kind:     by_value
    .group_segment_fixed_size: 0
    .kernarg_segment_align: 8
    .kernarg_segment_size: 120
    .language:       OpenCL C
    .language_version:
      - 2
      - 0
    .max_flat_workgroup_size: 384
    .name:           _ZN7rocprim17ROCPRIM_400000_NS6detail17trampoline_kernelINS0_14default_configENS1_25partition_config_selectorILNS1_17partition_subalgoE8EbNS0_10empty_typeEbEEZZNS1_14partition_implILS5_8ELb0ES3_jN6hipcub16HIPCUB_304000_NS22TransformInputIteratorIbN2at6native8internal12_GLOBAL__N_110LoadBoolOpEPKhlEEPS6_PKS6_NS0_5tupleIJPbS6_EEENSN_IJSK_SK_EEENS0_18inequality_wrapperINSA_8EqualityEEEPlJS6_EEE10hipError_tPvRmT3_T4_T5_T6_T7_T9_mT8_P12ihipStream_tbDpT10_ENKUlT_T0_E_clISt17integral_constantIbLb0EES1E_EEDaS19_S1A_EUlS19_E_NS1_11comp_targetILNS1_3genE9ELNS1_11target_archE1100ELNS1_3gpuE3ELNS1_3repE0EEENS1_30default_config_static_selectorELNS0_4arch9wavefront6targetE0EEEvT1_
    .private_segment_fixed_size: 0
    .sgpr_count:     0
    .sgpr_spill_count: 0
    .symbol:         _ZN7rocprim17ROCPRIM_400000_NS6detail17trampoline_kernelINS0_14default_configENS1_25partition_config_selectorILNS1_17partition_subalgoE8EbNS0_10empty_typeEbEEZZNS1_14partition_implILS5_8ELb0ES3_jN6hipcub16HIPCUB_304000_NS22TransformInputIteratorIbN2at6native8internal12_GLOBAL__N_110LoadBoolOpEPKhlEEPS6_PKS6_NS0_5tupleIJPbS6_EEENSN_IJSK_SK_EEENS0_18inequality_wrapperINSA_8EqualityEEEPlJS6_EEE10hipError_tPvRmT3_T4_T5_T6_T7_T9_mT8_P12ihipStream_tbDpT10_ENKUlT_T0_E_clISt17integral_constantIbLb0EES1E_EEDaS19_S1A_EUlS19_E_NS1_11comp_targetILNS1_3genE9ELNS1_11target_archE1100ELNS1_3gpuE3ELNS1_3repE0EEENS1_30default_config_static_selectorELNS0_4arch9wavefront6targetE0EEEvT1_.kd
    .uniform_work_group_size: 1
    .uses_dynamic_stack: false
    .vgpr_count:     0
    .vgpr_spill_count: 0
    .wavefront_size: 32
  - .args:
      - .offset:         0
        .size:           120
        .value_kind:     by_value
    .group_segment_fixed_size: 0
    .kernarg_segment_align: 8
    .kernarg_segment_size: 120
    .language:       OpenCL C
    .language_version:
      - 2
      - 0
    .max_flat_workgroup_size: 384
    .name:           _ZN7rocprim17ROCPRIM_400000_NS6detail17trampoline_kernelINS0_14default_configENS1_25partition_config_selectorILNS1_17partition_subalgoE8EbNS0_10empty_typeEbEEZZNS1_14partition_implILS5_8ELb0ES3_jN6hipcub16HIPCUB_304000_NS22TransformInputIteratorIbN2at6native8internal12_GLOBAL__N_110LoadBoolOpEPKhlEEPS6_PKS6_NS0_5tupleIJPbS6_EEENSN_IJSK_SK_EEENS0_18inequality_wrapperINSA_8EqualityEEEPlJS6_EEE10hipError_tPvRmT3_T4_T5_T6_T7_T9_mT8_P12ihipStream_tbDpT10_ENKUlT_T0_E_clISt17integral_constantIbLb0EES1E_EEDaS19_S1A_EUlS19_E_NS1_11comp_targetILNS1_3genE8ELNS1_11target_archE1030ELNS1_3gpuE2ELNS1_3repE0EEENS1_30default_config_static_selectorELNS0_4arch9wavefront6targetE0EEEvT1_
    .private_segment_fixed_size: 0
    .sgpr_count:     0
    .sgpr_spill_count: 0
    .symbol:         _ZN7rocprim17ROCPRIM_400000_NS6detail17trampoline_kernelINS0_14default_configENS1_25partition_config_selectorILNS1_17partition_subalgoE8EbNS0_10empty_typeEbEEZZNS1_14partition_implILS5_8ELb0ES3_jN6hipcub16HIPCUB_304000_NS22TransformInputIteratorIbN2at6native8internal12_GLOBAL__N_110LoadBoolOpEPKhlEEPS6_PKS6_NS0_5tupleIJPbS6_EEENSN_IJSK_SK_EEENS0_18inequality_wrapperINSA_8EqualityEEEPlJS6_EEE10hipError_tPvRmT3_T4_T5_T6_T7_T9_mT8_P12ihipStream_tbDpT10_ENKUlT_T0_E_clISt17integral_constantIbLb0EES1E_EEDaS19_S1A_EUlS19_E_NS1_11comp_targetILNS1_3genE8ELNS1_11target_archE1030ELNS1_3gpuE2ELNS1_3repE0EEENS1_30default_config_static_selectorELNS0_4arch9wavefront6targetE0EEEvT1_.kd
    .uniform_work_group_size: 1
    .uses_dynamic_stack: false
    .vgpr_count:     0
    .vgpr_spill_count: 0
    .wavefront_size: 32
  - .args:
      - .offset:         0
        .size:           40
        .value_kind:     by_value
      - .offset:         40
        .size:           4
        .value_kind:     hidden_block_count_x
      - .offset:         44
        .size:           4
        .value_kind:     hidden_block_count_y
      - .offset:         48
        .size:           4
        .value_kind:     hidden_block_count_z
      - .offset:         52
        .size:           2
        .value_kind:     hidden_group_size_x
      - .offset:         54
        .size:           2
        .value_kind:     hidden_group_size_y
      - .offset:         56
        .size:           2
        .value_kind:     hidden_group_size_z
      - .offset:         58
        .size:           2
        .value_kind:     hidden_remainder_x
      - .offset:         60
        .size:           2
        .value_kind:     hidden_remainder_y
      - .offset:         62
        .size:           2
        .value_kind:     hidden_remainder_z
      - .offset:         80
        .size:           8
        .value_kind:     hidden_global_offset_x
      - .offset:         88
        .size:           8
        .value_kind:     hidden_global_offset_y
      - .offset:         96
        .size:           8
        .value_kind:     hidden_global_offset_z
      - .offset:         104
        .size:           2
        .value_kind:     hidden_grid_dims
    .group_segment_fixed_size: 0
    .kernarg_segment_align: 8
    .kernarg_segment_size: 296
    .language:       OpenCL C
    .language_version:
      - 2
      - 0
    .max_flat_workgroup_size: 128
    .name:           _ZN7rocprim17ROCPRIM_400000_NS6detail17trampoline_kernelINS0_14default_configENS1_25transform_config_selectorImLb1EEEZNS1_14transform_implILb1ES3_S5_PmPlNS0_8identityIvEEEE10hipError_tT2_T3_mT4_P12ihipStream_tbEUlT_E_NS1_11comp_targetILNS1_3genE0ELNS1_11target_archE4294967295ELNS1_3gpuE0ELNS1_3repE0EEENS1_30default_config_static_selectorELNS0_4arch9wavefront6targetE0EEEvT1_
    .private_segment_fixed_size: 0
    .sgpr_count:     12
    .sgpr_spill_count: 0
    .symbol:         _ZN7rocprim17ROCPRIM_400000_NS6detail17trampoline_kernelINS0_14default_configENS1_25transform_config_selectorImLb1EEEZNS1_14transform_implILb1ES3_S5_PmPlNS0_8identityIvEEEE10hipError_tT2_T3_mT4_P12ihipStream_tbEUlT_E_NS1_11comp_targetILNS1_3genE0ELNS1_11target_archE4294967295ELNS1_3gpuE0ELNS1_3repE0EEENS1_30default_config_static_selectorELNS0_4arch9wavefront6targetE0EEEvT1_.kd
    .uniform_work_group_size: 1
    .uses_dynamic_stack: false
    .vgpr_count:     4
    .vgpr_spill_count: 0
    .wavefront_size: 32
  - .args:
      - .offset:         0
        .size:           40
        .value_kind:     by_value
    .group_segment_fixed_size: 0
    .kernarg_segment_align: 8
    .kernarg_segment_size: 40
    .language:       OpenCL C
    .language_version:
      - 2
      - 0
    .max_flat_workgroup_size: 1024
    .name:           _ZN7rocprim17ROCPRIM_400000_NS6detail17trampoline_kernelINS0_14default_configENS1_25transform_config_selectorImLb1EEEZNS1_14transform_implILb1ES3_S5_PmPlNS0_8identityIvEEEE10hipError_tT2_T3_mT4_P12ihipStream_tbEUlT_E_NS1_11comp_targetILNS1_3genE10ELNS1_11target_archE1201ELNS1_3gpuE5ELNS1_3repE0EEENS1_30default_config_static_selectorELNS0_4arch9wavefront6targetE0EEEvT1_
    .private_segment_fixed_size: 0
    .sgpr_count:     0
    .sgpr_spill_count: 0
    .symbol:         _ZN7rocprim17ROCPRIM_400000_NS6detail17trampoline_kernelINS0_14default_configENS1_25transform_config_selectorImLb1EEEZNS1_14transform_implILb1ES3_S5_PmPlNS0_8identityIvEEEE10hipError_tT2_T3_mT4_P12ihipStream_tbEUlT_E_NS1_11comp_targetILNS1_3genE10ELNS1_11target_archE1201ELNS1_3gpuE5ELNS1_3repE0EEENS1_30default_config_static_selectorELNS0_4arch9wavefront6targetE0EEEvT1_.kd
    .uniform_work_group_size: 1
    .uses_dynamic_stack: false
    .vgpr_count:     0
    .vgpr_spill_count: 0
    .wavefront_size: 32
  - .args:
      - .offset:         0
        .size:           40
        .value_kind:     by_value
    .group_segment_fixed_size: 0
    .kernarg_segment_align: 8
    .kernarg_segment_size: 40
    .language:       OpenCL C
    .language_version:
      - 2
      - 0
    .max_flat_workgroup_size: 512
    .name:           _ZN7rocprim17ROCPRIM_400000_NS6detail17trampoline_kernelINS0_14default_configENS1_25transform_config_selectorImLb1EEEZNS1_14transform_implILb1ES3_S5_PmPlNS0_8identityIvEEEE10hipError_tT2_T3_mT4_P12ihipStream_tbEUlT_E_NS1_11comp_targetILNS1_3genE5ELNS1_11target_archE942ELNS1_3gpuE9ELNS1_3repE0EEENS1_30default_config_static_selectorELNS0_4arch9wavefront6targetE0EEEvT1_
    .private_segment_fixed_size: 0
    .sgpr_count:     0
    .sgpr_spill_count: 0
    .symbol:         _ZN7rocprim17ROCPRIM_400000_NS6detail17trampoline_kernelINS0_14default_configENS1_25transform_config_selectorImLb1EEEZNS1_14transform_implILb1ES3_S5_PmPlNS0_8identityIvEEEE10hipError_tT2_T3_mT4_P12ihipStream_tbEUlT_E_NS1_11comp_targetILNS1_3genE5ELNS1_11target_archE942ELNS1_3gpuE9ELNS1_3repE0EEENS1_30default_config_static_selectorELNS0_4arch9wavefront6targetE0EEEvT1_.kd
    .uniform_work_group_size: 1
    .uses_dynamic_stack: false
    .vgpr_count:     0
    .vgpr_spill_count: 0
    .wavefront_size: 32
  - .args:
      - .offset:         0
        .size:           40
        .value_kind:     by_value
    .group_segment_fixed_size: 0
    .kernarg_segment_align: 8
    .kernarg_segment_size: 40
    .language:       OpenCL C
    .language_version:
      - 2
      - 0
    .max_flat_workgroup_size: 1024
    .name:           _ZN7rocprim17ROCPRIM_400000_NS6detail17trampoline_kernelINS0_14default_configENS1_25transform_config_selectorImLb1EEEZNS1_14transform_implILb1ES3_S5_PmPlNS0_8identityIvEEEE10hipError_tT2_T3_mT4_P12ihipStream_tbEUlT_E_NS1_11comp_targetILNS1_3genE4ELNS1_11target_archE910ELNS1_3gpuE8ELNS1_3repE0EEENS1_30default_config_static_selectorELNS0_4arch9wavefront6targetE0EEEvT1_
    .private_segment_fixed_size: 0
    .sgpr_count:     0
    .sgpr_spill_count: 0
    .symbol:         _ZN7rocprim17ROCPRIM_400000_NS6detail17trampoline_kernelINS0_14default_configENS1_25transform_config_selectorImLb1EEEZNS1_14transform_implILb1ES3_S5_PmPlNS0_8identityIvEEEE10hipError_tT2_T3_mT4_P12ihipStream_tbEUlT_E_NS1_11comp_targetILNS1_3genE4ELNS1_11target_archE910ELNS1_3gpuE8ELNS1_3repE0EEENS1_30default_config_static_selectorELNS0_4arch9wavefront6targetE0EEEvT1_.kd
    .uniform_work_group_size: 1
    .uses_dynamic_stack: false
    .vgpr_count:     0
    .vgpr_spill_count: 0
    .wavefront_size: 32
  - .args:
      - .offset:         0
        .size:           40
        .value_kind:     by_value
    .group_segment_fixed_size: 0
    .kernarg_segment_align: 8
    .kernarg_segment_size: 40
    .language:       OpenCL C
    .language_version:
      - 2
      - 0
    .max_flat_workgroup_size: 128
    .name:           _ZN7rocprim17ROCPRIM_400000_NS6detail17trampoline_kernelINS0_14default_configENS1_25transform_config_selectorImLb1EEEZNS1_14transform_implILb1ES3_S5_PmPlNS0_8identityIvEEEE10hipError_tT2_T3_mT4_P12ihipStream_tbEUlT_E_NS1_11comp_targetILNS1_3genE3ELNS1_11target_archE908ELNS1_3gpuE7ELNS1_3repE0EEENS1_30default_config_static_selectorELNS0_4arch9wavefront6targetE0EEEvT1_
    .private_segment_fixed_size: 0
    .sgpr_count:     0
    .sgpr_spill_count: 0
    .symbol:         _ZN7rocprim17ROCPRIM_400000_NS6detail17trampoline_kernelINS0_14default_configENS1_25transform_config_selectorImLb1EEEZNS1_14transform_implILb1ES3_S5_PmPlNS0_8identityIvEEEE10hipError_tT2_T3_mT4_P12ihipStream_tbEUlT_E_NS1_11comp_targetILNS1_3genE3ELNS1_11target_archE908ELNS1_3gpuE7ELNS1_3repE0EEENS1_30default_config_static_selectorELNS0_4arch9wavefront6targetE0EEEvT1_.kd
    .uniform_work_group_size: 1
    .uses_dynamic_stack: false
    .vgpr_count:     0
    .vgpr_spill_count: 0
    .wavefront_size: 32
  - .args:
      - .offset:         0
        .size:           40
        .value_kind:     by_value
    .group_segment_fixed_size: 0
    .kernarg_segment_align: 8
    .kernarg_segment_size: 40
    .language:       OpenCL C
    .language_version:
      - 2
      - 0
    .max_flat_workgroup_size: 512
    .name:           _ZN7rocprim17ROCPRIM_400000_NS6detail17trampoline_kernelINS0_14default_configENS1_25transform_config_selectorImLb1EEEZNS1_14transform_implILb1ES3_S5_PmPlNS0_8identityIvEEEE10hipError_tT2_T3_mT4_P12ihipStream_tbEUlT_E_NS1_11comp_targetILNS1_3genE2ELNS1_11target_archE906ELNS1_3gpuE6ELNS1_3repE0EEENS1_30default_config_static_selectorELNS0_4arch9wavefront6targetE0EEEvT1_
    .private_segment_fixed_size: 0
    .sgpr_count:     0
    .sgpr_spill_count: 0
    .symbol:         _ZN7rocprim17ROCPRIM_400000_NS6detail17trampoline_kernelINS0_14default_configENS1_25transform_config_selectorImLb1EEEZNS1_14transform_implILb1ES3_S5_PmPlNS0_8identityIvEEEE10hipError_tT2_T3_mT4_P12ihipStream_tbEUlT_E_NS1_11comp_targetILNS1_3genE2ELNS1_11target_archE906ELNS1_3gpuE6ELNS1_3repE0EEENS1_30default_config_static_selectorELNS0_4arch9wavefront6targetE0EEEvT1_.kd
    .uniform_work_group_size: 1
    .uses_dynamic_stack: false
    .vgpr_count:     0
    .vgpr_spill_count: 0
    .wavefront_size: 32
  - .args:
      - .offset:         0
        .size:           40
        .value_kind:     by_value
    .group_segment_fixed_size: 0
    .kernarg_segment_align: 8
    .kernarg_segment_size: 40
    .language:       OpenCL C
    .language_version:
      - 2
      - 0
    .max_flat_workgroup_size: 1024
    .name:           _ZN7rocprim17ROCPRIM_400000_NS6detail17trampoline_kernelINS0_14default_configENS1_25transform_config_selectorImLb1EEEZNS1_14transform_implILb1ES3_S5_PmPlNS0_8identityIvEEEE10hipError_tT2_T3_mT4_P12ihipStream_tbEUlT_E_NS1_11comp_targetILNS1_3genE9ELNS1_11target_archE1100ELNS1_3gpuE3ELNS1_3repE0EEENS1_30default_config_static_selectorELNS0_4arch9wavefront6targetE0EEEvT1_
    .private_segment_fixed_size: 0
    .sgpr_count:     0
    .sgpr_spill_count: 0
    .symbol:         _ZN7rocprim17ROCPRIM_400000_NS6detail17trampoline_kernelINS0_14default_configENS1_25transform_config_selectorImLb1EEEZNS1_14transform_implILb1ES3_S5_PmPlNS0_8identityIvEEEE10hipError_tT2_T3_mT4_P12ihipStream_tbEUlT_E_NS1_11comp_targetILNS1_3genE9ELNS1_11target_archE1100ELNS1_3gpuE3ELNS1_3repE0EEENS1_30default_config_static_selectorELNS0_4arch9wavefront6targetE0EEEvT1_.kd
    .uniform_work_group_size: 1
    .uses_dynamic_stack: false
    .vgpr_count:     0
    .vgpr_spill_count: 0
    .wavefront_size: 32
  - .args:
      - .offset:         0
        .size:           40
        .value_kind:     by_value
    .group_segment_fixed_size: 0
    .kernarg_segment_align: 8
    .kernarg_segment_size: 40
    .language:       OpenCL C
    .language_version:
      - 2
      - 0
    .max_flat_workgroup_size: 1024
    .name:           _ZN7rocprim17ROCPRIM_400000_NS6detail17trampoline_kernelINS0_14default_configENS1_25transform_config_selectorImLb1EEEZNS1_14transform_implILb1ES3_S5_PmPlNS0_8identityIvEEEE10hipError_tT2_T3_mT4_P12ihipStream_tbEUlT_E_NS1_11comp_targetILNS1_3genE8ELNS1_11target_archE1030ELNS1_3gpuE2ELNS1_3repE0EEENS1_30default_config_static_selectorELNS0_4arch9wavefront6targetE0EEEvT1_
    .private_segment_fixed_size: 0
    .sgpr_count:     0
    .sgpr_spill_count: 0
    .symbol:         _ZN7rocprim17ROCPRIM_400000_NS6detail17trampoline_kernelINS0_14default_configENS1_25transform_config_selectorImLb1EEEZNS1_14transform_implILb1ES3_S5_PmPlNS0_8identityIvEEEE10hipError_tT2_T3_mT4_P12ihipStream_tbEUlT_E_NS1_11comp_targetILNS1_3genE8ELNS1_11target_archE1030ELNS1_3gpuE2ELNS1_3repE0EEENS1_30default_config_static_selectorELNS0_4arch9wavefront6targetE0EEEvT1_.kd
    .uniform_work_group_size: 1
    .uses_dynamic_stack: false
    .vgpr_count:     0
    .vgpr_spill_count: 0
    .wavefront_size: 32
  - .args:
      - .address_space:  global
        .offset:         0
        .size:           8
        .value_kind:     global_buffer
      - .offset:         8
        .size:           4
        .value_kind:     by_value
      - .address_space:  global
        .offset:         16
        .size:           8
        .value_kind:     global_buffer
      - .offset:         24
        .size:           4
        .value_kind:     by_value
      - .address_space:  global
        .offset:         32
        .size:           8
        .value_kind:     global_buffer
      - .offset:         40
        .size:           4
        .value_kind:     hidden_block_count_x
      - .offset:         44
        .size:           4
        .value_kind:     hidden_block_count_y
      - .offset:         48
        .size:           4
        .value_kind:     hidden_block_count_z
      - .offset:         52
        .size:           2
        .value_kind:     hidden_group_size_x
      - .offset:         54
        .size:           2
        .value_kind:     hidden_group_size_y
      - .offset:         56
        .size:           2
        .value_kind:     hidden_group_size_z
      - .offset:         58
        .size:           2
        .value_kind:     hidden_remainder_x
      - .offset:         60
        .size:           2
        .value_kind:     hidden_remainder_y
      - .offset:         62
        .size:           2
        .value_kind:     hidden_remainder_z
      - .offset:         80
        .size:           8
        .value_kind:     hidden_global_offset_x
      - .offset:         88
        .size:           8
        .value_kind:     hidden_global_offset_y
      - .offset:         96
        .size:           8
        .value_kind:     hidden_global_offset_z
      - .offset:         104
        .size:           2
        .value_kind:     hidden_grid_dims
    .group_segment_fixed_size: 0
    .kernarg_segment_align: 8
    .kernarg_segment_size: 296
    .language:       OpenCL C
    .language_version:
      - 2
      - 0
    .max_flat_workgroup_size: 256
    .name:           _ZN7rocprim17ROCPRIM_400000_NS6detail31init_lookback_scan_state_kernelINS1_19lookback_scan_stateIjLb1ELb1EEENS1_16block_id_wrapperIjLb1EEEEEvT_jT0_jPNS7_10value_typeE
    .private_segment_fixed_size: 0
    .sgpr_count:     14
    .sgpr_spill_count: 0
    .symbol:         _ZN7rocprim17ROCPRIM_400000_NS6detail31init_lookback_scan_state_kernelINS1_19lookback_scan_stateIjLb1ELb1EEENS1_16block_id_wrapperIjLb1EEEEEvT_jT0_jPNS7_10value_typeE.kd
    .uniform_work_group_size: 1
    .uses_dynamic_stack: false
    .vgpr_count:     5
    .vgpr_spill_count: 0
    .wavefront_size: 32
  - .args:
      - .offset:         0
        .size:           136
        .value_kind:     by_value
    .group_segment_fixed_size: 0
    .kernarg_segment_align: 8
    .kernarg_segment_size: 136
    .language:       OpenCL C
    .language_version:
      - 2
      - 0
    .max_flat_workgroup_size: 256
    .name:           _ZN7rocprim17ROCPRIM_400000_NS6detail17trampoline_kernelINS0_14default_configENS1_25partition_config_selectorILNS1_17partition_subalgoE8EbNS0_10empty_typeEbEEZZNS1_14partition_implILS5_8ELb0ES3_jN6hipcub16HIPCUB_304000_NS22TransformInputIteratorIbN2at6native8internal12_GLOBAL__N_110LoadBoolOpEPKhlEEPS6_PKS6_NS0_5tupleIJPbS6_EEENSN_IJSK_SK_EEENS0_18inequality_wrapperINSA_8EqualityEEEPlJS6_EEE10hipError_tPvRmT3_T4_T5_T6_T7_T9_mT8_P12ihipStream_tbDpT10_ENKUlT_T0_E_clISt17integral_constantIbLb1EES1E_EEDaS19_S1A_EUlS19_E_NS1_11comp_targetILNS1_3genE0ELNS1_11target_archE4294967295ELNS1_3gpuE0ELNS1_3repE0EEENS1_30default_config_static_selectorELNS0_4arch9wavefront6targetE0EEEvT1_
    .private_segment_fixed_size: 0
    .sgpr_count:     0
    .sgpr_spill_count: 0
    .symbol:         _ZN7rocprim17ROCPRIM_400000_NS6detail17trampoline_kernelINS0_14default_configENS1_25partition_config_selectorILNS1_17partition_subalgoE8EbNS0_10empty_typeEbEEZZNS1_14partition_implILS5_8ELb0ES3_jN6hipcub16HIPCUB_304000_NS22TransformInputIteratorIbN2at6native8internal12_GLOBAL__N_110LoadBoolOpEPKhlEEPS6_PKS6_NS0_5tupleIJPbS6_EEENSN_IJSK_SK_EEENS0_18inequality_wrapperINSA_8EqualityEEEPlJS6_EEE10hipError_tPvRmT3_T4_T5_T6_T7_T9_mT8_P12ihipStream_tbDpT10_ENKUlT_T0_E_clISt17integral_constantIbLb1EES1E_EEDaS19_S1A_EUlS19_E_NS1_11comp_targetILNS1_3genE0ELNS1_11target_archE4294967295ELNS1_3gpuE0ELNS1_3repE0EEENS1_30default_config_static_selectorELNS0_4arch9wavefront6targetE0EEEvT1_.kd
    .uniform_work_group_size: 1
    .uses_dynamic_stack: false
    .vgpr_count:     0
    .vgpr_spill_count: 0
    .wavefront_size: 32
  - .args:
      - .offset:         0
        .size:           136
        .value_kind:     by_value
    .group_segment_fixed_size: 0
    .kernarg_segment_align: 8
    .kernarg_segment_size: 136
    .language:       OpenCL C
    .language_version:
      - 2
      - 0
    .max_flat_workgroup_size: 512
    .name:           _ZN7rocprim17ROCPRIM_400000_NS6detail17trampoline_kernelINS0_14default_configENS1_25partition_config_selectorILNS1_17partition_subalgoE8EbNS0_10empty_typeEbEEZZNS1_14partition_implILS5_8ELb0ES3_jN6hipcub16HIPCUB_304000_NS22TransformInputIteratorIbN2at6native8internal12_GLOBAL__N_110LoadBoolOpEPKhlEEPS6_PKS6_NS0_5tupleIJPbS6_EEENSN_IJSK_SK_EEENS0_18inequality_wrapperINSA_8EqualityEEEPlJS6_EEE10hipError_tPvRmT3_T4_T5_T6_T7_T9_mT8_P12ihipStream_tbDpT10_ENKUlT_T0_E_clISt17integral_constantIbLb1EES1E_EEDaS19_S1A_EUlS19_E_NS1_11comp_targetILNS1_3genE5ELNS1_11target_archE942ELNS1_3gpuE9ELNS1_3repE0EEENS1_30default_config_static_selectorELNS0_4arch9wavefront6targetE0EEEvT1_
    .private_segment_fixed_size: 0
    .sgpr_count:     0
    .sgpr_spill_count: 0
    .symbol:         _ZN7rocprim17ROCPRIM_400000_NS6detail17trampoline_kernelINS0_14default_configENS1_25partition_config_selectorILNS1_17partition_subalgoE8EbNS0_10empty_typeEbEEZZNS1_14partition_implILS5_8ELb0ES3_jN6hipcub16HIPCUB_304000_NS22TransformInputIteratorIbN2at6native8internal12_GLOBAL__N_110LoadBoolOpEPKhlEEPS6_PKS6_NS0_5tupleIJPbS6_EEENSN_IJSK_SK_EEENS0_18inequality_wrapperINSA_8EqualityEEEPlJS6_EEE10hipError_tPvRmT3_T4_T5_T6_T7_T9_mT8_P12ihipStream_tbDpT10_ENKUlT_T0_E_clISt17integral_constantIbLb1EES1E_EEDaS19_S1A_EUlS19_E_NS1_11comp_targetILNS1_3genE5ELNS1_11target_archE942ELNS1_3gpuE9ELNS1_3repE0EEENS1_30default_config_static_selectorELNS0_4arch9wavefront6targetE0EEEvT1_.kd
    .uniform_work_group_size: 1
    .uses_dynamic_stack: false
    .vgpr_count:     0
    .vgpr_spill_count: 0
    .wavefront_size: 32
  - .args:
      - .offset:         0
        .size:           136
        .value_kind:     by_value
    .group_segment_fixed_size: 0
    .kernarg_segment_align: 8
    .kernarg_segment_size: 136
    .language:       OpenCL C
    .language_version:
      - 2
      - 0
    .max_flat_workgroup_size: 128
    .name:           _ZN7rocprim17ROCPRIM_400000_NS6detail17trampoline_kernelINS0_14default_configENS1_25partition_config_selectorILNS1_17partition_subalgoE8EbNS0_10empty_typeEbEEZZNS1_14partition_implILS5_8ELb0ES3_jN6hipcub16HIPCUB_304000_NS22TransformInputIteratorIbN2at6native8internal12_GLOBAL__N_110LoadBoolOpEPKhlEEPS6_PKS6_NS0_5tupleIJPbS6_EEENSN_IJSK_SK_EEENS0_18inequality_wrapperINSA_8EqualityEEEPlJS6_EEE10hipError_tPvRmT3_T4_T5_T6_T7_T9_mT8_P12ihipStream_tbDpT10_ENKUlT_T0_E_clISt17integral_constantIbLb1EES1E_EEDaS19_S1A_EUlS19_E_NS1_11comp_targetILNS1_3genE4ELNS1_11target_archE910ELNS1_3gpuE8ELNS1_3repE0EEENS1_30default_config_static_selectorELNS0_4arch9wavefront6targetE0EEEvT1_
    .private_segment_fixed_size: 0
    .sgpr_count:     0
    .sgpr_spill_count: 0
    .symbol:         _ZN7rocprim17ROCPRIM_400000_NS6detail17trampoline_kernelINS0_14default_configENS1_25partition_config_selectorILNS1_17partition_subalgoE8EbNS0_10empty_typeEbEEZZNS1_14partition_implILS5_8ELb0ES3_jN6hipcub16HIPCUB_304000_NS22TransformInputIteratorIbN2at6native8internal12_GLOBAL__N_110LoadBoolOpEPKhlEEPS6_PKS6_NS0_5tupleIJPbS6_EEENSN_IJSK_SK_EEENS0_18inequality_wrapperINSA_8EqualityEEEPlJS6_EEE10hipError_tPvRmT3_T4_T5_T6_T7_T9_mT8_P12ihipStream_tbDpT10_ENKUlT_T0_E_clISt17integral_constantIbLb1EES1E_EEDaS19_S1A_EUlS19_E_NS1_11comp_targetILNS1_3genE4ELNS1_11target_archE910ELNS1_3gpuE8ELNS1_3repE0EEENS1_30default_config_static_selectorELNS0_4arch9wavefront6targetE0EEEvT1_.kd
    .uniform_work_group_size: 1
    .uses_dynamic_stack: false
    .vgpr_count:     0
    .vgpr_spill_count: 0
    .wavefront_size: 32
  - .args:
      - .offset:         0
        .size:           136
        .value_kind:     by_value
    .group_segment_fixed_size: 0
    .kernarg_segment_align: 8
    .kernarg_segment_size: 136
    .language:       OpenCL C
    .language_version:
      - 2
      - 0
    .max_flat_workgroup_size: 256
    .name:           _ZN7rocprim17ROCPRIM_400000_NS6detail17trampoline_kernelINS0_14default_configENS1_25partition_config_selectorILNS1_17partition_subalgoE8EbNS0_10empty_typeEbEEZZNS1_14partition_implILS5_8ELb0ES3_jN6hipcub16HIPCUB_304000_NS22TransformInputIteratorIbN2at6native8internal12_GLOBAL__N_110LoadBoolOpEPKhlEEPS6_PKS6_NS0_5tupleIJPbS6_EEENSN_IJSK_SK_EEENS0_18inequality_wrapperINSA_8EqualityEEEPlJS6_EEE10hipError_tPvRmT3_T4_T5_T6_T7_T9_mT8_P12ihipStream_tbDpT10_ENKUlT_T0_E_clISt17integral_constantIbLb1EES1E_EEDaS19_S1A_EUlS19_E_NS1_11comp_targetILNS1_3genE3ELNS1_11target_archE908ELNS1_3gpuE7ELNS1_3repE0EEENS1_30default_config_static_selectorELNS0_4arch9wavefront6targetE0EEEvT1_
    .private_segment_fixed_size: 0
    .sgpr_count:     0
    .sgpr_spill_count: 0
    .symbol:         _ZN7rocprim17ROCPRIM_400000_NS6detail17trampoline_kernelINS0_14default_configENS1_25partition_config_selectorILNS1_17partition_subalgoE8EbNS0_10empty_typeEbEEZZNS1_14partition_implILS5_8ELb0ES3_jN6hipcub16HIPCUB_304000_NS22TransformInputIteratorIbN2at6native8internal12_GLOBAL__N_110LoadBoolOpEPKhlEEPS6_PKS6_NS0_5tupleIJPbS6_EEENSN_IJSK_SK_EEENS0_18inequality_wrapperINSA_8EqualityEEEPlJS6_EEE10hipError_tPvRmT3_T4_T5_T6_T7_T9_mT8_P12ihipStream_tbDpT10_ENKUlT_T0_E_clISt17integral_constantIbLb1EES1E_EEDaS19_S1A_EUlS19_E_NS1_11comp_targetILNS1_3genE3ELNS1_11target_archE908ELNS1_3gpuE7ELNS1_3repE0EEENS1_30default_config_static_selectorELNS0_4arch9wavefront6targetE0EEEvT1_.kd
    .uniform_work_group_size: 1
    .uses_dynamic_stack: false
    .vgpr_count:     0
    .vgpr_spill_count: 0
    .wavefront_size: 32
  - .args:
      - .offset:         0
        .size:           136
        .value_kind:     by_value
    .group_segment_fixed_size: 0
    .kernarg_segment_align: 8
    .kernarg_segment_size: 136
    .language:       OpenCL C
    .language_version:
      - 2
      - 0
    .max_flat_workgroup_size: 192
    .name:           _ZN7rocprim17ROCPRIM_400000_NS6detail17trampoline_kernelINS0_14default_configENS1_25partition_config_selectorILNS1_17partition_subalgoE8EbNS0_10empty_typeEbEEZZNS1_14partition_implILS5_8ELb0ES3_jN6hipcub16HIPCUB_304000_NS22TransformInputIteratorIbN2at6native8internal12_GLOBAL__N_110LoadBoolOpEPKhlEEPS6_PKS6_NS0_5tupleIJPbS6_EEENSN_IJSK_SK_EEENS0_18inequality_wrapperINSA_8EqualityEEEPlJS6_EEE10hipError_tPvRmT3_T4_T5_T6_T7_T9_mT8_P12ihipStream_tbDpT10_ENKUlT_T0_E_clISt17integral_constantIbLb1EES1E_EEDaS19_S1A_EUlS19_E_NS1_11comp_targetILNS1_3genE2ELNS1_11target_archE906ELNS1_3gpuE6ELNS1_3repE0EEENS1_30default_config_static_selectorELNS0_4arch9wavefront6targetE0EEEvT1_
    .private_segment_fixed_size: 0
    .sgpr_count:     0
    .sgpr_spill_count: 0
    .symbol:         _ZN7rocprim17ROCPRIM_400000_NS6detail17trampoline_kernelINS0_14default_configENS1_25partition_config_selectorILNS1_17partition_subalgoE8EbNS0_10empty_typeEbEEZZNS1_14partition_implILS5_8ELb0ES3_jN6hipcub16HIPCUB_304000_NS22TransformInputIteratorIbN2at6native8internal12_GLOBAL__N_110LoadBoolOpEPKhlEEPS6_PKS6_NS0_5tupleIJPbS6_EEENSN_IJSK_SK_EEENS0_18inequality_wrapperINSA_8EqualityEEEPlJS6_EEE10hipError_tPvRmT3_T4_T5_T6_T7_T9_mT8_P12ihipStream_tbDpT10_ENKUlT_T0_E_clISt17integral_constantIbLb1EES1E_EEDaS19_S1A_EUlS19_E_NS1_11comp_targetILNS1_3genE2ELNS1_11target_archE906ELNS1_3gpuE6ELNS1_3repE0EEENS1_30default_config_static_selectorELNS0_4arch9wavefront6targetE0EEEvT1_.kd
    .uniform_work_group_size: 1
    .uses_dynamic_stack: false
    .vgpr_count:     0
    .vgpr_spill_count: 0
    .wavefront_size: 32
  - .args:
      - .offset:         0
        .size:           136
        .value_kind:     by_value
    .group_segment_fixed_size: 0
    .kernarg_segment_align: 8
    .kernarg_segment_size: 136
    .language:       OpenCL C
    .language_version:
      - 2
      - 0
    .max_flat_workgroup_size: 256
    .name:           _ZN7rocprim17ROCPRIM_400000_NS6detail17trampoline_kernelINS0_14default_configENS1_25partition_config_selectorILNS1_17partition_subalgoE8EbNS0_10empty_typeEbEEZZNS1_14partition_implILS5_8ELb0ES3_jN6hipcub16HIPCUB_304000_NS22TransformInputIteratorIbN2at6native8internal12_GLOBAL__N_110LoadBoolOpEPKhlEEPS6_PKS6_NS0_5tupleIJPbS6_EEENSN_IJSK_SK_EEENS0_18inequality_wrapperINSA_8EqualityEEEPlJS6_EEE10hipError_tPvRmT3_T4_T5_T6_T7_T9_mT8_P12ihipStream_tbDpT10_ENKUlT_T0_E_clISt17integral_constantIbLb1EES1E_EEDaS19_S1A_EUlS19_E_NS1_11comp_targetILNS1_3genE10ELNS1_11target_archE1200ELNS1_3gpuE4ELNS1_3repE0EEENS1_30default_config_static_selectorELNS0_4arch9wavefront6targetE0EEEvT1_
    .private_segment_fixed_size: 0
    .sgpr_count:     0
    .sgpr_spill_count: 0
    .symbol:         _ZN7rocprim17ROCPRIM_400000_NS6detail17trampoline_kernelINS0_14default_configENS1_25partition_config_selectorILNS1_17partition_subalgoE8EbNS0_10empty_typeEbEEZZNS1_14partition_implILS5_8ELb0ES3_jN6hipcub16HIPCUB_304000_NS22TransformInputIteratorIbN2at6native8internal12_GLOBAL__N_110LoadBoolOpEPKhlEEPS6_PKS6_NS0_5tupleIJPbS6_EEENSN_IJSK_SK_EEENS0_18inequality_wrapperINSA_8EqualityEEEPlJS6_EEE10hipError_tPvRmT3_T4_T5_T6_T7_T9_mT8_P12ihipStream_tbDpT10_ENKUlT_T0_E_clISt17integral_constantIbLb1EES1E_EEDaS19_S1A_EUlS19_E_NS1_11comp_targetILNS1_3genE10ELNS1_11target_archE1200ELNS1_3gpuE4ELNS1_3repE0EEENS1_30default_config_static_selectorELNS0_4arch9wavefront6targetE0EEEvT1_.kd
    .uniform_work_group_size: 1
    .uses_dynamic_stack: false
    .vgpr_count:     0
    .vgpr_spill_count: 0
    .wavefront_size: 32
  - .args:
      - .offset:         0
        .size:           136
        .value_kind:     by_value
    .group_segment_fixed_size: 0
    .kernarg_segment_align: 8
    .kernarg_segment_size: 136
    .language:       OpenCL C
    .language_version:
      - 2
      - 0
    .max_flat_workgroup_size: 384
    .name:           _ZN7rocprim17ROCPRIM_400000_NS6detail17trampoline_kernelINS0_14default_configENS1_25partition_config_selectorILNS1_17partition_subalgoE8EbNS0_10empty_typeEbEEZZNS1_14partition_implILS5_8ELb0ES3_jN6hipcub16HIPCUB_304000_NS22TransformInputIteratorIbN2at6native8internal12_GLOBAL__N_110LoadBoolOpEPKhlEEPS6_PKS6_NS0_5tupleIJPbS6_EEENSN_IJSK_SK_EEENS0_18inequality_wrapperINSA_8EqualityEEEPlJS6_EEE10hipError_tPvRmT3_T4_T5_T6_T7_T9_mT8_P12ihipStream_tbDpT10_ENKUlT_T0_E_clISt17integral_constantIbLb1EES1E_EEDaS19_S1A_EUlS19_E_NS1_11comp_targetILNS1_3genE9ELNS1_11target_archE1100ELNS1_3gpuE3ELNS1_3repE0EEENS1_30default_config_static_selectorELNS0_4arch9wavefront6targetE0EEEvT1_
    .private_segment_fixed_size: 0
    .sgpr_count:     0
    .sgpr_spill_count: 0
    .symbol:         _ZN7rocprim17ROCPRIM_400000_NS6detail17trampoline_kernelINS0_14default_configENS1_25partition_config_selectorILNS1_17partition_subalgoE8EbNS0_10empty_typeEbEEZZNS1_14partition_implILS5_8ELb0ES3_jN6hipcub16HIPCUB_304000_NS22TransformInputIteratorIbN2at6native8internal12_GLOBAL__N_110LoadBoolOpEPKhlEEPS6_PKS6_NS0_5tupleIJPbS6_EEENSN_IJSK_SK_EEENS0_18inequality_wrapperINSA_8EqualityEEEPlJS6_EEE10hipError_tPvRmT3_T4_T5_T6_T7_T9_mT8_P12ihipStream_tbDpT10_ENKUlT_T0_E_clISt17integral_constantIbLb1EES1E_EEDaS19_S1A_EUlS19_E_NS1_11comp_targetILNS1_3genE9ELNS1_11target_archE1100ELNS1_3gpuE3ELNS1_3repE0EEENS1_30default_config_static_selectorELNS0_4arch9wavefront6targetE0EEEvT1_.kd
    .uniform_work_group_size: 1
    .uses_dynamic_stack: false
    .vgpr_count:     0
    .vgpr_spill_count: 0
    .wavefront_size: 32
  - .args:
      - .offset:         0
        .size:           136
        .value_kind:     by_value
    .group_segment_fixed_size: 0
    .kernarg_segment_align: 8
    .kernarg_segment_size: 136
    .language:       OpenCL C
    .language_version:
      - 2
      - 0
    .max_flat_workgroup_size: 384
    .name:           _ZN7rocprim17ROCPRIM_400000_NS6detail17trampoline_kernelINS0_14default_configENS1_25partition_config_selectorILNS1_17partition_subalgoE8EbNS0_10empty_typeEbEEZZNS1_14partition_implILS5_8ELb0ES3_jN6hipcub16HIPCUB_304000_NS22TransformInputIteratorIbN2at6native8internal12_GLOBAL__N_110LoadBoolOpEPKhlEEPS6_PKS6_NS0_5tupleIJPbS6_EEENSN_IJSK_SK_EEENS0_18inequality_wrapperINSA_8EqualityEEEPlJS6_EEE10hipError_tPvRmT3_T4_T5_T6_T7_T9_mT8_P12ihipStream_tbDpT10_ENKUlT_T0_E_clISt17integral_constantIbLb1EES1E_EEDaS19_S1A_EUlS19_E_NS1_11comp_targetILNS1_3genE8ELNS1_11target_archE1030ELNS1_3gpuE2ELNS1_3repE0EEENS1_30default_config_static_selectorELNS0_4arch9wavefront6targetE0EEEvT1_
    .private_segment_fixed_size: 0
    .sgpr_count:     0
    .sgpr_spill_count: 0
    .symbol:         _ZN7rocprim17ROCPRIM_400000_NS6detail17trampoline_kernelINS0_14default_configENS1_25partition_config_selectorILNS1_17partition_subalgoE8EbNS0_10empty_typeEbEEZZNS1_14partition_implILS5_8ELb0ES3_jN6hipcub16HIPCUB_304000_NS22TransformInputIteratorIbN2at6native8internal12_GLOBAL__N_110LoadBoolOpEPKhlEEPS6_PKS6_NS0_5tupleIJPbS6_EEENSN_IJSK_SK_EEENS0_18inequality_wrapperINSA_8EqualityEEEPlJS6_EEE10hipError_tPvRmT3_T4_T5_T6_T7_T9_mT8_P12ihipStream_tbDpT10_ENKUlT_T0_E_clISt17integral_constantIbLb1EES1E_EEDaS19_S1A_EUlS19_E_NS1_11comp_targetILNS1_3genE8ELNS1_11target_archE1030ELNS1_3gpuE2ELNS1_3repE0EEENS1_30default_config_static_selectorELNS0_4arch9wavefront6targetE0EEEvT1_.kd
    .uniform_work_group_size: 1
    .uses_dynamic_stack: false
    .vgpr_count:     0
    .vgpr_spill_count: 0
    .wavefront_size: 32
  - .args:
      - .address_space:  global
        .offset:         0
        .size:           8
        .value_kind:     global_buffer
      - .offset:         8
        .size:           4
        .value_kind:     by_value
      - .offset:         12
        .size:           1
        .value_kind:     by_value
      - .offset:         16
        .size:           4
        .value_kind:     by_value
      - .address_space:  global
        .offset:         24
        .size:           8
        .value_kind:     global_buffer
      - .offset:         32
        .size:           4
        .value_kind:     hidden_block_count_x
      - .offset:         36
        .size:           4
        .value_kind:     hidden_block_count_y
      - .offset:         40
        .size:           4
        .value_kind:     hidden_block_count_z
      - .offset:         44
        .size:           2
        .value_kind:     hidden_group_size_x
      - .offset:         46
        .size:           2
        .value_kind:     hidden_group_size_y
      - .offset:         48
        .size:           2
        .value_kind:     hidden_group_size_z
      - .offset:         50
        .size:           2
        .value_kind:     hidden_remainder_x
      - .offset:         52
        .size:           2
        .value_kind:     hidden_remainder_y
      - .offset:         54
        .size:           2
        .value_kind:     hidden_remainder_z
      - .offset:         72
        .size:           8
        .value_kind:     hidden_global_offset_x
      - .offset:         80
        .size:           8
        .value_kind:     hidden_global_offset_y
      - .offset:         88
        .size:           8
        .value_kind:     hidden_global_offset_z
      - .offset:         96
        .size:           2
        .value_kind:     hidden_grid_dims
    .group_segment_fixed_size: 0
    .kernarg_segment_align: 8
    .kernarg_segment_size: 288
    .language:       OpenCL C
    .language_version:
      - 2
      - 0
    .max_flat_workgroup_size: 256
    .name:           _ZN7rocprim17ROCPRIM_400000_NS6detail31init_lookback_scan_state_kernelINS1_19lookback_scan_stateIjLb1ELb1EEENS1_16block_id_wrapperIjLb0EEEEEvT_jT0_jPNS7_10value_typeE
    .private_segment_fixed_size: 0
    .sgpr_count:     13
    .sgpr_spill_count: 0
    .symbol:         _ZN7rocprim17ROCPRIM_400000_NS6detail31init_lookback_scan_state_kernelINS1_19lookback_scan_stateIjLb1ELb1EEENS1_16block_id_wrapperIjLb0EEEEEvT_jT0_jPNS7_10value_typeE.kd
    .uniform_work_group_size: 1
    .uses_dynamic_stack: false
    .vgpr_count:     5
    .vgpr_spill_count: 0
    .wavefront_size: 32
  - .args:
      - .offset:         0
        .size:           120
        .value_kind:     by_value
    .group_segment_fixed_size: 0
    .kernarg_segment_align: 8
    .kernarg_segment_size: 120
    .language:       OpenCL C
    .language_version:
      - 2
      - 0
    .max_flat_workgroup_size: 256
    .name:           _ZN7rocprim17ROCPRIM_400000_NS6detail17trampoline_kernelINS0_14default_configENS1_25partition_config_selectorILNS1_17partition_subalgoE8EbNS0_10empty_typeEbEEZZNS1_14partition_implILS5_8ELb0ES3_jN6hipcub16HIPCUB_304000_NS22TransformInputIteratorIbN2at6native8internal12_GLOBAL__N_110LoadBoolOpEPKhlEEPS6_PKS6_NS0_5tupleIJPbS6_EEENSN_IJSK_SK_EEENS0_18inequality_wrapperINSA_8EqualityEEEPlJS6_EEE10hipError_tPvRmT3_T4_T5_T6_T7_T9_mT8_P12ihipStream_tbDpT10_ENKUlT_T0_E_clISt17integral_constantIbLb1EES1D_IbLb0EEEEDaS19_S1A_EUlS19_E_NS1_11comp_targetILNS1_3genE0ELNS1_11target_archE4294967295ELNS1_3gpuE0ELNS1_3repE0EEENS1_30default_config_static_selectorELNS0_4arch9wavefront6targetE0EEEvT1_
    .private_segment_fixed_size: 0
    .sgpr_count:     0
    .sgpr_spill_count: 0
    .symbol:         _ZN7rocprim17ROCPRIM_400000_NS6detail17trampoline_kernelINS0_14default_configENS1_25partition_config_selectorILNS1_17partition_subalgoE8EbNS0_10empty_typeEbEEZZNS1_14partition_implILS5_8ELb0ES3_jN6hipcub16HIPCUB_304000_NS22TransformInputIteratorIbN2at6native8internal12_GLOBAL__N_110LoadBoolOpEPKhlEEPS6_PKS6_NS0_5tupleIJPbS6_EEENSN_IJSK_SK_EEENS0_18inequality_wrapperINSA_8EqualityEEEPlJS6_EEE10hipError_tPvRmT3_T4_T5_T6_T7_T9_mT8_P12ihipStream_tbDpT10_ENKUlT_T0_E_clISt17integral_constantIbLb1EES1D_IbLb0EEEEDaS19_S1A_EUlS19_E_NS1_11comp_targetILNS1_3genE0ELNS1_11target_archE4294967295ELNS1_3gpuE0ELNS1_3repE0EEENS1_30default_config_static_selectorELNS0_4arch9wavefront6targetE0EEEvT1_.kd
    .uniform_work_group_size: 1
    .uses_dynamic_stack: false
    .vgpr_count:     0
    .vgpr_spill_count: 0
    .wavefront_size: 32
  - .args:
      - .offset:         0
        .size:           120
        .value_kind:     by_value
    .group_segment_fixed_size: 0
    .kernarg_segment_align: 8
    .kernarg_segment_size: 120
    .language:       OpenCL C
    .language_version:
      - 2
      - 0
    .max_flat_workgroup_size: 512
    .name:           _ZN7rocprim17ROCPRIM_400000_NS6detail17trampoline_kernelINS0_14default_configENS1_25partition_config_selectorILNS1_17partition_subalgoE8EbNS0_10empty_typeEbEEZZNS1_14partition_implILS5_8ELb0ES3_jN6hipcub16HIPCUB_304000_NS22TransformInputIteratorIbN2at6native8internal12_GLOBAL__N_110LoadBoolOpEPKhlEEPS6_PKS6_NS0_5tupleIJPbS6_EEENSN_IJSK_SK_EEENS0_18inequality_wrapperINSA_8EqualityEEEPlJS6_EEE10hipError_tPvRmT3_T4_T5_T6_T7_T9_mT8_P12ihipStream_tbDpT10_ENKUlT_T0_E_clISt17integral_constantIbLb1EES1D_IbLb0EEEEDaS19_S1A_EUlS19_E_NS1_11comp_targetILNS1_3genE5ELNS1_11target_archE942ELNS1_3gpuE9ELNS1_3repE0EEENS1_30default_config_static_selectorELNS0_4arch9wavefront6targetE0EEEvT1_
    .private_segment_fixed_size: 0
    .sgpr_count:     0
    .sgpr_spill_count: 0
    .symbol:         _ZN7rocprim17ROCPRIM_400000_NS6detail17trampoline_kernelINS0_14default_configENS1_25partition_config_selectorILNS1_17partition_subalgoE8EbNS0_10empty_typeEbEEZZNS1_14partition_implILS5_8ELb0ES3_jN6hipcub16HIPCUB_304000_NS22TransformInputIteratorIbN2at6native8internal12_GLOBAL__N_110LoadBoolOpEPKhlEEPS6_PKS6_NS0_5tupleIJPbS6_EEENSN_IJSK_SK_EEENS0_18inequality_wrapperINSA_8EqualityEEEPlJS6_EEE10hipError_tPvRmT3_T4_T5_T6_T7_T9_mT8_P12ihipStream_tbDpT10_ENKUlT_T0_E_clISt17integral_constantIbLb1EES1D_IbLb0EEEEDaS19_S1A_EUlS19_E_NS1_11comp_targetILNS1_3genE5ELNS1_11target_archE942ELNS1_3gpuE9ELNS1_3repE0EEENS1_30default_config_static_selectorELNS0_4arch9wavefront6targetE0EEEvT1_.kd
    .uniform_work_group_size: 1
    .uses_dynamic_stack: false
    .vgpr_count:     0
    .vgpr_spill_count: 0
    .wavefront_size: 32
  - .args:
      - .offset:         0
        .size:           120
        .value_kind:     by_value
    .group_segment_fixed_size: 0
    .kernarg_segment_align: 8
    .kernarg_segment_size: 120
    .language:       OpenCL C
    .language_version:
      - 2
      - 0
    .max_flat_workgroup_size: 128
    .name:           _ZN7rocprim17ROCPRIM_400000_NS6detail17trampoline_kernelINS0_14default_configENS1_25partition_config_selectorILNS1_17partition_subalgoE8EbNS0_10empty_typeEbEEZZNS1_14partition_implILS5_8ELb0ES3_jN6hipcub16HIPCUB_304000_NS22TransformInputIteratorIbN2at6native8internal12_GLOBAL__N_110LoadBoolOpEPKhlEEPS6_PKS6_NS0_5tupleIJPbS6_EEENSN_IJSK_SK_EEENS0_18inequality_wrapperINSA_8EqualityEEEPlJS6_EEE10hipError_tPvRmT3_T4_T5_T6_T7_T9_mT8_P12ihipStream_tbDpT10_ENKUlT_T0_E_clISt17integral_constantIbLb1EES1D_IbLb0EEEEDaS19_S1A_EUlS19_E_NS1_11comp_targetILNS1_3genE4ELNS1_11target_archE910ELNS1_3gpuE8ELNS1_3repE0EEENS1_30default_config_static_selectorELNS0_4arch9wavefront6targetE0EEEvT1_
    .private_segment_fixed_size: 0
    .sgpr_count:     0
    .sgpr_spill_count: 0
    .symbol:         _ZN7rocprim17ROCPRIM_400000_NS6detail17trampoline_kernelINS0_14default_configENS1_25partition_config_selectorILNS1_17partition_subalgoE8EbNS0_10empty_typeEbEEZZNS1_14partition_implILS5_8ELb0ES3_jN6hipcub16HIPCUB_304000_NS22TransformInputIteratorIbN2at6native8internal12_GLOBAL__N_110LoadBoolOpEPKhlEEPS6_PKS6_NS0_5tupleIJPbS6_EEENSN_IJSK_SK_EEENS0_18inequality_wrapperINSA_8EqualityEEEPlJS6_EEE10hipError_tPvRmT3_T4_T5_T6_T7_T9_mT8_P12ihipStream_tbDpT10_ENKUlT_T0_E_clISt17integral_constantIbLb1EES1D_IbLb0EEEEDaS19_S1A_EUlS19_E_NS1_11comp_targetILNS1_3genE4ELNS1_11target_archE910ELNS1_3gpuE8ELNS1_3repE0EEENS1_30default_config_static_selectorELNS0_4arch9wavefront6targetE0EEEvT1_.kd
    .uniform_work_group_size: 1
    .uses_dynamic_stack: false
    .vgpr_count:     0
    .vgpr_spill_count: 0
    .wavefront_size: 32
  - .args:
      - .offset:         0
        .size:           120
        .value_kind:     by_value
    .group_segment_fixed_size: 0
    .kernarg_segment_align: 8
    .kernarg_segment_size: 120
    .language:       OpenCL C
    .language_version:
      - 2
      - 0
    .max_flat_workgroup_size: 256
    .name:           _ZN7rocprim17ROCPRIM_400000_NS6detail17trampoline_kernelINS0_14default_configENS1_25partition_config_selectorILNS1_17partition_subalgoE8EbNS0_10empty_typeEbEEZZNS1_14partition_implILS5_8ELb0ES3_jN6hipcub16HIPCUB_304000_NS22TransformInputIteratorIbN2at6native8internal12_GLOBAL__N_110LoadBoolOpEPKhlEEPS6_PKS6_NS0_5tupleIJPbS6_EEENSN_IJSK_SK_EEENS0_18inequality_wrapperINSA_8EqualityEEEPlJS6_EEE10hipError_tPvRmT3_T4_T5_T6_T7_T9_mT8_P12ihipStream_tbDpT10_ENKUlT_T0_E_clISt17integral_constantIbLb1EES1D_IbLb0EEEEDaS19_S1A_EUlS19_E_NS1_11comp_targetILNS1_3genE3ELNS1_11target_archE908ELNS1_3gpuE7ELNS1_3repE0EEENS1_30default_config_static_selectorELNS0_4arch9wavefront6targetE0EEEvT1_
    .private_segment_fixed_size: 0
    .sgpr_count:     0
    .sgpr_spill_count: 0
    .symbol:         _ZN7rocprim17ROCPRIM_400000_NS6detail17trampoline_kernelINS0_14default_configENS1_25partition_config_selectorILNS1_17partition_subalgoE8EbNS0_10empty_typeEbEEZZNS1_14partition_implILS5_8ELb0ES3_jN6hipcub16HIPCUB_304000_NS22TransformInputIteratorIbN2at6native8internal12_GLOBAL__N_110LoadBoolOpEPKhlEEPS6_PKS6_NS0_5tupleIJPbS6_EEENSN_IJSK_SK_EEENS0_18inequality_wrapperINSA_8EqualityEEEPlJS6_EEE10hipError_tPvRmT3_T4_T5_T6_T7_T9_mT8_P12ihipStream_tbDpT10_ENKUlT_T0_E_clISt17integral_constantIbLb1EES1D_IbLb0EEEEDaS19_S1A_EUlS19_E_NS1_11comp_targetILNS1_3genE3ELNS1_11target_archE908ELNS1_3gpuE7ELNS1_3repE0EEENS1_30default_config_static_selectorELNS0_4arch9wavefront6targetE0EEEvT1_.kd
    .uniform_work_group_size: 1
    .uses_dynamic_stack: false
    .vgpr_count:     0
    .vgpr_spill_count: 0
    .wavefront_size: 32
  - .args:
      - .offset:         0
        .size:           120
        .value_kind:     by_value
    .group_segment_fixed_size: 0
    .kernarg_segment_align: 8
    .kernarg_segment_size: 120
    .language:       OpenCL C
    .language_version:
      - 2
      - 0
    .max_flat_workgroup_size: 192
    .name:           _ZN7rocprim17ROCPRIM_400000_NS6detail17trampoline_kernelINS0_14default_configENS1_25partition_config_selectorILNS1_17partition_subalgoE8EbNS0_10empty_typeEbEEZZNS1_14partition_implILS5_8ELb0ES3_jN6hipcub16HIPCUB_304000_NS22TransformInputIteratorIbN2at6native8internal12_GLOBAL__N_110LoadBoolOpEPKhlEEPS6_PKS6_NS0_5tupleIJPbS6_EEENSN_IJSK_SK_EEENS0_18inequality_wrapperINSA_8EqualityEEEPlJS6_EEE10hipError_tPvRmT3_T4_T5_T6_T7_T9_mT8_P12ihipStream_tbDpT10_ENKUlT_T0_E_clISt17integral_constantIbLb1EES1D_IbLb0EEEEDaS19_S1A_EUlS19_E_NS1_11comp_targetILNS1_3genE2ELNS1_11target_archE906ELNS1_3gpuE6ELNS1_3repE0EEENS1_30default_config_static_selectorELNS0_4arch9wavefront6targetE0EEEvT1_
    .private_segment_fixed_size: 0
    .sgpr_count:     0
    .sgpr_spill_count: 0
    .symbol:         _ZN7rocprim17ROCPRIM_400000_NS6detail17trampoline_kernelINS0_14default_configENS1_25partition_config_selectorILNS1_17partition_subalgoE8EbNS0_10empty_typeEbEEZZNS1_14partition_implILS5_8ELb0ES3_jN6hipcub16HIPCUB_304000_NS22TransformInputIteratorIbN2at6native8internal12_GLOBAL__N_110LoadBoolOpEPKhlEEPS6_PKS6_NS0_5tupleIJPbS6_EEENSN_IJSK_SK_EEENS0_18inequality_wrapperINSA_8EqualityEEEPlJS6_EEE10hipError_tPvRmT3_T4_T5_T6_T7_T9_mT8_P12ihipStream_tbDpT10_ENKUlT_T0_E_clISt17integral_constantIbLb1EES1D_IbLb0EEEEDaS19_S1A_EUlS19_E_NS1_11comp_targetILNS1_3genE2ELNS1_11target_archE906ELNS1_3gpuE6ELNS1_3repE0EEENS1_30default_config_static_selectorELNS0_4arch9wavefront6targetE0EEEvT1_.kd
    .uniform_work_group_size: 1
    .uses_dynamic_stack: false
    .vgpr_count:     0
    .vgpr_spill_count: 0
    .wavefront_size: 32
  - .args:
      - .offset:         0
        .size:           120
        .value_kind:     by_value
    .group_segment_fixed_size: 0
    .kernarg_segment_align: 8
    .kernarg_segment_size: 120
    .language:       OpenCL C
    .language_version:
      - 2
      - 0
    .max_flat_workgroup_size: 256
    .name:           _ZN7rocprim17ROCPRIM_400000_NS6detail17trampoline_kernelINS0_14default_configENS1_25partition_config_selectorILNS1_17partition_subalgoE8EbNS0_10empty_typeEbEEZZNS1_14partition_implILS5_8ELb0ES3_jN6hipcub16HIPCUB_304000_NS22TransformInputIteratorIbN2at6native8internal12_GLOBAL__N_110LoadBoolOpEPKhlEEPS6_PKS6_NS0_5tupleIJPbS6_EEENSN_IJSK_SK_EEENS0_18inequality_wrapperINSA_8EqualityEEEPlJS6_EEE10hipError_tPvRmT3_T4_T5_T6_T7_T9_mT8_P12ihipStream_tbDpT10_ENKUlT_T0_E_clISt17integral_constantIbLb1EES1D_IbLb0EEEEDaS19_S1A_EUlS19_E_NS1_11comp_targetILNS1_3genE10ELNS1_11target_archE1200ELNS1_3gpuE4ELNS1_3repE0EEENS1_30default_config_static_selectorELNS0_4arch9wavefront6targetE0EEEvT1_
    .private_segment_fixed_size: 0
    .sgpr_count:     0
    .sgpr_spill_count: 0
    .symbol:         _ZN7rocprim17ROCPRIM_400000_NS6detail17trampoline_kernelINS0_14default_configENS1_25partition_config_selectorILNS1_17partition_subalgoE8EbNS0_10empty_typeEbEEZZNS1_14partition_implILS5_8ELb0ES3_jN6hipcub16HIPCUB_304000_NS22TransformInputIteratorIbN2at6native8internal12_GLOBAL__N_110LoadBoolOpEPKhlEEPS6_PKS6_NS0_5tupleIJPbS6_EEENSN_IJSK_SK_EEENS0_18inequality_wrapperINSA_8EqualityEEEPlJS6_EEE10hipError_tPvRmT3_T4_T5_T6_T7_T9_mT8_P12ihipStream_tbDpT10_ENKUlT_T0_E_clISt17integral_constantIbLb1EES1D_IbLb0EEEEDaS19_S1A_EUlS19_E_NS1_11comp_targetILNS1_3genE10ELNS1_11target_archE1200ELNS1_3gpuE4ELNS1_3repE0EEENS1_30default_config_static_selectorELNS0_4arch9wavefront6targetE0EEEvT1_.kd
    .uniform_work_group_size: 1
    .uses_dynamic_stack: false
    .vgpr_count:     0
    .vgpr_spill_count: 0
    .wavefront_size: 32
  - .args:
      - .offset:         0
        .size:           120
        .value_kind:     by_value
    .group_segment_fixed_size: 0
    .kernarg_segment_align: 8
    .kernarg_segment_size: 120
    .language:       OpenCL C
    .language_version:
      - 2
      - 0
    .max_flat_workgroup_size: 384
    .name:           _ZN7rocprim17ROCPRIM_400000_NS6detail17trampoline_kernelINS0_14default_configENS1_25partition_config_selectorILNS1_17partition_subalgoE8EbNS0_10empty_typeEbEEZZNS1_14partition_implILS5_8ELb0ES3_jN6hipcub16HIPCUB_304000_NS22TransformInputIteratorIbN2at6native8internal12_GLOBAL__N_110LoadBoolOpEPKhlEEPS6_PKS6_NS0_5tupleIJPbS6_EEENSN_IJSK_SK_EEENS0_18inequality_wrapperINSA_8EqualityEEEPlJS6_EEE10hipError_tPvRmT3_T4_T5_T6_T7_T9_mT8_P12ihipStream_tbDpT10_ENKUlT_T0_E_clISt17integral_constantIbLb1EES1D_IbLb0EEEEDaS19_S1A_EUlS19_E_NS1_11comp_targetILNS1_3genE9ELNS1_11target_archE1100ELNS1_3gpuE3ELNS1_3repE0EEENS1_30default_config_static_selectorELNS0_4arch9wavefront6targetE0EEEvT1_
    .private_segment_fixed_size: 0
    .sgpr_count:     0
    .sgpr_spill_count: 0
    .symbol:         _ZN7rocprim17ROCPRIM_400000_NS6detail17trampoline_kernelINS0_14default_configENS1_25partition_config_selectorILNS1_17partition_subalgoE8EbNS0_10empty_typeEbEEZZNS1_14partition_implILS5_8ELb0ES3_jN6hipcub16HIPCUB_304000_NS22TransformInputIteratorIbN2at6native8internal12_GLOBAL__N_110LoadBoolOpEPKhlEEPS6_PKS6_NS0_5tupleIJPbS6_EEENSN_IJSK_SK_EEENS0_18inequality_wrapperINSA_8EqualityEEEPlJS6_EEE10hipError_tPvRmT3_T4_T5_T6_T7_T9_mT8_P12ihipStream_tbDpT10_ENKUlT_T0_E_clISt17integral_constantIbLb1EES1D_IbLb0EEEEDaS19_S1A_EUlS19_E_NS1_11comp_targetILNS1_3genE9ELNS1_11target_archE1100ELNS1_3gpuE3ELNS1_3repE0EEENS1_30default_config_static_selectorELNS0_4arch9wavefront6targetE0EEEvT1_.kd
    .uniform_work_group_size: 1
    .uses_dynamic_stack: false
    .vgpr_count:     0
    .vgpr_spill_count: 0
    .wavefront_size: 32
  - .args:
      - .offset:         0
        .size:           120
        .value_kind:     by_value
    .group_segment_fixed_size: 0
    .kernarg_segment_align: 8
    .kernarg_segment_size: 120
    .language:       OpenCL C
    .language_version:
      - 2
      - 0
    .max_flat_workgroup_size: 384
    .name:           _ZN7rocprim17ROCPRIM_400000_NS6detail17trampoline_kernelINS0_14default_configENS1_25partition_config_selectorILNS1_17partition_subalgoE8EbNS0_10empty_typeEbEEZZNS1_14partition_implILS5_8ELb0ES3_jN6hipcub16HIPCUB_304000_NS22TransformInputIteratorIbN2at6native8internal12_GLOBAL__N_110LoadBoolOpEPKhlEEPS6_PKS6_NS0_5tupleIJPbS6_EEENSN_IJSK_SK_EEENS0_18inequality_wrapperINSA_8EqualityEEEPlJS6_EEE10hipError_tPvRmT3_T4_T5_T6_T7_T9_mT8_P12ihipStream_tbDpT10_ENKUlT_T0_E_clISt17integral_constantIbLb1EES1D_IbLb0EEEEDaS19_S1A_EUlS19_E_NS1_11comp_targetILNS1_3genE8ELNS1_11target_archE1030ELNS1_3gpuE2ELNS1_3repE0EEENS1_30default_config_static_selectorELNS0_4arch9wavefront6targetE0EEEvT1_
    .private_segment_fixed_size: 0
    .sgpr_count:     0
    .sgpr_spill_count: 0
    .symbol:         _ZN7rocprim17ROCPRIM_400000_NS6detail17trampoline_kernelINS0_14default_configENS1_25partition_config_selectorILNS1_17partition_subalgoE8EbNS0_10empty_typeEbEEZZNS1_14partition_implILS5_8ELb0ES3_jN6hipcub16HIPCUB_304000_NS22TransformInputIteratorIbN2at6native8internal12_GLOBAL__N_110LoadBoolOpEPKhlEEPS6_PKS6_NS0_5tupleIJPbS6_EEENSN_IJSK_SK_EEENS0_18inequality_wrapperINSA_8EqualityEEEPlJS6_EEE10hipError_tPvRmT3_T4_T5_T6_T7_T9_mT8_P12ihipStream_tbDpT10_ENKUlT_T0_E_clISt17integral_constantIbLb1EES1D_IbLb0EEEEDaS19_S1A_EUlS19_E_NS1_11comp_targetILNS1_3genE8ELNS1_11target_archE1030ELNS1_3gpuE2ELNS1_3repE0EEENS1_30default_config_static_selectorELNS0_4arch9wavefront6targetE0EEEvT1_.kd
    .uniform_work_group_size: 1
    .uses_dynamic_stack: false
    .vgpr_count:     0
    .vgpr_spill_count: 0
    .wavefront_size: 32
  - .args:
      - .address_space:  global
        .offset:         0
        .size:           8
        .value_kind:     global_buffer
      - .offset:         8
        .size:           4
        .value_kind:     by_value
      - .address_space:  global
        .offset:         16
        .size:           8
        .value_kind:     global_buffer
      - .offset:         24
        .size:           4
        .value_kind:     by_value
      - .address_space:  global
        .offset:         32
        .size:           8
        .value_kind:     global_buffer
      - .offset:         40
        .size:           4
        .value_kind:     hidden_block_count_x
      - .offset:         44
        .size:           4
        .value_kind:     hidden_block_count_y
      - .offset:         48
        .size:           4
        .value_kind:     hidden_block_count_z
      - .offset:         52
        .size:           2
        .value_kind:     hidden_group_size_x
      - .offset:         54
        .size:           2
        .value_kind:     hidden_group_size_y
      - .offset:         56
        .size:           2
        .value_kind:     hidden_group_size_z
      - .offset:         58
        .size:           2
        .value_kind:     hidden_remainder_x
      - .offset:         60
        .size:           2
        .value_kind:     hidden_remainder_y
      - .offset:         62
        .size:           2
        .value_kind:     hidden_remainder_z
      - .offset:         80
        .size:           8
        .value_kind:     hidden_global_offset_x
      - .offset:         88
        .size:           8
        .value_kind:     hidden_global_offset_y
      - .offset:         96
        .size:           8
        .value_kind:     hidden_global_offset_z
      - .offset:         104
        .size:           2
        .value_kind:     hidden_grid_dims
    .group_segment_fixed_size: 0
    .kernarg_segment_align: 8
    .kernarg_segment_size: 296
    .language:       OpenCL C
    .language_version:
      - 2
      - 0
    .max_flat_workgroup_size: 256
    .name:           _ZN7rocprim17ROCPRIM_400000_NS6detail31init_lookback_scan_state_kernelINS1_19lookback_scan_stateIjLb0ELb1EEENS1_16block_id_wrapperIjLb1EEEEEvT_jT0_jPNS7_10value_typeE
    .private_segment_fixed_size: 0
    .sgpr_count:     13
    .sgpr_spill_count: 0
    .symbol:         _ZN7rocprim17ROCPRIM_400000_NS6detail31init_lookback_scan_state_kernelINS1_19lookback_scan_stateIjLb0ELb1EEENS1_16block_id_wrapperIjLb1EEEEEvT_jT0_jPNS7_10value_typeE.kd
    .uniform_work_group_size: 1
    .uses_dynamic_stack: false
    .vgpr_count:     5
    .vgpr_spill_count: 0
    .wavefront_size: 32
  - .args:
      - .offset:         0
        .size:           136
        .value_kind:     by_value
    .group_segment_fixed_size: 7176
    .kernarg_segment_align: 8
    .kernarg_segment_size: 136
    .language:       OpenCL C
    .language_version:
      - 2
      - 0
    .max_flat_workgroup_size: 256
    .name:           _ZN7rocprim17ROCPRIM_400000_NS6detail17trampoline_kernelINS0_14default_configENS1_25partition_config_selectorILNS1_17partition_subalgoE8EbNS0_10empty_typeEbEEZZNS1_14partition_implILS5_8ELb0ES3_jN6hipcub16HIPCUB_304000_NS22TransformInputIteratorIbN2at6native8internal12_GLOBAL__N_110LoadBoolOpEPKhlEEPS6_PKS6_NS0_5tupleIJPbS6_EEENSN_IJSK_SK_EEENS0_18inequality_wrapperINSA_8EqualityEEEPlJS6_EEE10hipError_tPvRmT3_T4_T5_T6_T7_T9_mT8_P12ihipStream_tbDpT10_ENKUlT_T0_E_clISt17integral_constantIbLb0EES1D_IbLb1EEEEDaS19_S1A_EUlS19_E_NS1_11comp_targetILNS1_3genE0ELNS1_11target_archE4294967295ELNS1_3gpuE0ELNS1_3repE0EEENS1_30default_config_static_selectorELNS0_4arch9wavefront6targetE0EEEvT1_
    .private_segment_fixed_size: 0
    .sgpr_count:     51
    .sgpr_spill_count: 0
    .symbol:         _ZN7rocprim17ROCPRIM_400000_NS6detail17trampoline_kernelINS0_14default_configENS1_25partition_config_selectorILNS1_17partition_subalgoE8EbNS0_10empty_typeEbEEZZNS1_14partition_implILS5_8ELb0ES3_jN6hipcub16HIPCUB_304000_NS22TransformInputIteratorIbN2at6native8internal12_GLOBAL__N_110LoadBoolOpEPKhlEEPS6_PKS6_NS0_5tupleIJPbS6_EEENSN_IJSK_SK_EEENS0_18inequality_wrapperINSA_8EqualityEEEPlJS6_EEE10hipError_tPvRmT3_T4_T5_T6_T7_T9_mT8_P12ihipStream_tbDpT10_ENKUlT_T0_E_clISt17integral_constantIbLb0EES1D_IbLb1EEEEDaS19_S1A_EUlS19_E_NS1_11comp_targetILNS1_3genE0ELNS1_11target_archE4294967295ELNS1_3gpuE0ELNS1_3repE0EEENS1_30default_config_static_selectorELNS0_4arch9wavefront6targetE0EEEvT1_.kd
    .uniform_work_group_size: 1
    .uses_dynamic_stack: false
    .vgpr_count:     110
    .vgpr_spill_count: 0
    .wavefront_size: 32
  - .args:
      - .offset:         0
        .size:           136
        .value_kind:     by_value
    .group_segment_fixed_size: 0
    .kernarg_segment_align: 8
    .kernarg_segment_size: 136
    .language:       OpenCL C
    .language_version:
      - 2
      - 0
    .max_flat_workgroup_size: 512
    .name:           _ZN7rocprim17ROCPRIM_400000_NS6detail17trampoline_kernelINS0_14default_configENS1_25partition_config_selectorILNS1_17partition_subalgoE8EbNS0_10empty_typeEbEEZZNS1_14partition_implILS5_8ELb0ES3_jN6hipcub16HIPCUB_304000_NS22TransformInputIteratorIbN2at6native8internal12_GLOBAL__N_110LoadBoolOpEPKhlEEPS6_PKS6_NS0_5tupleIJPbS6_EEENSN_IJSK_SK_EEENS0_18inequality_wrapperINSA_8EqualityEEEPlJS6_EEE10hipError_tPvRmT3_T4_T5_T6_T7_T9_mT8_P12ihipStream_tbDpT10_ENKUlT_T0_E_clISt17integral_constantIbLb0EES1D_IbLb1EEEEDaS19_S1A_EUlS19_E_NS1_11comp_targetILNS1_3genE5ELNS1_11target_archE942ELNS1_3gpuE9ELNS1_3repE0EEENS1_30default_config_static_selectorELNS0_4arch9wavefront6targetE0EEEvT1_
    .private_segment_fixed_size: 0
    .sgpr_count:     0
    .sgpr_spill_count: 0
    .symbol:         _ZN7rocprim17ROCPRIM_400000_NS6detail17trampoline_kernelINS0_14default_configENS1_25partition_config_selectorILNS1_17partition_subalgoE8EbNS0_10empty_typeEbEEZZNS1_14partition_implILS5_8ELb0ES3_jN6hipcub16HIPCUB_304000_NS22TransformInputIteratorIbN2at6native8internal12_GLOBAL__N_110LoadBoolOpEPKhlEEPS6_PKS6_NS0_5tupleIJPbS6_EEENSN_IJSK_SK_EEENS0_18inequality_wrapperINSA_8EqualityEEEPlJS6_EEE10hipError_tPvRmT3_T4_T5_T6_T7_T9_mT8_P12ihipStream_tbDpT10_ENKUlT_T0_E_clISt17integral_constantIbLb0EES1D_IbLb1EEEEDaS19_S1A_EUlS19_E_NS1_11comp_targetILNS1_3genE5ELNS1_11target_archE942ELNS1_3gpuE9ELNS1_3repE0EEENS1_30default_config_static_selectorELNS0_4arch9wavefront6targetE0EEEvT1_.kd
    .uniform_work_group_size: 1
    .uses_dynamic_stack: false
    .vgpr_count:     0
    .vgpr_spill_count: 0
    .wavefront_size: 32
  - .args:
      - .offset:         0
        .size:           136
        .value_kind:     by_value
    .group_segment_fixed_size: 0
    .kernarg_segment_align: 8
    .kernarg_segment_size: 136
    .language:       OpenCL C
    .language_version:
      - 2
      - 0
    .max_flat_workgroup_size: 128
    .name:           _ZN7rocprim17ROCPRIM_400000_NS6detail17trampoline_kernelINS0_14default_configENS1_25partition_config_selectorILNS1_17partition_subalgoE8EbNS0_10empty_typeEbEEZZNS1_14partition_implILS5_8ELb0ES3_jN6hipcub16HIPCUB_304000_NS22TransformInputIteratorIbN2at6native8internal12_GLOBAL__N_110LoadBoolOpEPKhlEEPS6_PKS6_NS0_5tupleIJPbS6_EEENSN_IJSK_SK_EEENS0_18inequality_wrapperINSA_8EqualityEEEPlJS6_EEE10hipError_tPvRmT3_T4_T5_T6_T7_T9_mT8_P12ihipStream_tbDpT10_ENKUlT_T0_E_clISt17integral_constantIbLb0EES1D_IbLb1EEEEDaS19_S1A_EUlS19_E_NS1_11comp_targetILNS1_3genE4ELNS1_11target_archE910ELNS1_3gpuE8ELNS1_3repE0EEENS1_30default_config_static_selectorELNS0_4arch9wavefront6targetE0EEEvT1_
    .private_segment_fixed_size: 0
    .sgpr_count:     0
    .sgpr_spill_count: 0
    .symbol:         _ZN7rocprim17ROCPRIM_400000_NS6detail17trampoline_kernelINS0_14default_configENS1_25partition_config_selectorILNS1_17partition_subalgoE8EbNS0_10empty_typeEbEEZZNS1_14partition_implILS5_8ELb0ES3_jN6hipcub16HIPCUB_304000_NS22TransformInputIteratorIbN2at6native8internal12_GLOBAL__N_110LoadBoolOpEPKhlEEPS6_PKS6_NS0_5tupleIJPbS6_EEENSN_IJSK_SK_EEENS0_18inequality_wrapperINSA_8EqualityEEEPlJS6_EEE10hipError_tPvRmT3_T4_T5_T6_T7_T9_mT8_P12ihipStream_tbDpT10_ENKUlT_T0_E_clISt17integral_constantIbLb0EES1D_IbLb1EEEEDaS19_S1A_EUlS19_E_NS1_11comp_targetILNS1_3genE4ELNS1_11target_archE910ELNS1_3gpuE8ELNS1_3repE0EEENS1_30default_config_static_selectorELNS0_4arch9wavefront6targetE0EEEvT1_.kd
    .uniform_work_group_size: 1
    .uses_dynamic_stack: false
    .vgpr_count:     0
    .vgpr_spill_count: 0
    .wavefront_size: 32
  - .args:
      - .offset:         0
        .size:           136
        .value_kind:     by_value
    .group_segment_fixed_size: 0
    .kernarg_segment_align: 8
    .kernarg_segment_size: 136
    .language:       OpenCL C
    .language_version:
      - 2
      - 0
    .max_flat_workgroup_size: 256
    .name:           _ZN7rocprim17ROCPRIM_400000_NS6detail17trampoline_kernelINS0_14default_configENS1_25partition_config_selectorILNS1_17partition_subalgoE8EbNS0_10empty_typeEbEEZZNS1_14partition_implILS5_8ELb0ES3_jN6hipcub16HIPCUB_304000_NS22TransformInputIteratorIbN2at6native8internal12_GLOBAL__N_110LoadBoolOpEPKhlEEPS6_PKS6_NS0_5tupleIJPbS6_EEENSN_IJSK_SK_EEENS0_18inequality_wrapperINSA_8EqualityEEEPlJS6_EEE10hipError_tPvRmT3_T4_T5_T6_T7_T9_mT8_P12ihipStream_tbDpT10_ENKUlT_T0_E_clISt17integral_constantIbLb0EES1D_IbLb1EEEEDaS19_S1A_EUlS19_E_NS1_11comp_targetILNS1_3genE3ELNS1_11target_archE908ELNS1_3gpuE7ELNS1_3repE0EEENS1_30default_config_static_selectorELNS0_4arch9wavefront6targetE0EEEvT1_
    .private_segment_fixed_size: 0
    .sgpr_count:     0
    .sgpr_spill_count: 0
    .symbol:         _ZN7rocprim17ROCPRIM_400000_NS6detail17trampoline_kernelINS0_14default_configENS1_25partition_config_selectorILNS1_17partition_subalgoE8EbNS0_10empty_typeEbEEZZNS1_14partition_implILS5_8ELb0ES3_jN6hipcub16HIPCUB_304000_NS22TransformInputIteratorIbN2at6native8internal12_GLOBAL__N_110LoadBoolOpEPKhlEEPS6_PKS6_NS0_5tupleIJPbS6_EEENSN_IJSK_SK_EEENS0_18inequality_wrapperINSA_8EqualityEEEPlJS6_EEE10hipError_tPvRmT3_T4_T5_T6_T7_T9_mT8_P12ihipStream_tbDpT10_ENKUlT_T0_E_clISt17integral_constantIbLb0EES1D_IbLb1EEEEDaS19_S1A_EUlS19_E_NS1_11comp_targetILNS1_3genE3ELNS1_11target_archE908ELNS1_3gpuE7ELNS1_3repE0EEENS1_30default_config_static_selectorELNS0_4arch9wavefront6targetE0EEEvT1_.kd
    .uniform_work_group_size: 1
    .uses_dynamic_stack: false
    .vgpr_count:     0
    .vgpr_spill_count: 0
    .wavefront_size: 32
  - .args:
      - .offset:         0
        .size:           136
        .value_kind:     by_value
    .group_segment_fixed_size: 0
    .kernarg_segment_align: 8
    .kernarg_segment_size: 136
    .language:       OpenCL C
    .language_version:
      - 2
      - 0
    .max_flat_workgroup_size: 192
    .name:           _ZN7rocprim17ROCPRIM_400000_NS6detail17trampoline_kernelINS0_14default_configENS1_25partition_config_selectorILNS1_17partition_subalgoE8EbNS0_10empty_typeEbEEZZNS1_14partition_implILS5_8ELb0ES3_jN6hipcub16HIPCUB_304000_NS22TransformInputIteratorIbN2at6native8internal12_GLOBAL__N_110LoadBoolOpEPKhlEEPS6_PKS6_NS0_5tupleIJPbS6_EEENSN_IJSK_SK_EEENS0_18inequality_wrapperINSA_8EqualityEEEPlJS6_EEE10hipError_tPvRmT3_T4_T5_T6_T7_T9_mT8_P12ihipStream_tbDpT10_ENKUlT_T0_E_clISt17integral_constantIbLb0EES1D_IbLb1EEEEDaS19_S1A_EUlS19_E_NS1_11comp_targetILNS1_3genE2ELNS1_11target_archE906ELNS1_3gpuE6ELNS1_3repE0EEENS1_30default_config_static_selectorELNS0_4arch9wavefront6targetE0EEEvT1_
    .private_segment_fixed_size: 0
    .sgpr_count:     0
    .sgpr_spill_count: 0
    .symbol:         _ZN7rocprim17ROCPRIM_400000_NS6detail17trampoline_kernelINS0_14default_configENS1_25partition_config_selectorILNS1_17partition_subalgoE8EbNS0_10empty_typeEbEEZZNS1_14partition_implILS5_8ELb0ES3_jN6hipcub16HIPCUB_304000_NS22TransformInputIteratorIbN2at6native8internal12_GLOBAL__N_110LoadBoolOpEPKhlEEPS6_PKS6_NS0_5tupleIJPbS6_EEENSN_IJSK_SK_EEENS0_18inequality_wrapperINSA_8EqualityEEEPlJS6_EEE10hipError_tPvRmT3_T4_T5_T6_T7_T9_mT8_P12ihipStream_tbDpT10_ENKUlT_T0_E_clISt17integral_constantIbLb0EES1D_IbLb1EEEEDaS19_S1A_EUlS19_E_NS1_11comp_targetILNS1_3genE2ELNS1_11target_archE906ELNS1_3gpuE6ELNS1_3repE0EEENS1_30default_config_static_selectorELNS0_4arch9wavefront6targetE0EEEvT1_.kd
    .uniform_work_group_size: 1
    .uses_dynamic_stack: false
    .vgpr_count:     0
    .vgpr_spill_count: 0
    .wavefront_size: 32
  - .args:
      - .offset:         0
        .size:           136
        .value_kind:     by_value
    .group_segment_fixed_size: 0
    .kernarg_segment_align: 8
    .kernarg_segment_size: 136
    .language:       OpenCL C
    .language_version:
      - 2
      - 0
    .max_flat_workgroup_size: 256
    .name:           _ZN7rocprim17ROCPRIM_400000_NS6detail17trampoline_kernelINS0_14default_configENS1_25partition_config_selectorILNS1_17partition_subalgoE8EbNS0_10empty_typeEbEEZZNS1_14partition_implILS5_8ELb0ES3_jN6hipcub16HIPCUB_304000_NS22TransformInputIteratorIbN2at6native8internal12_GLOBAL__N_110LoadBoolOpEPKhlEEPS6_PKS6_NS0_5tupleIJPbS6_EEENSN_IJSK_SK_EEENS0_18inequality_wrapperINSA_8EqualityEEEPlJS6_EEE10hipError_tPvRmT3_T4_T5_T6_T7_T9_mT8_P12ihipStream_tbDpT10_ENKUlT_T0_E_clISt17integral_constantIbLb0EES1D_IbLb1EEEEDaS19_S1A_EUlS19_E_NS1_11comp_targetILNS1_3genE10ELNS1_11target_archE1200ELNS1_3gpuE4ELNS1_3repE0EEENS1_30default_config_static_selectorELNS0_4arch9wavefront6targetE0EEEvT1_
    .private_segment_fixed_size: 0
    .sgpr_count:     0
    .sgpr_spill_count: 0
    .symbol:         _ZN7rocprim17ROCPRIM_400000_NS6detail17trampoline_kernelINS0_14default_configENS1_25partition_config_selectorILNS1_17partition_subalgoE8EbNS0_10empty_typeEbEEZZNS1_14partition_implILS5_8ELb0ES3_jN6hipcub16HIPCUB_304000_NS22TransformInputIteratorIbN2at6native8internal12_GLOBAL__N_110LoadBoolOpEPKhlEEPS6_PKS6_NS0_5tupleIJPbS6_EEENSN_IJSK_SK_EEENS0_18inequality_wrapperINSA_8EqualityEEEPlJS6_EEE10hipError_tPvRmT3_T4_T5_T6_T7_T9_mT8_P12ihipStream_tbDpT10_ENKUlT_T0_E_clISt17integral_constantIbLb0EES1D_IbLb1EEEEDaS19_S1A_EUlS19_E_NS1_11comp_targetILNS1_3genE10ELNS1_11target_archE1200ELNS1_3gpuE4ELNS1_3repE0EEENS1_30default_config_static_selectorELNS0_4arch9wavefront6targetE0EEEvT1_.kd
    .uniform_work_group_size: 1
    .uses_dynamic_stack: false
    .vgpr_count:     0
    .vgpr_spill_count: 0
    .wavefront_size: 32
  - .args:
      - .offset:         0
        .size:           136
        .value_kind:     by_value
    .group_segment_fixed_size: 0
    .kernarg_segment_align: 8
    .kernarg_segment_size: 136
    .language:       OpenCL C
    .language_version:
      - 2
      - 0
    .max_flat_workgroup_size: 384
    .name:           _ZN7rocprim17ROCPRIM_400000_NS6detail17trampoline_kernelINS0_14default_configENS1_25partition_config_selectorILNS1_17partition_subalgoE8EbNS0_10empty_typeEbEEZZNS1_14partition_implILS5_8ELb0ES3_jN6hipcub16HIPCUB_304000_NS22TransformInputIteratorIbN2at6native8internal12_GLOBAL__N_110LoadBoolOpEPKhlEEPS6_PKS6_NS0_5tupleIJPbS6_EEENSN_IJSK_SK_EEENS0_18inequality_wrapperINSA_8EqualityEEEPlJS6_EEE10hipError_tPvRmT3_T4_T5_T6_T7_T9_mT8_P12ihipStream_tbDpT10_ENKUlT_T0_E_clISt17integral_constantIbLb0EES1D_IbLb1EEEEDaS19_S1A_EUlS19_E_NS1_11comp_targetILNS1_3genE9ELNS1_11target_archE1100ELNS1_3gpuE3ELNS1_3repE0EEENS1_30default_config_static_selectorELNS0_4arch9wavefront6targetE0EEEvT1_
    .private_segment_fixed_size: 0
    .sgpr_count:     0
    .sgpr_spill_count: 0
    .symbol:         _ZN7rocprim17ROCPRIM_400000_NS6detail17trampoline_kernelINS0_14default_configENS1_25partition_config_selectorILNS1_17partition_subalgoE8EbNS0_10empty_typeEbEEZZNS1_14partition_implILS5_8ELb0ES3_jN6hipcub16HIPCUB_304000_NS22TransformInputIteratorIbN2at6native8internal12_GLOBAL__N_110LoadBoolOpEPKhlEEPS6_PKS6_NS0_5tupleIJPbS6_EEENSN_IJSK_SK_EEENS0_18inequality_wrapperINSA_8EqualityEEEPlJS6_EEE10hipError_tPvRmT3_T4_T5_T6_T7_T9_mT8_P12ihipStream_tbDpT10_ENKUlT_T0_E_clISt17integral_constantIbLb0EES1D_IbLb1EEEEDaS19_S1A_EUlS19_E_NS1_11comp_targetILNS1_3genE9ELNS1_11target_archE1100ELNS1_3gpuE3ELNS1_3repE0EEENS1_30default_config_static_selectorELNS0_4arch9wavefront6targetE0EEEvT1_.kd
    .uniform_work_group_size: 1
    .uses_dynamic_stack: false
    .vgpr_count:     0
    .vgpr_spill_count: 0
    .wavefront_size: 32
  - .args:
      - .offset:         0
        .size:           136
        .value_kind:     by_value
    .group_segment_fixed_size: 0
    .kernarg_segment_align: 8
    .kernarg_segment_size: 136
    .language:       OpenCL C
    .language_version:
      - 2
      - 0
    .max_flat_workgroup_size: 384
    .name:           _ZN7rocprim17ROCPRIM_400000_NS6detail17trampoline_kernelINS0_14default_configENS1_25partition_config_selectorILNS1_17partition_subalgoE8EbNS0_10empty_typeEbEEZZNS1_14partition_implILS5_8ELb0ES3_jN6hipcub16HIPCUB_304000_NS22TransformInputIteratorIbN2at6native8internal12_GLOBAL__N_110LoadBoolOpEPKhlEEPS6_PKS6_NS0_5tupleIJPbS6_EEENSN_IJSK_SK_EEENS0_18inequality_wrapperINSA_8EqualityEEEPlJS6_EEE10hipError_tPvRmT3_T4_T5_T6_T7_T9_mT8_P12ihipStream_tbDpT10_ENKUlT_T0_E_clISt17integral_constantIbLb0EES1D_IbLb1EEEEDaS19_S1A_EUlS19_E_NS1_11comp_targetILNS1_3genE8ELNS1_11target_archE1030ELNS1_3gpuE2ELNS1_3repE0EEENS1_30default_config_static_selectorELNS0_4arch9wavefront6targetE0EEEvT1_
    .private_segment_fixed_size: 0
    .sgpr_count:     0
    .sgpr_spill_count: 0
    .symbol:         _ZN7rocprim17ROCPRIM_400000_NS6detail17trampoline_kernelINS0_14default_configENS1_25partition_config_selectorILNS1_17partition_subalgoE8EbNS0_10empty_typeEbEEZZNS1_14partition_implILS5_8ELb0ES3_jN6hipcub16HIPCUB_304000_NS22TransformInputIteratorIbN2at6native8internal12_GLOBAL__N_110LoadBoolOpEPKhlEEPS6_PKS6_NS0_5tupleIJPbS6_EEENSN_IJSK_SK_EEENS0_18inequality_wrapperINSA_8EqualityEEEPlJS6_EEE10hipError_tPvRmT3_T4_T5_T6_T7_T9_mT8_P12ihipStream_tbDpT10_ENKUlT_T0_E_clISt17integral_constantIbLb0EES1D_IbLb1EEEEDaS19_S1A_EUlS19_E_NS1_11comp_targetILNS1_3genE8ELNS1_11target_archE1030ELNS1_3gpuE2ELNS1_3repE0EEENS1_30default_config_static_selectorELNS0_4arch9wavefront6targetE0EEEvT1_.kd
    .uniform_work_group_size: 1
    .uses_dynamic_stack: false
    .vgpr_count:     0
    .vgpr_spill_count: 0
    .wavefront_size: 32
  - .args:
      - .offset:         0
        .size:           48
        .value_kind:     by_value
      - .offset:         48
        .size:           4
        .value_kind:     hidden_block_count_x
      - .offset:         52
        .size:           4
        .value_kind:     hidden_block_count_y
      - .offset:         56
        .size:           4
        .value_kind:     hidden_block_count_z
      - .offset:         60
        .size:           2
        .value_kind:     hidden_group_size_x
      - .offset:         62
        .size:           2
        .value_kind:     hidden_group_size_y
      - .offset:         64
        .size:           2
        .value_kind:     hidden_group_size_z
      - .offset:         66
        .size:           2
        .value_kind:     hidden_remainder_x
      - .offset:         68
        .size:           2
        .value_kind:     hidden_remainder_y
      - .offset:         70
        .size:           2
        .value_kind:     hidden_remainder_z
      - .offset:         88
        .size:           8
        .value_kind:     hidden_global_offset_x
      - .offset:         96
        .size:           8
        .value_kind:     hidden_global_offset_y
      - .offset:         104
        .size:           8
        .value_kind:     hidden_global_offset_z
      - .offset:         112
        .size:           2
        .value_kind:     hidden_grid_dims
    .group_segment_fixed_size: 0
    .kernarg_segment_align: 8
    .kernarg_segment_size: 304
    .language:       OpenCL C
    .language_version:
      - 2
      - 0
    .max_flat_workgroup_size: 128
    .name:           _ZN7rocprim17ROCPRIM_400000_NS6detail17trampoline_kernelINS0_14default_configENS1_25transform_config_selectorImLb0EEEZNS1_14transform_implILb0ES3_S5_NS0_17constant_iteratorImlEEPlNS0_8identityImEEEE10hipError_tT2_T3_mT4_P12ihipStream_tbEUlT_E_NS1_11comp_targetILNS1_3genE0ELNS1_11target_archE4294967295ELNS1_3gpuE0ELNS1_3repE0EEENS1_30default_config_static_selectorELNS0_4arch9wavefront6targetE0EEEvT1_
    .private_segment_fixed_size: 0
    .sgpr_count:     12
    .sgpr_spill_count: 0
    .symbol:         _ZN7rocprim17ROCPRIM_400000_NS6detail17trampoline_kernelINS0_14default_configENS1_25transform_config_selectorImLb0EEEZNS1_14transform_implILb0ES3_S5_NS0_17constant_iteratorImlEEPlNS0_8identityImEEEE10hipError_tT2_T3_mT4_P12ihipStream_tbEUlT_E_NS1_11comp_targetILNS1_3genE0ELNS1_11target_archE4294967295ELNS1_3gpuE0ELNS1_3repE0EEENS1_30default_config_static_selectorELNS0_4arch9wavefront6targetE0EEEvT1_.kd
    .uniform_work_group_size: 1
    .uses_dynamic_stack: false
    .vgpr_count:     4
    .vgpr_spill_count: 0
    .wavefront_size: 32
  - .args:
      - .offset:         0
        .size:           48
        .value_kind:     by_value
    .group_segment_fixed_size: 0
    .kernarg_segment_align: 8
    .kernarg_segment_size: 48
    .language:       OpenCL C
    .language_version:
      - 2
      - 0
    .max_flat_workgroup_size: 512
    .name:           _ZN7rocprim17ROCPRIM_400000_NS6detail17trampoline_kernelINS0_14default_configENS1_25transform_config_selectorImLb0EEEZNS1_14transform_implILb0ES3_S5_NS0_17constant_iteratorImlEEPlNS0_8identityImEEEE10hipError_tT2_T3_mT4_P12ihipStream_tbEUlT_E_NS1_11comp_targetILNS1_3genE5ELNS1_11target_archE942ELNS1_3gpuE9ELNS1_3repE0EEENS1_30default_config_static_selectorELNS0_4arch9wavefront6targetE0EEEvT1_
    .private_segment_fixed_size: 0
    .sgpr_count:     0
    .sgpr_spill_count: 0
    .symbol:         _ZN7rocprim17ROCPRIM_400000_NS6detail17trampoline_kernelINS0_14default_configENS1_25transform_config_selectorImLb0EEEZNS1_14transform_implILb0ES3_S5_NS0_17constant_iteratorImlEEPlNS0_8identityImEEEE10hipError_tT2_T3_mT4_P12ihipStream_tbEUlT_E_NS1_11comp_targetILNS1_3genE5ELNS1_11target_archE942ELNS1_3gpuE9ELNS1_3repE0EEENS1_30default_config_static_selectorELNS0_4arch9wavefront6targetE0EEEvT1_.kd
    .uniform_work_group_size: 1
    .uses_dynamic_stack: false
    .vgpr_count:     0
    .vgpr_spill_count: 0
    .wavefront_size: 32
  - .args:
      - .offset:         0
        .size:           48
        .value_kind:     by_value
    .group_segment_fixed_size: 0
    .kernarg_segment_align: 8
    .kernarg_segment_size: 48
    .language:       OpenCL C
    .language_version:
      - 2
      - 0
    .max_flat_workgroup_size: 256
    .name:           _ZN7rocprim17ROCPRIM_400000_NS6detail17trampoline_kernelINS0_14default_configENS1_25transform_config_selectorImLb0EEEZNS1_14transform_implILb0ES3_S5_NS0_17constant_iteratorImlEEPlNS0_8identityImEEEE10hipError_tT2_T3_mT4_P12ihipStream_tbEUlT_E_NS1_11comp_targetILNS1_3genE4ELNS1_11target_archE910ELNS1_3gpuE8ELNS1_3repE0EEENS1_30default_config_static_selectorELNS0_4arch9wavefront6targetE0EEEvT1_
    .private_segment_fixed_size: 0
    .sgpr_count:     0
    .sgpr_spill_count: 0
    .symbol:         _ZN7rocprim17ROCPRIM_400000_NS6detail17trampoline_kernelINS0_14default_configENS1_25transform_config_selectorImLb0EEEZNS1_14transform_implILb0ES3_S5_NS0_17constant_iteratorImlEEPlNS0_8identityImEEEE10hipError_tT2_T3_mT4_P12ihipStream_tbEUlT_E_NS1_11comp_targetILNS1_3genE4ELNS1_11target_archE910ELNS1_3gpuE8ELNS1_3repE0EEENS1_30default_config_static_selectorELNS0_4arch9wavefront6targetE0EEEvT1_.kd
    .uniform_work_group_size: 1
    .uses_dynamic_stack: false
    .vgpr_count:     0
    .vgpr_spill_count: 0
    .wavefront_size: 32
  - .args:
      - .offset:         0
        .size:           48
        .value_kind:     by_value
    .group_segment_fixed_size: 0
    .kernarg_segment_align: 8
    .kernarg_segment_size: 48
    .language:       OpenCL C
    .language_version:
      - 2
      - 0
    .max_flat_workgroup_size: 128
    .name:           _ZN7rocprim17ROCPRIM_400000_NS6detail17trampoline_kernelINS0_14default_configENS1_25transform_config_selectorImLb0EEEZNS1_14transform_implILb0ES3_S5_NS0_17constant_iteratorImlEEPlNS0_8identityImEEEE10hipError_tT2_T3_mT4_P12ihipStream_tbEUlT_E_NS1_11comp_targetILNS1_3genE3ELNS1_11target_archE908ELNS1_3gpuE7ELNS1_3repE0EEENS1_30default_config_static_selectorELNS0_4arch9wavefront6targetE0EEEvT1_
    .private_segment_fixed_size: 0
    .sgpr_count:     0
    .sgpr_spill_count: 0
    .symbol:         _ZN7rocprim17ROCPRIM_400000_NS6detail17trampoline_kernelINS0_14default_configENS1_25transform_config_selectorImLb0EEEZNS1_14transform_implILb0ES3_S5_NS0_17constant_iteratorImlEEPlNS0_8identityImEEEE10hipError_tT2_T3_mT4_P12ihipStream_tbEUlT_E_NS1_11comp_targetILNS1_3genE3ELNS1_11target_archE908ELNS1_3gpuE7ELNS1_3repE0EEENS1_30default_config_static_selectorELNS0_4arch9wavefront6targetE0EEEvT1_.kd
    .uniform_work_group_size: 1
    .uses_dynamic_stack: false
    .vgpr_count:     0
    .vgpr_spill_count: 0
    .wavefront_size: 32
  - .args:
      - .offset:         0
        .size:           48
        .value_kind:     by_value
    .group_segment_fixed_size: 0
    .kernarg_segment_align: 8
    .kernarg_segment_size: 48
    .language:       OpenCL C
    .language_version:
      - 2
      - 0
    .max_flat_workgroup_size: 512
    .name:           _ZN7rocprim17ROCPRIM_400000_NS6detail17trampoline_kernelINS0_14default_configENS1_25transform_config_selectorImLb0EEEZNS1_14transform_implILb0ES3_S5_NS0_17constant_iteratorImlEEPlNS0_8identityImEEEE10hipError_tT2_T3_mT4_P12ihipStream_tbEUlT_E_NS1_11comp_targetILNS1_3genE2ELNS1_11target_archE906ELNS1_3gpuE6ELNS1_3repE0EEENS1_30default_config_static_selectorELNS0_4arch9wavefront6targetE0EEEvT1_
    .private_segment_fixed_size: 0
    .sgpr_count:     0
    .sgpr_spill_count: 0
    .symbol:         _ZN7rocprim17ROCPRIM_400000_NS6detail17trampoline_kernelINS0_14default_configENS1_25transform_config_selectorImLb0EEEZNS1_14transform_implILb0ES3_S5_NS0_17constant_iteratorImlEEPlNS0_8identityImEEEE10hipError_tT2_T3_mT4_P12ihipStream_tbEUlT_E_NS1_11comp_targetILNS1_3genE2ELNS1_11target_archE906ELNS1_3gpuE6ELNS1_3repE0EEENS1_30default_config_static_selectorELNS0_4arch9wavefront6targetE0EEEvT1_.kd
    .uniform_work_group_size: 1
    .uses_dynamic_stack: false
    .vgpr_count:     0
    .vgpr_spill_count: 0
    .wavefront_size: 32
  - .args:
      - .offset:         0
        .size:           48
        .value_kind:     by_value
    .group_segment_fixed_size: 0
    .kernarg_segment_align: 8
    .kernarg_segment_size: 48
    .language:       OpenCL C
    .language_version:
      - 2
      - 0
    .max_flat_workgroup_size: 1024
    .name:           _ZN7rocprim17ROCPRIM_400000_NS6detail17trampoline_kernelINS0_14default_configENS1_25transform_config_selectorImLb0EEEZNS1_14transform_implILb0ES3_S5_NS0_17constant_iteratorImlEEPlNS0_8identityImEEEE10hipError_tT2_T3_mT4_P12ihipStream_tbEUlT_E_NS1_11comp_targetILNS1_3genE10ELNS1_11target_archE1201ELNS1_3gpuE5ELNS1_3repE0EEENS1_30default_config_static_selectorELNS0_4arch9wavefront6targetE0EEEvT1_
    .private_segment_fixed_size: 0
    .sgpr_count:     0
    .sgpr_spill_count: 0
    .symbol:         _ZN7rocprim17ROCPRIM_400000_NS6detail17trampoline_kernelINS0_14default_configENS1_25transform_config_selectorImLb0EEEZNS1_14transform_implILb0ES3_S5_NS0_17constant_iteratorImlEEPlNS0_8identityImEEEE10hipError_tT2_T3_mT4_P12ihipStream_tbEUlT_E_NS1_11comp_targetILNS1_3genE10ELNS1_11target_archE1201ELNS1_3gpuE5ELNS1_3repE0EEENS1_30default_config_static_selectorELNS0_4arch9wavefront6targetE0EEEvT1_.kd
    .uniform_work_group_size: 1
    .uses_dynamic_stack: false
    .vgpr_count:     0
    .vgpr_spill_count: 0
    .wavefront_size: 32
  - .args:
      - .offset:         0
        .size:           48
        .value_kind:     by_value
    .group_segment_fixed_size: 0
    .kernarg_segment_align: 8
    .kernarg_segment_size: 48
    .language:       OpenCL C
    .language_version:
      - 2
      - 0
    .max_flat_workgroup_size: 512
    .name:           _ZN7rocprim17ROCPRIM_400000_NS6detail17trampoline_kernelINS0_14default_configENS1_25transform_config_selectorImLb0EEEZNS1_14transform_implILb0ES3_S5_NS0_17constant_iteratorImlEEPlNS0_8identityImEEEE10hipError_tT2_T3_mT4_P12ihipStream_tbEUlT_E_NS1_11comp_targetILNS1_3genE10ELNS1_11target_archE1200ELNS1_3gpuE4ELNS1_3repE0EEENS1_30default_config_static_selectorELNS0_4arch9wavefront6targetE0EEEvT1_
    .private_segment_fixed_size: 0
    .sgpr_count:     0
    .sgpr_spill_count: 0
    .symbol:         _ZN7rocprim17ROCPRIM_400000_NS6detail17trampoline_kernelINS0_14default_configENS1_25transform_config_selectorImLb0EEEZNS1_14transform_implILb0ES3_S5_NS0_17constant_iteratorImlEEPlNS0_8identityImEEEE10hipError_tT2_T3_mT4_P12ihipStream_tbEUlT_E_NS1_11comp_targetILNS1_3genE10ELNS1_11target_archE1200ELNS1_3gpuE4ELNS1_3repE0EEENS1_30default_config_static_selectorELNS0_4arch9wavefront6targetE0EEEvT1_.kd
    .uniform_work_group_size: 1
    .uses_dynamic_stack: false
    .vgpr_count:     0
    .vgpr_spill_count: 0
    .wavefront_size: 32
  - .args:
      - .offset:         0
        .size:           48
        .value_kind:     by_value
    .group_segment_fixed_size: 0
    .kernarg_segment_align: 8
    .kernarg_segment_size: 48
    .language:       OpenCL C
    .language_version:
      - 2
      - 0
    .max_flat_workgroup_size: 512
    .name:           _ZN7rocprim17ROCPRIM_400000_NS6detail17trampoline_kernelINS0_14default_configENS1_25transform_config_selectorImLb0EEEZNS1_14transform_implILb0ES3_S5_NS0_17constant_iteratorImlEEPlNS0_8identityImEEEE10hipError_tT2_T3_mT4_P12ihipStream_tbEUlT_E_NS1_11comp_targetILNS1_3genE9ELNS1_11target_archE1100ELNS1_3gpuE3ELNS1_3repE0EEENS1_30default_config_static_selectorELNS0_4arch9wavefront6targetE0EEEvT1_
    .private_segment_fixed_size: 0
    .sgpr_count:     0
    .sgpr_spill_count: 0
    .symbol:         _ZN7rocprim17ROCPRIM_400000_NS6detail17trampoline_kernelINS0_14default_configENS1_25transform_config_selectorImLb0EEEZNS1_14transform_implILb0ES3_S5_NS0_17constant_iteratorImlEEPlNS0_8identityImEEEE10hipError_tT2_T3_mT4_P12ihipStream_tbEUlT_E_NS1_11comp_targetILNS1_3genE9ELNS1_11target_archE1100ELNS1_3gpuE3ELNS1_3repE0EEENS1_30default_config_static_selectorELNS0_4arch9wavefront6targetE0EEEvT1_.kd
    .uniform_work_group_size: 1
    .uses_dynamic_stack: false
    .vgpr_count:     0
    .vgpr_spill_count: 0
    .wavefront_size: 32
  - .args:
      - .offset:         0
        .size:           48
        .value_kind:     by_value
    .group_segment_fixed_size: 0
    .kernarg_segment_align: 8
    .kernarg_segment_size: 48
    .language:       OpenCL C
    .language_version:
      - 2
      - 0
    .max_flat_workgroup_size: 512
    .name:           _ZN7rocprim17ROCPRIM_400000_NS6detail17trampoline_kernelINS0_14default_configENS1_25transform_config_selectorImLb0EEEZNS1_14transform_implILb0ES3_S5_NS0_17constant_iteratorImlEEPlNS0_8identityImEEEE10hipError_tT2_T3_mT4_P12ihipStream_tbEUlT_E_NS1_11comp_targetILNS1_3genE8ELNS1_11target_archE1030ELNS1_3gpuE2ELNS1_3repE0EEENS1_30default_config_static_selectorELNS0_4arch9wavefront6targetE0EEEvT1_
    .private_segment_fixed_size: 0
    .sgpr_count:     0
    .sgpr_spill_count: 0
    .symbol:         _ZN7rocprim17ROCPRIM_400000_NS6detail17trampoline_kernelINS0_14default_configENS1_25transform_config_selectorImLb0EEEZNS1_14transform_implILb0ES3_S5_NS0_17constant_iteratorImlEEPlNS0_8identityImEEEE10hipError_tT2_T3_mT4_P12ihipStream_tbEUlT_E_NS1_11comp_targetILNS1_3genE8ELNS1_11target_archE1030ELNS1_3gpuE2ELNS1_3repE0EEENS1_30default_config_static_selectorELNS0_4arch9wavefront6targetE0EEEvT1_.kd
    .uniform_work_group_size: 1
    .uses_dynamic_stack: false
    .vgpr_count:     0
    .vgpr_spill_count: 0
    .wavefront_size: 32
  - .args:
      - .address_space:  global
        .offset:         0
        .size:           8
        .value_kind:     global_buffer
      - .offset:         8
        .size:           4
        .value_kind:     by_value
      - .offset:         12
        .size:           1
        .value_kind:     by_value
      - .offset:         16
        .size:           4
        .value_kind:     by_value
      - .address_space:  global
        .offset:         24
        .size:           8
        .value_kind:     global_buffer
      - .address_space:  global
        .offset:         32
        .size:           8
        .value_kind:     global_buffer
      - .offset:         40
        .size:           1
        .value_kind:     by_value
      - .offset:         48
        .size:           4
        .value_kind:     hidden_block_count_x
      - .offset:         52
        .size:           4
        .value_kind:     hidden_block_count_y
      - .offset:         56
        .size:           4
        .value_kind:     hidden_block_count_z
      - .offset:         60
        .size:           2
        .value_kind:     hidden_group_size_x
      - .offset:         62
        .size:           2
        .value_kind:     hidden_group_size_y
      - .offset:         64
        .size:           2
        .value_kind:     hidden_group_size_z
      - .offset:         66
        .size:           2
        .value_kind:     hidden_remainder_x
      - .offset:         68
        .size:           2
        .value_kind:     hidden_remainder_y
      - .offset:         70
        .size:           2
        .value_kind:     hidden_remainder_z
      - .offset:         88
        .size:           8
        .value_kind:     hidden_global_offset_x
      - .offset:         96
        .size:           8
        .value_kind:     hidden_global_offset_y
      - .offset:         104
        .size:           8
        .value_kind:     hidden_global_offset_z
      - .offset:         112
        .size:           2
        .value_kind:     hidden_grid_dims
    .group_segment_fixed_size: 0
    .kernarg_segment_align: 8
    .kernarg_segment_size: 304
    .language:       OpenCL C
    .language_version:
      - 2
      - 0
    .max_flat_workgroup_size: 256
    .name:           _ZN7rocprim17ROCPRIM_400000_NS6detail25reduce_by_key_init_kernelINS1_19lookback_scan_stateINS0_5tupleIJjjEEELb0ELb1EEEjNS1_16block_id_wrapperIjLb0EEEEEvT_jbjPmPT0_T1_
    .private_segment_fixed_size: 0
    .sgpr_count:     15
    .sgpr_spill_count: 0
    .symbol:         _ZN7rocprim17ROCPRIM_400000_NS6detail25reduce_by_key_init_kernelINS1_19lookback_scan_stateINS0_5tupleIJjjEEELb0ELb1EEEjNS1_16block_id_wrapperIjLb0EEEEEvT_jbjPmPT0_T1_.kd
    .uniform_work_group_size: 1
    .uses_dynamic_stack: false
    .vgpr_count:     9
    .vgpr_spill_count: 0
    .wavefront_size: 32
  - .args:
      - .offset:         0
        .size:           136
        .value_kind:     by_value
    .group_segment_fixed_size: 14336
    .kernarg_segment_align: 8
    .kernarg_segment_size: 136
    .language:       OpenCL C
    .language_version:
      - 2
      - 0
    .max_flat_workgroup_size: 256
    .name:           _ZN7rocprim17ROCPRIM_400000_NS6detail17trampoline_kernelINS0_14default_configENS1_33run_length_encode_config_selectorIbjNS0_4plusIjEEEEZZNS1_33reduce_by_key_impl_wrapped_configILNS1_25lookback_scan_determinismE0ES3_S7_N6hipcub16HIPCUB_304000_NS22TransformInputIteratorIbN2at6native8internal12_GLOBAL__N_110LoadBoolOpEPKhlEENS0_17constant_iteratorIjlEEPbPlSO_S6_NS0_8equal_toIbEEEE10hipError_tPvRmT2_T3_mT4_T5_T6_T7_T8_P12ihipStream_tbENKUlT_T0_E_clISt17integral_constantIbLb0EES18_EEDaS13_S14_EUlS13_E_NS1_11comp_targetILNS1_3genE0ELNS1_11target_archE4294967295ELNS1_3gpuE0ELNS1_3repE0EEENS1_30default_config_static_selectorELNS0_4arch9wavefront6targetE0EEEvT1_
    .private_segment_fixed_size: 0
    .sgpr_count:     41
    .sgpr_spill_count: 0
    .symbol:         _ZN7rocprim17ROCPRIM_400000_NS6detail17trampoline_kernelINS0_14default_configENS1_33run_length_encode_config_selectorIbjNS0_4plusIjEEEEZZNS1_33reduce_by_key_impl_wrapped_configILNS1_25lookback_scan_determinismE0ES3_S7_N6hipcub16HIPCUB_304000_NS22TransformInputIteratorIbN2at6native8internal12_GLOBAL__N_110LoadBoolOpEPKhlEENS0_17constant_iteratorIjlEEPbPlSO_S6_NS0_8equal_toIbEEEE10hipError_tPvRmT2_T3_mT4_T5_T6_T7_T8_P12ihipStream_tbENKUlT_T0_E_clISt17integral_constantIbLb0EES18_EEDaS13_S14_EUlS13_E_NS1_11comp_targetILNS1_3genE0ELNS1_11target_archE4294967295ELNS1_3gpuE0ELNS1_3repE0EEENS1_30default_config_static_selectorELNS0_4arch9wavefront6targetE0EEEvT1_.kd
    .uniform_work_group_size: 1
    .uses_dynamic_stack: false
    .vgpr_count:     104
    .vgpr_spill_count: 0
    .wavefront_size: 32
  - .args:
      - .offset:         0
        .size:           136
        .value_kind:     by_value
    .group_segment_fixed_size: 0
    .kernarg_segment_align: 8
    .kernarg_segment_size: 136
    .language:       OpenCL C
    .language_version:
      - 2
      - 0
    .max_flat_workgroup_size: 512
    .name:           _ZN7rocprim17ROCPRIM_400000_NS6detail17trampoline_kernelINS0_14default_configENS1_33run_length_encode_config_selectorIbjNS0_4plusIjEEEEZZNS1_33reduce_by_key_impl_wrapped_configILNS1_25lookback_scan_determinismE0ES3_S7_N6hipcub16HIPCUB_304000_NS22TransformInputIteratorIbN2at6native8internal12_GLOBAL__N_110LoadBoolOpEPKhlEENS0_17constant_iteratorIjlEEPbPlSO_S6_NS0_8equal_toIbEEEE10hipError_tPvRmT2_T3_mT4_T5_T6_T7_T8_P12ihipStream_tbENKUlT_T0_E_clISt17integral_constantIbLb0EES18_EEDaS13_S14_EUlS13_E_NS1_11comp_targetILNS1_3genE5ELNS1_11target_archE942ELNS1_3gpuE9ELNS1_3repE0EEENS1_30default_config_static_selectorELNS0_4arch9wavefront6targetE0EEEvT1_
    .private_segment_fixed_size: 0
    .sgpr_count:     0
    .sgpr_spill_count: 0
    .symbol:         _ZN7rocprim17ROCPRIM_400000_NS6detail17trampoline_kernelINS0_14default_configENS1_33run_length_encode_config_selectorIbjNS0_4plusIjEEEEZZNS1_33reduce_by_key_impl_wrapped_configILNS1_25lookback_scan_determinismE0ES3_S7_N6hipcub16HIPCUB_304000_NS22TransformInputIteratorIbN2at6native8internal12_GLOBAL__N_110LoadBoolOpEPKhlEENS0_17constant_iteratorIjlEEPbPlSO_S6_NS0_8equal_toIbEEEE10hipError_tPvRmT2_T3_mT4_T5_T6_T7_T8_P12ihipStream_tbENKUlT_T0_E_clISt17integral_constantIbLb0EES18_EEDaS13_S14_EUlS13_E_NS1_11comp_targetILNS1_3genE5ELNS1_11target_archE942ELNS1_3gpuE9ELNS1_3repE0EEENS1_30default_config_static_selectorELNS0_4arch9wavefront6targetE0EEEvT1_.kd
    .uniform_work_group_size: 1
    .uses_dynamic_stack: false
    .vgpr_count:     0
    .vgpr_spill_count: 0
    .wavefront_size: 32
  - .args:
      - .offset:         0
        .size:           136
        .value_kind:     by_value
    .group_segment_fixed_size: 0
    .kernarg_segment_align: 8
    .kernarg_segment_size: 136
    .language:       OpenCL C
    .language_version:
      - 2
      - 0
    .max_flat_workgroup_size: 256
    .name:           _ZN7rocprim17ROCPRIM_400000_NS6detail17trampoline_kernelINS0_14default_configENS1_33run_length_encode_config_selectorIbjNS0_4plusIjEEEEZZNS1_33reduce_by_key_impl_wrapped_configILNS1_25lookback_scan_determinismE0ES3_S7_N6hipcub16HIPCUB_304000_NS22TransformInputIteratorIbN2at6native8internal12_GLOBAL__N_110LoadBoolOpEPKhlEENS0_17constant_iteratorIjlEEPbPlSO_S6_NS0_8equal_toIbEEEE10hipError_tPvRmT2_T3_mT4_T5_T6_T7_T8_P12ihipStream_tbENKUlT_T0_E_clISt17integral_constantIbLb0EES18_EEDaS13_S14_EUlS13_E_NS1_11comp_targetILNS1_3genE4ELNS1_11target_archE910ELNS1_3gpuE8ELNS1_3repE0EEENS1_30default_config_static_selectorELNS0_4arch9wavefront6targetE0EEEvT1_
    .private_segment_fixed_size: 0
    .sgpr_count:     0
    .sgpr_spill_count: 0
    .symbol:         _ZN7rocprim17ROCPRIM_400000_NS6detail17trampoline_kernelINS0_14default_configENS1_33run_length_encode_config_selectorIbjNS0_4plusIjEEEEZZNS1_33reduce_by_key_impl_wrapped_configILNS1_25lookback_scan_determinismE0ES3_S7_N6hipcub16HIPCUB_304000_NS22TransformInputIteratorIbN2at6native8internal12_GLOBAL__N_110LoadBoolOpEPKhlEENS0_17constant_iteratorIjlEEPbPlSO_S6_NS0_8equal_toIbEEEE10hipError_tPvRmT2_T3_mT4_T5_T6_T7_T8_P12ihipStream_tbENKUlT_T0_E_clISt17integral_constantIbLb0EES18_EEDaS13_S14_EUlS13_E_NS1_11comp_targetILNS1_3genE4ELNS1_11target_archE910ELNS1_3gpuE8ELNS1_3repE0EEENS1_30default_config_static_selectorELNS0_4arch9wavefront6targetE0EEEvT1_.kd
    .uniform_work_group_size: 1
    .uses_dynamic_stack: false
    .vgpr_count:     0
    .vgpr_spill_count: 0
    .wavefront_size: 32
  - .args:
      - .offset:         0
        .size:           136
        .value_kind:     by_value
    .group_segment_fixed_size: 0
    .kernarg_segment_align: 8
    .kernarg_segment_size: 136
    .language:       OpenCL C
    .language_version:
      - 2
      - 0
    .max_flat_workgroup_size: 256
    .name:           _ZN7rocprim17ROCPRIM_400000_NS6detail17trampoline_kernelINS0_14default_configENS1_33run_length_encode_config_selectorIbjNS0_4plusIjEEEEZZNS1_33reduce_by_key_impl_wrapped_configILNS1_25lookback_scan_determinismE0ES3_S7_N6hipcub16HIPCUB_304000_NS22TransformInputIteratorIbN2at6native8internal12_GLOBAL__N_110LoadBoolOpEPKhlEENS0_17constant_iteratorIjlEEPbPlSO_S6_NS0_8equal_toIbEEEE10hipError_tPvRmT2_T3_mT4_T5_T6_T7_T8_P12ihipStream_tbENKUlT_T0_E_clISt17integral_constantIbLb0EES18_EEDaS13_S14_EUlS13_E_NS1_11comp_targetILNS1_3genE3ELNS1_11target_archE908ELNS1_3gpuE7ELNS1_3repE0EEENS1_30default_config_static_selectorELNS0_4arch9wavefront6targetE0EEEvT1_
    .private_segment_fixed_size: 0
    .sgpr_count:     0
    .sgpr_spill_count: 0
    .symbol:         _ZN7rocprim17ROCPRIM_400000_NS6detail17trampoline_kernelINS0_14default_configENS1_33run_length_encode_config_selectorIbjNS0_4plusIjEEEEZZNS1_33reduce_by_key_impl_wrapped_configILNS1_25lookback_scan_determinismE0ES3_S7_N6hipcub16HIPCUB_304000_NS22TransformInputIteratorIbN2at6native8internal12_GLOBAL__N_110LoadBoolOpEPKhlEENS0_17constant_iteratorIjlEEPbPlSO_S6_NS0_8equal_toIbEEEE10hipError_tPvRmT2_T3_mT4_T5_T6_T7_T8_P12ihipStream_tbENKUlT_T0_E_clISt17integral_constantIbLb0EES18_EEDaS13_S14_EUlS13_E_NS1_11comp_targetILNS1_3genE3ELNS1_11target_archE908ELNS1_3gpuE7ELNS1_3repE0EEENS1_30default_config_static_selectorELNS0_4arch9wavefront6targetE0EEEvT1_.kd
    .uniform_work_group_size: 1
    .uses_dynamic_stack: false
    .vgpr_count:     0
    .vgpr_spill_count: 0
    .wavefront_size: 32
  - .args:
      - .offset:         0
        .size:           136
        .value_kind:     by_value
    .group_segment_fixed_size: 0
    .kernarg_segment_align: 8
    .kernarg_segment_size: 136
    .language:       OpenCL C
    .language_version:
      - 2
      - 0
    .max_flat_workgroup_size: 256
    .name:           _ZN7rocprim17ROCPRIM_400000_NS6detail17trampoline_kernelINS0_14default_configENS1_33run_length_encode_config_selectorIbjNS0_4plusIjEEEEZZNS1_33reduce_by_key_impl_wrapped_configILNS1_25lookback_scan_determinismE0ES3_S7_N6hipcub16HIPCUB_304000_NS22TransformInputIteratorIbN2at6native8internal12_GLOBAL__N_110LoadBoolOpEPKhlEENS0_17constant_iteratorIjlEEPbPlSO_S6_NS0_8equal_toIbEEEE10hipError_tPvRmT2_T3_mT4_T5_T6_T7_T8_P12ihipStream_tbENKUlT_T0_E_clISt17integral_constantIbLb0EES18_EEDaS13_S14_EUlS13_E_NS1_11comp_targetILNS1_3genE2ELNS1_11target_archE906ELNS1_3gpuE6ELNS1_3repE0EEENS1_30default_config_static_selectorELNS0_4arch9wavefront6targetE0EEEvT1_
    .private_segment_fixed_size: 0
    .sgpr_count:     0
    .sgpr_spill_count: 0
    .symbol:         _ZN7rocprim17ROCPRIM_400000_NS6detail17trampoline_kernelINS0_14default_configENS1_33run_length_encode_config_selectorIbjNS0_4plusIjEEEEZZNS1_33reduce_by_key_impl_wrapped_configILNS1_25lookback_scan_determinismE0ES3_S7_N6hipcub16HIPCUB_304000_NS22TransformInputIteratorIbN2at6native8internal12_GLOBAL__N_110LoadBoolOpEPKhlEENS0_17constant_iteratorIjlEEPbPlSO_S6_NS0_8equal_toIbEEEE10hipError_tPvRmT2_T3_mT4_T5_T6_T7_T8_P12ihipStream_tbENKUlT_T0_E_clISt17integral_constantIbLb0EES18_EEDaS13_S14_EUlS13_E_NS1_11comp_targetILNS1_3genE2ELNS1_11target_archE906ELNS1_3gpuE6ELNS1_3repE0EEENS1_30default_config_static_selectorELNS0_4arch9wavefront6targetE0EEEvT1_.kd
    .uniform_work_group_size: 1
    .uses_dynamic_stack: false
    .vgpr_count:     0
    .vgpr_spill_count: 0
    .wavefront_size: 32
  - .args:
      - .offset:         0
        .size:           136
        .value_kind:     by_value
    .group_segment_fixed_size: 0
    .kernarg_segment_align: 8
    .kernarg_segment_size: 136
    .language:       OpenCL C
    .language_version:
      - 2
      - 0
    .max_flat_workgroup_size: 384
    .name:           _ZN7rocprim17ROCPRIM_400000_NS6detail17trampoline_kernelINS0_14default_configENS1_33run_length_encode_config_selectorIbjNS0_4plusIjEEEEZZNS1_33reduce_by_key_impl_wrapped_configILNS1_25lookback_scan_determinismE0ES3_S7_N6hipcub16HIPCUB_304000_NS22TransformInputIteratorIbN2at6native8internal12_GLOBAL__N_110LoadBoolOpEPKhlEENS0_17constant_iteratorIjlEEPbPlSO_S6_NS0_8equal_toIbEEEE10hipError_tPvRmT2_T3_mT4_T5_T6_T7_T8_P12ihipStream_tbENKUlT_T0_E_clISt17integral_constantIbLb0EES18_EEDaS13_S14_EUlS13_E_NS1_11comp_targetILNS1_3genE10ELNS1_11target_archE1201ELNS1_3gpuE5ELNS1_3repE0EEENS1_30default_config_static_selectorELNS0_4arch9wavefront6targetE0EEEvT1_
    .private_segment_fixed_size: 0
    .sgpr_count:     0
    .sgpr_spill_count: 0
    .symbol:         _ZN7rocprim17ROCPRIM_400000_NS6detail17trampoline_kernelINS0_14default_configENS1_33run_length_encode_config_selectorIbjNS0_4plusIjEEEEZZNS1_33reduce_by_key_impl_wrapped_configILNS1_25lookback_scan_determinismE0ES3_S7_N6hipcub16HIPCUB_304000_NS22TransformInputIteratorIbN2at6native8internal12_GLOBAL__N_110LoadBoolOpEPKhlEENS0_17constant_iteratorIjlEEPbPlSO_S6_NS0_8equal_toIbEEEE10hipError_tPvRmT2_T3_mT4_T5_T6_T7_T8_P12ihipStream_tbENKUlT_T0_E_clISt17integral_constantIbLb0EES18_EEDaS13_S14_EUlS13_E_NS1_11comp_targetILNS1_3genE10ELNS1_11target_archE1201ELNS1_3gpuE5ELNS1_3repE0EEENS1_30default_config_static_selectorELNS0_4arch9wavefront6targetE0EEEvT1_.kd
    .uniform_work_group_size: 1
    .uses_dynamic_stack: false
    .vgpr_count:     0
    .vgpr_spill_count: 0
    .wavefront_size: 32
  - .args:
      - .offset:         0
        .size:           136
        .value_kind:     by_value
    .group_segment_fixed_size: 0
    .kernarg_segment_align: 8
    .kernarg_segment_size: 136
    .language:       OpenCL C
    .language_version:
      - 2
      - 0
    .max_flat_workgroup_size: 384
    .name:           _ZN7rocprim17ROCPRIM_400000_NS6detail17trampoline_kernelINS0_14default_configENS1_33run_length_encode_config_selectorIbjNS0_4plusIjEEEEZZNS1_33reduce_by_key_impl_wrapped_configILNS1_25lookback_scan_determinismE0ES3_S7_N6hipcub16HIPCUB_304000_NS22TransformInputIteratorIbN2at6native8internal12_GLOBAL__N_110LoadBoolOpEPKhlEENS0_17constant_iteratorIjlEEPbPlSO_S6_NS0_8equal_toIbEEEE10hipError_tPvRmT2_T3_mT4_T5_T6_T7_T8_P12ihipStream_tbENKUlT_T0_E_clISt17integral_constantIbLb0EES18_EEDaS13_S14_EUlS13_E_NS1_11comp_targetILNS1_3genE10ELNS1_11target_archE1200ELNS1_3gpuE4ELNS1_3repE0EEENS1_30default_config_static_selectorELNS0_4arch9wavefront6targetE0EEEvT1_
    .private_segment_fixed_size: 0
    .sgpr_count:     0
    .sgpr_spill_count: 0
    .symbol:         _ZN7rocprim17ROCPRIM_400000_NS6detail17trampoline_kernelINS0_14default_configENS1_33run_length_encode_config_selectorIbjNS0_4plusIjEEEEZZNS1_33reduce_by_key_impl_wrapped_configILNS1_25lookback_scan_determinismE0ES3_S7_N6hipcub16HIPCUB_304000_NS22TransformInputIteratorIbN2at6native8internal12_GLOBAL__N_110LoadBoolOpEPKhlEENS0_17constant_iteratorIjlEEPbPlSO_S6_NS0_8equal_toIbEEEE10hipError_tPvRmT2_T3_mT4_T5_T6_T7_T8_P12ihipStream_tbENKUlT_T0_E_clISt17integral_constantIbLb0EES18_EEDaS13_S14_EUlS13_E_NS1_11comp_targetILNS1_3genE10ELNS1_11target_archE1200ELNS1_3gpuE4ELNS1_3repE0EEENS1_30default_config_static_selectorELNS0_4arch9wavefront6targetE0EEEvT1_.kd
    .uniform_work_group_size: 1
    .uses_dynamic_stack: false
    .vgpr_count:     0
    .vgpr_spill_count: 0
    .wavefront_size: 32
  - .args:
      - .offset:         0
        .size:           136
        .value_kind:     by_value
    .group_segment_fixed_size: 0
    .kernarg_segment_align: 8
    .kernarg_segment_size: 136
    .language:       OpenCL C
    .language_version:
      - 2
      - 0
    .max_flat_workgroup_size: 384
    .name:           _ZN7rocprim17ROCPRIM_400000_NS6detail17trampoline_kernelINS0_14default_configENS1_33run_length_encode_config_selectorIbjNS0_4plusIjEEEEZZNS1_33reduce_by_key_impl_wrapped_configILNS1_25lookback_scan_determinismE0ES3_S7_N6hipcub16HIPCUB_304000_NS22TransformInputIteratorIbN2at6native8internal12_GLOBAL__N_110LoadBoolOpEPKhlEENS0_17constant_iteratorIjlEEPbPlSO_S6_NS0_8equal_toIbEEEE10hipError_tPvRmT2_T3_mT4_T5_T6_T7_T8_P12ihipStream_tbENKUlT_T0_E_clISt17integral_constantIbLb0EES18_EEDaS13_S14_EUlS13_E_NS1_11comp_targetILNS1_3genE9ELNS1_11target_archE1100ELNS1_3gpuE3ELNS1_3repE0EEENS1_30default_config_static_selectorELNS0_4arch9wavefront6targetE0EEEvT1_
    .private_segment_fixed_size: 0
    .sgpr_count:     0
    .sgpr_spill_count: 0
    .symbol:         _ZN7rocprim17ROCPRIM_400000_NS6detail17trampoline_kernelINS0_14default_configENS1_33run_length_encode_config_selectorIbjNS0_4plusIjEEEEZZNS1_33reduce_by_key_impl_wrapped_configILNS1_25lookback_scan_determinismE0ES3_S7_N6hipcub16HIPCUB_304000_NS22TransformInputIteratorIbN2at6native8internal12_GLOBAL__N_110LoadBoolOpEPKhlEENS0_17constant_iteratorIjlEEPbPlSO_S6_NS0_8equal_toIbEEEE10hipError_tPvRmT2_T3_mT4_T5_T6_T7_T8_P12ihipStream_tbENKUlT_T0_E_clISt17integral_constantIbLb0EES18_EEDaS13_S14_EUlS13_E_NS1_11comp_targetILNS1_3genE9ELNS1_11target_archE1100ELNS1_3gpuE3ELNS1_3repE0EEENS1_30default_config_static_selectorELNS0_4arch9wavefront6targetE0EEEvT1_.kd
    .uniform_work_group_size: 1
    .uses_dynamic_stack: false
    .vgpr_count:     0
    .vgpr_spill_count: 0
    .wavefront_size: 32
  - .args:
      - .offset:         0
        .size:           136
        .value_kind:     by_value
    .group_segment_fixed_size: 0
    .kernarg_segment_align: 8
    .kernarg_segment_size: 136
    .language:       OpenCL C
    .language_version:
      - 2
      - 0
    .max_flat_workgroup_size: 384
    .name:           _ZN7rocprim17ROCPRIM_400000_NS6detail17trampoline_kernelINS0_14default_configENS1_33run_length_encode_config_selectorIbjNS0_4plusIjEEEEZZNS1_33reduce_by_key_impl_wrapped_configILNS1_25lookback_scan_determinismE0ES3_S7_N6hipcub16HIPCUB_304000_NS22TransformInputIteratorIbN2at6native8internal12_GLOBAL__N_110LoadBoolOpEPKhlEENS0_17constant_iteratorIjlEEPbPlSO_S6_NS0_8equal_toIbEEEE10hipError_tPvRmT2_T3_mT4_T5_T6_T7_T8_P12ihipStream_tbENKUlT_T0_E_clISt17integral_constantIbLb0EES18_EEDaS13_S14_EUlS13_E_NS1_11comp_targetILNS1_3genE8ELNS1_11target_archE1030ELNS1_3gpuE2ELNS1_3repE0EEENS1_30default_config_static_selectorELNS0_4arch9wavefront6targetE0EEEvT1_
    .private_segment_fixed_size: 0
    .sgpr_count:     0
    .sgpr_spill_count: 0
    .symbol:         _ZN7rocprim17ROCPRIM_400000_NS6detail17trampoline_kernelINS0_14default_configENS1_33run_length_encode_config_selectorIbjNS0_4plusIjEEEEZZNS1_33reduce_by_key_impl_wrapped_configILNS1_25lookback_scan_determinismE0ES3_S7_N6hipcub16HIPCUB_304000_NS22TransformInputIteratorIbN2at6native8internal12_GLOBAL__N_110LoadBoolOpEPKhlEENS0_17constant_iteratorIjlEEPbPlSO_S6_NS0_8equal_toIbEEEE10hipError_tPvRmT2_T3_mT4_T5_T6_T7_T8_P12ihipStream_tbENKUlT_T0_E_clISt17integral_constantIbLb0EES18_EEDaS13_S14_EUlS13_E_NS1_11comp_targetILNS1_3genE8ELNS1_11target_archE1030ELNS1_3gpuE2ELNS1_3repE0EEENS1_30default_config_static_selectorELNS0_4arch9wavefront6targetE0EEEvT1_.kd
    .uniform_work_group_size: 1
    .uses_dynamic_stack: false
    .vgpr_count:     0
    .vgpr_spill_count: 0
    .wavefront_size: 32
  - .args:
      - .address_space:  global
        .offset:         0
        .size:           8
        .value_kind:     global_buffer
      - .offset:         8
        .size:           4
        .value_kind:     by_value
      - .offset:         12
        .size:           1
        .value_kind:     by_value
      - .offset:         16
        .size:           4
        .value_kind:     by_value
      - .address_space:  global
        .offset:         24
        .size:           8
        .value_kind:     global_buffer
      - .address_space:  global
        .offset:         32
        .size:           8
        .value_kind:     global_buffer
      - .address_space:  global
        .offset:         40
        .size:           8
        .value_kind:     global_buffer
      - .offset:         48
        .size:           4
        .value_kind:     hidden_block_count_x
      - .offset:         52
        .size:           4
        .value_kind:     hidden_block_count_y
      - .offset:         56
        .size:           4
        .value_kind:     hidden_block_count_z
      - .offset:         60
        .size:           2
        .value_kind:     hidden_group_size_x
      - .offset:         62
        .size:           2
        .value_kind:     hidden_group_size_y
      - .offset:         64
        .size:           2
        .value_kind:     hidden_group_size_z
      - .offset:         66
        .size:           2
        .value_kind:     hidden_remainder_x
      - .offset:         68
        .size:           2
        .value_kind:     hidden_remainder_y
      - .offset:         70
        .size:           2
        .value_kind:     hidden_remainder_z
      - .offset:         88
        .size:           8
        .value_kind:     hidden_global_offset_x
      - .offset:         96
        .size:           8
        .value_kind:     hidden_global_offset_y
      - .offset:         104
        .size:           8
        .value_kind:     hidden_global_offset_z
      - .offset:         112
        .size:           2
        .value_kind:     hidden_grid_dims
    .group_segment_fixed_size: 0
    .kernarg_segment_align: 8
    .kernarg_segment_size: 304
    .language:       OpenCL C
    .language_version:
      - 2
      - 0
    .max_flat_workgroup_size: 256
    .name:           _ZN7rocprim17ROCPRIM_400000_NS6detail25reduce_by_key_init_kernelINS1_19lookback_scan_stateINS0_5tupleIJjjEEELb1ELb1EEEjNS1_16block_id_wrapperIjLb1EEEEEvT_jbjPmPT0_T1_
    .private_segment_fixed_size: 0
    .sgpr_count:     19
    .sgpr_spill_count: 0
    .symbol:         _ZN7rocprim17ROCPRIM_400000_NS6detail25reduce_by_key_init_kernelINS1_19lookback_scan_stateINS0_5tupleIJjjEEELb1ELb1EEEjNS1_16block_id_wrapperIjLb1EEEEEvT_jbjPmPT0_T1_.kd
    .uniform_work_group_size: 1
    .uses_dynamic_stack: false
    .vgpr_count:     9
    .vgpr_spill_count: 0
    .wavefront_size: 32
  - .args:
      - .offset:         0
        .size:           136
        .value_kind:     by_value
    .group_segment_fixed_size: 0
    .kernarg_segment_align: 8
    .kernarg_segment_size: 136
    .language:       OpenCL C
    .language_version:
      - 2
      - 0
    .max_flat_workgroup_size: 256
    .name:           _ZN7rocprim17ROCPRIM_400000_NS6detail17trampoline_kernelINS0_14default_configENS1_33run_length_encode_config_selectorIbjNS0_4plusIjEEEEZZNS1_33reduce_by_key_impl_wrapped_configILNS1_25lookback_scan_determinismE0ES3_S7_N6hipcub16HIPCUB_304000_NS22TransformInputIteratorIbN2at6native8internal12_GLOBAL__N_110LoadBoolOpEPKhlEENS0_17constant_iteratorIjlEEPbPlSO_S6_NS0_8equal_toIbEEEE10hipError_tPvRmT2_T3_mT4_T5_T6_T7_T8_P12ihipStream_tbENKUlT_T0_E_clISt17integral_constantIbLb1EES18_EEDaS13_S14_EUlS13_E_NS1_11comp_targetILNS1_3genE0ELNS1_11target_archE4294967295ELNS1_3gpuE0ELNS1_3repE0EEENS1_30default_config_static_selectorELNS0_4arch9wavefront6targetE0EEEvT1_
    .private_segment_fixed_size: 0
    .sgpr_count:     0
    .sgpr_spill_count: 0
    .symbol:         _ZN7rocprim17ROCPRIM_400000_NS6detail17trampoline_kernelINS0_14default_configENS1_33run_length_encode_config_selectorIbjNS0_4plusIjEEEEZZNS1_33reduce_by_key_impl_wrapped_configILNS1_25lookback_scan_determinismE0ES3_S7_N6hipcub16HIPCUB_304000_NS22TransformInputIteratorIbN2at6native8internal12_GLOBAL__N_110LoadBoolOpEPKhlEENS0_17constant_iteratorIjlEEPbPlSO_S6_NS0_8equal_toIbEEEE10hipError_tPvRmT2_T3_mT4_T5_T6_T7_T8_P12ihipStream_tbENKUlT_T0_E_clISt17integral_constantIbLb1EES18_EEDaS13_S14_EUlS13_E_NS1_11comp_targetILNS1_3genE0ELNS1_11target_archE4294967295ELNS1_3gpuE0ELNS1_3repE0EEENS1_30default_config_static_selectorELNS0_4arch9wavefront6targetE0EEEvT1_.kd
    .uniform_work_group_size: 1
    .uses_dynamic_stack: false
    .vgpr_count:     0
    .vgpr_spill_count: 0
    .wavefront_size: 32
  - .args:
      - .offset:         0
        .size:           136
        .value_kind:     by_value
    .group_segment_fixed_size: 0
    .kernarg_segment_align: 8
    .kernarg_segment_size: 136
    .language:       OpenCL C
    .language_version:
      - 2
      - 0
    .max_flat_workgroup_size: 512
    .name:           _ZN7rocprim17ROCPRIM_400000_NS6detail17trampoline_kernelINS0_14default_configENS1_33run_length_encode_config_selectorIbjNS0_4plusIjEEEEZZNS1_33reduce_by_key_impl_wrapped_configILNS1_25lookback_scan_determinismE0ES3_S7_N6hipcub16HIPCUB_304000_NS22TransformInputIteratorIbN2at6native8internal12_GLOBAL__N_110LoadBoolOpEPKhlEENS0_17constant_iteratorIjlEEPbPlSO_S6_NS0_8equal_toIbEEEE10hipError_tPvRmT2_T3_mT4_T5_T6_T7_T8_P12ihipStream_tbENKUlT_T0_E_clISt17integral_constantIbLb1EES18_EEDaS13_S14_EUlS13_E_NS1_11comp_targetILNS1_3genE5ELNS1_11target_archE942ELNS1_3gpuE9ELNS1_3repE0EEENS1_30default_config_static_selectorELNS0_4arch9wavefront6targetE0EEEvT1_
    .private_segment_fixed_size: 0
    .sgpr_count:     0
    .sgpr_spill_count: 0
    .symbol:         _ZN7rocprim17ROCPRIM_400000_NS6detail17trampoline_kernelINS0_14default_configENS1_33run_length_encode_config_selectorIbjNS0_4plusIjEEEEZZNS1_33reduce_by_key_impl_wrapped_configILNS1_25lookback_scan_determinismE0ES3_S7_N6hipcub16HIPCUB_304000_NS22TransformInputIteratorIbN2at6native8internal12_GLOBAL__N_110LoadBoolOpEPKhlEENS0_17constant_iteratorIjlEEPbPlSO_S6_NS0_8equal_toIbEEEE10hipError_tPvRmT2_T3_mT4_T5_T6_T7_T8_P12ihipStream_tbENKUlT_T0_E_clISt17integral_constantIbLb1EES18_EEDaS13_S14_EUlS13_E_NS1_11comp_targetILNS1_3genE5ELNS1_11target_archE942ELNS1_3gpuE9ELNS1_3repE0EEENS1_30default_config_static_selectorELNS0_4arch9wavefront6targetE0EEEvT1_.kd
    .uniform_work_group_size: 1
    .uses_dynamic_stack: false
    .vgpr_count:     0
    .vgpr_spill_count: 0
    .wavefront_size: 32
  - .args:
      - .offset:         0
        .size:           136
        .value_kind:     by_value
    .group_segment_fixed_size: 0
    .kernarg_segment_align: 8
    .kernarg_segment_size: 136
    .language:       OpenCL C
    .language_version:
      - 2
      - 0
    .max_flat_workgroup_size: 256
    .name:           _ZN7rocprim17ROCPRIM_400000_NS6detail17trampoline_kernelINS0_14default_configENS1_33run_length_encode_config_selectorIbjNS0_4plusIjEEEEZZNS1_33reduce_by_key_impl_wrapped_configILNS1_25lookback_scan_determinismE0ES3_S7_N6hipcub16HIPCUB_304000_NS22TransformInputIteratorIbN2at6native8internal12_GLOBAL__N_110LoadBoolOpEPKhlEENS0_17constant_iteratorIjlEEPbPlSO_S6_NS0_8equal_toIbEEEE10hipError_tPvRmT2_T3_mT4_T5_T6_T7_T8_P12ihipStream_tbENKUlT_T0_E_clISt17integral_constantIbLb1EES18_EEDaS13_S14_EUlS13_E_NS1_11comp_targetILNS1_3genE4ELNS1_11target_archE910ELNS1_3gpuE8ELNS1_3repE0EEENS1_30default_config_static_selectorELNS0_4arch9wavefront6targetE0EEEvT1_
    .private_segment_fixed_size: 0
    .sgpr_count:     0
    .sgpr_spill_count: 0
    .symbol:         _ZN7rocprim17ROCPRIM_400000_NS6detail17trampoline_kernelINS0_14default_configENS1_33run_length_encode_config_selectorIbjNS0_4plusIjEEEEZZNS1_33reduce_by_key_impl_wrapped_configILNS1_25lookback_scan_determinismE0ES3_S7_N6hipcub16HIPCUB_304000_NS22TransformInputIteratorIbN2at6native8internal12_GLOBAL__N_110LoadBoolOpEPKhlEENS0_17constant_iteratorIjlEEPbPlSO_S6_NS0_8equal_toIbEEEE10hipError_tPvRmT2_T3_mT4_T5_T6_T7_T8_P12ihipStream_tbENKUlT_T0_E_clISt17integral_constantIbLb1EES18_EEDaS13_S14_EUlS13_E_NS1_11comp_targetILNS1_3genE4ELNS1_11target_archE910ELNS1_3gpuE8ELNS1_3repE0EEENS1_30default_config_static_selectorELNS0_4arch9wavefront6targetE0EEEvT1_.kd
    .uniform_work_group_size: 1
    .uses_dynamic_stack: false
    .vgpr_count:     0
    .vgpr_spill_count: 0
    .wavefront_size: 32
  - .args:
      - .offset:         0
        .size:           136
        .value_kind:     by_value
    .group_segment_fixed_size: 0
    .kernarg_segment_align: 8
    .kernarg_segment_size: 136
    .language:       OpenCL C
    .language_version:
      - 2
      - 0
    .max_flat_workgroup_size: 256
    .name:           _ZN7rocprim17ROCPRIM_400000_NS6detail17trampoline_kernelINS0_14default_configENS1_33run_length_encode_config_selectorIbjNS0_4plusIjEEEEZZNS1_33reduce_by_key_impl_wrapped_configILNS1_25lookback_scan_determinismE0ES3_S7_N6hipcub16HIPCUB_304000_NS22TransformInputIteratorIbN2at6native8internal12_GLOBAL__N_110LoadBoolOpEPKhlEENS0_17constant_iteratorIjlEEPbPlSO_S6_NS0_8equal_toIbEEEE10hipError_tPvRmT2_T3_mT4_T5_T6_T7_T8_P12ihipStream_tbENKUlT_T0_E_clISt17integral_constantIbLb1EES18_EEDaS13_S14_EUlS13_E_NS1_11comp_targetILNS1_3genE3ELNS1_11target_archE908ELNS1_3gpuE7ELNS1_3repE0EEENS1_30default_config_static_selectorELNS0_4arch9wavefront6targetE0EEEvT1_
    .private_segment_fixed_size: 0
    .sgpr_count:     0
    .sgpr_spill_count: 0
    .symbol:         _ZN7rocprim17ROCPRIM_400000_NS6detail17trampoline_kernelINS0_14default_configENS1_33run_length_encode_config_selectorIbjNS0_4plusIjEEEEZZNS1_33reduce_by_key_impl_wrapped_configILNS1_25lookback_scan_determinismE0ES3_S7_N6hipcub16HIPCUB_304000_NS22TransformInputIteratorIbN2at6native8internal12_GLOBAL__N_110LoadBoolOpEPKhlEENS0_17constant_iteratorIjlEEPbPlSO_S6_NS0_8equal_toIbEEEE10hipError_tPvRmT2_T3_mT4_T5_T6_T7_T8_P12ihipStream_tbENKUlT_T0_E_clISt17integral_constantIbLb1EES18_EEDaS13_S14_EUlS13_E_NS1_11comp_targetILNS1_3genE3ELNS1_11target_archE908ELNS1_3gpuE7ELNS1_3repE0EEENS1_30default_config_static_selectorELNS0_4arch9wavefront6targetE0EEEvT1_.kd
    .uniform_work_group_size: 1
    .uses_dynamic_stack: false
    .vgpr_count:     0
    .vgpr_spill_count: 0
    .wavefront_size: 32
  - .args:
      - .offset:         0
        .size:           136
        .value_kind:     by_value
    .group_segment_fixed_size: 0
    .kernarg_segment_align: 8
    .kernarg_segment_size: 136
    .language:       OpenCL C
    .language_version:
      - 2
      - 0
    .max_flat_workgroup_size: 256
    .name:           _ZN7rocprim17ROCPRIM_400000_NS6detail17trampoline_kernelINS0_14default_configENS1_33run_length_encode_config_selectorIbjNS0_4plusIjEEEEZZNS1_33reduce_by_key_impl_wrapped_configILNS1_25lookback_scan_determinismE0ES3_S7_N6hipcub16HIPCUB_304000_NS22TransformInputIteratorIbN2at6native8internal12_GLOBAL__N_110LoadBoolOpEPKhlEENS0_17constant_iteratorIjlEEPbPlSO_S6_NS0_8equal_toIbEEEE10hipError_tPvRmT2_T3_mT4_T5_T6_T7_T8_P12ihipStream_tbENKUlT_T0_E_clISt17integral_constantIbLb1EES18_EEDaS13_S14_EUlS13_E_NS1_11comp_targetILNS1_3genE2ELNS1_11target_archE906ELNS1_3gpuE6ELNS1_3repE0EEENS1_30default_config_static_selectorELNS0_4arch9wavefront6targetE0EEEvT1_
    .private_segment_fixed_size: 0
    .sgpr_count:     0
    .sgpr_spill_count: 0
    .symbol:         _ZN7rocprim17ROCPRIM_400000_NS6detail17trampoline_kernelINS0_14default_configENS1_33run_length_encode_config_selectorIbjNS0_4plusIjEEEEZZNS1_33reduce_by_key_impl_wrapped_configILNS1_25lookback_scan_determinismE0ES3_S7_N6hipcub16HIPCUB_304000_NS22TransformInputIteratorIbN2at6native8internal12_GLOBAL__N_110LoadBoolOpEPKhlEENS0_17constant_iteratorIjlEEPbPlSO_S6_NS0_8equal_toIbEEEE10hipError_tPvRmT2_T3_mT4_T5_T6_T7_T8_P12ihipStream_tbENKUlT_T0_E_clISt17integral_constantIbLb1EES18_EEDaS13_S14_EUlS13_E_NS1_11comp_targetILNS1_3genE2ELNS1_11target_archE906ELNS1_3gpuE6ELNS1_3repE0EEENS1_30default_config_static_selectorELNS0_4arch9wavefront6targetE0EEEvT1_.kd
    .uniform_work_group_size: 1
    .uses_dynamic_stack: false
    .vgpr_count:     0
    .vgpr_spill_count: 0
    .wavefront_size: 32
  - .args:
      - .offset:         0
        .size:           136
        .value_kind:     by_value
    .group_segment_fixed_size: 0
    .kernarg_segment_align: 8
    .kernarg_segment_size: 136
    .language:       OpenCL C
    .language_version:
      - 2
      - 0
    .max_flat_workgroup_size: 384
    .name:           _ZN7rocprim17ROCPRIM_400000_NS6detail17trampoline_kernelINS0_14default_configENS1_33run_length_encode_config_selectorIbjNS0_4plusIjEEEEZZNS1_33reduce_by_key_impl_wrapped_configILNS1_25lookback_scan_determinismE0ES3_S7_N6hipcub16HIPCUB_304000_NS22TransformInputIteratorIbN2at6native8internal12_GLOBAL__N_110LoadBoolOpEPKhlEENS0_17constant_iteratorIjlEEPbPlSO_S6_NS0_8equal_toIbEEEE10hipError_tPvRmT2_T3_mT4_T5_T6_T7_T8_P12ihipStream_tbENKUlT_T0_E_clISt17integral_constantIbLb1EES18_EEDaS13_S14_EUlS13_E_NS1_11comp_targetILNS1_3genE10ELNS1_11target_archE1201ELNS1_3gpuE5ELNS1_3repE0EEENS1_30default_config_static_selectorELNS0_4arch9wavefront6targetE0EEEvT1_
    .private_segment_fixed_size: 0
    .sgpr_count:     0
    .sgpr_spill_count: 0
    .symbol:         _ZN7rocprim17ROCPRIM_400000_NS6detail17trampoline_kernelINS0_14default_configENS1_33run_length_encode_config_selectorIbjNS0_4plusIjEEEEZZNS1_33reduce_by_key_impl_wrapped_configILNS1_25lookback_scan_determinismE0ES3_S7_N6hipcub16HIPCUB_304000_NS22TransformInputIteratorIbN2at6native8internal12_GLOBAL__N_110LoadBoolOpEPKhlEENS0_17constant_iteratorIjlEEPbPlSO_S6_NS0_8equal_toIbEEEE10hipError_tPvRmT2_T3_mT4_T5_T6_T7_T8_P12ihipStream_tbENKUlT_T0_E_clISt17integral_constantIbLb1EES18_EEDaS13_S14_EUlS13_E_NS1_11comp_targetILNS1_3genE10ELNS1_11target_archE1201ELNS1_3gpuE5ELNS1_3repE0EEENS1_30default_config_static_selectorELNS0_4arch9wavefront6targetE0EEEvT1_.kd
    .uniform_work_group_size: 1
    .uses_dynamic_stack: false
    .vgpr_count:     0
    .vgpr_spill_count: 0
    .wavefront_size: 32
  - .args:
      - .offset:         0
        .size:           136
        .value_kind:     by_value
    .group_segment_fixed_size: 0
    .kernarg_segment_align: 8
    .kernarg_segment_size: 136
    .language:       OpenCL C
    .language_version:
      - 2
      - 0
    .max_flat_workgroup_size: 384
    .name:           _ZN7rocprim17ROCPRIM_400000_NS6detail17trampoline_kernelINS0_14default_configENS1_33run_length_encode_config_selectorIbjNS0_4plusIjEEEEZZNS1_33reduce_by_key_impl_wrapped_configILNS1_25lookback_scan_determinismE0ES3_S7_N6hipcub16HIPCUB_304000_NS22TransformInputIteratorIbN2at6native8internal12_GLOBAL__N_110LoadBoolOpEPKhlEENS0_17constant_iteratorIjlEEPbPlSO_S6_NS0_8equal_toIbEEEE10hipError_tPvRmT2_T3_mT4_T5_T6_T7_T8_P12ihipStream_tbENKUlT_T0_E_clISt17integral_constantIbLb1EES18_EEDaS13_S14_EUlS13_E_NS1_11comp_targetILNS1_3genE10ELNS1_11target_archE1200ELNS1_3gpuE4ELNS1_3repE0EEENS1_30default_config_static_selectorELNS0_4arch9wavefront6targetE0EEEvT1_
    .private_segment_fixed_size: 0
    .sgpr_count:     0
    .sgpr_spill_count: 0
    .symbol:         _ZN7rocprim17ROCPRIM_400000_NS6detail17trampoline_kernelINS0_14default_configENS1_33run_length_encode_config_selectorIbjNS0_4plusIjEEEEZZNS1_33reduce_by_key_impl_wrapped_configILNS1_25lookback_scan_determinismE0ES3_S7_N6hipcub16HIPCUB_304000_NS22TransformInputIteratorIbN2at6native8internal12_GLOBAL__N_110LoadBoolOpEPKhlEENS0_17constant_iteratorIjlEEPbPlSO_S6_NS0_8equal_toIbEEEE10hipError_tPvRmT2_T3_mT4_T5_T6_T7_T8_P12ihipStream_tbENKUlT_T0_E_clISt17integral_constantIbLb1EES18_EEDaS13_S14_EUlS13_E_NS1_11comp_targetILNS1_3genE10ELNS1_11target_archE1200ELNS1_3gpuE4ELNS1_3repE0EEENS1_30default_config_static_selectorELNS0_4arch9wavefront6targetE0EEEvT1_.kd
    .uniform_work_group_size: 1
    .uses_dynamic_stack: false
    .vgpr_count:     0
    .vgpr_spill_count: 0
    .wavefront_size: 32
  - .args:
      - .offset:         0
        .size:           136
        .value_kind:     by_value
    .group_segment_fixed_size: 0
    .kernarg_segment_align: 8
    .kernarg_segment_size: 136
    .language:       OpenCL C
    .language_version:
      - 2
      - 0
    .max_flat_workgroup_size: 384
    .name:           _ZN7rocprim17ROCPRIM_400000_NS6detail17trampoline_kernelINS0_14default_configENS1_33run_length_encode_config_selectorIbjNS0_4plusIjEEEEZZNS1_33reduce_by_key_impl_wrapped_configILNS1_25lookback_scan_determinismE0ES3_S7_N6hipcub16HIPCUB_304000_NS22TransformInputIteratorIbN2at6native8internal12_GLOBAL__N_110LoadBoolOpEPKhlEENS0_17constant_iteratorIjlEEPbPlSO_S6_NS0_8equal_toIbEEEE10hipError_tPvRmT2_T3_mT4_T5_T6_T7_T8_P12ihipStream_tbENKUlT_T0_E_clISt17integral_constantIbLb1EES18_EEDaS13_S14_EUlS13_E_NS1_11comp_targetILNS1_3genE9ELNS1_11target_archE1100ELNS1_3gpuE3ELNS1_3repE0EEENS1_30default_config_static_selectorELNS0_4arch9wavefront6targetE0EEEvT1_
    .private_segment_fixed_size: 0
    .sgpr_count:     0
    .sgpr_spill_count: 0
    .symbol:         _ZN7rocprim17ROCPRIM_400000_NS6detail17trampoline_kernelINS0_14default_configENS1_33run_length_encode_config_selectorIbjNS0_4plusIjEEEEZZNS1_33reduce_by_key_impl_wrapped_configILNS1_25lookback_scan_determinismE0ES3_S7_N6hipcub16HIPCUB_304000_NS22TransformInputIteratorIbN2at6native8internal12_GLOBAL__N_110LoadBoolOpEPKhlEENS0_17constant_iteratorIjlEEPbPlSO_S6_NS0_8equal_toIbEEEE10hipError_tPvRmT2_T3_mT4_T5_T6_T7_T8_P12ihipStream_tbENKUlT_T0_E_clISt17integral_constantIbLb1EES18_EEDaS13_S14_EUlS13_E_NS1_11comp_targetILNS1_3genE9ELNS1_11target_archE1100ELNS1_3gpuE3ELNS1_3repE0EEENS1_30default_config_static_selectorELNS0_4arch9wavefront6targetE0EEEvT1_.kd
    .uniform_work_group_size: 1
    .uses_dynamic_stack: false
    .vgpr_count:     0
    .vgpr_spill_count: 0
    .wavefront_size: 32
  - .args:
      - .offset:         0
        .size:           136
        .value_kind:     by_value
    .group_segment_fixed_size: 0
    .kernarg_segment_align: 8
    .kernarg_segment_size: 136
    .language:       OpenCL C
    .language_version:
      - 2
      - 0
    .max_flat_workgroup_size: 384
    .name:           _ZN7rocprim17ROCPRIM_400000_NS6detail17trampoline_kernelINS0_14default_configENS1_33run_length_encode_config_selectorIbjNS0_4plusIjEEEEZZNS1_33reduce_by_key_impl_wrapped_configILNS1_25lookback_scan_determinismE0ES3_S7_N6hipcub16HIPCUB_304000_NS22TransformInputIteratorIbN2at6native8internal12_GLOBAL__N_110LoadBoolOpEPKhlEENS0_17constant_iteratorIjlEEPbPlSO_S6_NS0_8equal_toIbEEEE10hipError_tPvRmT2_T3_mT4_T5_T6_T7_T8_P12ihipStream_tbENKUlT_T0_E_clISt17integral_constantIbLb1EES18_EEDaS13_S14_EUlS13_E_NS1_11comp_targetILNS1_3genE8ELNS1_11target_archE1030ELNS1_3gpuE2ELNS1_3repE0EEENS1_30default_config_static_selectorELNS0_4arch9wavefront6targetE0EEEvT1_
    .private_segment_fixed_size: 0
    .sgpr_count:     0
    .sgpr_spill_count: 0
    .symbol:         _ZN7rocprim17ROCPRIM_400000_NS6detail17trampoline_kernelINS0_14default_configENS1_33run_length_encode_config_selectorIbjNS0_4plusIjEEEEZZNS1_33reduce_by_key_impl_wrapped_configILNS1_25lookback_scan_determinismE0ES3_S7_N6hipcub16HIPCUB_304000_NS22TransformInputIteratorIbN2at6native8internal12_GLOBAL__N_110LoadBoolOpEPKhlEENS0_17constant_iteratorIjlEEPbPlSO_S6_NS0_8equal_toIbEEEE10hipError_tPvRmT2_T3_mT4_T5_T6_T7_T8_P12ihipStream_tbENKUlT_T0_E_clISt17integral_constantIbLb1EES18_EEDaS13_S14_EUlS13_E_NS1_11comp_targetILNS1_3genE8ELNS1_11target_archE1030ELNS1_3gpuE2ELNS1_3repE0EEENS1_30default_config_static_selectorELNS0_4arch9wavefront6targetE0EEEvT1_.kd
    .uniform_work_group_size: 1
    .uses_dynamic_stack: false
    .vgpr_count:     0
    .vgpr_spill_count: 0
    .wavefront_size: 32
  - .args:
      - .address_space:  global
        .offset:         0
        .size:           8
        .value_kind:     global_buffer
      - .offset:         8
        .size:           4
        .value_kind:     by_value
      - .offset:         12
        .size:           1
        .value_kind:     by_value
      - .offset:         16
        .size:           4
        .value_kind:     by_value
      - .address_space:  global
        .offset:         24
        .size:           8
        .value_kind:     global_buffer
      - .address_space:  global
        .offset:         32
        .size:           8
        .value_kind:     global_buffer
      - .offset:         40
        .size:           1
        .value_kind:     by_value
      - .offset:         48
        .size:           4
        .value_kind:     hidden_block_count_x
      - .offset:         52
        .size:           4
        .value_kind:     hidden_block_count_y
      - .offset:         56
        .size:           4
        .value_kind:     hidden_block_count_z
      - .offset:         60
        .size:           2
        .value_kind:     hidden_group_size_x
      - .offset:         62
        .size:           2
        .value_kind:     hidden_group_size_y
      - .offset:         64
        .size:           2
        .value_kind:     hidden_group_size_z
      - .offset:         66
        .size:           2
        .value_kind:     hidden_remainder_x
      - .offset:         68
        .size:           2
        .value_kind:     hidden_remainder_y
      - .offset:         70
        .size:           2
        .value_kind:     hidden_remainder_z
      - .offset:         88
        .size:           8
        .value_kind:     hidden_global_offset_x
      - .offset:         96
        .size:           8
        .value_kind:     hidden_global_offset_y
      - .offset:         104
        .size:           8
        .value_kind:     hidden_global_offset_z
      - .offset:         112
        .size:           2
        .value_kind:     hidden_grid_dims
    .group_segment_fixed_size: 0
    .kernarg_segment_align: 8
    .kernarg_segment_size: 304
    .language:       OpenCL C
    .language_version:
      - 2
      - 0
    .max_flat_workgroup_size: 256
    .name:           _ZN7rocprim17ROCPRIM_400000_NS6detail25reduce_by_key_init_kernelINS1_19lookback_scan_stateINS0_5tupleIJjjEEELb1ELb1EEEjNS1_16block_id_wrapperIjLb0EEEEEvT_jbjPmPT0_T1_
    .private_segment_fixed_size: 0
    .sgpr_count:     15
    .sgpr_spill_count: 0
    .symbol:         _ZN7rocprim17ROCPRIM_400000_NS6detail25reduce_by_key_init_kernelINS1_19lookback_scan_stateINS0_5tupleIJjjEEELb1ELb1EEEjNS1_16block_id_wrapperIjLb0EEEEEvT_jbjPmPT0_T1_.kd
    .uniform_work_group_size: 1
    .uses_dynamic_stack: false
    .vgpr_count:     9
    .vgpr_spill_count: 0
    .wavefront_size: 32
  - .args:
      - .offset:         0
        .size:           136
        .value_kind:     by_value
    .group_segment_fixed_size: 0
    .kernarg_segment_align: 8
    .kernarg_segment_size: 136
    .language:       OpenCL C
    .language_version:
      - 2
      - 0
    .max_flat_workgroup_size: 256
    .name:           _ZN7rocprim17ROCPRIM_400000_NS6detail17trampoline_kernelINS0_14default_configENS1_33run_length_encode_config_selectorIbjNS0_4plusIjEEEEZZNS1_33reduce_by_key_impl_wrapped_configILNS1_25lookback_scan_determinismE0ES3_S7_N6hipcub16HIPCUB_304000_NS22TransformInputIteratorIbN2at6native8internal12_GLOBAL__N_110LoadBoolOpEPKhlEENS0_17constant_iteratorIjlEEPbPlSO_S6_NS0_8equal_toIbEEEE10hipError_tPvRmT2_T3_mT4_T5_T6_T7_T8_P12ihipStream_tbENKUlT_T0_E_clISt17integral_constantIbLb1EES17_IbLb0EEEEDaS13_S14_EUlS13_E_NS1_11comp_targetILNS1_3genE0ELNS1_11target_archE4294967295ELNS1_3gpuE0ELNS1_3repE0EEENS1_30default_config_static_selectorELNS0_4arch9wavefront6targetE0EEEvT1_
    .private_segment_fixed_size: 0
    .sgpr_count:     0
    .sgpr_spill_count: 0
    .symbol:         _ZN7rocprim17ROCPRIM_400000_NS6detail17trampoline_kernelINS0_14default_configENS1_33run_length_encode_config_selectorIbjNS0_4plusIjEEEEZZNS1_33reduce_by_key_impl_wrapped_configILNS1_25lookback_scan_determinismE0ES3_S7_N6hipcub16HIPCUB_304000_NS22TransformInputIteratorIbN2at6native8internal12_GLOBAL__N_110LoadBoolOpEPKhlEENS0_17constant_iteratorIjlEEPbPlSO_S6_NS0_8equal_toIbEEEE10hipError_tPvRmT2_T3_mT4_T5_T6_T7_T8_P12ihipStream_tbENKUlT_T0_E_clISt17integral_constantIbLb1EES17_IbLb0EEEEDaS13_S14_EUlS13_E_NS1_11comp_targetILNS1_3genE0ELNS1_11target_archE4294967295ELNS1_3gpuE0ELNS1_3repE0EEENS1_30default_config_static_selectorELNS0_4arch9wavefront6targetE0EEEvT1_.kd
    .uniform_work_group_size: 1
    .uses_dynamic_stack: false
    .vgpr_count:     0
    .vgpr_spill_count: 0
    .wavefront_size: 32
  - .args:
      - .offset:         0
        .size:           136
        .value_kind:     by_value
    .group_segment_fixed_size: 0
    .kernarg_segment_align: 8
    .kernarg_segment_size: 136
    .language:       OpenCL C
    .language_version:
      - 2
      - 0
    .max_flat_workgroup_size: 512
    .name:           _ZN7rocprim17ROCPRIM_400000_NS6detail17trampoline_kernelINS0_14default_configENS1_33run_length_encode_config_selectorIbjNS0_4plusIjEEEEZZNS1_33reduce_by_key_impl_wrapped_configILNS1_25lookback_scan_determinismE0ES3_S7_N6hipcub16HIPCUB_304000_NS22TransformInputIteratorIbN2at6native8internal12_GLOBAL__N_110LoadBoolOpEPKhlEENS0_17constant_iteratorIjlEEPbPlSO_S6_NS0_8equal_toIbEEEE10hipError_tPvRmT2_T3_mT4_T5_T6_T7_T8_P12ihipStream_tbENKUlT_T0_E_clISt17integral_constantIbLb1EES17_IbLb0EEEEDaS13_S14_EUlS13_E_NS1_11comp_targetILNS1_3genE5ELNS1_11target_archE942ELNS1_3gpuE9ELNS1_3repE0EEENS1_30default_config_static_selectorELNS0_4arch9wavefront6targetE0EEEvT1_
    .private_segment_fixed_size: 0
    .sgpr_count:     0
    .sgpr_spill_count: 0
    .symbol:         _ZN7rocprim17ROCPRIM_400000_NS6detail17trampoline_kernelINS0_14default_configENS1_33run_length_encode_config_selectorIbjNS0_4plusIjEEEEZZNS1_33reduce_by_key_impl_wrapped_configILNS1_25lookback_scan_determinismE0ES3_S7_N6hipcub16HIPCUB_304000_NS22TransformInputIteratorIbN2at6native8internal12_GLOBAL__N_110LoadBoolOpEPKhlEENS0_17constant_iteratorIjlEEPbPlSO_S6_NS0_8equal_toIbEEEE10hipError_tPvRmT2_T3_mT4_T5_T6_T7_T8_P12ihipStream_tbENKUlT_T0_E_clISt17integral_constantIbLb1EES17_IbLb0EEEEDaS13_S14_EUlS13_E_NS1_11comp_targetILNS1_3genE5ELNS1_11target_archE942ELNS1_3gpuE9ELNS1_3repE0EEENS1_30default_config_static_selectorELNS0_4arch9wavefront6targetE0EEEvT1_.kd
    .uniform_work_group_size: 1
    .uses_dynamic_stack: false
    .vgpr_count:     0
    .vgpr_spill_count: 0
    .wavefront_size: 32
  - .args:
      - .offset:         0
        .size:           136
        .value_kind:     by_value
    .group_segment_fixed_size: 0
    .kernarg_segment_align: 8
    .kernarg_segment_size: 136
    .language:       OpenCL C
    .language_version:
      - 2
      - 0
    .max_flat_workgroup_size: 256
    .name:           _ZN7rocprim17ROCPRIM_400000_NS6detail17trampoline_kernelINS0_14default_configENS1_33run_length_encode_config_selectorIbjNS0_4plusIjEEEEZZNS1_33reduce_by_key_impl_wrapped_configILNS1_25lookback_scan_determinismE0ES3_S7_N6hipcub16HIPCUB_304000_NS22TransformInputIteratorIbN2at6native8internal12_GLOBAL__N_110LoadBoolOpEPKhlEENS0_17constant_iteratorIjlEEPbPlSO_S6_NS0_8equal_toIbEEEE10hipError_tPvRmT2_T3_mT4_T5_T6_T7_T8_P12ihipStream_tbENKUlT_T0_E_clISt17integral_constantIbLb1EES17_IbLb0EEEEDaS13_S14_EUlS13_E_NS1_11comp_targetILNS1_3genE4ELNS1_11target_archE910ELNS1_3gpuE8ELNS1_3repE0EEENS1_30default_config_static_selectorELNS0_4arch9wavefront6targetE0EEEvT1_
    .private_segment_fixed_size: 0
    .sgpr_count:     0
    .sgpr_spill_count: 0
    .symbol:         _ZN7rocprim17ROCPRIM_400000_NS6detail17trampoline_kernelINS0_14default_configENS1_33run_length_encode_config_selectorIbjNS0_4plusIjEEEEZZNS1_33reduce_by_key_impl_wrapped_configILNS1_25lookback_scan_determinismE0ES3_S7_N6hipcub16HIPCUB_304000_NS22TransformInputIteratorIbN2at6native8internal12_GLOBAL__N_110LoadBoolOpEPKhlEENS0_17constant_iteratorIjlEEPbPlSO_S6_NS0_8equal_toIbEEEE10hipError_tPvRmT2_T3_mT4_T5_T6_T7_T8_P12ihipStream_tbENKUlT_T0_E_clISt17integral_constantIbLb1EES17_IbLb0EEEEDaS13_S14_EUlS13_E_NS1_11comp_targetILNS1_3genE4ELNS1_11target_archE910ELNS1_3gpuE8ELNS1_3repE0EEENS1_30default_config_static_selectorELNS0_4arch9wavefront6targetE0EEEvT1_.kd
    .uniform_work_group_size: 1
    .uses_dynamic_stack: false
    .vgpr_count:     0
    .vgpr_spill_count: 0
    .wavefront_size: 32
  - .args:
      - .offset:         0
        .size:           136
        .value_kind:     by_value
    .group_segment_fixed_size: 0
    .kernarg_segment_align: 8
    .kernarg_segment_size: 136
    .language:       OpenCL C
    .language_version:
      - 2
      - 0
    .max_flat_workgroup_size: 256
    .name:           _ZN7rocprim17ROCPRIM_400000_NS6detail17trampoline_kernelINS0_14default_configENS1_33run_length_encode_config_selectorIbjNS0_4plusIjEEEEZZNS1_33reduce_by_key_impl_wrapped_configILNS1_25lookback_scan_determinismE0ES3_S7_N6hipcub16HIPCUB_304000_NS22TransformInputIteratorIbN2at6native8internal12_GLOBAL__N_110LoadBoolOpEPKhlEENS0_17constant_iteratorIjlEEPbPlSO_S6_NS0_8equal_toIbEEEE10hipError_tPvRmT2_T3_mT4_T5_T6_T7_T8_P12ihipStream_tbENKUlT_T0_E_clISt17integral_constantIbLb1EES17_IbLb0EEEEDaS13_S14_EUlS13_E_NS1_11comp_targetILNS1_3genE3ELNS1_11target_archE908ELNS1_3gpuE7ELNS1_3repE0EEENS1_30default_config_static_selectorELNS0_4arch9wavefront6targetE0EEEvT1_
    .private_segment_fixed_size: 0
    .sgpr_count:     0
    .sgpr_spill_count: 0
    .symbol:         _ZN7rocprim17ROCPRIM_400000_NS6detail17trampoline_kernelINS0_14default_configENS1_33run_length_encode_config_selectorIbjNS0_4plusIjEEEEZZNS1_33reduce_by_key_impl_wrapped_configILNS1_25lookback_scan_determinismE0ES3_S7_N6hipcub16HIPCUB_304000_NS22TransformInputIteratorIbN2at6native8internal12_GLOBAL__N_110LoadBoolOpEPKhlEENS0_17constant_iteratorIjlEEPbPlSO_S6_NS0_8equal_toIbEEEE10hipError_tPvRmT2_T3_mT4_T5_T6_T7_T8_P12ihipStream_tbENKUlT_T0_E_clISt17integral_constantIbLb1EES17_IbLb0EEEEDaS13_S14_EUlS13_E_NS1_11comp_targetILNS1_3genE3ELNS1_11target_archE908ELNS1_3gpuE7ELNS1_3repE0EEENS1_30default_config_static_selectorELNS0_4arch9wavefront6targetE0EEEvT1_.kd
    .uniform_work_group_size: 1
    .uses_dynamic_stack: false
    .vgpr_count:     0
    .vgpr_spill_count: 0
    .wavefront_size: 32
  - .args:
      - .offset:         0
        .size:           136
        .value_kind:     by_value
    .group_segment_fixed_size: 0
    .kernarg_segment_align: 8
    .kernarg_segment_size: 136
    .language:       OpenCL C
    .language_version:
      - 2
      - 0
    .max_flat_workgroup_size: 256
    .name:           _ZN7rocprim17ROCPRIM_400000_NS6detail17trampoline_kernelINS0_14default_configENS1_33run_length_encode_config_selectorIbjNS0_4plusIjEEEEZZNS1_33reduce_by_key_impl_wrapped_configILNS1_25lookback_scan_determinismE0ES3_S7_N6hipcub16HIPCUB_304000_NS22TransformInputIteratorIbN2at6native8internal12_GLOBAL__N_110LoadBoolOpEPKhlEENS0_17constant_iteratorIjlEEPbPlSO_S6_NS0_8equal_toIbEEEE10hipError_tPvRmT2_T3_mT4_T5_T6_T7_T8_P12ihipStream_tbENKUlT_T0_E_clISt17integral_constantIbLb1EES17_IbLb0EEEEDaS13_S14_EUlS13_E_NS1_11comp_targetILNS1_3genE2ELNS1_11target_archE906ELNS1_3gpuE6ELNS1_3repE0EEENS1_30default_config_static_selectorELNS0_4arch9wavefront6targetE0EEEvT1_
    .private_segment_fixed_size: 0
    .sgpr_count:     0
    .sgpr_spill_count: 0
    .symbol:         _ZN7rocprim17ROCPRIM_400000_NS6detail17trampoline_kernelINS0_14default_configENS1_33run_length_encode_config_selectorIbjNS0_4plusIjEEEEZZNS1_33reduce_by_key_impl_wrapped_configILNS1_25lookback_scan_determinismE0ES3_S7_N6hipcub16HIPCUB_304000_NS22TransformInputIteratorIbN2at6native8internal12_GLOBAL__N_110LoadBoolOpEPKhlEENS0_17constant_iteratorIjlEEPbPlSO_S6_NS0_8equal_toIbEEEE10hipError_tPvRmT2_T3_mT4_T5_T6_T7_T8_P12ihipStream_tbENKUlT_T0_E_clISt17integral_constantIbLb1EES17_IbLb0EEEEDaS13_S14_EUlS13_E_NS1_11comp_targetILNS1_3genE2ELNS1_11target_archE906ELNS1_3gpuE6ELNS1_3repE0EEENS1_30default_config_static_selectorELNS0_4arch9wavefront6targetE0EEEvT1_.kd
    .uniform_work_group_size: 1
    .uses_dynamic_stack: false
    .vgpr_count:     0
    .vgpr_spill_count: 0
    .wavefront_size: 32
  - .args:
      - .offset:         0
        .size:           136
        .value_kind:     by_value
    .group_segment_fixed_size: 0
    .kernarg_segment_align: 8
    .kernarg_segment_size: 136
    .language:       OpenCL C
    .language_version:
      - 2
      - 0
    .max_flat_workgroup_size: 384
    .name:           _ZN7rocprim17ROCPRIM_400000_NS6detail17trampoline_kernelINS0_14default_configENS1_33run_length_encode_config_selectorIbjNS0_4plusIjEEEEZZNS1_33reduce_by_key_impl_wrapped_configILNS1_25lookback_scan_determinismE0ES3_S7_N6hipcub16HIPCUB_304000_NS22TransformInputIteratorIbN2at6native8internal12_GLOBAL__N_110LoadBoolOpEPKhlEENS0_17constant_iteratorIjlEEPbPlSO_S6_NS0_8equal_toIbEEEE10hipError_tPvRmT2_T3_mT4_T5_T6_T7_T8_P12ihipStream_tbENKUlT_T0_E_clISt17integral_constantIbLb1EES17_IbLb0EEEEDaS13_S14_EUlS13_E_NS1_11comp_targetILNS1_3genE10ELNS1_11target_archE1201ELNS1_3gpuE5ELNS1_3repE0EEENS1_30default_config_static_selectorELNS0_4arch9wavefront6targetE0EEEvT1_
    .private_segment_fixed_size: 0
    .sgpr_count:     0
    .sgpr_spill_count: 0
    .symbol:         _ZN7rocprim17ROCPRIM_400000_NS6detail17trampoline_kernelINS0_14default_configENS1_33run_length_encode_config_selectorIbjNS0_4plusIjEEEEZZNS1_33reduce_by_key_impl_wrapped_configILNS1_25lookback_scan_determinismE0ES3_S7_N6hipcub16HIPCUB_304000_NS22TransformInputIteratorIbN2at6native8internal12_GLOBAL__N_110LoadBoolOpEPKhlEENS0_17constant_iteratorIjlEEPbPlSO_S6_NS0_8equal_toIbEEEE10hipError_tPvRmT2_T3_mT4_T5_T6_T7_T8_P12ihipStream_tbENKUlT_T0_E_clISt17integral_constantIbLb1EES17_IbLb0EEEEDaS13_S14_EUlS13_E_NS1_11comp_targetILNS1_3genE10ELNS1_11target_archE1201ELNS1_3gpuE5ELNS1_3repE0EEENS1_30default_config_static_selectorELNS0_4arch9wavefront6targetE0EEEvT1_.kd
    .uniform_work_group_size: 1
    .uses_dynamic_stack: false
    .vgpr_count:     0
    .vgpr_spill_count: 0
    .wavefront_size: 32
  - .args:
      - .offset:         0
        .size:           136
        .value_kind:     by_value
    .group_segment_fixed_size: 0
    .kernarg_segment_align: 8
    .kernarg_segment_size: 136
    .language:       OpenCL C
    .language_version:
      - 2
      - 0
    .max_flat_workgroup_size: 384
    .name:           _ZN7rocprim17ROCPRIM_400000_NS6detail17trampoline_kernelINS0_14default_configENS1_33run_length_encode_config_selectorIbjNS0_4plusIjEEEEZZNS1_33reduce_by_key_impl_wrapped_configILNS1_25lookback_scan_determinismE0ES3_S7_N6hipcub16HIPCUB_304000_NS22TransformInputIteratorIbN2at6native8internal12_GLOBAL__N_110LoadBoolOpEPKhlEENS0_17constant_iteratorIjlEEPbPlSO_S6_NS0_8equal_toIbEEEE10hipError_tPvRmT2_T3_mT4_T5_T6_T7_T8_P12ihipStream_tbENKUlT_T0_E_clISt17integral_constantIbLb1EES17_IbLb0EEEEDaS13_S14_EUlS13_E_NS1_11comp_targetILNS1_3genE10ELNS1_11target_archE1200ELNS1_3gpuE4ELNS1_3repE0EEENS1_30default_config_static_selectorELNS0_4arch9wavefront6targetE0EEEvT1_
    .private_segment_fixed_size: 0
    .sgpr_count:     0
    .sgpr_spill_count: 0
    .symbol:         _ZN7rocprim17ROCPRIM_400000_NS6detail17trampoline_kernelINS0_14default_configENS1_33run_length_encode_config_selectorIbjNS0_4plusIjEEEEZZNS1_33reduce_by_key_impl_wrapped_configILNS1_25lookback_scan_determinismE0ES3_S7_N6hipcub16HIPCUB_304000_NS22TransformInputIteratorIbN2at6native8internal12_GLOBAL__N_110LoadBoolOpEPKhlEENS0_17constant_iteratorIjlEEPbPlSO_S6_NS0_8equal_toIbEEEE10hipError_tPvRmT2_T3_mT4_T5_T6_T7_T8_P12ihipStream_tbENKUlT_T0_E_clISt17integral_constantIbLb1EES17_IbLb0EEEEDaS13_S14_EUlS13_E_NS1_11comp_targetILNS1_3genE10ELNS1_11target_archE1200ELNS1_3gpuE4ELNS1_3repE0EEENS1_30default_config_static_selectorELNS0_4arch9wavefront6targetE0EEEvT1_.kd
    .uniform_work_group_size: 1
    .uses_dynamic_stack: false
    .vgpr_count:     0
    .vgpr_spill_count: 0
    .wavefront_size: 32
  - .args:
      - .offset:         0
        .size:           136
        .value_kind:     by_value
    .group_segment_fixed_size: 0
    .kernarg_segment_align: 8
    .kernarg_segment_size: 136
    .language:       OpenCL C
    .language_version:
      - 2
      - 0
    .max_flat_workgroup_size: 384
    .name:           _ZN7rocprim17ROCPRIM_400000_NS6detail17trampoline_kernelINS0_14default_configENS1_33run_length_encode_config_selectorIbjNS0_4plusIjEEEEZZNS1_33reduce_by_key_impl_wrapped_configILNS1_25lookback_scan_determinismE0ES3_S7_N6hipcub16HIPCUB_304000_NS22TransformInputIteratorIbN2at6native8internal12_GLOBAL__N_110LoadBoolOpEPKhlEENS0_17constant_iteratorIjlEEPbPlSO_S6_NS0_8equal_toIbEEEE10hipError_tPvRmT2_T3_mT4_T5_T6_T7_T8_P12ihipStream_tbENKUlT_T0_E_clISt17integral_constantIbLb1EES17_IbLb0EEEEDaS13_S14_EUlS13_E_NS1_11comp_targetILNS1_3genE9ELNS1_11target_archE1100ELNS1_3gpuE3ELNS1_3repE0EEENS1_30default_config_static_selectorELNS0_4arch9wavefront6targetE0EEEvT1_
    .private_segment_fixed_size: 0
    .sgpr_count:     0
    .sgpr_spill_count: 0
    .symbol:         _ZN7rocprim17ROCPRIM_400000_NS6detail17trampoline_kernelINS0_14default_configENS1_33run_length_encode_config_selectorIbjNS0_4plusIjEEEEZZNS1_33reduce_by_key_impl_wrapped_configILNS1_25lookback_scan_determinismE0ES3_S7_N6hipcub16HIPCUB_304000_NS22TransformInputIteratorIbN2at6native8internal12_GLOBAL__N_110LoadBoolOpEPKhlEENS0_17constant_iteratorIjlEEPbPlSO_S6_NS0_8equal_toIbEEEE10hipError_tPvRmT2_T3_mT4_T5_T6_T7_T8_P12ihipStream_tbENKUlT_T0_E_clISt17integral_constantIbLb1EES17_IbLb0EEEEDaS13_S14_EUlS13_E_NS1_11comp_targetILNS1_3genE9ELNS1_11target_archE1100ELNS1_3gpuE3ELNS1_3repE0EEENS1_30default_config_static_selectorELNS0_4arch9wavefront6targetE0EEEvT1_.kd
    .uniform_work_group_size: 1
    .uses_dynamic_stack: false
    .vgpr_count:     0
    .vgpr_spill_count: 0
    .wavefront_size: 32
  - .args:
      - .offset:         0
        .size:           136
        .value_kind:     by_value
    .group_segment_fixed_size: 0
    .kernarg_segment_align: 8
    .kernarg_segment_size: 136
    .language:       OpenCL C
    .language_version:
      - 2
      - 0
    .max_flat_workgroup_size: 384
    .name:           _ZN7rocprim17ROCPRIM_400000_NS6detail17trampoline_kernelINS0_14default_configENS1_33run_length_encode_config_selectorIbjNS0_4plusIjEEEEZZNS1_33reduce_by_key_impl_wrapped_configILNS1_25lookback_scan_determinismE0ES3_S7_N6hipcub16HIPCUB_304000_NS22TransformInputIteratorIbN2at6native8internal12_GLOBAL__N_110LoadBoolOpEPKhlEENS0_17constant_iteratorIjlEEPbPlSO_S6_NS0_8equal_toIbEEEE10hipError_tPvRmT2_T3_mT4_T5_T6_T7_T8_P12ihipStream_tbENKUlT_T0_E_clISt17integral_constantIbLb1EES17_IbLb0EEEEDaS13_S14_EUlS13_E_NS1_11comp_targetILNS1_3genE8ELNS1_11target_archE1030ELNS1_3gpuE2ELNS1_3repE0EEENS1_30default_config_static_selectorELNS0_4arch9wavefront6targetE0EEEvT1_
    .private_segment_fixed_size: 0
    .sgpr_count:     0
    .sgpr_spill_count: 0
    .symbol:         _ZN7rocprim17ROCPRIM_400000_NS6detail17trampoline_kernelINS0_14default_configENS1_33run_length_encode_config_selectorIbjNS0_4plusIjEEEEZZNS1_33reduce_by_key_impl_wrapped_configILNS1_25lookback_scan_determinismE0ES3_S7_N6hipcub16HIPCUB_304000_NS22TransformInputIteratorIbN2at6native8internal12_GLOBAL__N_110LoadBoolOpEPKhlEENS0_17constant_iteratorIjlEEPbPlSO_S6_NS0_8equal_toIbEEEE10hipError_tPvRmT2_T3_mT4_T5_T6_T7_T8_P12ihipStream_tbENKUlT_T0_E_clISt17integral_constantIbLb1EES17_IbLb0EEEEDaS13_S14_EUlS13_E_NS1_11comp_targetILNS1_3genE8ELNS1_11target_archE1030ELNS1_3gpuE2ELNS1_3repE0EEENS1_30default_config_static_selectorELNS0_4arch9wavefront6targetE0EEEvT1_.kd
    .uniform_work_group_size: 1
    .uses_dynamic_stack: false
    .vgpr_count:     0
    .vgpr_spill_count: 0
    .wavefront_size: 32
  - .args:
      - .address_space:  global
        .offset:         0
        .size:           8
        .value_kind:     global_buffer
      - .offset:         8
        .size:           4
        .value_kind:     by_value
      - .offset:         12
        .size:           1
        .value_kind:     by_value
      - .offset:         16
        .size:           4
        .value_kind:     by_value
      - .address_space:  global
        .offset:         24
        .size:           8
        .value_kind:     global_buffer
      - .address_space:  global
        .offset:         32
        .size:           8
        .value_kind:     global_buffer
      - .address_space:  global
        .offset:         40
        .size:           8
        .value_kind:     global_buffer
      - .offset:         48
        .size:           4
        .value_kind:     hidden_block_count_x
      - .offset:         52
        .size:           4
        .value_kind:     hidden_block_count_y
      - .offset:         56
        .size:           4
        .value_kind:     hidden_block_count_z
      - .offset:         60
        .size:           2
        .value_kind:     hidden_group_size_x
      - .offset:         62
        .size:           2
        .value_kind:     hidden_group_size_y
      - .offset:         64
        .size:           2
        .value_kind:     hidden_group_size_z
      - .offset:         66
        .size:           2
        .value_kind:     hidden_remainder_x
      - .offset:         68
        .size:           2
        .value_kind:     hidden_remainder_y
      - .offset:         70
        .size:           2
        .value_kind:     hidden_remainder_z
      - .offset:         88
        .size:           8
        .value_kind:     hidden_global_offset_x
      - .offset:         96
        .size:           8
        .value_kind:     hidden_global_offset_y
      - .offset:         104
        .size:           8
        .value_kind:     hidden_global_offset_z
      - .offset:         112
        .size:           2
        .value_kind:     hidden_grid_dims
    .group_segment_fixed_size: 0
    .kernarg_segment_align: 8
    .kernarg_segment_size: 304
    .language:       OpenCL C
    .language_version:
      - 2
      - 0
    .max_flat_workgroup_size: 256
    .name:           _ZN7rocprim17ROCPRIM_400000_NS6detail25reduce_by_key_init_kernelINS1_19lookback_scan_stateINS0_5tupleIJjjEEELb0ELb1EEEjNS1_16block_id_wrapperIjLb1EEEEEvT_jbjPmPT0_T1_
    .private_segment_fixed_size: 0
    .sgpr_count:     19
    .sgpr_spill_count: 0
    .symbol:         _ZN7rocprim17ROCPRIM_400000_NS6detail25reduce_by_key_init_kernelINS1_19lookback_scan_stateINS0_5tupleIJjjEEELb0ELb1EEEjNS1_16block_id_wrapperIjLb1EEEEEvT_jbjPmPT0_T1_.kd
    .uniform_work_group_size: 1
    .uses_dynamic_stack: false
    .vgpr_count:     9
    .vgpr_spill_count: 0
    .wavefront_size: 32
  - .args:
      - .offset:         0
        .size:           136
        .value_kind:     by_value
    .group_segment_fixed_size: 14336
    .kernarg_segment_align: 8
    .kernarg_segment_size: 136
    .language:       OpenCL C
    .language_version:
      - 2
      - 0
    .max_flat_workgroup_size: 256
    .name:           _ZN7rocprim17ROCPRIM_400000_NS6detail17trampoline_kernelINS0_14default_configENS1_33run_length_encode_config_selectorIbjNS0_4plusIjEEEEZZNS1_33reduce_by_key_impl_wrapped_configILNS1_25lookback_scan_determinismE0ES3_S7_N6hipcub16HIPCUB_304000_NS22TransformInputIteratorIbN2at6native8internal12_GLOBAL__N_110LoadBoolOpEPKhlEENS0_17constant_iteratorIjlEEPbPlSO_S6_NS0_8equal_toIbEEEE10hipError_tPvRmT2_T3_mT4_T5_T6_T7_T8_P12ihipStream_tbENKUlT_T0_E_clISt17integral_constantIbLb0EES17_IbLb1EEEEDaS13_S14_EUlS13_E_NS1_11comp_targetILNS1_3genE0ELNS1_11target_archE4294967295ELNS1_3gpuE0ELNS1_3repE0EEENS1_30default_config_static_selectorELNS0_4arch9wavefront6targetE0EEEvT1_
    .private_segment_fixed_size: 0
    .sgpr_count:     52
    .sgpr_spill_count: 0
    .symbol:         _ZN7rocprim17ROCPRIM_400000_NS6detail17trampoline_kernelINS0_14default_configENS1_33run_length_encode_config_selectorIbjNS0_4plusIjEEEEZZNS1_33reduce_by_key_impl_wrapped_configILNS1_25lookback_scan_determinismE0ES3_S7_N6hipcub16HIPCUB_304000_NS22TransformInputIteratorIbN2at6native8internal12_GLOBAL__N_110LoadBoolOpEPKhlEENS0_17constant_iteratorIjlEEPbPlSO_S6_NS0_8equal_toIbEEEE10hipError_tPvRmT2_T3_mT4_T5_T6_T7_T8_P12ihipStream_tbENKUlT_T0_E_clISt17integral_constantIbLb0EES17_IbLb1EEEEDaS13_S14_EUlS13_E_NS1_11comp_targetILNS1_3genE0ELNS1_11target_archE4294967295ELNS1_3gpuE0ELNS1_3repE0EEENS1_30default_config_static_selectorELNS0_4arch9wavefront6targetE0EEEvT1_.kd
    .uniform_work_group_size: 1
    .uses_dynamic_stack: false
    .vgpr_count:     104
    .vgpr_spill_count: 0
    .wavefront_size: 32
  - .args:
      - .offset:         0
        .size:           136
        .value_kind:     by_value
    .group_segment_fixed_size: 0
    .kernarg_segment_align: 8
    .kernarg_segment_size: 136
    .language:       OpenCL C
    .language_version:
      - 2
      - 0
    .max_flat_workgroup_size: 512
    .name:           _ZN7rocprim17ROCPRIM_400000_NS6detail17trampoline_kernelINS0_14default_configENS1_33run_length_encode_config_selectorIbjNS0_4plusIjEEEEZZNS1_33reduce_by_key_impl_wrapped_configILNS1_25lookback_scan_determinismE0ES3_S7_N6hipcub16HIPCUB_304000_NS22TransformInputIteratorIbN2at6native8internal12_GLOBAL__N_110LoadBoolOpEPKhlEENS0_17constant_iteratorIjlEEPbPlSO_S6_NS0_8equal_toIbEEEE10hipError_tPvRmT2_T3_mT4_T5_T6_T7_T8_P12ihipStream_tbENKUlT_T0_E_clISt17integral_constantIbLb0EES17_IbLb1EEEEDaS13_S14_EUlS13_E_NS1_11comp_targetILNS1_3genE5ELNS1_11target_archE942ELNS1_3gpuE9ELNS1_3repE0EEENS1_30default_config_static_selectorELNS0_4arch9wavefront6targetE0EEEvT1_
    .private_segment_fixed_size: 0
    .sgpr_count:     0
    .sgpr_spill_count: 0
    .symbol:         _ZN7rocprim17ROCPRIM_400000_NS6detail17trampoline_kernelINS0_14default_configENS1_33run_length_encode_config_selectorIbjNS0_4plusIjEEEEZZNS1_33reduce_by_key_impl_wrapped_configILNS1_25lookback_scan_determinismE0ES3_S7_N6hipcub16HIPCUB_304000_NS22TransformInputIteratorIbN2at6native8internal12_GLOBAL__N_110LoadBoolOpEPKhlEENS0_17constant_iteratorIjlEEPbPlSO_S6_NS0_8equal_toIbEEEE10hipError_tPvRmT2_T3_mT4_T5_T6_T7_T8_P12ihipStream_tbENKUlT_T0_E_clISt17integral_constantIbLb0EES17_IbLb1EEEEDaS13_S14_EUlS13_E_NS1_11comp_targetILNS1_3genE5ELNS1_11target_archE942ELNS1_3gpuE9ELNS1_3repE0EEENS1_30default_config_static_selectorELNS0_4arch9wavefront6targetE0EEEvT1_.kd
    .uniform_work_group_size: 1
    .uses_dynamic_stack: false
    .vgpr_count:     0
    .vgpr_spill_count: 0
    .wavefront_size: 32
  - .args:
      - .offset:         0
        .size:           136
        .value_kind:     by_value
    .group_segment_fixed_size: 0
    .kernarg_segment_align: 8
    .kernarg_segment_size: 136
    .language:       OpenCL C
    .language_version:
      - 2
      - 0
    .max_flat_workgroup_size: 256
    .name:           _ZN7rocprim17ROCPRIM_400000_NS6detail17trampoline_kernelINS0_14default_configENS1_33run_length_encode_config_selectorIbjNS0_4plusIjEEEEZZNS1_33reduce_by_key_impl_wrapped_configILNS1_25lookback_scan_determinismE0ES3_S7_N6hipcub16HIPCUB_304000_NS22TransformInputIteratorIbN2at6native8internal12_GLOBAL__N_110LoadBoolOpEPKhlEENS0_17constant_iteratorIjlEEPbPlSO_S6_NS0_8equal_toIbEEEE10hipError_tPvRmT2_T3_mT4_T5_T6_T7_T8_P12ihipStream_tbENKUlT_T0_E_clISt17integral_constantIbLb0EES17_IbLb1EEEEDaS13_S14_EUlS13_E_NS1_11comp_targetILNS1_3genE4ELNS1_11target_archE910ELNS1_3gpuE8ELNS1_3repE0EEENS1_30default_config_static_selectorELNS0_4arch9wavefront6targetE0EEEvT1_
    .private_segment_fixed_size: 0
    .sgpr_count:     0
    .sgpr_spill_count: 0
    .symbol:         _ZN7rocprim17ROCPRIM_400000_NS6detail17trampoline_kernelINS0_14default_configENS1_33run_length_encode_config_selectorIbjNS0_4plusIjEEEEZZNS1_33reduce_by_key_impl_wrapped_configILNS1_25lookback_scan_determinismE0ES3_S7_N6hipcub16HIPCUB_304000_NS22TransformInputIteratorIbN2at6native8internal12_GLOBAL__N_110LoadBoolOpEPKhlEENS0_17constant_iteratorIjlEEPbPlSO_S6_NS0_8equal_toIbEEEE10hipError_tPvRmT2_T3_mT4_T5_T6_T7_T8_P12ihipStream_tbENKUlT_T0_E_clISt17integral_constantIbLb0EES17_IbLb1EEEEDaS13_S14_EUlS13_E_NS1_11comp_targetILNS1_3genE4ELNS1_11target_archE910ELNS1_3gpuE8ELNS1_3repE0EEENS1_30default_config_static_selectorELNS0_4arch9wavefront6targetE0EEEvT1_.kd
    .uniform_work_group_size: 1
    .uses_dynamic_stack: false
    .vgpr_count:     0
    .vgpr_spill_count: 0
    .wavefront_size: 32
  - .args:
      - .offset:         0
        .size:           136
        .value_kind:     by_value
    .group_segment_fixed_size: 0
    .kernarg_segment_align: 8
    .kernarg_segment_size: 136
    .language:       OpenCL C
    .language_version:
      - 2
      - 0
    .max_flat_workgroup_size: 256
    .name:           _ZN7rocprim17ROCPRIM_400000_NS6detail17trampoline_kernelINS0_14default_configENS1_33run_length_encode_config_selectorIbjNS0_4plusIjEEEEZZNS1_33reduce_by_key_impl_wrapped_configILNS1_25lookback_scan_determinismE0ES3_S7_N6hipcub16HIPCUB_304000_NS22TransformInputIteratorIbN2at6native8internal12_GLOBAL__N_110LoadBoolOpEPKhlEENS0_17constant_iteratorIjlEEPbPlSO_S6_NS0_8equal_toIbEEEE10hipError_tPvRmT2_T3_mT4_T5_T6_T7_T8_P12ihipStream_tbENKUlT_T0_E_clISt17integral_constantIbLb0EES17_IbLb1EEEEDaS13_S14_EUlS13_E_NS1_11comp_targetILNS1_3genE3ELNS1_11target_archE908ELNS1_3gpuE7ELNS1_3repE0EEENS1_30default_config_static_selectorELNS0_4arch9wavefront6targetE0EEEvT1_
    .private_segment_fixed_size: 0
    .sgpr_count:     0
    .sgpr_spill_count: 0
    .symbol:         _ZN7rocprim17ROCPRIM_400000_NS6detail17trampoline_kernelINS0_14default_configENS1_33run_length_encode_config_selectorIbjNS0_4plusIjEEEEZZNS1_33reduce_by_key_impl_wrapped_configILNS1_25lookback_scan_determinismE0ES3_S7_N6hipcub16HIPCUB_304000_NS22TransformInputIteratorIbN2at6native8internal12_GLOBAL__N_110LoadBoolOpEPKhlEENS0_17constant_iteratorIjlEEPbPlSO_S6_NS0_8equal_toIbEEEE10hipError_tPvRmT2_T3_mT4_T5_T6_T7_T8_P12ihipStream_tbENKUlT_T0_E_clISt17integral_constantIbLb0EES17_IbLb1EEEEDaS13_S14_EUlS13_E_NS1_11comp_targetILNS1_3genE3ELNS1_11target_archE908ELNS1_3gpuE7ELNS1_3repE0EEENS1_30default_config_static_selectorELNS0_4arch9wavefront6targetE0EEEvT1_.kd
    .uniform_work_group_size: 1
    .uses_dynamic_stack: false
    .vgpr_count:     0
    .vgpr_spill_count: 0
    .wavefront_size: 32
  - .args:
      - .offset:         0
        .size:           136
        .value_kind:     by_value
    .group_segment_fixed_size: 0
    .kernarg_segment_align: 8
    .kernarg_segment_size: 136
    .language:       OpenCL C
    .language_version:
      - 2
      - 0
    .max_flat_workgroup_size: 256
    .name:           _ZN7rocprim17ROCPRIM_400000_NS6detail17trampoline_kernelINS0_14default_configENS1_33run_length_encode_config_selectorIbjNS0_4plusIjEEEEZZNS1_33reduce_by_key_impl_wrapped_configILNS1_25lookback_scan_determinismE0ES3_S7_N6hipcub16HIPCUB_304000_NS22TransformInputIteratorIbN2at6native8internal12_GLOBAL__N_110LoadBoolOpEPKhlEENS0_17constant_iteratorIjlEEPbPlSO_S6_NS0_8equal_toIbEEEE10hipError_tPvRmT2_T3_mT4_T5_T6_T7_T8_P12ihipStream_tbENKUlT_T0_E_clISt17integral_constantIbLb0EES17_IbLb1EEEEDaS13_S14_EUlS13_E_NS1_11comp_targetILNS1_3genE2ELNS1_11target_archE906ELNS1_3gpuE6ELNS1_3repE0EEENS1_30default_config_static_selectorELNS0_4arch9wavefront6targetE0EEEvT1_
    .private_segment_fixed_size: 0
    .sgpr_count:     0
    .sgpr_spill_count: 0
    .symbol:         _ZN7rocprim17ROCPRIM_400000_NS6detail17trampoline_kernelINS0_14default_configENS1_33run_length_encode_config_selectorIbjNS0_4plusIjEEEEZZNS1_33reduce_by_key_impl_wrapped_configILNS1_25lookback_scan_determinismE0ES3_S7_N6hipcub16HIPCUB_304000_NS22TransformInputIteratorIbN2at6native8internal12_GLOBAL__N_110LoadBoolOpEPKhlEENS0_17constant_iteratorIjlEEPbPlSO_S6_NS0_8equal_toIbEEEE10hipError_tPvRmT2_T3_mT4_T5_T6_T7_T8_P12ihipStream_tbENKUlT_T0_E_clISt17integral_constantIbLb0EES17_IbLb1EEEEDaS13_S14_EUlS13_E_NS1_11comp_targetILNS1_3genE2ELNS1_11target_archE906ELNS1_3gpuE6ELNS1_3repE0EEENS1_30default_config_static_selectorELNS0_4arch9wavefront6targetE0EEEvT1_.kd
    .uniform_work_group_size: 1
    .uses_dynamic_stack: false
    .vgpr_count:     0
    .vgpr_spill_count: 0
    .wavefront_size: 32
  - .args:
      - .offset:         0
        .size:           136
        .value_kind:     by_value
    .group_segment_fixed_size: 0
    .kernarg_segment_align: 8
    .kernarg_segment_size: 136
    .language:       OpenCL C
    .language_version:
      - 2
      - 0
    .max_flat_workgroup_size: 384
    .name:           _ZN7rocprim17ROCPRIM_400000_NS6detail17trampoline_kernelINS0_14default_configENS1_33run_length_encode_config_selectorIbjNS0_4plusIjEEEEZZNS1_33reduce_by_key_impl_wrapped_configILNS1_25lookback_scan_determinismE0ES3_S7_N6hipcub16HIPCUB_304000_NS22TransformInputIteratorIbN2at6native8internal12_GLOBAL__N_110LoadBoolOpEPKhlEENS0_17constant_iteratorIjlEEPbPlSO_S6_NS0_8equal_toIbEEEE10hipError_tPvRmT2_T3_mT4_T5_T6_T7_T8_P12ihipStream_tbENKUlT_T0_E_clISt17integral_constantIbLb0EES17_IbLb1EEEEDaS13_S14_EUlS13_E_NS1_11comp_targetILNS1_3genE10ELNS1_11target_archE1201ELNS1_3gpuE5ELNS1_3repE0EEENS1_30default_config_static_selectorELNS0_4arch9wavefront6targetE0EEEvT1_
    .private_segment_fixed_size: 0
    .sgpr_count:     0
    .sgpr_spill_count: 0
    .symbol:         _ZN7rocprim17ROCPRIM_400000_NS6detail17trampoline_kernelINS0_14default_configENS1_33run_length_encode_config_selectorIbjNS0_4plusIjEEEEZZNS1_33reduce_by_key_impl_wrapped_configILNS1_25lookback_scan_determinismE0ES3_S7_N6hipcub16HIPCUB_304000_NS22TransformInputIteratorIbN2at6native8internal12_GLOBAL__N_110LoadBoolOpEPKhlEENS0_17constant_iteratorIjlEEPbPlSO_S6_NS0_8equal_toIbEEEE10hipError_tPvRmT2_T3_mT4_T5_T6_T7_T8_P12ihipStream_tbENKUlT_T0_E_clISt17integral_constantIbLb0EES17_IbLb1EEEEDaS13_S14_EUlS13_E_NS1_11comp_targetILNS1_3genE10ELNS1_11target_archE1201ELNS1_3gpuE5ELNS1_3repE0EEENS1_30default_config_static_selectorELNS0_4arch9wavefront6targetE0EEEvT1_.kd
    .uniform_work_group_size: 1
    .uses_dynamic_stack: false
    .vgpr_count:     0
    .vgpr_spill_count: 0
    .wavefront_size: 32
  - .args:
      - .offset:         0
        .size:           136
        .value_kind:     by_value
    .group_segment_fixed_size: 0
    .kernarg_segment_align: 8
    .kernarg_segment_size: 136
    .language:       OpenCL C
    .language_version:
      - 2
      - 0
    .max_flat_workgroup_size: 384
    .name:           _ZN7rocprim17ROCPRIM_400000_NS6detail17trampoline_kernelINS0_14default_configENS1_33run_length_encode_config_selectorIbjNS0_4plusIjEEEEZZNS1_33reduce_by_key_impl_wrapped_configILNS1_25lookback_scan_determinismE0ES3_S7_N6hipcub16HIPCUB_304000_NS22TransformInputIteratorIbN2at6native8internal12_GLOBAL__N_110LoadBoolOpEPKhlEENS0_17constant_iteratorIjlEEPbPlSO_S6_NS0_8equal_toIbEEEE10hipError_tPvRmT2_T3_mT4_T5_T6_T7_T8_P12ihipStream_tbENKUlT_T0_E_clISt17integral_constantIbLb0EES17_IbLb1EEEEDaS13_S14_EUlS13_E_NS1_11comp_targetILNS1_3genE10ELNS1_11target_archE1200ELNS1_3gpuE4ELNS1_3repE0EEENS1_30default_config_static_selectorELNS0_4arch9wavefront6targetE0EEEvT1_
    .private_segment_fixed_size: 0
    .sgpr_count:     0
    .sgpr_spill_count: 0
    .symbol:         _ZN7rocprim17ROCPRIM_400000_NS6detail17trampoline_kernelINS0_14default_configENS1_33run_length_encode_config_selectorIbjNS0_4plusIjEEEEZZNS1_33reduce_by_key_impl_wrapped_configILNS1_25lookback_scan_determinismE0ES3_S7_N6hipcub16HIPCUB_304000_NS22TransformInputIteratorIbN2at6native8internal12_GLOBAL__N_110LoadBoolOpEPKhlEENS0_17constant_iteratorIjlEEPbPlSO_S6_NS0_8equal_toIbEEEE10hipError_tPvRmT2_T3_mT4_T5_T6_T7_T8_P12ihipStream_tbENKUlT_T0_E_clISt17integral_constantIbLb0EES17_IbLb1EEEEDaS13_S14_EUlS13_E_NS1_11comp_targetILNS1_3genE10ELNS1_11target_archE1200ELNS1_3gpuE4ELNS1_3repE0EEENS1_30default_config_static_selectorELNS0_4arch9wavefront6targetE0EEEvT1_.kd
    .uniform_work_group_size: 1
    .uses_dynamic_stack: false
    .vgpr_count:     0
    .vgpr_spill_count: 0
    .wavefront_size: 32
  - .args:
      - .offset:         0
        .size:           136
        .value_kind:     by_value
    .group_segment_fixed_size: 0
    .kernarg_segment_align: 8
    .kernarg_segment_size: 136
    .language:       OpenCL C
    .language_version:
      - 2
      - 0
    .max_flat_workgroup_size: 384
    .name:           _ZN7rocprim17ROCPRIM_400000_NS6detail17trampoline_kernelINS0_14default_configENS1_33run_length_encode_config_selectorIbjNS0_4plusIjEEEEZZNS1_33reduce_by_key_impl_wrapped_configILNS1_25lookback_scan_determinismE0ES3_S7_N6hipcub16HIPCUB_304000_NS22TransformInputIteratorIbN2at6native8internal12_GLOBAL__N_110LoadBoolOpEPKhlEENS0_17constant_iteratorIjlEEPbPlSO_S6_NS0_8equal_toIbEEEE10hipError_tPvRmT2_T3_mT4_T5_T6_T7_T8_P12ihipStream_tbENKUlT_T0_E_clISt17integral_constantIbLb0EES17_IbLb1EEEEDaS13_S14_EUlS13_E_NS1_11comp_targetILNS1_3genE9ELNS1_11target_archE1100ELNS1_3gpuE3ELNS1_3repE0EEENS1_30default_config_static_selectorELNS0_4arch9wavefront6targetE0EEEvT1_
    .private_segment_fixed_size: 0
    .sgpr_count:     0
    .sgpr_spill_count: 0
    .symbol:         _ZN7rocprim17ROCPRIM_400000_NS6detail17trampoline_kernelINS0_14default_configENS1_33run_length_encode_config_selectorIbjNS0_4plusIjEEEEZZNS1_33reduce_by_key_impl_wrapped_configILNS1_25lookback_scan_determinismE0ES3_S7_N6hipcub16HIPCUB_304000_NS22TransformInputIteratorIbN2at6native8internal12_GLOBAL__N_110LoadBoolOpEPKhlEENS0_17constant_iteratorIjlEEPbPlSO_S6_NS0_8equal_toIbEEEE10hipError_tPvRmT2_T3_mT4_T5_T6_T7_T8_P12ihipStream_tbENKUlT_T0_E_clISt17integral_constantIbLb0EES17_IbLb1EEEEDaS13_S14_EUlS13_E_NS1_11comp_targetILNS1_3genE9ELNS1_11target_archE1100ELNS1_3gpuE3ELNS1_3repE0EEENS1_30default_config_static_selectorELNS0_4arch9wavefront6targetE0EEEvT1_.kd
    .uniform_work_group_size: 1
    .uses_dynamic_stack: false
    .vgpr_count:     0
    .vgpr_spill_count: 0
    .wavefront_size: 32
  - .args:
      - .offset:         0
        .size:           136
        .value_kind:     by_value
    .group_segment_fixed_size: 0
    .kernarg_segment_align: 8
    .kernarg_segment_size: 136
    .language:       OpenCL C
    .language_version:
      - 2
      - 0
    .max_flat_workgroup_size: 384
    .name:           _ZN7rocprim17ROCPRIM_400000_NS6detail17trampoline_kernelINS0_14default_configENS1_33run_length_encode_config_selectorIbjNS0_4plusIjEEEEZZNS1_33reduce_by_key_impl_wrapped_configILNS1_25lookback_scan_determinismE0ES3_S7_N6hipcub16HIPCUB_304000_NS22TransformInputIteratorIbN2at6native8internal12_GLOBAL__N_110LoadBoolOpEPKhlEENS0_17constant_iteratorIjlEEPbPlSO_S6_NS0_8equal_toIbEEEE10hipError_tPvRmT2_T3_mT4_T5_T6_T7_T8_P12ihipStream_tbENKUlT_T0_E_clISt17integral_constantIbLb0EES17_IbLb1EEEEDaS13_S14_EUlS13_E_NS1_11comp_targetILNS1_3genE8ELNS1_11target_archE1030ELNS1_3gpuE2ELNS1_3repE0EEENS1_30default_config_static_selectorELNS0_4arch9wavefront6targetE0EEEvT1_
    .private_segment_fixed_size: 0
    .sgpr_count:     0
    .sgpr_spill_count: 0
    .symbol:         _ZN7rocprim17ROCPRIM_400000_NS6detail17trampoline_kernelINS0_14default_configENS1_33run_length_encode_config_selectorIbjNS0_4plusIjEEEEZZNS1_33reduce_by_key_impl_wrapped_configILNS1_25lookback_scan_determinismE0ES3_S7_N6hipcub16HIPCUB_304000_NS22TransformInputIteratorIbN2at6native8internal12_GLOBAL__N_110LoadBoolOpEPKhlEENS0_17constant_iteratorIjlEEPbPlSO_S6_NS0_8equal_toIbEEEE10hipError_tPvRmT2_T3_mT4_T5_T6_T7_T8_P12ihipStream_tbENKUlT_T0_E_clISt17integral_constantIbLb0EES17_IbLb1EEEEDaS13_S14_EUlS13_E_NS1_11comp_targetILNS1_3genE8ELNS1_11target_archE1030ELNS1_3gpuE2ELNS1_3repE0EEENS1_30default_config_static_selectorELNS0_4arch9wavefront6targetE0EEEvT1_.kd
    .uniform_work_group_size: 1
    .uses_dynamic_stack: false
    .vgpr_count:     0
    .vgpr_spill_count: 0
    .wavefront_size: 32
  - .args:
      - .offset:         0
        .size:           56
        .value_kind:     by_value
    .group_segment_fixed_size: 64
    .kernarg_segment_align: 8
    .kernarg_segment_size: 56
    .language:       OpenCL C
    .language_version:
      - 2
      - 0
    .max_flat_workgroup_size: 256
    .name:           _ZN7rocprim17ROCPRIM_400000_NS6detail17trampoline_kernelINS0_14default_configENS1_22reduce_config_selectorIiEEZNS1_11reduce_implILb1ES3_PiS7_iN6hipcub16HIPCUB_304000_NS6detail34convert_binary_result_type_wrapperISt4plusIvENS9_22TransformInputIteratorIiN2at6native8internal21MapNumberOfTrueValuesEPKhlEEiEEEE10hipError_tPvRmT1_T2_T3_mT4_P12ihipStream_tbEUlT_E0_NS1_11comp_targetILNS1_3genE0ELNS1_11target_archE4294967295ELNS1_3gpuE0ELNS1_3repE0EEENS1_30default_config_static_selectorELNS0_4arch9wavefront6targetE0EEEvSQ_
    .private_segment_fixed_size: 0
    .sgpr_count:     22
    .sgpr_spill_count: 0
    .symbol:         _ZN7rocprim17ROCPRIM_400000_NS6detail17trampoline_kernelINS0_14default_configENS1_22reduce_config_selectorIiEEZNS1_11reduce_implILb1ES3_PiS7_iN6hipcub16HIPCUB_304000_NS6detail34convert_binary_result_type_wrapperISt4plusIvENS9_22TransformInputIteratorIiN2at6native8internal21MapNumberOfTrueValuesEPKhlEEiEEEE10hipError_tPvRmT1_T2_T3_mT4_P12ihipStream_tbEUlT_E0_NS1_11comp_targetILNS1_3genE0ELNS1_11target_archE4294967295ELNS1_3gpuE0ELNS1_3repE0EEENS1_30default_config_static_selectorELNS0_4arch9wavefront6targetE0EEEvSQ_.kd
    .uniform_work_group_size: 1
    .uses_dynamic_stack: false
    .vgpr_count:     8
    .vgpr_spill_count: 0
    .wavefront_size: 32
  - .args:
      - .offset:         0
        .size:           56
        .value_kind:     by_value
    .group_segment_fixed_size: 0
    .kernarg_segment_align: 8
    .kernarg_segment_size: 56
    .language:       OpenCL C
    .language_version:
      - 2
      - 0
    .max_flat_workgroup_size: 256
    .name:           _ZN7rocprim17ROCPRIM_400000_NS6detail17trampoline_kernelINS0_14default_configENS1_22reduce_config_selectorIiEEZNS1_11reduce_implILb1ES3_PiS7_iN6hipcub16HIPCUB_304000_NS6detail34convert_binary_result_type_wrapperISt4plusIvENS9_22TransformInputIteratorIiN2at6native8internal21MapNumberOfTrueValuesEPKhlEEiEEEE10hipError_tPvRmT1_T2_T3_mT4_P12ihipStream_tbEUlT_E0_NS1_11comp_targetILNS1_3genE5ELNS1_11target_archE942ELNS1_3gpuE9ELNS1_3repE0EEENS1_30default_config_static_selectorELNS0_4arch9wavefront6targetE0EEEvSQ_
    .private_segment_fixed_size: 0
    .sgpr_count:     0
    .sgpr_spill_count: 0
    .symbol:         _ZN7rocprim17ROCPRIM_400000_NS6detail17trampoline_kernelINS0_14default_configENS1_22reduce_config_selectorIiEEZNS1_11reduce_implILb1ES3_PiS7_iN6hipcub16HIPCUB_304000_NS6detail34convert_binary_result_type_wrapperISt4plusIvENS9_22TransformInputIteratorIiN2at6native8internal21MapNumberOfTrueValuesEPKhlEEiEEEE10hipError_tPvRmT1_T2_T3_mT4_P12ihipStream_tbEUlT_E0_NS1_11comp_targetILNS1_3genE5ELNS1_11target_archE942ELNS1_3gpuE9ELNS1_3repE0EEENS1_30default_config_static_selectorELNS0_4arch9wavefront6targetE0EEEvSQ_.kd
    .uniform_work_group_size: 1
    .uses_dynamic_stack: false
    .vgpr_count:     0
    .vgpr_spill_count: 0
    .wavefront_size: 32
  - .args:
      - .offset:         0
        .size:           56
        .value_kind:     by_value
    .group_segment_fixed_size: 0
    .kernarg_segment_align: 8
    .kernarg_segment_size: 56
    .language:       OpenCL C
    .language_version:
      - 2
      - 0
    .max_flat_workgroup_size: 128
    .name:           _ZN7rocprim17ROCPRIM_400000_NS6detail17trampoline_kernelINS0_14default_configENS1_22reduce_config_selectorIiEEZNS1_11reduce_implILb1ES3_PiS7_iN6hipcub16HIPCUB_304000_NS6detail34convert_binary_result_type_wrapperISt4plusIvENS9_22TransformInputIteratorIiN2at6native8internal21MapNumberOfTrueValuesEPKhlEEiEEEE10hipError_tPvRmT1_T2_T3_mT4_P12ihipStream_tbEUlT_E0_NS1_11comp_targetILNS1_3genE4ELNS1_11target_archE910ELNS1_3gpuE8ELNS1_3repE0EEENS1_30default_config_static_selectorELNS0_4arch9wavefront6targetE0EEEvSQ_
    .private_segment_fixed_size: 0
    .sgpr_count:     0
    .sgpr_spill_count: 0
    .symbol:         _ZN7rocprim17ROCPRIM_400000_NS6detail17trampoline_kernelINS0_14default_configENS1_22reduce_config_selectorIiEEZNS1_11reduce_implILb1ES3_PiS7_iN6hipcub16HIPCUB_304000_NS6detail34convert_binary_result_type_wrapperISt4plusIvENS9_22TransformInputIteratorIiN2at6native8internal21MapNumberOfTrueValuesEPKhlEEiEEEE10hipError_tPvRmT1_T2_T3_mT4_P12ihipStream_tbEUlT_E0_NS1_11comp_targetILNS1_3genE4ELNS1_11target_archE910ELNS1_3gpuE8ELNS1_3repE0EEENS1_30default_config_static_selectorELNS0_4arch9wavefront6targetE0EEEvSQ_.kd
    .uniform_work_group_size: 1
    .uses_dynamic_stack: false
    .vgpr_count:     0
    .vgpr_spill_count: 0
    .wavefront_size: 32
  - .args:
      - .offset:         0
        .size:           56
        .value_kind:     by_value
    .group_segment_fixed_size: 0
    .kernarg_segment_align: 8
    .kernarg_segment_size: 56
    .language:       OpenCL C
    .language_version:
      - 2
      - 0
    .max_flat_workgroup_size: 256
    .name:           _ZN7rocprim17ROCPRIM_400000_NS6detail17trampoline_kernelINS0_14default_configENS1_22reduce_config_selectorIiEEZNS1_11reduce_implILb1ES3_PiS7_iN6hipcub16HIPCUB_304000_NS6detail34convert_binary_result_type_wrapperISt4plusIvENS9_22TransformInputIteratorIiN2at6native8internal21MapNumberOfTrueValuesEPKhlEEiEEEE10hipError_tPvRmT1_T2_T3_mT4_P12ihipStream_tbEUlT_E0_NS1_11comp_targetILNS1_3genE3ELNS1_11target_archE908ELNS1_3gpuE7ELNS1_3repE0EEENS1_30default_config_static_selectorELNS0_4arch9wavefront6targetE0EEEvSQ_
    .private_segment_fixed_size: 0
    .sgpr_count:     0
    .sgpr_spill_count: 0
    .symbol:         _ZN7rocprim17ROCPRIM_400000_NS6detail17trampoline_kernelINS0_14default_configENS1_22reduce_config_selectorIiEEZNS1_11reduce_implILb1ES3_PiS7_iN6hipcub16HIPCUB_304000_NS6detail34convert_binary_result_type_wrapperISt4plusIvENS9_22TransformInputIteratorIiN2at6native8internal21MapNumberOfTrueValuesEPKhlEEiEEEE10hipError_tPvRmT1_T2_T3_mT4_P12ihipStream_tbEUlT_E0_NS1_11comp_targetILNS1_3genE3ELNS1_11target_archE908ELNS1_3gpuE7ELNS1_3repE0EEENS1_30default_config_static_selectorELNS0_4arch9wavefront6targetE0EEEvSQ_.kd
    .uniform_work_group_size: 1
    .uses_dynamic_stack: false
    .vgpr_count:     0
    .vgpr_spill_count: 0
    .wavefront_size: 32
  - .args:
      - .offset:         0
        .size:           56
        .value_kind:     by_value
    .group_segment_fixed_size: 0
    .kernarg_segment_align: 8
    .kernarg_segment_size: 56
    .language:       OpenCL C
    .language_version:
      - 2
      - 0
    .max_flat_workgroup_size: 256
    .name:           _ZN7rocprim17ROCPRIM_400000_NS6detail17trampoline_kernelINS0_14default_configENS1_22reduce_config_selectorIiEEZNS1_11reduce_implILb1ES3_PiS7_iN6hipcub16HIPCUB_304000_NS6detail34convert_binary_result_type_wrapperISt4plusIvENS9_22TransformInputIteratorIiN2at6native8internal21MapNumberOfTrueValuesEPKhlEEiEEEE10hipError_tPvRmT1_T2_T3_mT4_P12ihipStream_tbEUlT_E0_NS1_11comp_targetILNS1_3genE2ELNS1_11target_archE906ELNS1_3gpuE6ELNS1_3repE0EEENS1_30default_config_static_selectorELNS0_4arch9wavefront6targetE0EEEvSQ_
    .private_segment_fixed_size: 0
    .sgpr_count:     0
    .sgpr_spill_count: 0
    .symbol:         _ZN7rocprim17ROCPRIM_400000_NS6detail17trampoline_kernelINS0_14default_configENS1_22reduce_config_selectorIiEEZNS1_11reduce_implILb1ES3_PiS7_iN6hipcub16HIPCUB_304000_NS6detail34convert_binary_result_type_wrapperISt4plusIvENS9_22TransformInputIteratorIiN2at6native8internal21MapNumberOfTrueValuesEPKhlEEiEEEE10hipError_tPvRmT1_T2_T3_mT4_P12ihipStream_tbEUlT_E0_NS1_11comp_targetILNS1_3genE2ELNS1_11target_archE906ELNS1_3gpuE6ELNS1_3repE0EEENS1_30default_config_static_selectorELNS0_4arch9wavefront6targetE0EEEvSQ_.kd
    .uniform_work_group_size: 1
    .uses_dynamic_stack: false
    .vgpr_count:     0
    .vgpr_spill_count: 0
    .wavefront_size: 32
  - .args:
      - .offset:         0
        .size:           56
        .value_kind:     by_value
    .group_segment_fixed_size: 0
    .kernarg_segment_align: 8
    .kernarg_segment_size: 56
    .language:       OpenCL C
    .language_version:
      - 2
      - 0
    .max_flat_workgroup_size: 256
    .name:           _ZN7rocprim17ROCPRIM_400000_NS6detail17trampoline_kernelINS0_14default_configENS1_22reduce_config_selectorIiEEZNS1_11reduce_implILb1ES3_PiS7_iN6hipcub16HIPCUB_304000_NS6detail34convert_binary_result_type_wrapperISt4plusIvENS9_22TransformInputIteratorIiN2at6native8internal21MapNumberOfTrueValuesEPKhlEEiEEEE10hipError_tPvRmT1_T2_T3_mT4_P12ihipStream_tbEUlT_E0_NS1_11comp_targetILNS1_3genE10ELNS1_11target_archE1201ELNS1_3gpuE5ELNS1_3repE0EEENS1_30default_config_static_selectorELNS0_4arch9wavefront6targetE0EEEvSQ_
    .private_segment_fixed_size: 0
    .sgpr_count:     0
    .sgpr_spill_count: 0
    .symbol:         _ZN7rocprim17ROCPRIM_400000_NS6detail17trampoline_kernelINS0_14default_configENS1_22reduce_config_selectorIiEEZNS1_11reduce_implILb1ES3_PiS7_iN6hipcub16HIPCUB_304000_NS6detail34convert_binary_result_type_wrapperISt4plusIvENS9_22TransformInputIteratorIiN2at6native8internal21MapNumberOfTrueValuesEPKhlEEiEEEE10hipError_tPvRmT1_T2_T3_mT4_P12ihipStream_tbEUlT_E0_NS1_11comp_targetILNS1_3genE10ELNS1_11target_archE1201ELNS1_3gpuE5ELNS1_3repE0EEENS1_30default_config_static_selectorELNS0_4arch9wavefront6targetE0EEEvSQ_.kd
    .uniform_work_group_size: 1
    .uses_dynamic_stack: false
    .vgpr_count:     0
    .vgpr_spill_count: 0
    .wavefront_size: 32
  - .args:
      - .offset:         0
        .size:           56
        .value_kind:     by_value
    .group_segment_fixed_size: 0
    .kernarg_segment_align: 8
    .kernarg_segment_size: 56
    .language:       OpenCL C
    .language_version:
      - 2
      - 0
    .max_flat_workgroup_size: 256
    .name:           _ZN7rocprim17ROCPRIM_400000_NS6detail17trampoline_kernelINS0_14default_configENS1_22reduce_config_selectorIiEEZNS1_11reduce_implILb1ES3_PiS7_iN6hipcub16HIPCUB_304000_NS6detail34convert_binary_result_type_wrapperISt4plusIvENS9_22TransformInputIteratorIiN2at6native8internal21MapNumberOfTrueValuesEPKhlEEiEEEE10hipError_tPvRmT1_T2_T3_mT4_P12ihipStream_tbEUlT_E0_NS1_11comp_targetILNS1_3genE10ELNS1_11target_archE1200ELNS1_3gpuE4ELNS1_3repE0EEENS1_30default_config_static_selectorELNS0_4arch9wavefront6targetE0EEEvSQ_
    .private_segment_fixed_size: 0
    .sgpr_count:     0
    .sgpr_spill_count: 0
    .symbol:         _ZN7rocprim17ROCPRIM_400000_NS6detail17trampoline_kernelINS0_14default_configENS1_22reduce_config_selectorIiEEZNS1_11reduce_implILb1ES3_PiS7_iN6hipcub16HIPCUB_304000_NS6detail34convert_binary_result_type_wrapperISt4plusIvENS9_22TransformInputIteratorIiN2at6native8internal21MapNumberOfTrueValuesEPKhlEEiEEEE10hipError_tPvRmT1_T2_T3_mT4_P12ihipStream_tbEUlT_E0_NS1_11comp_targetILNS1_3genE10ELNS1_11target_archE1200ELNS1_3gpuE4ELNS1_3repE0EEENS1_30default_config_static_selectorELNS0_4arch9wavefront6targetE0EEEvSQ_.kd
    .uniform_work_group_size: 1
    .uses_dynamic_stack: false
    .vgpr_count:     0
    .vgpr_spill_count: 0
    .wavefront_size: 32
  - .args:
      - .offset:         0
        .size:           56
        .value_kind:     by_value
    .group_segment_fixed_size: 0
    .kernarg_segment_align: 8
    .kernarg_segment_size: 56
    .language:       OpenCL C
    .language_version:
      - 2
      - 0
    .max_flat_workgroup_size: 256
    .name:           _ZN7rocprim17ROCPRIM_400000_NS6detail17trampoline_kernelINS0_14default_configENS1_22reduce_config_selectorIiEEZNS1_11reduce_implILb1ES3_PiS7_iN6hipcub16HIPCUB_304000_NS6detail34convert_binary_result_type_wrapperISt4plusIvENS9_22TransformInputIteratorIiN2at6native8internal21MapNumberOfTrueValuesEPKhlEEiEEEE10hipError_tPvRmT1_T2_T3_mT4_P12ihipStream_tbEUlT_E0_NS1_11comp_targetILNS1_3genE9ELNS1_11target_archE1100ELNS1_3gpuE3ELNS1_3repE0EEENS1_30default_config_static_selectorELNS0_4arch9wavefront6targetE0EEEvSQ_
    .private_segment_fixed_size: 0
    .sgpr_count:     0
    .sgpr_spill_count: 0
    .symbol:         _ZN7rocprim17ROCPRIM_400000_NS6detail17trampoline_kernelINS0_14default_configENS1_22reduce_config_selectorIiEEZNS1_11reduce_implILb1ES3_PiS7_iN6hipcub16HIPCUB_304000_NS6detail34convert_binary_result_type_wrapperISt4plusIvENS9_22TransformInputIteratorIiN2at6native8internal21MapNumberOfTrueValuesEPKhlEEiEEEE10hipError_tPvRmT1_T2_T3_mT4_P12ihipStream_tbEUlT_E0_NS1_11comp_targetILNS1_3genE9ELNS1_11target_archE1100ELNS1_3gpuE3ELNS1_3repE0EEENS1_30default_config_static_selectorELNS0_4arch9wavefront6targetE0EEEvSQ_.kd
    .uniform_work_group_size: 1
    .uses_dynamic_stack: false
    .vgpr_count:     0
    .vgpr_spill_count: 0
    .wavefront_size: 32
  - .args:
      - .offset:         0
        .size:           56
        .value_kind:     by_value
    .group_segment_fixed_size: 0
    .kernarg_segment_align: 8
    .kernarg_segment_size: 56
    .language:       OpenCL C
    .language_version:
      - 2
      - 0
    .max_flat_workgroup_size: 256
    .name:           _ZN7rocprim17ROCPRIM_400000_NS6detail17trampoline_kernelINS0_14default_configENS1_22reduce_config_selectorIiEEZNS1_11reduce_implILb1ES3_PiS7_iN6hipcub16HIPCUB_304000_NS6detail34convert_binary_result_type_wrapperISt4plusIvENS9_22TransformInputIteratorIiN2at6native8internal21MapNumberOfTrueValuesEPKhlEEiEEEE10hipError_tPvRmT1_T2_T3_mT4_P12ihipStream_tbEUlT_E0_NS1_11comp_targetILNS1_3genE8ELNS1_11target_archE1030ELNS1_3gpuE2ELNS1_3repE0EEENS1_30default_config_static_selectorELNS0_4arch9wavefront6targetE0EEEvSQ_
    .private_segment_fixed_size: 0
    .sgpr_count:     0
    .sgpr_spill_count: 0
    .symbol:         _ZN7rocprim17ROCPRIM_400000_NS6detail17trampoline_kernelINS0_14default_configENS1_22reduce_config_selectorIiEEZNS1_11reduce_implILb1ES3_PiS7_iN6hipcub16HIPCUB_304000_NS6detail34convert_binary_result_type_wrapperISt4plusIvENS9_22TransformInputIteratorIiN2at6native8internal21MapNumberOfTrueValuesEPKhlEEiEEEE10hipError_tPvRmT1_T2_T3_mT4_P12ihipStream_tbEUlT_E0_NS1_11comp_targetILNS1_3genE8ELNS1_11target_archE1030ELNS1_3gpuE2ELNS1_3repE0EEENS1_30default_config_static_selectorELNS0_4arch9wavefront6targetE0EEEvSQ_.kd
    .uniform_work_group_size: 1
    .uses_dynamic_stack: false
    .vgpr_count:     0
    .vgpr_spill_count: 0
    .wavefront_size: 32
  - .args:
      - .offset:         0
        .size:           40
        .value_kind:     by_value
    .group_segment_fixed_size: 224
    .kernarg_segment_align: 8
    .kernarg_segment_size: 40
    .language:       OpenCL C
    .language_version:
      - 2
      - 0
    .max_flat_workgroup_size: 256
    .name:           _ZN7rocprim17ROCPRIM_400000_NS6detail17trampoline_kernelINS0_14default_configENS1_22reduce_config_selectorIiEEZNS1_11reduce_implILb1ES3_PiS7_iN6hipcub16HIPCUB_304000_NS6detail34convert_binary_result_type_wrapperISt4plusIvENS9_22TransformInputIteratorIiN2at6native8internal21MapNumberOfTrueValuesEPKhlEEiEEEE10hipError_tPvRmT1_T2_T3_mT4_P12ihipStream_tbEUlT_E1_NS1_11comp_targetILNS1_3genE0ELNS1_11target_archE4294967295ELNS1_3gpuE0ELNS1_3repE0EEENS1_30default_config_static_selectorELNS0_4arch9wavefront6targetE0EEEvSQ_
    .private_segment_fixed_size: 0
    .sgpr_count:     47
    .sgpr_spill_count: 0
    .symbol:         _ZN7rocprim17ROCPRIM_400000_NS6detail17trampoline_kernelINS0_14default_configENS1_22reduce_config_selectorIiEEZNS1_11reduce_implILb1ES3_PiS7_iN6hipcub16HIPCUB_304000_NS6detail34convert_binary_result_type_wrapperISt4plusIvENS9_22TransformInputIteratorIiN2at6native8internal21MapNumberOfTrueValuesEPKhlEEiEEEE10hipError_tPvRmT1_T2_T3_mT4_P12ihipStream_tbEUlT_E1_NS1_11comp_targetILNS1_3genE0ELNS1_11target_archE4294967295ELNS1_3gpuE0ELNS1_3repE0EEENS1_30default_config_static_selectorELNS0_4arch9wavefront6targetE0EEEvSQ_.kd
    .uniform_work_group_size: 1
    .uses_dynamic_stack: false
    .vgpr_count:     36
    .vgpr_spill_count: 0
    .wavefront_size: 32
  - .args:
      - .offset:         0
        .size:           40
        .value_kind:     by_value
    .group_segment_fixed_size: 0
    .kernarg_segment_align: 8
    .kernarg_segment_size: 40
    .language:       OpenCL C
    .language_version:
      - 2
      - 0
    .max_flat_workgroup_size: 256
    .name:           _ZN7rocprim17ROCPRIM_400000_NS6detail17trampoline_kernelINS0_14default_configENS1_22reduce_config_selectorIiEEZNS1_11reduce_implILb1ES3_PiS7_iN6hipcub16HIPCUB_304000_NS6detail34convert_binary_result_type_wrapperISt4plusIvENS9_22TransformInputIteratorIiN2at6native8internal21MapNumberOfTrueValuesEPKhlEEiEEEE10hipError_tPvRmT1_T2_T3_mT4_P12ihipStream_tbEUlT_E1_NS1_11comp_targetILNS1_3genE5ELNS1_11target_archE942ELNS1_3gpuE9ELNS1_3repE0EEENS1_30default_config_static_selectorELNS0_4arch9wavefront6targetE0EEEvSQ_
    .private_segment_fixed_size: 0
    .sgpr_count:     0
    .sgpr_spill_count: 0
    .symbol:         _ZN7rocprim17ROCPRIM_400000_NS6detail17trampoline_kernelINS0_14default_configENS1_22reduce_config_selectorIiEEZNS1_11reduce_implILb1ES3_PiS7_iN6hipcub16HIPCUB_304000_NS6detail34convert_binary_result_type_wrapperISt4plusIvENS9_22TransformInputIteratorIiN2at6native8internal21MapNumberOfTrueValuesEPKhlEEiEEEE10hipError_tPvRmT1_T2_T3_mT4_P12ihipStream_tbEUlT_E1_NS1_11comp_targetILNS1_3genE5ELNS1_11target_archE942ELNS1_3gpuE9ELNS1_3repE0EEENS1_30default_config_static_selectorELNS0_4arch9wavefront6targetE0EEEvSQ_.kd
    .uniform_work_group_size: 1
    .uses_dynamic_stack: false
    .vgpr_count:     0
    .vgpr_spill_count: 0
    .wavefront_size: 32
  - .args:
      - .offset:         0
        .size:           40
        .value_kind:     by_value
    .group_segment_fixed_size: 0
    .kernarg_segment_align: 8
    .kernarg_segment_size: 40
    .language:       OpenCL C
    .language_version:
      - 2
      - 0
    .max_flat_workgroup_size: 128
    .name:           _ZN7rocprim17ROCPRIM_400000_NS6detail17trampoline_kernelINS0_14default_configENS1_22reduce_config_selectorIiEEZNS1_11reduce_implILb1ES3_PiS7_iN6hipcub16HIPCUB_304000_NS6detail34convert_binary_result_type_wrapperISt4plusIvENS9_22TransformInputIteratorIiN2at6native8internal21MapNumberOfTrueValuesEPKhlEEiEEEE10hipError_tPvRmT1_T2_T3_mT4_P12ihipStream_tbEUlT_E1_NS1_11comp_targetILNS1_3genE4ELNS1_11target_archE910ELNS1_3gpuE8ELNS1_3repE0EEENS1_30default_config_static_selectorELNS0_4arch9wavefront6targetE0EEEvSQ_
    .private_segment_fixed_size: 0
    .sgpr_count:     0
    .sgpr_spill_count: 0
    .symbol:         _ZN7rocprim17ROCPRIM_400000_NS6detail17trampoline_kernelINS0_14default_configENS1_22reduce_config_selectorIiEEZNS1_11reduce_implILb1ES3_PiS7_iN6hipcub16HIPCUB_304000_NS6detail34convert_binary_result_type_wrapperISt4plusIvENS9_22TransformInputIteratorIiN2at6native8internal21MapNumberOfTrueValuesEPKhlEEiEEEE10hipError_tPvRmT1_T2_T3_mT4_P12ihipStream_tbEUlT_E1_NS1_11comp_targetILNS1_3genE4ELNS1_11target_archE910ELNS1_3gpuE8ELNS1_3repE0EEENS1_30default_config_static_selectorELNS0_4arch9wavefront6targetE0EEEvSQ_.kd
    .uniform_work_group_size: 1
    .uses_dynamic_stack: false
    .vgpr_count:     0
    .vgpr_spill_count: 0
    .wavefront_size: 32
  - .args:
      - .offset:         0
        .size:           40
        .value_kind:     by_value
    .group_segment_fixed_size: 0
    .kernarg_segment_align: 8
    .kernarg_segment_size: 40
    .language:       OpenCL C
    .language_version:
      - 2
      - 0
    .max_flat_workgroup_size: 256
    .name:           _ZN7rocprim17ROCPRIM_400000_NS6detail17trampoline_kernelINS0_14default_configENS1_22reduce_config_selectorIiEEZNS1_11reduce_implILb1ES3_PiS7_iN6hipcub16HIPCUB_304000_NS6detail34convert_binary_result_type_wrapperISt4plusIvENS9_22TransformInputIteratorIiN2at6native8internal21MapNumberOfTrueValuesEPKhlEEiEEEE10hipError_tPvRmT1_T2_T3_mT4_P12ihipStream_tbEUlT_E1_NS1_11comp_targetILNS1_3genE3ELNS1_11target_archE908ELNS1_3gpuE7ELNS1_3repE0EEENS1_30default_config_static_selectorELNS0_4arch9wavefront6targetE0EEEvSQ_
    .private_segment_fixed_size: 0
    .sgpr_count:     0
    .sgpr_spill_count: 0
    .symbol:         _ZN7rocprim17ROCPRIM_400000_NS6detail17trampoline_kernelINS0_14default_configENS1_22reduce_config_selectorIiEEZNS1_11reduce_implILb1ES3_PiS7_iN6hipcub16HIPCUB_304000_NS6detail34convert_binary_result_type_wrapperISt4plusIvENS9_22TransformInputIteratorIiN2at6native8internal21MapNumberOfTrueValuesEPKhlEEiEEEE10hipError_tPvRmT1_T2_T3_mT4_P12ihipStream_tbEUlT_E1_NS1_11comp_targetILNS1_3genE3ELNS1_11target_archE908ELNS1_3gpuE7ELNS1_3repE0EEENS1_30default_config_static_selectorELNS0_4arch9wavefront6targetE0EEEvSQ_.kd
    .uniform_work_group_size: 1
    .uses_dynamic_stack: false
    .vgpr_count:     0
    .vgpr_spill_count: 0
    .wavefront_size: 32
  - .args:
      - .offset:         0
        .size:           40
        .value_kind:     by_value
    .group_segment_fixed_size: 0
    .kernarg_segment_align: 8
    .kernarg_segment_size: 40
    .language:       OpenCL C
    .language_version:
      - 2
      - 0
    .max_flat_workgroup_size: 256
    .name:           _ZN7rocprim17ROCPRIM_400000_NS6detail17trampoline_kernelINS0_14default_configENS1_22reduce_config_selectorIiEEZNS1_11reduce_implILb1ES3_PiS7_iN6hipcub16HIPCUB_304000_NS6detail34convert_binary_result_type_wrapperISt4plusIvENS9_22TransformInputIteratorIiN2at6native8internal21MapNumberOfTrueValuesEPKhlEEiEEEE10hipError_tPvRmT1_T2_T3_mT4_P12ihipStream_tbEUlT_E1_NS1_11comp_targetILNS1_3genE2ELNS1_11target_archE906ELNS1_3gpuE6ELNS1_3repE0EEENS1_30default_config_static_selectorELNS0_4arch9wavefront6targetE0EEEvSQ_
    .private_segment_fixed_size: 0
    .sgpr_count:     0
    .sgpr_spill_count: 0
    .symbol:         _ZN7rocprim17ROCPRIM_400000_NS6detail17trampoline_kernelINS0_14default_configENS1_22reduce_config_selectorIiEEZNS1_11reduce_implILb1ES3_PiS7_iN6hipcub16HIPCUB_304000_NS6detail34convert_binary_result_type_wrapperISt4plusIvENS9_22TransformInputIteratorIiN2at6native8internal21MapNumberOfTrueValuesEPKhlEEiEEEE10hipError_tPvRmT1_T2_T3_mT4_P12ihipStream_tbEUlT_E1_NS1_11comp_targetILNS1_3genE2ELNS1_11target_archE906ELNS1_3gpuE6ELNS1_3repE0EEENS1_30default_config_static_selectorELNS0_4arch9wavefront6targetE0EEEvSQ_.kd
    .uniform_work_group_size: 1
    .uses_dynamic_stack: false
    .vgpr_count:     0
    .vgpr_spill_count: 0
    .wavefront_size: 32
  - .args:
      - .offset:         0
        .size:           40
        .value_kind:     by_value
    .group_segment_fixed_size: 0
    .kernarg_segment_align: 8
    .kernarg_segment_size: 40
    .language:       OpenCL C
    .language_version:
      - 2
      - 0
    .max_flat_workgroup_size: 256
    .name:           _ZN7rocprim17ROCPRIM_400000_NS6detail17trampoline_kernelINS0_14default_configENS1_22reduce_config_selectorIiEEZNS1_11reduce_implILb1ES3_PiS7_iN6hipcub16HIPCUB_304000_NS6detail34convert_binary_result_type_wrapperISt4plusIvENS9_22TransformInputIteratorIiN2at6native8internal21MapNumberOfTrueValuesEPKhlEEiEEEE10hipError_tPvRmT1_T2_T3_mT4_P12ihipStream_tbEUlT_E1_NS1_11comp_targetILNS1_3genE10ELNS1_11target_archE1201ELNS1_3gpuE5ELNS1_3repE0EEENS1_30default_config_static_selectorELNS0_4arch9wavefront6targetE0EEEvSQ_
    .private_segment_fixed_size: 0
    .sgpr_count:     0
    .sgpr_spill_count: 0
    .symbol:         _ZN7rocprim17ROCPRIM_400000_NS6detail17trampoline_kernelINS0_14default_configENS1_22reduce_config_selectorIiEEZNS1_11reduce_implILb1ES3_PiS7_iN6hipcub16HIPCUB_304000_NS6detail34convert_binary_result_type_wrapperISt4plusIvENS9_22TransformInputIteratorIiN2at6native8internal21MapNumberOfTrueValuesEPKhlEEiEEEE10hipError_tPvRmT1_T2_T3_mT4_P12ihipStream_tbEUlT_E1_NS1_11comp_targetILNS1_3genE10ELNS1_11target_archE1201ELNS1_3gpuE5ELNS1_3repE0EEENS1_30default_config_static_selectorELNS0_4arch9wavefront6targetE0EEEvSQ_.kd
    .uniform_work_group_size: 1
    .uses_dynamic_stack: false
    .vgpr_count:     0
    .vgpr_spill_count: 0
    .wavefront_size: 32
  - .args:
      - .offset:         0
        .size:           40
        .value_kind:     by_value
    .group_segment_fixed_size: 0
    .kernarg_segment_align: 8
    .kernarg_segment_size: 40
    .language:       OpenCL C
    .language_version:
      - 2
      - 0
    .max_flat_workgroup_size: 256
    .name:           _ZN7rocprim17ROCPRIM_400000_NS6detail17trampoline_kernelINS0_14default_configENS1_22reduce_config_selectorIiEEZNS1_11reduce_implILb1ES3_PiS7_iN6hipcub16HIPCUB_304000_NS6detail34convert_binary_result_type_wrapperISt4plusIvENS9_22TransformInputIteratorIiN2at6native8internal21MapNumberOfTrueValuesEPKhlEEiEEEE10hipError_tPvRmT1_T2_T3_mT4_P12ihipStream_tbEUlT_E1_NS1_11comp_targetILNS1_3genE10ELNS1_11target_archE1200ELNS1_3gpuE4ELNS1_3repE0EEENS1_30default_config_static_selectorELNS0_4arch9wavefront6targetE0EEEvSQ_
    .private_segment_fixed_size: 0
    .sgpr_count:     0
    .sgpr_spill_count: 0
    .symbol:         _ZN7rocprim17ROCPRIM_400000_NS6detail17trampoline_kernelINS0_14default_configENS1_22reduce_config_selectorIiEEZNS1_11reduce_implILb1ES3_PiS7_iN6hipcub16HIPCUB_304000_NS6detail34convert_binary_result_type_wrapperISt4plusIvENS9_22TransformInputIteratorIiN2at6native8internal21MapNumberOfTrueValuesEPKhlEEiEEEE10hipError_tPvRmT1_T2_T3_mT4_P12ihipStream_tbEUlT_E1_NS1_11comp_targetILNS1_3genE10ELNS1_11target_archE1200ELNS1_3gpuE4ELNS1_3repE0EEENS1_30default_config_static_selectorELNS0_4arch9wavefront6targetE0EEEvSQ_.kd
    .uniform_work_group_size: 1
    .uses_dynamic_stack: false
    .vgpr_count:     0
    .vgpr_spill_count: 0
    .wavefront_size: 32
  - .args:
      - .offset:         0
        .size:           40
        .value_kind:     by_value
    .group_segment_fixed_size: 0
    .kernarg_segment_align: 8
    .kernarg_segment_size: 40
    .language:       OpenCL C
    .language_version:
      - 2
      - 0
    .max_flat_workgroup_size: 256
    .name:           _ZN7rocprim17ROCPRIM_400000_NS6detail17trampoline_kernelINS0_14default_configENS1_22reduce_config_selectorIiEEZNS1_11reduce_implILb1ES3_PiS7_iN6hipcub16HIPCUB_304000_NS6detail34convert_binary_result_type_wrapperISt4plusIvENS9_22TransformInputIteratorIiN2at6native8internal21MapNumberOfTrueValuesEPKhlEEiEEEE10hipError_tPvRmT1_T2_T3_mT4_P12ihipStream_tbEUlT_E1_NS1_11comp_targetILNS1_3genE9ELNS1_11target_archE1100ELNS1_3gpuE3ELNS1_3repE0EEENS1_30default_config_static_selectorELNS0_4arch9wavefront6targetE0EEEvSQ_
    .private_segment_fixed_size: 0
    .sgpr_count:     0
    .sgpr_spill_count: 0
    .symbol:         _ZN7rocprim17ROCPRIM_400000_NS6detail17trampoline_kernelINS0_14default_configENS1_22reduce_config_selectorIiEEZNS1_11reduce_implILb1ES3_PiS7_iN6hipcub16HIPCUB_304000_NS6detail34convert_binary_result_type_wrapperISt4plusIvENS9_22TransformInputIteratorIiN2at6native8internal21MapNumberOfTrueValuesEPKhlEEiEEEE10hipError_tPvRmT1_T2_T3_mT4_P12ihipStream_tbEUlT_E1_NS1_11comp_targetILNS1_3genE9ELNS1_11target_archE1100ELNS1_3gpuE3ELNS1_3repE0EEENS1_30default_config_static_selectorELNS0_4arch9wavefront6targetE0EEEvSQ_.kd
    .uniform_work_group_size: 1
    .uses_dynamic_stack: false
    .vgpr_count:     0
    .vgpr_spill_count: 0
    .wavefront_size: 32
  - .args:
      - .offset:         0
        .size:           40
        .value_kind:     by_value
    .group_segment_fixed_size: 0
    .kernarg_segment_align: 8
    .kernarg_segment_size: 40
    .language:       OpenCL C
    .language_version:
      - 2
      - 0
    .max_flat_workgroup_size: 256
    .name:           _ZN7rocprim17ROCPRIM_400000_NS6detail17trampoline_kernelINS0_14default_configENS1_22reduce_config_selectorIiEEZNS1_11reduce_implILb1ES3_PiS7_iN6hipcub16HIPCUB_304000_NS6detail34convert_binary_result_type_wrapperISt4plusIvENS9_22TransformInputIteratorIiN2at6native8internal21MapNumberOfTrueValuesEPKhlEEiEEEE10hipError_tPvRmT1_T2_T3_mT4_P12ihipStream_tbEUlT_E1_NS1_11comp_targetILNS1_3genE8ELNS1_11target_archE1030ELNS1_3gpuE2ELNS1_3repE0EEENS1_30default_config_static_selectorELNS0_4arch9wavefront6targetE0EEEvSQ_
    .private_segment_fixed_size: 0
    .sgpr_count:     0
    .sgpr_spill_count: 0
    .symbol:         _ZN7rocprim17ROCPRIM_400000_NS6detail17trampoline_kernelINS0_14default_configENS1_22reduce_config_selectorIiEEZNS1_11reduce_implILb1ES3_PiS7_iN6hipcub16HIPCUB_304000_NS6detail34convert_binary_result_type_wrapperISt4plusIvENS9_22TransformInputIteratorIiN2at6native8internal21MapNumberOfTrueValuesEPKhlEEiEEEE10hipError_tPvRmT1_T2_T3_mT4_P12ihipStream_tbEUlT_E1_NS1_11comp_targetILNS1_3genE8ELNS1_11target_archE1030ELNS1_3gpuE2ELNS1_3repE0EEENS1_30default_config_static_selectorELNS0_4arch9wavefront6targetE0EEEvSQ_.kd
    .uniform_work_group_size: 1
    .uses_dynamic_stack: false
    .vgpr_count:     0
    .vgpr_spill_count: 0
    .wavefront_size: 32
  - .args:
      - .offset:         0
        .size:           64
        .value_kind:     by_value
    .group_segment_fixed_size: 64
    .kernarg_segment_align: 8
    .kernarg_segment_size: 64
    .language:       OpenCL C
    .language_version:
      - 2
      - 0
    .max_flat_workgroup_size: 256
    .name:           _ZN7rocprim17ROCPRIM_400000_NS6detail17trampoline_kernelINS0_14default_configENS1_22reduce_config_selectorIiEEZNS1_11reduce_implILb1ES3_N6hipcub16HIPCUB_304000_NS22TransformInputIteratorIiN2at6native8internal21MapNumberOfTrueValuesEPKhlEEPiiNS8_6detail34convert_binary_result_type_wrapperISt4plusIvESG_iEEEE10hipError_tPvRmT1_T2_T3_mT4_P12ihipStream_tbEUlT_E0_NS1_11comp_targetILNS1_3genE0ELNS1_11target_archE4294967295ELNS1_3gpuE0ELNS1_3repE0EEENS1_30default_config_static_selectorELNS0_4arch9wavefront6targetE0EEEvSQ_
    .private_segment_fixed_size: 0
    .sgpr_count:     20
    .sgpr_spill_count: 0
    .symbol:         _ZN7rocprim17ROCPRIM_400000_NS6detail17trampoline_kernelINS0_14default_configENS1_22reduce_config_selectorIiEEZNS1_11reduce_implILb1ES3_N6hipcub16HIPCUB_304000_NS22TransformInputIteratorIiN2at6native8internal21MapNumberOfTrueValuesEPKhlEEPiiNS8_6detail34convert_binary_result_type_wrapperISt4plusIvESG_iEEEE10hipError_tPvRmT1_T2_T3_mT4_P12ihipStream_tbEUlT_E0_NS1_11comp_targetILNS1_3genE0ELNS1_11target_archE4294967295ELNS1_3gpuE0ELNS1_3repE0EEENS1_30default_config_static_selectorELNS0_4arch9wavefront6targetE0EEEvSQ_.kd
    .uniform_work_group_size: 1
    .uses_dynamic_stack: false
    .vgpr_count:     8
    .vgpr_spill_count: 0
    .wavefront_size: 32
  - .args:
      - .offset:         0
        .size:           64
        .value_kind:     by_value
    .group_segment_fixed_size: 0
    .kernarg_segment_align: 8
    .kernarg_segment_size: 64
    .language:       OpenCL C
    .language_version:
      - 2
      - 0
    .max_flat_workgroup_size: 256
    .name:           _ZN7rocprim17ROCPRIM_400000_NS6detail17trampoline_kernelINS0_14default_configENS1_22reduce_config_selectorIiEEZNS1_11reduce_implILb1ES3_N6hipcub16HIPCUB_304000_NS22TransformInputIteratorIiN2at6native8internal21MapNumberOfTrueValuesEPKhlEEPiiNS8_6detail34convert_binary_result_type_wrapperISt4plusIvESG_iEEEE10hipError_tPvRmT1_T2_T3_mT4_P12ihipStream_tbEUlT_E0_NS1_11comp_targetILNS1_3genE5ELNS1_11target_archE942ELNS1_3gpuE9ELNS1_3repE0EEENS1_30default_config_static_selectorELNS0_4arch9wavefront6targetE0EEEvSQ_
    .private_segment_fixed_size: 0
    .sgpr_count:     0
    .sgpr_spill_count: 0
    .symbol:         _ZN7rocprim17ROCPRIM_400000_NS6detail17trampoline_kernelINS0_14default_configENS1_22reduce_config_selectorIiEEZNS1_11reduce_implILb1ES3_N6hipcub16HIPCUB_304000_NS22TransformInputIteratorIiN2at6native8internal21MapNumberOfTrueValuesEPKhlEEPiiNS8_6detail34convert_binary_result_type_wrapperISt4plusIvESG_iEEEE10hipError_tPvRmT1_T2_T3_mT4_P12ihipStream_tbEUlT_E0_NS1_11comp_targetILNS1_3genE5ELNS1_11target_archE942ELNS1_3gpuE9ELNS1_3repE0EEENS1_30default_config_static_selectorELNS0_4arch9wavefront6targetE0EEEvSQ_.kd
    .uniform_work_group_size: 1
    .uses_dynamic_stack: false
    .vgpr_count:     0
    .vgpr_spill_count: 0
    .wavefront_size: 32
  - .args:
      - .offset:         0
        .size:           64
        .value_kind:     by_value
    .group_segment_fixed_size: 0
    .kernarg_segment_align: 8
    .kernarg_segment_size: 64
    .language:       OpenCL C
    .language_version:
      - 2
      - 0
    .max_flat_workgroup_size: 128
    .name:           _ZN7rocprim17ROCPRIM_400000_NS6detail17trampoline_kernelINS0_14default_configENS1_22reduce_config_selectorIiEEZNS1_11reduce_implILb1ES3_N6hipcub16HIPCUB_304000_NS22TransformInputIteratorIiN2at6native8internal21MapNumberOfTrueValuesEPKhlEEPiiNS8_6detail34convert_binary_result_type_wrapperISt4plusIvESG_iEEEE10hipError_tPvRmT1_T2_T3_mT4_P12ihipStream_tbEUlT_E0_NS1_11comp_targetILNS1_3genE4ELNS1_11target_archE910ELNS1_3gpuE8ELNS1_3repE0EEENS1_30default_config_static_selectorELNS0_4arch9wavefront6targetE0EEEvSQ_
    .private_segment_fixed_size: 0
    .sgpr_count:     0
    .sgpr_spill_count: 0
    .symbol:         _ZN7rocprim17ROCPRIM_400000_NS6detail17trampoline_kernelINS0_14default_configENS1_22reduce_config_selectorIiEEZNS1_11reduce_implILb1ES3_N6hipcub16HIPCUB_304000_NS22TransformInputIteratorIiN2at6native8internal21MapNumberOfTrueValuesEPKhlEEPiiNS8_6detail34convert_binary_result_type_wrapperISt4plusIvESG_iEEEE10hipError_tPvRmT1_T2_T3_mT4_P12ihipStream_tbEUlT_E0_NS1_11comp_targetILNS1_3genE4ELNS1_11target_archE910ELNS1_3gpuE8ELNS1_3repE0EEENS1_30default_config_static_selectorELNS0_4arch9wavefront6targetE0EEEvSQ_.kd
    .uniform_work_group_size: 1
    .uses_dynamic_stack: false
    .vgpr_count:     0
    .vgpr_spill_count: 0
    .wavefront_size: 32
  - .args:
      - .offset:         0
        .size:           64
        .value_kind:     by_value
    .group_segment_fixed_size: 0
    .kernarg_segment_align: 8
    .kernarg_segment_size: 64
    .language:       OpenCL C
    .language_version:
      - 2
      - 0
    .max_flat_workgroup_size: 256
    .name:           _ZN7rocprim17ROCPRIM_400000_NS6detail17trampoline_kernelINS0_14default_configENS1_22reduce_config_selectorIiEEZNS1_11reduce_implILb1ES3_N6hipcub16HIPCUB_304000_NS22TransformInputIteratorIiN2at6native8internal21MapNumberOfTrueValuesEPKhlEEPiiNS8_6detail34convert_binary_result_type_wrapperISt4plusIvESG_iEEEE10hipError_tPvRmT1_T2_T3_mT4_P12ihipStream_tbEUlT_E0_NS1_11comp_targetILNS1_3genE3ELNS1_11target_archE908ELNS1_3gpuE7ELNS1_3repE0EEENS1_30default_config_static_selectorELNS0_4arch9wavefront6targetE0EEEvSQ_
    .private_segment_fixed_size: 0
    .sgpr_count:     0
    .sgpr_spill_count: 0
    .symbol:         _ZN7rocprim17ROCPRIM_400000_NS6detail17trampoline_kernelINS0_14default_configENS1_22reduce_config_selectorIiEEZNS1_11reduce_implILb1ES3_N6hipcub16HIPCUB_304000_NS22TransformInputIteratorIiN2at6native8internal21MapNumberOfTrueValuesEPKhlEEPiiNS8_6detail34convert_binary_result_type_wrapperISt4plusIvESG_iEEEE10hipError_tPvRmT1_T2_T3_mT4_P12ihipStream_tbEUlT_E0_NS1_11comp_targetILNS1_3genE3ELNS1_11target_archE908ELNS1_3gpuE7ELNS1_3repE0EEENS1_30default_config_static_selectorELNS0_4arch9wavefront6targetE0EEEvSQ_.kd
    .uniform_work_group_size: 1
    .uses_dynamic_stack: false
    .vgpr_count:     0
    .vgpr_spill_count: 0
    .wavefront_size: 32
  - .args:
      - .offset:         0
        .size:           64
        .value_kind:     by_value
    .group_segment_fixed_size: 0
    .kernarg_segment_align: 8
    .kernarg_segment_size: 64
    .language:       OpenCL C
    .language_version:
      - 2
      - 0
    .max_flat_workgroup_size: 256
    .name:           _ZN7rocprim17ROCPRIM_400000_NS6detail17trampoline_kernelINS0_14default_configENS1_22reduce_config_selectorIiEEZNS1_11reduce_implILb1ES3_N6hipcub16HIPCUB_304000_NS22TransformInputIteratorIiN2at6native8internal21MapNumberOfTrueValuesEPKhlEEPiiNS8_6detail34convert_binary_result_type_wrapperISt4plusIvESG_iEEEE10hipError_tPvRmT1_T2_T3_mT4_P12ihipStream_tbEUlT_E0_NS1_11comp_targetILNS1_3genE2ELNS1_11target_archE906ELNS1_3gpuE6ELNS1_3repE0EEENS1_30default_config_static_selectorELNS0_4arch9wavefront6targetE0EEEvSQ_
    .private_segment_fixed_size: 0
    .sgpr_count:     0
    .sgpr_spill_count: 0
    .symbol:         _ZN7rocprim17ROCPRIM_400000_NS6detail17trampoline_kernelINS0_14default_configENS1_22reduce_config_selectorIiEEZNS1_11reduce_implILb1ES3_N6hipcub16HIPCUB_304000_NS22TransformInputIteratorIiN2at6native8internal21MapNumberOfTrueValuesEPKhlEEPiiNS8_6detail34convert_binary_result_type_wrapperISt4plusIvESG_iEEEE10hipError_tPvRmT1_T2_T3_mT4_P12ihipStream_tbEUlT_E0_NS1_11comp_targetILNS1_3genE2ELNS1_11target_archE906ELNS1_3gpuE6ELNS1_3repE0EEENS1_30default_config_static_selectorELNS0_4arch9wavefront6targetE0EEEvSQ_.kd
    .uniform_work_group_size: 1
    .uses_dynamic_stack: false
    .vgpr_count:     0
    .vgpr_spill_count: 0
    .wavefront_size: 32
  - .args:
      - .offset:         0
        .size:           64
        .value_kind:     by_value
    .group_segment_fixed_size: 0
    .kernarg_segment_align: 8
    .kernarg_segment_size: 64
    .language:       OpenCL C
    .language_version:
      - 2
      - 0
    .max_flat_workgroup_size: 256
    .name:           _ZN7rocprim17ROCPRIM_400000_NS6detail17trampoline_kernelINS0_14default_configENS1_22reduce_config_selectorIiEEZNS1_11reduce_implILb1ES3_N6hipcub16HIPCUB_304000_NS22TransformInputIteratorIiN2at6native8internal21MapNumberOfTrueValuesEPKhlEEPiiNS8_6detail34convert_binary_result_type_wrapperISt4plusIvESG_iEEEE10hipError_tPvRmT1_T2_T3_mT4_P12ihipStream_tbEUlT_E0_NS1_11comp_targetILNS1_3genE10ELNS1_11target_archE1201ELNS1_3gpuE5ELNS1_3repE0EEENS1_30default_config_static_selectorELNS0_4arch9wavefront6targetE0EEEvSQ_
    .private_segment_fixed_size: 0
    .sgpr_count:     0
    .sgpr_spill_count: 0
    .symbol:         _ZN7rocprim17ROCPRIM_400000_NS6detail17trampoline_kernelINS0_14default_configENS1_22reduce_config_selectorIiEEZNS1_11reduce_implILb1ES3_N6hipcub16HIPCUB_304000_NS22TransformInputIteratorIiN2at6native8internal21MapNumberOfTrueValuesEPKhlEEPiiNS8_6detail34convert_binary_result_type_wrapperISt4plusIvESG_iEEEE10hipError_tPvRmT1_T2_T3_mT4_P12ihipStream_tbEUlT_E0_NS1_11comp_targetILNS1_3genE10ELNS1_11target_archE1201ELNS1_3gpuE5ELNS1_3repE0EEENS1_30default_config_static_selectorELNS0_4arch9wavefront6targetE0EEEvSQ_.kd
    .uniform_work_group_size: 1
    .uses_dynamic_stack: false
    .vgpr_count:     0
    .vgpr_spill_count: 0
    .wavefront_size: 32
  - .args:
      - .offset:         0
        .size:           64
        .value_kind:     by_value
    .group_segment_fixed_size: 0
    .kernarg_segment_align: 8
    .kernarg_segment_size: 64
    .language:       OpenCL C
    .language_version:
      - 2
      - 0
    .max_flat_workgroup_size: 256
    .name:           _ZN7rocprim17ROCPRIM_400000_NS6detail17trampoline_kernelINS0_14default_configENS1_22reduce_config_selectorIiEEZNS1_11reduce_implILb1ES3_N6hipcub16HIPCUB_304000_NS22TransformInputIteratorIiN2at6native8internal21MapNumberOfTrueValuesEPKhlEEPiiNS8_6detail34convert_binary_result_type_wrapperISt4plusIvESG_iEEEE10hipError_tPvRmT1_T2_T3_mT4_P12ihipStream_tbEUlT_E0_NS1_11comp_targetILNS1_3genE10ELNS1_11target_archE1200ELNS1_3gpuE4ELNS1_3repE0EEENS1_30default_config_static_selectorELNS0_4arch9wavefront6targetE0EEEvSQ_
    .private_segment_fixed_size: 0
    .sgpr_count:     0
    .sgpr_spill_count: 0
    .symbol:         _ZN7rocprim17ROCPRIM_400000_NS6detail17trampoline_kernelINS0_14default_configENS1_22reduce_config_selectorIiEEZNS1_11reduce_implILb1ES3_N6hipcub16HIPCUB_304000_NS22TransformInputIteratorIiN2at6native8internal21MapNumberOfTrueValuesEPKhlEEPiiNS8_6detail34convert_binary_result_type_wrapperISt4plusIvESG_iEEEE10hipError_tPvRmT1_T2_T3_mT4_P12ihipStream_tbEUlT_E0_NS1_11comp_targetILNS1_3genE10ELNS1_11target_archE1200ELNS1_3gpuE4ELNS1_3repE0EEENS1_30default_config_static_selectorELNS0_4arch9wavefront6targetE0EEEvSQ_.kd
    .uniform_work_group_size: 1
    .uses_dynamic_stack: false
    .vgpr_count:     0
    .vgpr_spill_count: 0
    .wavefront_size: 32
  - .args:
      - .offset:         0
        .size:           64
        .value_kind:     by_value
    .group_segment_fixed_size: 0
    .kernarg_segment_align: 8
    .kernarg_segment_size: 64
    .language:       OpenCL C
    .language_version:
      - 2
      - 0
    .max_flat_workgroup_size: 256
    .name:           _ZN7rocprim17ROCPRIM_400000_NS6detail17trampoline_kernelINS0_14default_configENS1_22reduce_config_selectorIiEEZNS1_11reduce_implILb1ES3_N6hipcub16HIPCUB_304000_NS22TransformInputIteratorIiN2at6native8internal21MapNumberOfTrueValuesEPKhlEEPiiNS8_6detail34convert_binary_result_type_wrapperISt4plusIvESG_iEEEE10hipError_tPvRmT1_T2_T3_mT4_P12ihipStream_tbEUlT_E0_NS1_11comp_targetILNS1_3genE9ELNS1_11target_archE1100ELNS1_3gpuE3ELNS1_3repE0EEENS1_30default_config_static_selectorELNS0_4arch9wavefront6targetE0EEEvSQ_
    .private_segment_fixed_size: 0
    .sgpr_count:     0
    .sgpr_spill_count: 0
    .symbol:         _ZN7rocprim17ROCPRIM_400000_NS6detail17trampoline_kernelINS0_14default_configENS1_22reduce_config_selectorIiEEZNS1_11reduce_implILb1ES3_N6hipcub16HIPCUB_304000_NS22TransformInputIteratorIiN2at6native8internal21MapNumberOfTrueValuesEPKhlEEPiiNS8_6detail34convert_binary_result_type_wrapperISt4plusIvESG_iEEEE10hipError_tPvRmT1_T2_T3_mT4_P12ihipStream_tbEUlT_E0_NS1_11comp_targetILNS1_3genE9ELNS1_11target_archE1100ELNS1_3gpuE3ELNS1_3repE0EEENS1_30default_config_static_selectorELNS0_4arch9wavefront6targetE0EEEvSQ_.kd
    .uniform_work_group_size: 1
    .uses_dynamic_stack: false
    .vgpr_count:     0
    .vgpr_spill_count: 0
    .wavefront_size: 32
  - .args:
      - .offset:         0
        .size:           64
        .value_kind:     by_value
    .group_segment_fixed_size: 0
    .kernarg_segment_align: 8
    .kernarg_segment_size: 64
    .language:       OpenCL C
    .language_version:
      - 2
      - 0
    .max_flat_workgroup_size: 256
    .name:           _ZN7rocprim17ROCPRIM_400000_NS6detail17trampoline_kernelINS0_14default_configENS1_22reduce_config_selectorIiEEZNS1_11reduce_implILb1ES3_N6hipcub16HIPCUB_304000_NS22TransformInputIteratorIiN2at6native8internal21MapNumberOfTrueValuesEPKhlEEPiiNS8_6detail34convert_binary_result_type_wrapperISt4plusIvESG_iEEEE10hipError_tPvRmT1_T2_T3_mT4_P12ihipStream_tbEUlT_E0_NS1_11comp_targetILNS1_3genE8ELNS1_11target_archE1030ELNS1_3gpuE2ELNS1_3repE0EEENS1_30default_config_static_selectorELNS0_4arch9wavefront6targetE0EEEvSQ_
    .private_segment_fixed_size: 0
    .sgpr_count:     0
    .sgpr_spill_count: 0
    .symbol:         _ZN7rocprim17ROCPRIM_400000_NS6detail17trampoline_kernelINS0_14default_configENS1_22reduce_config_selectorIiEEZNS1_11reduce_implILb1ES3_N6hipcub16HIPCUB_304000_NS22TransformInputIteratorIiN2at6native8internal21MapNumberOfTrueValuesEPKhlEEPiiNS8_6detail34convert_binary_result_type_wrapperISt4plusIvESG_iEEEE10hipError_tPvRmT1_T2_T3_mT4_P12ihipStream_tbEUlT_E0_NS1_11comp_targetILNS1_3genE8ELNS1_11target_archE1030ELNS1_3gpuE2ELNS1_3repE0EEENS1_30default_config_static_selectorELNS0_4arch9wavefront6targetE0EEEvSQ_.kd
    .uniform_work_group_size: 1
    .uses_dynamic_stack: false
    .vgpr_count:     0
    .vgpr_spill_count: 0
    .wavefront_size: 32
  - .args:
      - .offset:         0
        .size:           48
        .value_kind:     by_value
    .group_segment_fixed_size: 224
    .kernarg_segment_align: 8
    .kernarg_segment_size: 48
    .language:       OpenCL C
    .language_version:
      - 2
      - 0
    .max_flat_workgroup_size: 256
    .name:           _ZN7rocprim17ROCPRIM_400000_NS6detail17trampoline_kernelINS0_14default_configENS1_22reduce_config_selectorIiEEZNS1_11reduce_implILb1ES3_N6hipcub16HIPCUB_304000_NS22TransformInputIteratorIiN2at6native8internal21MapNumberOfTrueValuesEPKhlEEPiiNS8_6detail34convert_binary_result_type_wrapperISt4plusIvESG_iEEEE10hipError_tPvRmT1_T2_T3_mT4_P12ihipStream_tbEUlT_E1_NS1_11comp_targetILNS1_3genE0ELNS1_11target_archE4294967295ELNS1_3gpuE0ELNS1_3repE0EEENS1_30default_config_static_selectorELNS0_4arch9wavefront6targetE0EEEvSQ_
    .private_segment_fixed_size: 0
    .sgpr_count:     50
    .sgpr_spill_count: 0
    .symbol:         _ZN7rocprim17ROCPRIM_400000_NS6detail17trampoline_kernelINS0_14default_configENS1_22reduce_config_selectorIiEEZNS1_11reduce_implILb1ES3_N6hipcub16HIPCUB_304000_NS22TransformInputIteratorIiN2at6native8internal21MapNumberOfTrueValuesEPKhlEEPiiNS8_6detail34convert_binary_result_type_wrapperISt4plusIvESG_iEEEE10hipError_tPvRmT1_T2_T3_mT4_P12ihipStream_tbEUlT_E1_NS1_11comp_targetILNS1_3genE0ELNS1_11target_archE4294967295ELNS1_3gpuE0ELNS1_3repE0EEENS1_30default_config_static_selectorELNS0_4arch9wavefront6targetE0EEEvSQ_.kd
    .uniform_work_group_size: 1
    .uses_dynamic_stack: false
    .vgpr_count:     34
    .vgpr_spill_count: 0
    .wavefront_size: 32
  - .args:
      - .offset:         0
        .size:           48
        .value_kind:     by_value
    .group_segment_fixed_size: 0
    .kernarg_segment_align: 8
    .kernarg_segment_size: 48
    .language:       OpenCL C
    .language_version:
      - 2
      - 0
    .max_flat_workgroup_size: 256
    .name:           _ZN7rocprim17ROCPRIM_400000_NS6detail17trampoline_kernelINS0_14default_configENS1_22reduce_config_selectorIiEEZNS1_11reduce_implILb1ES3_N6hipcub16HIPCUB_304000_NS22TransformInputIteratorIiN2at6native8internal21MapNumberOfTrueValuesEPKhlEEPiiNS8_6detail34convert_binary_result_type_wrapperISt4plusIvESG_iEEEE10hipError_tPvRmT1_T2_T3_mT4_P12ihipStream_tbEUlT_E1_NS1_11comp_targetILNS1_3genE5ELNS1_11target_archE942ELNS1_3gpuE9ELNS1_3repE0EEENS1_30default_config_static_selectorELNS0_4arch9wavefront6targetE0EEEvSQ_
    .private_segment_fixed_size: 0
    .sgpr_count:     0
    .sgpr_spill_count: 0
    .symbol:         _ZN7rocprim17ROCPRIM_400000_NS6detail17trampoline_kernelINS0_14default_configENS1_22reduce_config_selectorIiEEZNS1_11reduce_implILb1ES3_N6hipcub16HIPCUB_304000_NS22TransformInputIteratorIiN2at6native8internal21MapNumberOfTrueValuesEPKhlEEPiiNS8_6detail34convert_binary_result_type_wrapperISt4plusIvESG_iEEEE10hipError_tPvRmT1_T2_T3_mT4_P12ihipStream_tbEUlT_E1_NS1_11comp_targetILNS1_3genE5ELNS1_11target_archE942ELNS1_3gpuE9ELNS1_3repE0EEENS1_30default_config_static_selectorELNS0_4arch9wavefront6targetE0EEEvSQ_.kd
    .uniform_work_group_size: 1
    .uses_dynamic_stack: false
    .vgpr_count:     0
    .vgpr_spill_count: 0
    .wavefront_size: 32
  - .args:
      - .offset:         0
        .size:           48
        .value_kind:     by_value
    .group_segment_fixed_size: 0
    .kernarg_segment_align: 8
    .kernarg_segment_size: 48
    .language:       OpenCL C
    .language_version:
      - 2
      - 0
    .max_flat_workgroup_size: 128
    .name:           _ZN7rocprim17ROCPRIM_400000_NS6detail17trampoline_kernelINS0_14default_configENS1_22reduce_config_selectorIiEEZNS1_11reduce_implILb1ES3_N6hipcub16HIPCUB_304000_NS22TransformInputIteratorIiN2at6native8internal21MapNumberOfTrueValuesEPKhlEEPiiNS8_6detail34convert_binary_result_type_wrapperISt4plusIvESG_iEEEE10hipError_tPvRmT1_T2_T3_mT4_P12ihipStream_tbEUlT_E1_NS1_11comp_targetILNS1_3genE4ELNS1_11target_archE910ELNS1_3gpuE8ELNS1_3repE0EEENS1_30default_config_static_selectorELNS0_4arch9wavefront6targetE0EEEvSQ_
    .private_segment_fixed_size: 0
    .sgpr_count:     0
    .sgpr_spill_count: 0
    .symbol:         _ZN7rocprim17ROCPRIM_400000_NS6detail17trampoline_kernelINS0_14default_configENS1_22reduce_config_selectorIiEEZNS1_11reduce_implILb1ES3_N6hipcub16HIPCUB_304000_NS22TransformInputIteratorIiN2at6native8internal21MapNumberOfTrueValuesEPKhlEEPiiNS8_6detail34convert_binary_result_type_wrapperISt4plusIvESG_iEEEE10hipError_tPvRmT1_T2_T3_mT4_P12ihipStream_tbEUlT_E1_NS1_11comp_targetILNS1_3genE4ELNS1_11target_archE910ELNS1_3gpuE8ELNS1_3repE0EEENS1_30default_config_static_selectorELNS0_4arch9wavefront6targetE0EEEvSQ_.kd
    .uniform_work_group_size: 1
    .uses_dynamic_stack: false
    .vgpr_count:     0
    .vgpr_spill_count: 0
    .wavefront_size: 32
  - .args:
      - .offset:         0
        .size:           48
        .value_kind:     by_value
    .group_segment_fixed_size: 0
    .kernarg_segment_align: 8
    .kernarg_segment_size: 48
    .language:       OpenCL C
    .language_version:
      - 2
      - 0
    .max_flat_workgroup_size: 256
    .name:           _ZN7rocprim17ROCPRIM_400000_NS6detail17trampoline_kernelINS0_14default_configENS1_22reduce_config_selectorIiEEZNS1_11reduce_implILb1ES3_N6hipcub16HIPCUB_304000_NS22TransformInputIteratorIiN2at6native8internal21MapNumberOfTrueValuesEPKhlEEPiiNS8_6detail34convert_binary_result_type_wrapperISt4plusIvESG_iEEEE10hipError_tPvRmT1_T2_T3_mT4_P12ihipStream_tbEUlT_E1_NS1_11comp_targetILNS1_3genE3ELNS1_11target_archE908ELNS1_3gpuE7ELNS1_3repE0EEENS1_30default_config_static_selectorELNS0_4arch9wavefront6targetE0EEEvSQ_
    .private_segment_fixed_size: 0
    .sgpr_count:     0
    .sgpr_spill_count: 0
    .symbol:         _ZN7rocprim17ROCPRIM_400000_NS6detail17trampoline_kernelINS0_14default_configENS1_22reduce_config_selectorIiEEZNS1_11reduce_implILb1ES3_N6hipcub16HIPCUB_304000_NS22TransformInputIteratorIiN2at6native8internal21MapNumberOfTrueValuesEPKhlEEPiiNS8_6detail34convert_binary_result_type_wrapperISt4plusIvESG_iEEEE10hipError_tPvRmT1_T2_T3_mT4_P12ihipStream_tbEUlT_E1_NS1_11comp_targetILNS1_3genE3ELNS1_11target_archE908ELNS1_3gpuE7ELNS1_3repE0EEENS1_30default_config_static_selectorELNS0_4arch9wavefront6targetE0EEEvSQ_.kd
    .uniform_work_group_size: 1
    .uses_dynamic_stack: false
    .vgpr_count:     0
    .vgpr_spill_count: 0
    .wavefront_size: 32
  - .args:
      - .offset:         0
        .size:           48
        .value_kind:     by_value
    .group_segment_fixed_size: 0
    .kernarg_segment_align: 8
    .kernarg_segment_size: 48
    .language:       OpenCL C
    .language_version:
      - 2
      - 0
    .max_flat_workgroup_size: 256
    .name:           _ZN7rocprim17ROCPRIM_400000_NS6detail17trampoline_kernelINS0_14default_configENS1_22reduce_config_selectorIiEEZNS1_11reduce_implILb1ES3_N6hipcub16HIPCUB_304000_NS22TransformInputIteratorIiN2at6native8internal21MapNumberOfTrueValuesEPKhlEEPiiNS8_6detail34convert_binary_result_type_wrapperISt4plusIvESG_iEEEE10hipError_tPvRmT1_T2_T3_mT4_P12ihipStream_tbEUlT_E1_NS1_11comp_targetILNS1_3genE2ELNS1_11target_archE906ELNS1_3gpuE6ELNS1_3repE0EEENS1_30default_config_static_selectorELNS0_4arch9wavefront6targetE0EEEvSQ_
    .private_segment_fixed_size: 0
    .sgpr_count:     0
    .sgpr_spill_count: 0
    .symbol:         _ZN7rocprim17ROCPRIM_400000_NS6detail17trampoline_kernelINS0_14default_configENS1_22reduce_config_selectorIiEEZNS1_11reduce_implILb1ES3_N6hipcub16HIPCUB_304000_NS22TransformInputIteratorIiN2at6native8internal21MapNumberOfTrueValuesEPKhlEEPiiNS8_6detail34convert_binary_result_type_wrapperISt4plusIvESG_iEEEE10hipError_tPvRmT1_T2_T3_mT4_P12ihipStream_tbEUlT_E1_NS1_11comp_targetILNS1_3genE2ELNS1_11target_archE906ELNS1_3gpuE6ELNS1_3repE0EEENS1_30default_config_static_selectorELNS0_4arch9wavefront6targetE0EEEvSQ_.kd
    .uniform_work_group_size: 1
    .uses_dynamic_stack: false
    .vgpr_count:     0
    .vgpr_spill_count: 0
    .wavefront_size: 32
  - .args:
      - .offset:         0
        .size:           48
        .value_kind:     by_value
    .group_segment_fixed_size: 0
    .kernarg_segment_align: 8
    .kernarg_segment_size: 48
    .language:       OpenCL C
    .language_version:
      - 2
      - 0
    .max_flat_workgroup_size: 256
    .name:           _ZN7rocprim17ROCPRIM_400000_NS6detail17trampoline_kernelINS0_14default_configENS1_22reduce_config_selectorIiEEZNS1_11reduce_implILb1ES3_N6hipcub16HIPCUB_304000_NS22TransformInputIteratorIiN2at6native8internal21MapNumberOfTrueValuesEPKhlEEPiiNS8_6detail34convert_binary_result_type_wrapperISt4plusIvESG_iEEEE10hipError_tPvRmT1_T2_T3_mT4_P12ihipStream_tbEUlT_E1_NS1_11comp_targetILNS1_3genE10ELNS1_11target_archE1201ELNS1_3gpuE5ELNS1_3repE0EEENS1_30default_config_static_selectorELNS0_4arch9wavefront6targetE0EEEvSQ_
    .private_segment_fixed_size: 0
    .sgpr_count:     0
    .sgpr_spill_count: 0
    .symbol:         _ZN7rocprim17ROCPRIM_400000_NS6detail17trampoline_kernelINS0_14default_configENS1_22reduce_config_selectorIiEEZNS1_11reduce_implILb1ES3_N6hipcub16HIPCUB_304000_NS22TransformInputIteratorIiN2at6native8internal21MapNumberOfTrueValuesEPKhlEEPiiNS8_6detail34convert_binary_result_type_wrapperISt4plusIvESG_iEEEE10hipError_tPvRmT1_T2_T3_mT4_P12ihipStream_tbEUlT_E1_NS1_11comp_targetILNS1_3genE10ELNS1_11target_archE1201ELNS1_3gpuE5ELNS1_3repE0EEENS1_30default_config_static_selectorELNS0_4arch9wavefront6targetE0EEEvSQ_.kd
    .uniform_work_group_size: 1
    .uses_dynamic_stack: false
    .vgpr_count:     0
    .vgpr_spill_count: 0
    .wavefront_size: 32
  - .args:
      - .offset:         0
        .size:           48
        .value_kind:     by_value
    .group_segment_fixed_size: 0
    .kernarg_segment_align: 8
    .kernarg_segment_size: 48
    .language:       OpenCL C
    .language_version:
      - 2
      - 0
    .max_flat_workgroup_size: 256
    .name:           _ZN7rocprim17ROCPRIM_400000_NS6detail17trampoline_kernelINS0_14default_configENS1_22reduce_config_selectorIiEEZNS1_11reduce_implILb1ES3_N6hipcub16HIPCUB_304000_NS22TransformInputIteratorIiN2at6native8internal21MapNumberOfTrueValuesEPKhlEEPiiNS8_6detail34convert_binary_result_type_wrapperISt4plusIvESG_iEEEE10hipError_tPvRmT1_T2_T3_mT4_P12ihipStream_tbEUlT_E1_NS1_11comp_targetILNS1_3genE10ELNS1_11target_archE1200ELNS1_3gpuE4ELNS1_3repE0EEENS1_30default_config_static_selectorELNS0_4arch9wavefront6targetE0EEEvSQ_
    .private_segment_fixed_size: 0
    .sgpr_count:     0
    .sgpr_spill_count: 0
    .symbol:         _ZN7rocprim17ROCPRIM_400000_NS6detail17trampoline_kernelINS0_14default_configENS1_22reduce_config_selectorIiEEZNS1_11reduce_implILb1ES3_N6hipcub16HIPCUB_304000_NS22TransformInputIteratorIiN2at6native8internal21MapNumberOfTrueValuesEPKhlEEPiiNS8_6detail34convert_binary_result_type_wrapperISt4plusIvESG_iEEEE10hipError_tPvRmT1_T2_T3_mT4_P12ihipStream_tbEUlT_E1_NS1_11comp_targetILNS1_3genE10ELNS1_11target_archE1200ELNS1_3gpuE4ELNS1_3repE0EEENS1_30default_config_static_selectorELNS0_4arch9wavefront6targetE0EEEvSQ_.kd
    .uniform_work_group_size: 1
    .uses_dynamic_stack: false
    .vgpr_count:     0
    .vgpr_spill_count: 0
    .wavefront_size: 32
  - .args:
      - .offset:         0
        .size:           48
        .value_kind:     by_value
    .group_segment_fixed_size: 0
    .kernarg_segment_align: 8
    .kernarg_segment_size: 48
    .language:       OpenCL C
    .language_version:
      - 2
      - 0
    .max_flat_workgroup_size: 256
    .name:           _ZN7rocprim17ROCPRIM_400000_NS6detail17trampoline_kernelINS0_14default_configENS1_22reduce_config_selectorIiEEZNS1_11reduce_implILb1ES3_N6hipcub16HIPCUB_304000_NS22TransformInputIteratorIiN2at6native8internal21MapNumberOfTrueValuesEPKhlEEPiiNS8_6detail34convert_binary_result_type_wrapperISt4plusIvESG_iEEEE10hipError_tPvRmT1_T2_T3_mT4_P12ihipStream_tbEUlT_E1_NS1_11comp_targetILNS1_3genE9ELNS1_11target_archE1100ELNS1_3gpuE3ELNS1_3repE0EEENS1_30default_config_static_selectorELNS0_4arch9wavefront6targetE0EEEvSQ_
    .private_segment_fixed_size: 0
    .sgpr_count:     0
    .sgpr_spill_count: 0
    .symbol:         _ZN7rocprim17ROCPRIM_400000_NS6detail17trampoline_kernelINS0_14default_configENS1_22reduce_config_selectorIiEEZNS1_11reduce_implILb1ES3_N6hipcub16HIPCUB_304000_NS22TransformInputIteratorIiN2at6native8internal21MapNumberOfTrueValuesEPKhlEEPiiNS8_6detail34convert_binary_result_type_wrapperISt4plusIvESG_iEEEE10hipError_tPvRmT1_T2_T3_mT4_P12ihipStream_tbEUlT_E1_NS1_11comp_targetILNS1_3genE9ELNS1_11target_archE1100ELNS1_3gpuE3ELNS1_3repE0EEENS1_30default_config_static_selectorELNS0_4arch9wavefront6targetE0EEEvSQ_.kd
    .uniform_work_group_size: 1
    .uses_dynamic_stack: false
    .vgpr_count:     0
    .vgpr_spill_count: 0
    .wavefront_size: 32
  - .args:
      - .offset:         0
        .size:           48
        .value_kind:     by_value
    .group_segment_fixed_size: 0
    .kernarg_segment_align: 8
    .kernarg_segment_size: 48
    .language:       OpenCL C
    .language_version:
      - 2
      - 0
    .max_flat_workgroup_size: 256
    .name:           _ZN7rocprim17ROCPRIM_400000_NS6detail17trampoline_kernelINS0_14default_configENS1_22reduce_config_selectorIiEEZNS1_11reduce_implILb1ES3_N6hipcub16HIPCUB_304000_NS22TransformInputIteratorIiN2at6native8internal21MapNumberOfTrueValuesEPKhlEEPiiNS8_6detail34convert_binary_result_type_wrapperISt4plusIvESG_iEEEE10hipError_tPvRmT1_T2_T3_mT4_P12ihipStream_tbEUlT_E1_NS1_11comp_targetILNS1_3genE8ELNS1_11target_archE1030ELNS1_3gpuE2ELNS1_3repE0EEENS1_30default_config_static_selectorELNS0_4arch9wavefront6targetE0EEEvSQ_
    .private_segment_fixed_size: 0
    .sgpr_count:     0
    .sgpr_spill_count: 0
    .symbol:         _ZN7rocprim17ROCPRIM_400000_NS6detail17trampoline_kernelINS0_14default_configENS1_22reduce_config_selectorIiEEZNS1_11reduce_implILb1ES3_N6hipcub16HIPCUB_304000_NS22TransformInputIteratorIiN2at6native8internal21MapNumberOfTrueValuesEPKhlEEPiiNS8_6detail34convert_binary_result_type_wrapperISt4plusIvESG_iEEEE10hipError_tPvRmT1_T2_T3_mT4_P12ihipStream_tbEUlT_E1_NS1_11comp_targetILNS1_3genE8ELNS1_11target_archE1030ELNS1_3gpuE2ELNS1_3repE0EEENS1_30default_config_static_selectorELNS0_4arch9wavefront6targetE0EEEvSQ_.kd
    .uniform_work_group_size: 1
    .uses_dynamic_stack: false
    .vgpr_count:     0
    .vgpr_spill_count: 0
    .wavefront_size: 32
  - .args:
      - .offset:         0
        .size:           8
        .value_kind:     by_value
      - .address_space:  global
        .offset:         8
        .size:           8
        .value_kind:     global_buffer
      - .address_space:  global
        .offset:         16
        .size:           8
        .value_kind:     global_buffer
      - .offset:         24
        .size:           4
        .value_kind:     hidden_block_count_x
      - .offset:         28
        .size:           4
        .value_kind:     hidden_block_count_y
      - .offset:         32
        .size:           4
        .value_kind:     hidden_block_count_z
      - .offset:         36
        .size:           2
        .value_kind:     hidden_group_size_x
      - .offset:         38
        .size:           2
        .value_kind:     hidden_group_size_y
      - .offset:         40
        .size:           2
        .value_kind:     hidden_group_size_z
      - .offset:         42
        .size:           2
        .value_kind:     hidden_remainder_x
      - .offset:         44
        .size:           2
        .value_kind:     hidden_remainder_y
      - .offset:         46
        .size:           2
        .value_kind:     hidden_remainder_z
      - .offset:         64
        .size:           8
        .value_kind:     hidden_global_offset_x
      - .offset:         72
        .size:           8
        .value_kind:     hidden_global_offset_y
      - .offset:         80
        .size:           8
        .value_kind:     hidden_global_offset_z
      - .offset:         88
        .size:           2
        .value_kind:     hidden_grid_dims
    .group_segment_fixed_size: 0
    .kernarg_segment_align: 8
    .kernarg_segment_size: 280
    .language:       OpenCL C
    .language_version:
      - 2
      - 0
    .max_flat_workgroup_size: 1024
    .name:           _ZN2at6native8internal12_GLOBAL__N_126adjacent_difference_kernelIPKhEEvlT_Pi
    .private_segment_fixed_size: 0
    .sgpr_count:     20
    .sgpr_spill_count: 0
    .symbol:         _ZN2at6native8internal12_GLOBAL__N_126adjacent_difference_kernelIPKhEEvlT_Pi.kd
    .uniform_work_group_size: 1
    .uses_dynamic_stack: false
    .vgpr_count:     10
    .vgpr_spill_count: 0
    .wavefront_size: 32
  - .args:
      - .offset:         0
        .size:           112
        .value_kind:     by_value
    .group_segment_fixed_size: 7176
    .kernarg_segment_align: 8
    .kernarg_segment_size: 112
    .language:       OpenCL C
    .language_version:
      - 2
      - 0
    .max_flat_workgroup_size: 256
    .name:           _ZN7rocprim17ROCPRIM_400000_NS6detail17trampoline_kernelINS0_14default_configENS1_25partition_config_selectorILNS1_17partition_subalgoE8EhNS0_10empty_typeEbEEZZNS1_14partition_implILS5_8ELb0ES3_jPKhPS6_PKS6_NS0_5tupleIJPhS6_EEENSE_IJSB_SB_EEENS0_18inequality_wrapperIN6hipcub16HIPCUB_304000_NS8EqualityEEEPlJS6_EEE10hipError_tPvRmT3_T4_T5_T6_T7_T9_mT8_P12ihipStream_tbDpT10_ENKUlT_T0_E_clISt17integral_constantIbLb0EES17_EEDaS12_S13_EUlS12_E_NS1_11comp_targetILNS1_3genE0ELNS1_11target_archE4294967295ELNS1_3gpuE0ELNS1_3repE0EEENS1_30default_config_static_selectorELNS0_4arch9wavefront6targetE0EEEvT1_
    .private_segment_fixed_size: 0
    .sgpr_count:     49
    .sgpr_spill_count: 0
    .symbol:         _ZN7rocprim17ROCPRIM_400000_NS6detail17trampoline_kernelINS0_14default_configENS1_25partition_config_selectorILNS1_17partition_subalgoE8EhNS0_10empty_typeEbEEZZNS1_14partition_implILS5_8ELb0ES3_jPKhPS6_PKS6_NS0_5tupleIJPhS6_EEENSE_IJSB_SB_EEENS0_18inequality_wrapperIN6hipcub16HIPCUB_304000_NS8EqualityEEEPlJS6_EEE10hipError_tPvRmT3_T4_T5_T6_T7_T9_mT8_P12ihipStream_tbDpT10_ENKUlT_T0_E_clISt17integral_constantIbLb0EES17_EEDaS12_S13_EUlS12_E_NS1_11comp_targetILNS1_3genE0ELNS1_11target_archE4294967295ELNS1_3gpuE0ELNS1_3repE0EEENS1_30default_config_static_selectorELNS0_4arch9wavefront6targetE0EEEvT1_.kd
    .uniform_work_group_size: 1
    .uses_dynamic_stack: false
    .vgpr_count:     109
    .vgpr_spill_count: 0
    .wavefront_size: 32
  - .args:
      - .offset:         0
        .size:           112
        .value_kind:     by_value
    .group_segment_fixed_size: 0
    .kernarg_segment_align: 8
    .kernarg_segment_size: 112
    .language:       OpenCL C
    .language_version:
      - 2
      - 0
    .max_flat_workgroup_size: 512
    .name:           _ZN7rocprim17ROCPRIM_400000_NS6detail17trampoline_kernelINS0_14default_configENS1_25partition_config_selectorILNS1_17partition_subalgoE8EhNS0_10empty_typeEbEEZZNS1_14partition_implILS5_8ELb0ES3_jPKhPS6_PKS6_NS0_5tupleIJPhS6_EEENSE_IJSB_SB_EEENS0_18inequality_wrapperIN6hipcub16HIPCUB_304000_NS8EqualityEEEPlJS6_EEE10hipError_tPvRmT3_T4_T5_T6_T7_T9_mT8_P12ihipStream_tbDpT10_ENKUlT_T0_E_clISt17integral_constantIbLb0EES17_EEDaS12_S13_EUlS12_E_NS1_11comp_targetILNS1_3genE5ELNS1_11target_archE942ELNS1_3gpuE9ELNS1_3repE0EEENS1_30default_config_static_selectorELNS0_4arch9wavefront6targetE0EEEvT1_
    .private_segment_fixed_size: 0
    .sgpr_count:     0
    .sgpr_spill_count: 0
    .symbol:         _ZN7rocprim17ROCPRIM_400000_NS6detail17trampoline_kernelINS0_14default_configENS1_25partition_config_selectorILNS1_17partition_subalgoE8EhNS0_10empty_typeEbEEZZNS1_14partition_implILS5_8ELb0ES3_jPKhPS6_PKS6_NS0_5tupleIJPhS6_EEENSE_IJSB_SB_EEENS0_18inequality_wrapperIN6hipcub16HIPCUB_304000_NS8EqualityEEEPlJS6_EEE10hipError_tPvRmT3_T4_T5_T6_T7_T9_mT8_P12ihipStream_tbDpT10_ENKUlT_T0_E_clISt17integral_constantIbLb0EES17_EEDaS12_S13_EUlS12_E_NS1_11comp_targetILNS1_3genE5ELNS1_11target_archE942ELNS1_3gpuE9ELNS1_3repE0EEENS1_30default_config_static_selectorELNS0_4arch9wavefront6targetE0EEEvT1_.kd
    .uniform_work_group_size: 1
    .uses_dynamic_stack: false
    .vgpr_count:     0
    .vgpr_spill_count: 0
    .wavefront_size: 32
  - .args:
      - .offset:         0
        .size:           112
        .value_kind:     by_value
    .group_segment_fixed_size: 0
    .kernarg_segment_align: 8
    .kernarg_segment_size: 112
    .language:       OpenCL C
    .language_version:
      - 2
      - 0
    .max_flat_workgroup_size: 128
    .name:           _ZN7rocprim17ROCPRIM_400000_NS6detail17trampoline_kernelINS0_14default_configENS1_25partition_config_selectorILNS1_17partition_subalgoE8EhNS0_10empty_typeEbEEZZNS1_14partition_implILS5_8ELb0ES3_jPKhPS6_PKS6_NS0_5tupleIJPhS6_EEENSE_IJSB_SB_EEENS0_18inequality_wrapperIN6hipcub16HIPCUB_304000_NS8EqualityEEEPlJS6_EEE10hipError_tPvRmT3_T4_T5_T6_T7_T9_mT8_P12ihipStream_tbDpT10_ENKUlT_T0_E_clISt17integral_constantIbLb0EES17_EEDaS12_S13_EUlS12_E_NS1_11comp_targetILNS1_3genE4ELNS1_11target_archE910ELNS1_3gpuE8ELNS1_3repE0EEENS1_30default_config_static_selectorELNS0_4arch9wavefront6targetE0EEEvT1_
    .private_segment_fixed_size: 0
    .sgpr_count:     0
    .sgpr_spill_count: 0
    .symbol:         _ZN7rocprim17ROCPRIM_400000_NS6detail17trampoline_kernelINS0_14default_configENS1_25partition_config_selectorILNS1_17partition_subalgoE8EhNS0_10empty_typeEbEEZZNS1_14partition_implILS5_8ELb0ES3_jPKhPS6_PKS6_NS0_5tupleIJPhS6_EEENSE_IJSB_SB_EEENS0_18inequality_wrapperIN6hipcub16HIPCUB_304000_NS8EqualityEEEPlJS6_EEE10hipError_tPvRmT3_T4_T5_T6_T7_T9_mT8_P12ihipStream_tbDpT10_ENKUlT_T0_E_clISt17integral_constantIbLb0EES17_EEDaS12_S13_EUlS12_E_NS1_11comp_targetILNS1_3genE4ELNS1_11target_archE910ELNS1_3gpuE8ELNS1_3repE0EEENS1_30default_config_static_selectorELNS0_4arch9wavefront6targetE0EEEvT1_.kd
    .uniform_work_group_size: 1
    .uses_dynamic_stack: false
    .vgpr_count:     0
    .vgpr_spill_count: 0
    .wavefront_size: 32
  - .args:
      - .offset:         0
        .size:           112
        .value_kind:     by_value
    .group_segment_fixed_size: 0
    .kernarg_segment_align: 8
    .kernarg_segment_size: 112
    .language:       OpenCL C
    .language_version:
      - 2
      - 0
    .max_flat_workgroup_size: 256
    .name:           _ZN7rocprim17ROCPRIM_400000_NS6detail17trampoline_kernelINS0_14default_configENS1_25partition_config_selectorILNS1_17partition_subalgoE8EhNS0_10empty_typeEbEEZZNS1_14partition_implILS5_8ELb0ES3_jPKhPS6_PKS6_NS0_5tupleIJPhS6_EEENSE_IJSB_SB_EEENS0_18inequality_wrapperIN6hipcub16HIPCUB_304000_NS8EqualityEEEPlJS6_EEE10hipError_tPvRmT3_T4_T5_T6_T7_T9_mT8_P12ihipStream_tbDpT10_ENKUlT_T0_E_clISt17integral_constantIbLb0EES17_EEDaS12_S13_EUlS12_E_NS1_11comp_targetILNS1_3genE3ELNS1_11target_archE908ELNS1_3gpuE7ELNS1_3repE0EEENS1_30default_config_static_selectorELNS0_4arch9wavefront6targetE0EEEvT1_
    .private_segment_fixed_size: 0
    .sgpr_count:     0
    .sgpr_spill_count: 0
    .symbol:         _ZN7rocprim17ROCPRIM_400000_NS6detail17trampoline_kernelINS0_14default_configENS1_25partition_config_selectorILNS1_17partition_subalgoE8EhNS0_10empty_typeEbEEZZNS1_14partition_implILS5_8ELb0ES3_jPKhPS6_PKS6_NS0_5tupleIJPhS6_EEENSE_IJSB_SB_EEENS0_18inequality_wrapperIN6hipcub16HIPCUB_304000_NS8EqualityEEEPlJS6_EEE10hipError_tPvRmT3_T4_T5_T6_T7_T9_mT8_P12ihipStream_tbDpT10_ENKUlT_T0_E_clISt17integral_constantIbLb0EES17_EEDaS12_S13_EUlS12_E_NS1_11comp_targetILNS1_3genE3ELNS1_11target_archE908ELNS1_3gpuE7ELNS1_3repE0EEENS1_30default_config_static_selectorELNS0_4arch9wavefront6targetE0EEEvT1_.kd
    .uniform_work_group_size: 1
    .uses_dynamic_stack: false
    .vgpr_count:     0
    .vgpr_spill_count: 0
    .wavefront_size: 32
  - .args:
      - .offset:         0
        .size:           112
        .value_kind:     by_value
    .group_segment_fixed_size: 0
    .kernarg_segment_align: 8
    .kernarg_segment_size: 112
    .language:       OpenCL C
    .language_version:
      - 2
      - 0
    .max_flat_workgroup_size: 192
    .name:           _ZN7rocprim17ROCPRIM_400000_NS6detail17trampoline_kernelINS0_14default_configENS1_25partition_config_selectorILNS1_17partition_subalgoE8EhNS0_10empty_typeEbEEZZNS1_14partition_implILS5_8ELb0ES3_jPKhPS6_PKS6_NS0_5tupleIJPhS6_EEENSE_IJSB_SB_EEENS0_18inequality_wrapperIN6hipcub16HIPCUB_304000_NS8EqualityEEEPlJS6_EEE10hipError_tPvRmT3_T4_T5_T6_T7_T9_mT8_P12ihipStream_tbDpT10_ENKUlT_T0_E_clISt17integral_constantIbLb0EES17_EEDaS12_S13_EUlS12_E_NS1_11comp_targetILNS1_3genE2ELNS1_11target_archE906ELNS1_3gpuE6ELNS1_3repE0EEENS1_30default_config_static_selectorELNS0_4arch9wavefront6targetE0EEEvT1_
    .private_segment_fixed_size: 0
    .sgpr_count:     0
    .sgpr_spill_count: 0
    .symbol:         _ZN7rocprim17ROCPRIM_400000_NS6detail17trampoline_kernelINS0_14default_configENS1_25partition_config_selectorILNS1_17partition_subalgoE8EhNS0_10empty_typeEbEEZZNS1_14partition_implILS5_8ELb0ES3_jPKhPS6_PKS6_NS0_5tupleIJPhS6_EEENSE_IJSB_SB_EEENS0_18inequality_wrapperIN6hipcub16HIPCUB_304000_NS8EqualityEEEPlJS6_EEE10hipError_tPvRmT3_T4_T5_T6_T7_T9_mT8_P12ihipStream_tbDpT10_ENKUlT_T0_E_clISt17integral_constantIbLb0EES17_EEDaS12_S13_EUlS12_E_NS1_11comp_targetILNS1_3genE2ELNS1_11target_archE906ELNS1_3gpuE6ELNS1_3repE0EEENS1_30default_config_static_selectorELNS0_4arch9wavefront6targetE0EEEvT1_.kd
    .uniform_work_group_size: 1
    .uses_dynamic_stack: false
    .vgpr_count:     0
    .vgpr_spill_count: 0
    .wavefront_size: 32
  - .args:
      - .offset:         0
        .size:           112
        .value_kind:     by_value
    .group_segment_fixed_size: 0
    .kernarg_segment_align: 8
    .kernarg_segment_size: 112
    .language:       OpenCL C
    .language_version:
      - 2
      - 0
    .max_flat_workgroup_size: 256
    .name:           _ZN7rocprim17ROCPRIM_400000_NS6detail17trampoline_kernelINS0_14default_configENS1_25partition_config_selectorILNS1_17partition_subalgoE8EhNS0_10empty_typeEbEEZZNS1_14partition_implILS5_8ELb0ES3_jPKhPS6_PKS6_NS0_5tupleIJPhS6_EEENSE_IJSB_SB_EEENS0_18inequality_wrapperIN6hipcub16HIPCUB_304000_NS8EqualityEEEPlJS6_EEE10hipError_tPvRmT3_T4_T5_T6_T7_T9_mT8_P12ihipStream_tbDpT10_ENKUlT_T0_E_clISt17integral_constantIbLb0EES17_EEDaS12_S13_EUlS12_E_NS1_11comp_targetILNS1_3genE10ELNS1_11target_archE1200ELNS1_3gpuE4ELNS1_3repE0EEENS1_30default_config_static_selectorELNS0_4arch9wavefront6targetE0EEEvT1_
    .private_segment_fixed_size: 0
    .sgpr_count:     0
    .sgpr_spill_count: 0
    .symbol:         _ZN7rocprim17ROCPRIM_400000_NS6detail17trampoline_kernelINS0_14default_configENS1_25partition_config_selectorILNS1_17partition_subalgoE8EhNS0_10empty_typeEbEEZZNS1_14partition_implILS5_8ELb0ES3_jPKhPS6_PKS6_NS0_5tupleIJPhS6_EEENSE_IJSB_SB_EEENS0_18inequality_wrapperIN6hipcub16HIPCUB_304000_NS8EqualityEEEPlJS6_EEE10hipError_tPvRmT3_T4_T5_T6_T7_T9_mT8_P12ihipStream_tbDpT10_ENKUlT_T0_E_clISt17integral_constantIbLb0EES17_EEDaS12_S13_EUlS12_E_NS1_11comp_targetILNS1_3genE10ELNS1_11target_archE1200ELNS1_3gpuE4ELNS1_3repE0EEENS1_30default_config_static_selectorELNS0_4arch9wavefront6targetE0EEEvT1_.kd
    .uniform_work_group_size: 1
    .uses_dynamic_stack: false
    .vgpr_count:     0
    .vgpr_spill_count: 0
    .wavefront_size: 32
  - .args:
      - .offset:         0
        .size:           112
        .value_kind:     by_value
    .group_segment_fixed_size: 0
    .kernarg_segment_align: 8
    .kernarg_segment_size: 112
    .language:       OpenCL C
    .language_version:
      - 2
      - 0
    .max_flat_workgroup_size: 384
    .name:           _ZN7rocprim17ROCPRIM_400000_NS6detail17trampoline_kernelINS0_14default_configENS1_25partition_config_selectorILNS1_17partition_subalgoE8EhNS0_10empty_typeEbEEZZNS1_14partition_implILS5_8ELb0ES3_jPKhPS6_PKS6_NS0_5tupleIJPhS6_EEENSE_IJSB_SB_EEENS0_18inequality_wrapperIN6hipcub16HIPCUB_304000_NS8EqualityEEEPlJS6_EEE10hipError_tPvRmT3_T4_T5_T6_T7_T9_mT8_P12ihipStream_tbDpT10_ENKUlT_T0_E_clISt17integral_constantIbLb0EES17_EEDaS12_S13_EUlS12_E_NS1_11comp_targetILNS1_3genE9ELNS1_11target_archE1100ELNS1_3gpuE3ELNS1_3repE0EEENS1_30default_config_static_selectorELNS0_4arch9wavefront6targetE0EEEvT1_
    .private_segment_fixed_size: 0
    .sgpr_count:     0
    .sgpr_spill_count: 0
    .symbol:         _ZN7rocprim17ROCPRIM_400000_NS6detail17trampoline_kernelINS0_14default_configENS1_25partition_config_selectorILNS1_17partition_subalgoE8EhNS0_10empty_typeEbEEZZNS1_14partition_implILS5_8ELb0ES3_jPKhPS6_PKS6_NS0_5tupleIJPhS6_EEENSE_IJSB_SB_EEENS0_18inequality_wrapperIN6hipcub16HIPCUB_304000_NS8EqualityEEEPlJS6_EEE10hipError_tPvRmT3_T4_T5_T6_T7_T9_mT8_P12ihipStream_tbDpT10_ENKUlT_T0_E_clISt17integral_constantIbLb0EES17_EEDaS12_S13_EUlS12_E_NS1_11comp_targetILNS1_3genE9ELNS1_11target_archE1100ELNS1_3gpuE3ELNS1_3repE0EEENS1_30default_config_static_selectorELNS0_4arch9wavefront6targetE0EEEvT1_.kd
    .uniform_work_group_size: 1
    .uses_dynamic_stack: false
    .vgpr_count:     0
    .vgpr_spill_count: 0
    .wavefront_size: 32
  - .args:
      - .offset:         0
        .size:           112
        .value_kind:     by_value
    .group_segment_fixed_size: 0
    .kernarg_segment_align: 8
    .kernarg_segment_size: 112
    .language:       OpenCL C
    .language_version:
      - 2
      - 0
    .max_flat_workgroup_size: 384
    .name:           _ZN7rocprim17ROCPRIM_400000_NS6detail17trampoline_kernelINS0_14default_configENS1_25partition_config_selectorILNS1_17partition_subalgoE8EhNS0_10empty_typeEbEEZZNS1_14partition_implILS5_8ELb0ES3_jPKhPS6_PKS6_NS0_5tupleIJPhS6_EEENSE_IJSB_SB_EEENS0_18inequality_wrapperIN6hipcub16HIPCUB_304000_NS8EqualityEEEPlJS6_EEE10hipError_tPvRmT3_T4_T5_T6_T7_T9_mT8_P12ihipStream_tbDpT10_ENKUlT_T0_E_clISt17integral_constantIbLb0EES17_EEDaS12_S13_EUlS12_E_NS1_11comp_targetILNS1_3genE8ELNS1_11target_archE1030ELNS1_3gpuE2ELNS1_3repE0EEENS1_30default_config_static_selectorELNS0_4arch9wavefront6targetE0EEEvT1_
    .private_segment_fixed_size: 0
    .sgpr_count:     0
    .sgpr_spill_count: 0
    .symbol:         _ZN7rocprim17ROCPRIM_400000_NS6detail17trampoline_kernelINS0_14default_configENS1_25partition_config_selectorILNS1_17partition_subalgoE8EhNS0_10empty_typeEbEEZZNS1_14partition_implILS5_8ELb0ES3_jPKhPS6_PKS6_NS0_5tupleIJPhS6_EEENSE_IJSB_SB_EEENS0_18inequality_wrapperIN6hipcub16HIPCUB_304000_NS8EqualityEEEPlJS6_EEE10hipError_tPvRmT3_T4_T5_T6_T7_T9_mT8_P12ihipStream_tbDpT10_ENKUlT_T0_E_clISt17integral_constantIbLb0EES17_EEDaS12_S13_EUlS12_E_NS1_11comp_targetILNS1_3genE8ELNS1_11target_archE1030ELNS1_3gpuE2ELNS1_3repE0EEENS1_30default_config_static_selectorELNS0_4arch9wavefront6targetE0EEEvT1_.kd
    .uniform_work_group_size: 1
    .uses_dynamic_stack: false
    .vgpr_count:     0
    .vgpr_spill_count: 0
    .wavefront_size: 32
  - .args:
      - .offset:         0
        .size:           128
        .value_kind:     by_value
    .group_segment_fixed_size: 0
    .kernarg_segment_align: 8
    .kernarg_segment_size: 128
    .language:       OpenCL C
    .language_version:
      - 2
      - 0
    .max_flat_workgroup_size: 256
    .name:           _ZN7rocprim17ROCPRIM_400000_NS6detail17trampoline_kernelINS0_14default_configENS1_25partition_config_selectorILNS1_17partition_subalgoE8EhNS0_10empty_typeEbEEZZNS1_14partition_implILS5_8ELb0ES3_jPKhPS6_PKS6_NS0_5tupleIJPhS6_EEENSE_IJSB_SB_EEENS0_18inequality_wrapperIN6hipcub16HIPCUB_304000_NS8EqualityEEEPlJS6_EEE10hipError_tPvRmT3_T4_T5_T6_T7_T9_mT8_P12ihipStream_tbDpT10_ENKUlT_T0_E_clISt17integral_constantIbLb1EES17_EEDaS12_S13_EUlS12_E_NS1_11comp_targetILNS1_3genE0ELNS1_11target_archE4294967295ELNS1_3gpuE0ELNS1_3repE0EEENS1_30default_config_static_selectorELNS0_4arch9wavefront6targetE0EEEvT1_
    .private_segment_fixed_size: 0
    .sgpr_count:     0
    .sgpr_spill_count: 0
    .symbol:         _ZN7rocprim17ROCPRIM_400000_NS6detail17trampoline_kernelINS0_14default_configENS1_25partition_config_selectorILNS1_17partition_subalgoE8EhNS0_10empty_typeEbEEZZNS1_14partition_implILS5_8ELb0ES3_jPKhPS6_PKS6_NS0_5tupleIJPhS6_EEENSE_IJSB_SB_EEENS0_18inequality_wrapperIN6hipcub16HIPCUB_304000_NS8EqualityEEEPlJS6_EEE10hipError_tPvRmT3_T4_T5_T6_T7_T9_mT8_P12ihipStream_tbDpT10_ENKUlT_T0_E_clISt17integral_constantIbLb1EES17_EEDaS12_S13_EUlS12_E_NS1_11comp_targetILNS1_3genE0ELNS1_11target_archE4294967295ELNS1_3gpuE0ELNS1_3repE0EEENS1_30default_config_static_selectorELNS0_4arch9wavefront6targetE0EEEvT1_.kd
    .uniform_work_group_size: 1
    .uses_dynamic_stack: false
    .vgpr_count:     0
    .vgpr_spill_count: 0
    .wavefront_size: 32
  - .args:
      - .offset:         0
        .size:           128
        .value_kind:     by_value
    .group_segment_fixed_size: 0
    .kernarg_segment_align: 8
    .kernarg_segment_size: 128
    .language:       OpenCL C
    .language_version:
      - 2
      - 0
    .max_flat_workgroup_size: 512
    .name:           _ZN7rocprim17ROCPRIM_400000_NS6detail17trampoline_kernelINS0_14default_configENS1_25partition_config_selectorILNS1_17partition_subalgoE8EhNS0_10empty_typeEbEEZZNS1_14partition_implILS5_8ELb0ES3_jPKhPS6_PKS6_NS0_5tupleIJPhS6_EEENSE_IJSB_SB_EEENS0_18inequality_wrapperIN6hipcub16HIPCUB_304000_NS8EqualityEEEPlJS6_EEE10hipError_tPvRmT3_T4_T5_T6_T7_T9_mT8_P12ihipStream_tbDpT10_ENKUlT_T0_E_clISt17integral_constantIbLb1EES17_EEDaS12_S13_EUlS12_E_NS1_11comp_targetILNS1_3genE5ELNS1_11target_archE942ELNS1_3gpuE9ELNS1_3repE0EEENS1_30default_config_static_selectorELNS0_4arch9wavefront6targetE0EEEvT1_
    .private_segment_fixed_size: 0
    .sgpr_count:     0
    .sgpr_spill_count: 0
    .symbol:         _ZN7rocprim17ROCPRIM_400000_NS6detail17trampoline_kernelINS0_14default_configENS1_25partition_config_selectorILNS1_17partition_subalgoE8EhNS0_10empty_typeEbEEZZNS1_14partition_implILS5_8ELb0ES3_jPKhPS6_PKS6_NS0_5tupleIJPhS6_EEENSE_IJSB_SB_EEENS0_18inequality_wrapperIN6hipcub16HIPCUB_304000_NS8EqualityEEEPlJS6_EEE10hipError_tPvRmT3_T4_T5_T6_T7_T9_mT8_P12ihipStream_tbDpT10_ENKUlT_T0_E_clISt17integral_constantIbLb1EES17_EEDaS12_S13_EUlS12_E_NS1_11comp_targetILNS1_3genE5ELNS1_11target_archE942ELNS1_3gpuE9ELNS1_3repE0EEENS1_30default_config_static_selectorELNS0_4arch9wavefront6targetE0EEEvT1_.kd
    .uniform_work_group_size: 1
    .uses_dynamic_stack: false
    .vgpr_count:     0
    .vgpr_spill_count: 0
    .wavefront_size: 32
  - .args:
      - .offset:         0
        .size:           128
        .value_kind:     by_value
    .group_segment_fixed_size: 0
    .kernarg_segment_align: 8
    .kernarg_segment_size: 128
    .language:       OpenCL C
    .language_version:
      - 2
      - 0
    .max_flat_workgroup_size: 128
    .name:           _ZN7rocprim17ROCPRIM_400000_NS6detail17trampoline_kernelINS0_14default_configENS1_25partition_config_selectorILNS1_17partition_subalgoE8EhNS0_10empty_typeEbEEZZNS1_14partition_implILS5_8ELb0ES3_jPKhPS6_PKS6_NS0_5tupleIJPhS6_EEENSE_IJSB_SB_EEENS0_18inequality_wrapperIN6hipcub16HIPCUB_304000_NS8EqualityEEEPlJS6_EEE10hipError_tPvRmT3_T4_T5_T6_T7_T9_mT8_P12ihipStream_tbDpT10_ENKUlT_T0_E_clISt17integral_constantIbLb1EES17_EEDaS12_S13_EUlS12_E_NS1_11comp_targetILNS1_3genE4ELNS1_11target_archE910ELNS1_3gpuE8ELNS1_3repE0EEENS1_30default_config_static_selectorELNS0_4arch9wavefront6targetE0EEEvT1_
    .private_segment_fixed_size: 0
    .sgpr_count:     0
    .sgpr_spill_count: 0
    .symbol:         _ZN7rocprim17ROCPRIM_400000_NS6detail17trampoline_kernelINS0_14default_configENS1_25partition_config_selectorILNS1_17partition_subalgoE8EhNS0_10empty_typeEbEEZZNS1_14partition_implILS5_8ELb0ES3_jPKhPS6_PKS6_NS0_5tupleIJPhS6_EEENSE_IJSB_SB_EEENS0_18inequality_wrapperIN6hipcub16HIPCUB_304000_NS8EqualityEEEPlJS6_EEE10hipError_tPvRmT3_T4_T5_T6_T7_T9_mT8_P12ihipStream_tbDpT10_ENKUlT_T0_E_clISt17integral_constantIbLb1EES17_EEDaS12_S13_EUlS12_E_NS1_11comp_targetILNS1_3genE4ELNS1_11target_archE910ELNS1_3gpuE8ELNS1_3repE0EEENS1_30default_config_static_selectorELNS0_4arch9wavefront6targetE0EEEvT1_.kd
    .uniform_work_group_size: 1
    .uses_dynamic_stack: false
    .vgpr_count:     0
    .vgpr_spill_count: 0
    .wavefront_size: 32
  - .args:
      - .offset:         0
        .size:           128
        .value_kind:     by_value
    .group_segment_fixed_size: 0
    .kernarg_segment_align: 8
    .kernarg_segment_size: 128
    .language:       OpenCL C
    .language_version:
      - 2
      - 0
    .max_flat_workgroup_size: 256
    .name:           _ZN7rocprim17ROCPRIM_400000_NS6detail17trampoline_kernelINS0_14default_configENS1_25partition_config_selectorILNS1_17partition_subalgoE8EhNS0_10empty_typeEbEEZZNS1_14partition_implILS5_8ELb0ES3_jPKhPS6_PKS6_NS0_5tupleIJPhS6_EEENSE_IJSB_SB_EEENS0_18inequality_wrapperIN6hipcub16HIPCUB_304000_NS8EqualityEEEPlJS6_EEE10hipError_tPvRmT3_T4_T5_T6_T7_T9_mT8_P12ihipStream_tbDpT10_ENKUlT_T0_E_clISt17integral_constantIbLb1EES17_EEDaS12_S13_EUlS12_E_NS1_11comp_targetILNS1_3genE3ELNS1_11target_archE908ELNS1_3gpuE7ELNS1_3repE0EEENS1_30default_config_static_selectorELNS0_4arch9wavefront6targetE0EEEvT1_
    .private_segment_fixed_size: 0
    .sgpr_count:     0
    .sgpr_spill_count: 0
    .symbol:         _ZN7rocprim17ROCPRIM_400000_NS6detail17trampoline_kernelINS0_14default_configENS1_25partition_config_selectorILNS1_17partition_subalgoE8EhNS0_10empty_typeEbEEZZNS1_14partition_implILS5_8ELb0ES3_jPKhPS6_PKS6_NS0_5tupleIJPhS6_EEENSE_IJSB_SB_EEENS0_18inequality_wrapperIN6hipcub16HIPCUB_304000_NS8EqualityEEEPlJS6_EEE10hipError_tPvRmT3_T4_T5_T6_T7_T9_mT8_P12ihipStream_tbDpT10_ENKUlT_T0_E_clISt17integral_constantIbLb1EES17_EEDaS12_S13_EUlS12_E_NS1_11comp_targetILNS1_3genE3ELNS1_11target_archE908ELNS1_3gpuE7ELNS1_3repE0EEENS1_30default_config_static_selectorELNS0_4arch9wavefront6targetE0EEEvT1_.kd
    .uniform_work_group_size: 1
    .uses_dynamic_stack: false
    .vgpr_count:     0
    .vgpr_spill_count: 0
    .wavefront_size: 32
  - .args:
      - .offset:         0
        .size:           128
        .value_kind:     by_value
    .group_segment_fixed_size: 0
    .kernarg_segment_align: 8
    .kernarg_segment_size: 128
    .language:       OpenCL C
    .language_version:
      - 2
      - 0
    .max_flat_workgroup_size: 192
    .name:           _ZN7rocprim17ROCPRIM_400000_NS6detail17trampoline_kernelINS0_14default_configENS1_25partition_config_selectorILNS1_17partition_subalgoE8EhNS0_10empty_typeEbEEZZNS1_14partition_implILS5_8ELb0ES3_jPKhPS6_PKS6_NS0_5tupleIJPhS6_EEENSE_IJSB_SB_EEENS0_18inequality_wrapperIN6hipcub16HIPCUB_304000_NS8EqualityEEEPlJS6_EEE10hipError_tPvRmT3_T4_T5_T6_T7_T9_mT8_P12ihipStream_tbDpT10_ENKUlT_T0_E_clISt17integral_constantIbLb1EES17_EEDaS12_S13_EUlS12_E_NS1_11comp_targetILNS1_3genE2ELNS1_11target_archE906ELNS1_3gpuE6ELNS1_3repE0EEENS1_30default_config_static_selectorELNS0_4arch9wavefront6targetE0EEEvT1_
    .private_segment_fixed_size: 0
    .sgpr_count:     0
    .sgpr_spill_count: 0
    .symbol:         _ZN7rocprim17ROCPRIM_400000_NS6detail17trampoline_kernelINS0_14default_configENS1_25partition_config_selectorILNS1_17partition_subalgoE8EhNS0_10empty_typeEbEEZZNS1_14partition_implILS5_8ELb0ES3_jPKhPS6_PKS6_NS0_5tupleIJPhS6_EEENSE_IJSB_SB_EEENS0_18inequality_wrapperIN6hipcub16HIPCUB_304000_NS8EqualityEEEPlJS6_EEE10hipError_tPvRmT3_T4_T5_T6_T7_T9_mT8_P12ihipStream_tbDpT10_ENKUlT_T0_E_clISt17integral_constantIbLb1EES17_EEDaS12_S13_EUlS12_E_NS1_11comp_targetILNS1_3genE2ELNS1_11target_archE906ELNS1_3gpuE6ELNS1_3repE0EEENS1_30default_config_static_selectorELNS0_4arch9wavefront6targetE0EEEvT1_.kd
    .uniform_work_group_size: 1
    .uses_dynamic_stack: false
    .vgpr_count:     0
    .vgpr_spill_count: 0
    .wavefront_size: 32
  - .args:
      - .offset:         0
        .size:           128
        .value_kind:     by_value
    .group_segment_fixed_size: 0
    .kernarg_segment_align: 8
    .kernarg_segment_size: 128
    .language:       OpenCL C
    .language_version:
      - 2
      - 0
    .max_flat_workgroup_size: 256
    .name:           _ZN7rocprim17ROCPRIM_400000_NS6detail17trampoline_kernelINS0_14default_configENS1_25partition_config_selectorILNS1_17partition_subalgoE8EhNS0_10empty_typeEbEEZZNS1_14partition_implILS5_8ELb0ES3_jPKhPS6_PKS6_NS0_5tupleIJPhS6_EEENSE_IJSB_SB_EEENS0_18inequality_wrapperIN6hipcub16HIPCUB_304000_NS8EqualityEEEPlJS6_EEE10hipError_tPvRmT3_T4_T5_T6_T7_T9_mT8_P12ihipStream_tbDpT10_ENKUlT_T0_E_clISt17integral_constantIbLb1EES17_EEDaS12_S13_EUlS12_E_NS1_11comp_targetILNS1_3genE10ELNS1_11target_archE1200ELNS1_3gpuE4ELNS1_3repE0EEENS1_30default_config_static_selectorELNS0_4arch9wavefront6targetE0EEEvT1_
    .private_segment_fixed_size: 0
    .sgpr_count:     0
    .sgpr_spill_count: 0
    .symbol:         _ZN7rocprim17ROCPRIM_400000_NS6detail17trampoline_kernelINS0_14default_configENS1_25partition_config_selectorILNS1_17partition_subalgoE8EhNS0_10empty_typeEbEEZZNS1_14partition_implILS5_8ELb0ES3_jPKhPS6_PKS6_NS0_5tupleIJPhS6_EEENSE_IJSB_SB_EEENS0_18inequality_wrapperIN6hipcub16HIPCUB_304000_NS8EqualityEEEPlJS6_EEE10hipError_tPvRmT3_T4_T5_T6_T7_T9_mT8_P12ihipStream_tbDpT10_ENKUlT_T0_E_clISt17integral_constantIbLb1EES17_EEDaS12_S13_EUlS12_E_NS1_11comp_targetILNS1_3genE10ELNS1_11target_archE1200ELNS1_3gpuE4ELNS1_3repE0EEENS1_30default_config_static_selectorELNS0_4arch9wavefront6targetE0EEEvT1_.kd
    .uniform_work_group_size: 1
    .uses_dynamic_stack: false
    .vgpr_count:     0
    .vgpr_spill_count: 0
    .wavefront_size: 32
  - .args:
      - .offset:         0
        .size:           128
        .value_kind:     by_value
    .group_segment_fixed_size: 0
    .kernarg_segment_align: 8
    .kernarg_segment_size: 128
    .language:       OpenCL C
    .language_version:
      - 2
      - 0
    .max_flat_workgroup_size: 384
    .name:           _ZN7rocprim17ROCPRIM_400000_NS6detail17trampoline_kernelINS0_14default_configENS1_25partition_config_selectorILNS1_17partition_subalgoE8EhNS0_10empty_typeEbEEZZNS1_14partition_implILS5_8ELb0ES3_jPKhPS6_PKS6_NS0_5tupleIJPhS6_EEENSE_IJSB_SB_EEENS0_18inequality_wrapperIN6hipcub16HIPCUB_304000_NS8EqualityEEEPlJS6_EEE10hipError_tPvRmT3_T4_T5_T6_T7_T9_mT8_P12ihipStream_tbDpT10_ENKUlT_T0_E_clISt17integral_constantIbLb1EES17_EEDaS12_S13_EUlS12_E_NS1_11comp_targetILNS1_3genE9ELNS1_11target_archE1100ELNS1_3gpuE3ELNS1_3repE0EEENS1_30default_config_static_selectorELNS0_4arch9wavefront6targetE0EEEvT1_
    .private_segment_fixed_size: 0
    .sgpr_count:     0
    .sgpr_spill_count: 0
    .symbol:         _ZN7rocprim17ROCPRIM_400000_NS6detail17trampoline_kernelINS0_14default_configENS1_25partition_config_selectorILNS1_17partition_subalgoE8EhNS0_10empty_typeEbEEZZNS1_14partition_implILS5_8ELb0ES3_jPKhPS6_PKS6_NS0_5tupleIJPhS6_EEENSE_IJSB_SB_EEENS0_18inequality_wrapperIN6hipcub16HIPCUB_304000_NS8EqualityEEEPlJS6_EEE10hipError_tPvRmT3_T4_T5_T6_T7_T9_mT8_P12ihipStream_tbDpT10_ENKUlT_T0_E_clISt17integral_constantIbLb1EES17_EEDaS12_S13_EUlS12_E_NS1_11comp_targetILNS1_3genE9ELNS1_11target_archE1100ELNS1_3gpuE3ELNS1_3repE0EEENS1_30default_config_static_selectorELNS0_4arch9wavefront6targetE0EEEvT1_.kd
    .uniform_work_group_size: 1
    .uses_dynamic_stack: false
    .vgpr_count:     0
    .vgpr_spill_count: 0
    .wavefront_size: 32
  - .args:
      - .offset:         0
        .size:           128
        .value_kind:     by_value
    .group_segment_fixed_size: 0
    .kernarg_segment_align: 8
    .kernarg_segment_size: 128
    .language:       OpenCL C
    .language_version:
      - 2
      - 0
    .max_flat_workgroup_size: 384
    .name:           _ZN7rocprim17ROCPRIM_400000_NS6detail17trampoline_kernelINS0_14default_configENS1_25partition_config_selectorILNS1_17partition_subalgoE8EhNS0_10empty_typeEbEEZZNS1_14partition_implILS5_8ELb0ES3_jPKhPS6_PKS6_NS0_5tupleIJPhS6_EEENSE_IJSB_SB_EEENS0_18inequality_wrapperIN6hipcub16HIPCUB_304000_NS8EqualityEEEPlJS6_EEE10hipError_tPvRmT3_T4_T5_T6_T7_T9_mT8_P12ihipStream_tbDpT10_ENKUlT_T0_E_clISt17integral_constantIbLb1EES17_EEDaS12_S13_EUlS12_E_NS1_11comp_targetILNS1_3genE8ELNS1_11target_archE1030ELNS1_3gpuE2ELNS1_3repE0EEENS1_30default_config_static_selectorELNS0_4arch9wavefront6targetE0EEEvT1_
    .private_segment_fixed_size: 0
    .sgpr_count:     0
    .sgpr_spill_count: 0
    .symbol:         _ZN7rocprim17ROCPRIM_400000_NS6detail17trampoline_kernelINS0_14default_configENS1_25partition_config_selectorILNS1_17partition_subalgoE8EhNS0_10empty_typeEbEEZZNS1_14partition_implILS5_8ELb0ES3_jPKhPS6_PKS6_NS0_5tupleIJPhS6_EEENSE_IJSB_SB_EEENS0_18inequality_wrapperIN6hipcub16HIPCUB_304000_NS8EqualityEEEPlJS6_EEE10hipError_tPvRmT3_T4_T5_T6_T7_T9_mT8_P12ihipStream_tbDpT10_ENKUlT_T0_E_clISt17integral_constantIbLb1EES17_EEDaS12_S13_EUlS12_E_NS1_11comp_targetILNS1_3genE8ELNS1_11target_archE1030ELNS1_3gpuE2ELNS1_3repE0EEENS1_30default_config_static_selectorELNS0_4arch9wavefront6targetE0EEEvT1_.kd
    .uniform_work_group_size: 1
    .uses_dynamic_stack: false
    .vgpr_count:     0
    .vgpr_spill_count: 0
    .wavefront_size: 32
  - .args:
      - .offset:         0
        .size:           112
        .value_kind:     by_value
    .group_segment_fixed_size: 0
    .kernarg_segment_align: 8
    .kernarg_segment_size: 112
    .language:       OpenCL C
    .language_version:
      - 2
      - 0
    .max_flat_workgroup_size: 256
    .name:           _ZN7rocprim17ROCPRIM_400000_NS6detail17trampoline_kernelINS0_14default_configENS1_25partition_config_selectorILNS1_17partition_subalgoE8EhNS0_10empty_typeEbEEZZNS1_14partition_implILS5_8ELb0ES3_jPKhPS6_PKS6_NS0_5tupleIJPhS6_EEENSE_IJSB_SB_EEENS0_18inequality_wrapperIN6hipcub16HIPCUB_304000_NS8EqualityEEEPlJS6_EEE10hipError_tPvRmT3_T4_T5_T6_T7_T9_mT8_P12ihipStream_tbDpT10_ENKUlT_T0_E_clISt17integral_constantIbLb1EES16_IbLb0EEEEDaS12_S13_EUlS12_E_NS1_11comp_targetILNS1_3genE0ELNS1_11target_archE4294967295ELNS1_3gpuE0ELNS1_3repE0EEENS1_30default_config_static_selectorELNS0_4arch9wavefront6targetE0EEEvT1_
    .private_segment_fixed_size: 0
    .sgpr_count:     0
    .sgpr_spill_count: 0
    .symbol:         _ZN7rocprim17ROCPRIM_400000_NS6detail17trampoline_kernelINS0_14default_configENS1_25partition_config_selectorILNS1_17partition_subalgoE8EhNS0_10empty_typeEbEEZZNS1_14partition_implILS5_8ELb0ES3_jPKhPS6_PKS6_NS0_5tupleIJPhS6_EEENSE_IJSB_SB_EEENS0_18inequality_wrapperIN6hipcub16HIPCUB_304000_NS8EqualityEEEPlJS6_EEE10hipError_tPvRmT3_T4_T5_T6_T7_T9_mT8_P12ihipStream_tbDpT10_ENKUlT_T0_E_clISt17integral_constantIbLb1EES16_IbLb0EEEEDaS12_S13_EUlS12_E_NS1_11comp_targetILNS1_3genE0ELNS1_11target_archE4294967295ELNS1_3gpuE0ELNS1_3repE0EEENS1_30default_config_static_selectorELNS0_4arch9wavefront6targetE0EEEvT1_.kd
    .uniform_work_group_size: 1
    .uses_dynamic_stack: false
    .vgpr_count:     0
    .vgpr_spill_count: 0
    .wavefront_size: 32
  - .args:
      - .offset:         0
        .size:           112
        .value_kind:     by_value
    .group_segment_fixed_size: 0
    .kernarg_segment_align: 8
    .kernarg_segment_size: 112
    .language:       OpenCL C
    .language_version:
      - 2
      - 0
    .max_flat_workgroup_size: 512
    .name:           _ZN7rocprim17ROCPRIM_400000_NS6detail17trampoline_kernelINS0_14default_configENS1_25partition_config_selectorILNS1_17partition_subalgoE8EhNS0_10empty_typeEbEEZZNS1_14partition_implILS5_8ELb0ES3_jPKhPS6_PKS6_NS0_5tupleIJPhS6_EEENSE_IJSB_SB_EEENS0_18inequality_wrapperIN6hipcub16HIPCUB_304000_NS8EqualityEEEPlJS6_EEE10hipError_tPvRmT3_T4_T5_T6_T7_T9_mT8_P12ihipStream_tbDpT10_ENKUlT_T0_E_clISt17integral_constantIbLb1EES16_IbLb0EEEEDaS12_S13_EUlS12_E_NS1_11comp_targetILNS1_3genE5ELNS1_11target_archE942ELNS1_3gpuE9ELNS1_3repE0EEENS1_30default_config_static_selectorELNS0_4arch9wavefront6targetE0EEEvT1_
    .private_segment_fixed_size: 0
    .sgpr_count:     0
    .sgpr_spill_count: 0
    .symbol:         _ZN7rocprim17ROCPRIM_400000_NS6detail17trampoline_kernelINS0_14default_configENS1_25partition_config_selectorILNS1_17partition_subalgoE8EhNS0_10empty_typeEbEEZZNS1_14partition_implILS5_8ELb0ES3_jPKhPS6_PKS6_NS0_5tupleIJPhS6_EEENSE_IJSB_SB_EEENS0_18inequality_wrapperIN6hipcub16HIPCUB_304000_NS8EqualityEEEPlJS6_EEE10hipError_tPvRmT3_T4_T5_T6_T7_T9_mT8_P12ihipStream_tbDpT10_ENKUlT_T0_E_clISt17integral_constantIbLb1EES16_IbLb0EEEEDaS12_S13_EUlS12_E_NS1_11comp_targetILNS1_3genE5ELNS1_11target_archE942ELNS1_3gpuE9ELNS1_3repE0EEENS1_30default_config_static_selectorELNS0_4arch9wavefront6targetE0EEEvT1_.kd
    .uniform_work_group_size: 1
    .uses_dynamic_stack: false
    .vgpr_count:     0
    .vgpr_spill_count: 0
    .wavefront_size: 32
  - .args:
      - .offset:         0
        .size:           112
        .value_kind:     by_value
    .group_segment_fixed_size: 0
    .kernarg_segment_align: 8
    .kernarg_segment_size: 112
    .language:       OpenCL C
    .language_version:
      - 2
      - 0
    .max_flat_workgroup_size: 128
    .name:           _ZN7rocprim17ROCPRIM_400000_NS6detail17trampoline_kernelINS0_14default_configENS1_25partition_config_selectorILNS1_17partition_subalgoE8EhNS0_10empty_typeEbEEZZNS1_14partition_implILS5_8ELb0ES3_jPKhPS6_PKS6_NS0_5tupleIJPhS6_EEENSE_IJSB_SB_EEENS0_18inequality_wrapperIN6hipcub16HIPCUB_304000_NS8EqualityEEEPlJS6_EEE10hipError_tPvRmT3_T4_T5_T6_T7_T9_mT8_P12ihipStream_tbDpT10_ENKUlT_T0_E_clISt17integral_constantIbLb1EES16_IbLb0EEEEDaS12_S13_EUlS12_E_NS1_11comp_targetILNS1_3genE4ELNS1_11target_archE910ELNS1_3gpuE8ELNS1_3repE0EEENS1_30default_config_static_selectorELNS0_4arch9wavefront6targetE0EEEvT1_
    .private_segment_fixed_size: 0
    .sgpr_count:     0
    .sgpr_spill_count: 0
    .symbol:         _ZN7rocprim17ROCPRIM_400000_NS6detail17trampoline_kernelINS0_14default_configENS1_25partition_config_selectorILNS1_17partition_subalgoE8EhNS0_10empty_typeEbEEZZNS1_14partition_implILS5_8ELb0ES3_jPKhPS6_PKS6_NS0_5tupleIJPhS6_EEENSE_IJSB_SB_EEENS0_18inequality_wrapperIN6hipcub16HIPCUB_304000_NS8EqualityEEEPlJS6_EEE10hipError_tPvRmT3_T4_T5_T6_T7_T9_mT8_P12ihipStream_tbDpT10_ENKUlT_T0_E_clISt17integral_constantIbLb1EES16_IbLb0EEEEDaS12_S13_EUlS12_E_NS1_11comp_targetILNS1_3genE4ELNS1_11target_archE910ELNS1_3gpuE8ELNS1_3repE0EEENS1_30default_config_static_selectorELNS0_4arch9wavefront6targetE0EEEvT1_.kd
    .uniform_work_group_size: 1
    .uses_dynamic_stack: false
    .vgpr_count:     0
    .vgpr_spill_count: 0
    .wavefront_size: 32
  - .args:
      - .offset:         0
        .size:           112
        .value_kind:     by_value
    .group_segment_fixed_size: 0
    .kernarg_segment_align: 8
    .kernarg_segment_size: 112
    .language:       OpenCL C
    .language_version:
      - 2
      - 0
    .max_flat_workgroup_size: 256
    .name:           _ZN7rocprim17ROCPRIM_400000_NS6detail17trampoline_kernelINS0_14default_configENS1_25partition_config_selectorILNS1_17partition_subalgoE8EhNS0_10empty_typeEbEEZZNS1_14partition_implILS5_8ELb0ES3_jPKhPS6_PKS6_NS0_5tupleIJPhS6_EEENSE_IJSB_SB_EEENS0_18inequality_wrapperIN6hipcub16HIPCUB_304000_NS8EqualityEEEPlJS6_EEE10hipError_tPvRmT3_T4_T5_T6_T7_T9_mT8_P12ihipStream_tbDpT10_ENKUlT_T0_E_clISt17integral_constantIbLb1EES16_IbLb0EEEEDaS12_S13_EUlS12_E_NS1_11comp_targetILNS1_3genE3ELNS1_11target_archE908ELNS1_3gpuE7ELNS1_3repE0EEENS1_30default_config_static_selectorELNS0_4arch9wavefront6targetE0EEEvT1_
    .private_segment_fixed_size: 0
    .sgpr_count:     0
    .sgpr_spill_count: 0
    .symbol:         _ZN7rocprim17ROCPRIM_400000_NS6detail17trampoline_kernelINS0_14default_configENS1_25partition_config_selectorILNS1_17partition_subalgoE8EhNS0_10empty_typeEbEEZZNS1_14partition_implILS5_8ELb0ES3_jPKhPS6_PKS6_NS0_5tupleIJPhS6_EEENSE_IJSB_SB_EEENS0_18inequality_wrapperIN6hipcub16HIPCUB_304000_NS8EqualityEEEPlJS6_EEE10hipError_tPvRmT3_T4_T5_T6_T7_T9_mT8_P12ihipStream_tbDpT10_ENKUlT_T0_E_clISt17integral_constantIbLb1EES16_IbLb0EEEEDaS12_S13_EUlS12_E_NS1_11comp_targetILNS1_3genE3ELNS1_11target_archE908ELNS1_3gpuE7ELNS1_3repE0EEENS1_30default_config_static_selectorELNS0_4arch9wavefront6targetE0EEEvT1_.kd
    .uniform_work_group_size: 1
    .uses_dynamic_stack: false
    .vgpr_count:     0
    .vgpr_spill_count: 0
    .wavefront_size: 32
  - .args:
      - .offset:         0
        .size:           112
        .value_kind:     by_value
    .group_segment_fixed_size: 0
    .kernarg_segment_align: 8
    .kernarg_segment_size: 112
    .language:       OpenCL C
    .language_version:
      - 2
      - 0
    .max_flat_workgroup_size: 192
    .name:           _ZN7rocprim17ROCPRIM_400000_NS6detail17trampoline_kernelINS0_14default_configENS1_25partition_config_selectorILNS1_17partition_subalgoE8EhNS0_10empty_typeEbEEZZNS1_14partition_implILS5_8ELb0ES3_jPKhPS6_PKS6_NS0_5tupleIJPhS6_EEENSE_IJSB_SB_EEENS0_18inequality_wrapperIN6hipcub16HIPCUB_304000_NS8EqualityEEEPlJS6_EEE10hipError_tPvRmT3_T4_T5_T6_T7_T9_mT8_P12ihipStream_tbDpT10_ENKUlT_T0_E_clISt17integral_constantIbLb1EES16_IbLb0EEEEDaS12_S13_EUlS12_E_NS1_11comp_targetILNS1_3genE2ELNS1_11target_archE906ELNS1_3gpuE6ELNS1_3repE0EEENS1_30default_config_static_selectorELNS0_4arch9wavefront6targetE0EEEvT1_
    .private_segment_fixed_size: 0
    .sgpr_count:     0
    .sgpr_spill_count: 0
    .symbol:         _ZN7rocprim17ROCPRIM_400000_NS6detail17trampoline_kernelINS0_14default_configENS1_25partition_config_selectorILNS1_17partition_subalgoE8EhNS0_10empty_typeEbEEZZNS1_14partition_implILS5_8ELb0ES3_jPKhPS6_PKS6_NS0_5tupleIJPhS6_EEENSE_IJSB_SB_EEENS0_18inequality_wrapperIN6hipcub16HIPCUB_304000_NS8EqualityEEEPlJS6_EEE10hipError_tPvRmT3_T4_T5_T6_T7_T9_mT8_P12ihipStream_tbDpT10_ENKUlT_T0_E_clISt17integral_constantIbLb1EES16_IbLb0EEEEDaS12_S13_EUlS12_E_NS1_11comp_targetILNS1_3genE2ELNS1_11target_archE906ELNS1_3gpuE6ELNS1_3repE0EEENS1_30default_config_static_selectorELNS0_4arch9wavefront6targetE0EEEvT1_.kd
    .uniform_work_group_size: 1
    .uses_dynamic_stack: false
    .vgpr_count:     0
    .vgpr_spill_count: 0
    .wavefront_size: 32
  - .args:
      - .offset:         0
        .size:           112
        .value_kind:     by_value
    .group_segment_fixed_size: 0
    .kernarg_segment_align: 8
    .kernarg_segment_size: 112
    .language:       OpenCL C
    .language_version:
      - 2
      - 0
    .max_flat_workgroup_size: 256
    .name:           _ZN7rocprim17ROCPRIM_400000_NS6detail17trampoline_kernelINS0_14default_configENS1_25partition_config_selectorILNS1_17partition_subalgoE8EhNS0_10empty_typeEbEEZZNS1_14partition_implILS5_8ELb0ES3_jPKhPS6_PKS6_NS0_5tupleIJPhS6_EEENSE_IJSB_SB_EEENS0_18inequality_wrapperIN6hipcub16HIPCUB_304000_NS8EqualityEEEPlJS6_EEE10hipError_tPvRmT3_T4_T5_T6_T7_T9_mT8_P12ihipStream_tbDpT10_ENKUlT_T0_E_clISt17integral_constantIbLb1EES16_IbLb0EEEEDaS12_S13_EUlS12_E_NS1_11comp_targetILNS1_3genE10ELNS1_11target_archE1200ELNS1_3gpuE4ELNS1_3repE0EEENS1_30default_config_static_selectorELNS0_4arch9wavefront6targetE0EEEvT1_
    .private_segment_fixed_size: 0
    .sgpr_count:     0
    .sgpr_spill_count: 0
    .symbol:         _ZN7rocprim17ROCPRIM_400000_NS6detail17trampoline_kernelINS0_14default_configENS1_25partition_config_selectorILNS1_17partition_subalgoE8EhNS0_10empty_typeEbEEZZNS1_14partition_implILS5_8ELb0ES3_jPKhPS6_PKS6_NS0_5tupleIJPhS6_EEENSE_IJSB_SB_EEENS0_18inequality_wrapperIN6hipcub16HIPCUB_304000_NS8EqualityEEEPlJS6_EEE10hipError_tPvRmT3_T4_T5_T6_T7_T9_mT8_P12ihipStream_tbDpT10_ENKUlT_T0_E_clISt17integral_constantIbLb1EES16_IbLb0EEEEDaS12_S13_EUlS12_E_NS1_11comp_targetILNS1_3genE10ELNS1_11target_archE1200ELNS1_3gpuE4ELNS1_3repE0EEENS1_30default_config_static_selectorELNS0_4arch9wavefront6targetE0EEEvT1_.kd
    .uniform_work_group_size: 1
    .uses_dynamic_stack: false
    .vgpr_count:     0
    .vgpr_spill_count: 0
    .wavefront_size: 32
  - .args:
      - .offset:         0
        .size:           112
        .value_kind:     by_value
    .group_segment_fixed_size: 0
    .kernarg_segment_align: 8
    .kernarg_segment_size: 112
    .language:       OpenCL C
    .language_version:
      - 2
      - 0
    .max_flat_workgroup_size: 384
    .name:           _ZN7rocprim17ROCPRIM_400000_NS6detail17trampoline_kernelINS0_14default_configENS1_25partition_config_selectorILNS1_17partition_subalgoE8EhNS0_10empty_typeEbEEZZNS1_14partition_implILS5_8ELb0ES3_jPKhPS6_PKS6_NS0_5tupleIJPhS6_EEENSE_IJSB_SB_EEENS0_18inequality_wrapperIN6hipcub16HIPCUB_304000_NS8EqualityEEEPlJS6_EEE10hipError_tPvRmT3_T4_T5_T6_T7_T9_mT8_P12ihipStream_tbDpT10_ENKUlT_T0_E_clISt17integral_constantIbLb1EES16_IbLb0EEEEDaS12_S13_EUlS12_E_NS1_11comp_targetILNS1_3genE9ELNS1_11target_archE1100ELNS1_3gpuE3ELNS1_3repE0EEENS1_30default_config_static_selectorELNS0_4arch9wavefront6targetE0EEEvT1_
    .private_segment_fixed_size: 0
    .sgpr_count:     0
    .sgpr_spill_count: 0
    .symbol:         _ZN7rocprim17ROCPRIM_400000_NS6detail17trampoline_kernelINS0_14default_configENS1_25partition_config_selectorILNS1_17partition_subalgoE8EhNS0_10empty_typeEbEEZZNS1_14partition_implILS5_8ELb0ES3_jPKhPS6_PKS6_NS0_5tupleIJPhS6_EEENSE_IJSB_SB_EEENS0_18inequality_wrapperIN6hipcub16HIPCUB_304000_NS8EqualityEEEPlJS6_EEE10hipError_tPvRmT3_T4_T5_T6_T7_T9_mT8_P12ihipStream_tbDpT10_ENKUlT_T0_E_clISt17integral_constantIbLb1EES16_IbLb0EEEEDaS12_S13_EUlS12_E_NS1_11comp_targetILNS1_3genE9ELNS1_11target_archE1100ELNS1_3gpuE3ELNS1_3repE0EEENS1_30default_config_static_selectorELNS0_4arch9wavefront6targetE0EEEvT1_.kd
    .uniform_work_group_size: 1
    .uses_dynamic_stack: false
    .vgpr_count:     0
    .vgpr_spill_count: 0
    .wavefront_size: 32
  - .args:
      - .offset:         0
        .size:           112
        .value_kind:     by_value
    .group_segment_fixed_size: 0
    .kernarg_segment_align: 8
    .kernarg_segment_size: 112
    .language:       OpenCL C
    .language_version:
      - 2
      - 0
    .max_flat_workgroup_size: 384
    .name:           _ZN7rocprim17ROCPRIM_400000_NS6detail17trampoline_kernelINS0_14default_configENS1_25partition_config_selectorILNS1_17partition_subalgoE8EhNS0_10empty_typeEbEEZZNS1_14partition_implILS5_8ELb0ES3_jPKhPS6_PKS6_NS0_5tupleIJPhS6_EEENSE_IJSB_SB_EEENS0_18inequality_wrapperIN6hipcub16HIPCUB_304000_NS8EqualityEEEPlJS6_EEE10hipError_tPvRmT3_T4_T5_T6_T7_T9_mT8_P12ihipStream_tbDpT10_ENKUlT_T0_E_clISt17integral_constantIbLb1EES16_IbLb0EEEEDaS12_S13_EUlS12_E_NS1_11comp_targetILNS1_3genE8ELNS1_11target_archE1030ELNS1_3gpuE2ELNS1_3repE0EEENS1_30default_config_static_selectorELNS0_4arch9wavefront6targetE0EEEvT1_
    .private_segment_fixed_size: 0
    .sgpr_count:     0
    .sgpr_spill_count: 0
    .symbol:         _ZN7rocprim17ROCPRIM_400000_NS6detail17trampoline_kernelINS0_14default_configENS1_25partition_config_selectorILNS1_17partition_subalgoE8EhNS0_10empty_typeEbEEZZNS1_14partition_implILS5_8ELb0ES3_jPKhPS6_PKS6_NS0_5tupleIJPhS6_EEENSE_IJSB_SB_EEENS0_18inequality_wrapperIN6hipcub16HIPCUB_304000_NS8EqualityEEEPlJS6_EEE10hipError_tPvRmT3_T4_T5_T6_T7_T9_mT8_P12ihipStream_tbDpT10_ENKUlT_T0_E_clISt17integral_constantIbLb1EES16_IbLb0EEEEDaS12_S13_EUlS12_E_NS1_11comp_targetILNS1_3genE8ELNS1_11target_archE1030ELNS1_3gpuE2ELNS1_3repE0EEENS1_30default_config_static_selectorELNS0_4arch9wavefront6targetE0EEEvT1_.kd
    .uniform_work_group_size: 1
    .uses_dynamic_stack: false
    .vgpr_count:     0
    .vgpr_spill_count: 0
    .wavefront_size: 32
  - .args:
      - .offset:         0
        .size:           128
        .value_kind:     by_value
    .group_segment_fixed_size: 7176
    .kernarg_segment_align: 8
    .kernarg_segment_size: 128
    .language:       OpenCL C
    .language_version:
      - 2
      - 0
    .max_flat_workgroup_size: 256
    .name:           _ZN7rocprim17ROCPRIM_400000_NS6detail17trampoline_kernelINS0_14default_configENS1_25partition_config_selectorILNS1_17partition_subalgoE8EhNS0_10empty_typeEbEEZZNS1_14partition_implILS5_8ELb0ES3_jPKhPS6_PKS6_NS0_5tupleIJPhS6_EEENSE_IJSB_SB_EEENS0_18inequality_wrapperIN6hipcub16HIPCUB_304000_NS8EqualityEEEPlJS6_EEE10hipError_tPvRmT3_T4_T5_T6_T7_T9_mT8_P12ihipStream_tbDpT10_ENKUlT_T0_E_clISt17integral_constantIbLb0EES16_IbLb1EEEEDaS12_S13_EUlS12_E_NS1_11comp_targetILNS1_3genE0ELNS1_11target_archE4294967295ELNS1_3gpuE0ELNS1_3repE0EEENS1_30default_config_static_selectorELNS0_4arch9wavefront6targetE0EEEvT1_
    .private_segment_fixed_size: 0
    .sgpr_count:     51
    .sgpr_spill_count: 0
    .symbol:         _ZN7rocprim17ROCPRIM_400000_NS6detail17trampoline_kernelINS0_14default_configENS1_25partition_config_selectorILNS1_17partition_subalgoE8EhNS0_10empty_typeEbEEZZNS1_14partition_implILS5_8ELb0ES3_jPKhPS6_PKS6_NS0_5tupleIJPhS6_EEENSE_IJSB_SB_EEENS0_18inequality_wrapperIN6hipcub16HIPCUB_304000_NS8EqualityEEEPlJS6_EEE10hipError_tPvRmT3_T4_T5_T6_T7_T9_mT8_P12ihipStream_tbDpT10_ENKUlT_T0_E_clISt17integral_constantIbLb0EES16_IbLb1EEEEDaS12_S13_EUlS12_E_NS1_11comp_targetILNS1_3genE0ELNS1_11target_archE4294967295ELNS1_3gpuE0ELNS1_3repE0EEENS1_30default_config_static_selectorELNS0_4arch9wavefront6targetE0EEEvT1_.kd
    .uniform_work_group_size: 1
    .uses_dynamic_stack: false
    .vgpr_count:     110
    .vgpr_spill_count: 0
    .wavefront_size: 32
  - .args:
      - .offset:         0
        .size:           128
        .value_kind:     by_value
    .group_segment_fixed_size: 0
    .kernarg_segment_align: 8
    .kernarg_segment_size: 128
    .language:       OpenCL C
    .language_version:
      - 2
      - 0
    .max_flat_workgroup_size: 512
    .name:           _ZN7rocprim17ROCPRIM_400000_NS6detail17trampoline_kernelINS0_14default_configENS1_25partition_config_selectorILNS1_17partition_subalgoE8EhNS0_10empty_typeEbEEZZNS1_14partition_implILS5_8ELb0ES3_jPKhPS6_PKS6_NS0_5tupleIJPhS6_EEENSE_IJSB_SB_EEENS0_18inequality_wrapperIN6hipcub16HIPCUB_304000_NS8EqualityEEEPlJS6_EEE10hipError_tPvRmT3_T4_T5_T6_T7_T9_mT8_P12ihipStream_tbDpT10_ENKUlT_T0_E_clISt17integral_constantIbLb0EES16_IbLb1EEEEDaS12_S13_EUlS12_E_NS1_11comp_targetILNS1_3genE5ELNS1_11target_archE942ELNS1_3gpuE9ELNS1_3repE0EEENS1_30default_config_static_selectorELNS0_4arch9wavefront6targetE0EEEvT1_
    .private_segment_fixed_size: 0
    .sgpr_count:     0
    .sgpr_spill_count: 0
    .symbol:         _ZN7rocprim17ROCPRIM_400000_NS6detail17trampoline_kernelINS0_14default_configENS1_25partition_config_selectorILNS1_17partition_subalgoE8EhNS0_10empty_typeEbEEZZNS1_14partition_implILS5_8ELb0ES3_jPKhPS6_PKS6_NS0_5tupleIJPhS6_EEENSE_IJSB_SB_EEENS0_18inequality_wrapperIN6hipcub16HIPCUB_304000_NS8EqualityEEEPlJS6_EEE10hipError_tPvRmT3_T4_T5_T6_T7_T9_mT8_P12ihipStream_tbDpT10_ENKUlT_T0_E_clISt17integral_constantIbLb0EES16_IbLb1EEEEDaS12_S13_EUlS12_E_NS1_11comp_targetILNS1_3genE5ELNS1_11target_archE942ELNS1_3gpuE9ELNS1_3repE0EEENS1_30default_config_static_selectorELNS0_4arch9wavefront6targetE0EEEvT1_.kd
    .uniform_work_group_size: 1
    .uses_dynamic_stack: false
    .vgpr_count:     0
    .vgpr_spill_count: 0
    .wavefront_size: 32
  - .args:
      - .offset:         0
        .size:           128
        .value_kind:     by_value
    .group_segment_fixed_size: 0
    .kernarg_segment_align: 8
    .kernarg_segment_size: 128
    .language:       OpenCL C
    .language_version:
      - 2
      - 0
    .max_flat_workgroup_size: 128
    .name:           _ZN7rocprim17ROCPRIM_400000_NS6detail17trampoline_kernelINS0_14default_configENS1_25partition_config_selectorILNS1_17partition_subalgoE8EhNS0_10empty_typeEbEEZZNS1_14partition_implILS5_8ELb0ES3_jPKhPS6_PKS6_NS0_5tupleIJPhS6_EEENSE_IJSB_SB_EEENS0_18inequality_wrapperIN6hipcub16HIPCUB_304000_NS8EqualityEEEPlJS6_EEE10hipError_tPvRmT3_T4_T5_T6_T7_T9_mT8_P12ihipStream_tbDpT10_ENKUlT_T0_E_clISt17integral_constantIbLb0EES16_IbLb1EEEEDaS12_S13_EUlS12_E_NS1_11comp_targetILNS1_3genE4ELNS1_11target_archE910ELNS1_3gpuE8ELNS1_3repE0EEENS1_30default_config_static_selectorELNS0_4arch9wavefront6targetE0EEEvT1_
    .private_segment_fixed_size: 0
    .sgpr_count:     0
    .sgpr_spill_count: 0
    .symbol:         _ZN7rocprim17ROCPRIM_400000_NS6detail17trampoline_kernelINS0_14default_configENS1_25partition_config_selectorILNS1_17partition_subalgoE8EhNS0_10empty_typeEbEEZZNS1_14partition_implILS5_8ELb0ES3_jPKhPS6_PKS6_NS0_5tupleIJPhS6_EEENSE_IJSB_SB_EEENS0_18inequality_wrapperIN6hipcub16HIPCUB_304000_NS8EqualityEEEPlJS6_EEE10hipError_tPvRmT3_T4_T5_T6_T7_T9_mT8_P12ihipStream_tbDpT10_ENKUlT_T0_E_clISt17integral_constantIbLb0EES16_IbLb1EEEEDaS12_S13_EUlS12_E_NS1_11comp_targetILNS1_3genE4ELNS1_11target_archE910ELNS1_3gpuE8ELNS1_3repE0EEENS1_30default_config_static_selectorELNS0_4arch9wavefront6targetE0EEEvT1_.kd
    .uniform_work_group_size: 1
    .uses_dynamic_stack: false
    .vgpr_count:     0
    .vgpr_spill_count: 0
    .wavefront_size: 32
  - .args:
      - .offset:         0
        .size:           128
        .value_kind:     by_value
    .group_segment_fixed_size: 0
    .kernarg_segment_align: 8
    .kernarg_segment_size: 128
    .language:       OpenCL C
    .language_version:
      - 2
      - 0
    .max_flat_workgroup_size: 256
    .name:           _ZN7rocprim17ROCPRIM_400000_NS6detail17trampoline_kernelINS0_14default_configENS1_25partition_config_selectorILNS1_17partition_subalgoE8EhNS0_10empty_typeEbEEZZNS1_14partition_implILS5_8ELb0ES3_jPKhPS6_PKS6_NS0_5tupleIJPhS6_EEENSE_IJSB_SB_EEENS0_18inequality_wrapperIN6hipcub16HIPCUB_304000_NS8EqualityEEEPlJS6_EEE10hipError_tPvRmT3_T4_T5_T6_T7_T9_mT8_P12ihipStream_tbDpT10_ENKUlT_T0_E_clISt17integral_constantIbLb0EES16_IbLb1EEEEDaS12_S13_EUlS12_E_NS1_11comp_targetILNS1_3genE3ELNS1_11target_archE908ELNS1_3gpuE7ELNS1_3repE0EEENS1_30default_config_static_selectorELNS0_4arch9wavefront6targetE0EEEvT1_
    .private_segment_fixed_size: 0
    .sgpr_count:     0
    .sgpr_spill_count: 0
    .symbol:         _ZN7rocprim17ROCPRIM_400000_NS6detail17trampoline_kernelINS0_14default_configENS1_25partition_config_selectorILNS1_17partition_subalgoE8EhNS0_10empty_typeEbEEZZNS1_14partition_implILS5_8ELb0ES3_jPKhPS6_PKS6_NS0_5tupleIJPhS6_EEENSE_IJSB_SB_EEENS0_18inequality_wrapperIN6hipcub16HIPCUB_304000_NS8EqualityEEEPlJS6_EEE10hipError_tPvRmT3_T4_T5_T6_T7_T9_mT8_P12ihipStream_tbDpT10_ENKUlT_T0_E_clISt17integral_constantIbLb0EES16_IbLb1EEEEDaS12_S13_EUlS12_E_NS1_11comp_targetILNS1_3genE3ELNS1_11target_archE908ELNS1_3gpuE7ELNS1_3repE0EEENS1_30default_config_static_selectorELNS0_4arch9wavefront6targetE0EEEvT1_.kd
    .uniform_work_group_size: 1
    .uses_dynamic_stack: false
    .vgpr_count:     0
    .vgpr_spill_count: 0
    .wavefront_size: 32
  - .args:
      - .offset:         0
        .size:           128
        .value_kind:     by_value
    .group_segment_fixed_size: 0
    .kernarg_segment_align: 8
    .kernarg_segment_size: 128
    .language:       OpenCL C
    .language_version:
      - 2
      - 0
    .max_flat_workgroup_size: 192
    .name:           _ZN7rocprim17ROCPRIM_400000_NS6detail17trampoline_kernelINS0_14default_configENS1_25partition_config_selectorILNS1_17partition_subalgoE8EhNS0_10empty_typeEbEEZZNS1_14partition_implILS5_8ELb0ES3_jPKhPS6_PKS6_NS0_5tupleIJPhS6_EEENSE_IJSB_SB_EEENS0_18inequality_wrapperIN6hipcub16HIPCUB_304000_NS8EqualityEEEPlJS6_EEE10hipError_tPvRmT3_T4_T5_T6_T7_T9_mT8_P12ihipStream_tbDpT10_ENKUlT_T0_E_clISt17integral_constantIbLb0EES16_IbLb1EEEEDaS12_S13_EUlS12_E_NS1_11comp_targetILNS1_3genE2ELNS1_11target_archE906ELNS1_3gpuE6ELNS1_3repE0EEENS1_30default_config_static_selectorELNS0_4arch9wavefront6targetE0EEEvT1_
    .private_segment_fixed_size: 0
    .sgpr_count:     0
    .sgpr_spill_count: 0
    .symbol:         _ZN7rocprim17ROCPRIM_400000_NS6detail17trampoline_kernelINS0_14default_configENS1_25partition_config_selectorILNS1_17partition_subalgoE8EhNS0_10empty_typeEbEEZZNS1_14partition_implILS5_8ELb0ES3_jPKhPS6_PKS6_NS0_5tupleIJPhS6_EEENSE_IJSB_SB_EEENS0_18inequality_wrapperIN6hipcub16HIPCUB_304000_NS8EqualityEEEPlJS6_EEE10hipError_tPvRmT3_T4_T5_T6_T7_T9_mT8_P12ihipStream_tbDpT10_ENKUlT_T0_E_clISt17integral_constantIbLb0EES16_IbLb1EEEEDaS12_S13_EUlS12_E_NS1_11comp_targetILNS1_3genE2ELNS1_11target_archE906ELNS1_3gpuE6ELNS1_3repE0EEENS1_30default_config_static_selectorELNS0_4arch9wavefront6targetE0EEEvT1_.kd
    .uniform_work_group_size: 1
    .uses_dynamic_stack: false
    .vgpr_count:     0
    .vgpr_spill_count: 0
    .wavefront_size: 32
  - .args:
      - .offset:         0
        .size:           128
        .value_kind:     by_value
    .group_segment_fixed_size: 0
    .kernarg_segment_align: 8
    .kernarg_segment_size: 128
    .language:       OpenCL C
    .language_version:
      - 2
      - 0
    .max_flat_workgroup_size: 256
    .name:           _ZN7rocprim17ROCPRIM_400000_NS6detail17trampoline_kernelINS0_14default_configENS1_25partition_config_selectorILNS1_17partition_subalgoE8EhNS0_10empty_typeEbEEZZNS1_14partition_implILS5_8ELb0ES3_jPKhPS6_PKS6_NS0_5tupleIJPhS6_EEENSE_IJSB_SB_EEENS0_18inequality_wrapperIN6hipcub16HIPCUB_304000_NS8EqualityEEEPlJS6_EEE10hipError_tPvRmT3_T4_T5_T6_T7_T9_mT8_P12ihipStream_tbDpT10_ENKUlT_T0_E_clISt17integral_constantIbLb0EES16_IbLb1EEEEDaS12_S13_EUlS12_E_NS1_11comp_targetILNS1_3genE10ELNS1_11target_archE1200ELNS1_3gpuE4ELNS1_3repE0EEENS1_30default_config_static_selectorELNS0_4arch9wavefront6targetE0EEEvT1_
    .private_segment_fixed_size: 0
    .sgpr_count:     0
    .sgpr_spill_count: 0
    .symbol:         _ZN7rocprim17ROCPRIM_400000_NS6detail17trampoline_kernelINS0_14default_configENS1_25partition_config_selectorILNS1_17partition_subalgoE8EhNS0_10empty_typeEbEEZZNS1_14partition_implILS5_8ELb0ES3_jPKhPS6_PKS6_NS0_5tupleIJPhS6_EEENSE_IJSB_SB_EEENS0_18inequality_wrapperIN6hipcub16HIPCUB_304000_NS8EqualityEEEPlJS6_EEE10hipError_tPvRmT3_T4_T5_T6_T7_T9_mT8_P12ihipStream_tbDpT10_ENKUlT_T0_E_clISt17integral_constantIbLb0EES16_IbLb1EEEEDaS12_S13_EUlS12_E_NS1_11comp_targetILNS1_3genE10ELNS1_11target_archE1200ELNS1_3gpuE4ELNS1_3repE0EEENS1_30default_config_static_selectorELNS0_4arch9wavefront6targetE0EEEvT1_.kd
    .uniform_work_group_size: 1
    .uses_dynamic_stack: false
    .vgpr_count:     0
    .vgpr_spill_count: 0
    .wavefront_size: 32
  - .args:
      - .offset:         0
        .size:           128
        .value_kind:     by_value
    .group_segment_fixed_size: 0
    .kernarg_segment_align: 8
    .kernarg_segment_size: 128
    .language:       OpenCL C
    .language_version:
      - 2
      - 0
    .max_flat_workgroup_size: 384
    .name:           _ZN7rocprim17ROCPRIM_400000_NS6detail17trampoline_kernelINS0_14default_configENS1_25partition_config_selectorILNS1_17partition_subalgoE8EhNS0_10empty_typeEbEEZZNS1_14partition_implILS5_8ELb0ES3_jPKhPS6_PKS6_NS0_5tupleIJPhS6_EEENSE_IJSB_SB_EEENS0_18inequality_wrapperIN6hipcub16HIPCUB_304000_NS8EqualityEEEPlJS6_EEE10hipError_tPvRmT3_T4_T5_T6_T7_T9_mT8_P12ihipStream_tbDpT10_ENKUlT_T0_E_clISt17integral_constantIbLb0EES16_IbLb1EEEEDaS12_S13_EUlS12_E_NS1_11comp_targetILNS1_3genE9ELNS1_11target_archE1100ELNS1_3gpuE3ELNS1_3repE0EEENS1_30default_config_static_selectorELNS0_4arch9wavefront6targetE0EEEvT1_
    .private_segment_fixed_size: 0
    .sgpr_count:     0
    .sgpr_spill_count: 0
    .symbol:         _ZN7rocprim17ROCPRIM_400000_NS6detail17trampoline_kernelINS0_14default_configENS1_25partition_config_selectorILNS1_17partition_subalgoE8EhNS0_10empty_typeEbEEZZNS1_14partition_implILS5_8ELb0ES3_jPKhPS6_PKS6_NS0_5tupleIJPhS6_EEENSE_IJSB_SB_EEENS0_18inequality_wrapperIN6hipcub16HIPCUB_304000_NS8EqualityEEEPlJS6_EEE10hipError_tPvRmT3_T4_T5_T6_T7_T9_mT8_P12ihipStream_tbDpT10_ENKUlT_T0_E_clISt17integral_constantIbLb0EES16_IbLb1EEEEDaS12_S13_EUlS12_E_NS1_11comp_targetILNS1_3genE9ELNS1_11target_archE1100ELNS1_3gpuE3ELNS1_3repE0EEENS1_30default_config_static_selectorELNS0_4arch9wavefront6targetE0EEEvT1_.kd
    .uniform_work_group_size: 1
    .uses_dynamic_stack: false
    .vgpr_count:     0
    .vgpr_spill_count: 0
    .wavefront_size: 32
  - .args:
      - .offset:         0
        .size:           128
        .value_kind:     by_value
    .group_segment_fixed_size: 0
    .kernarg_segment_align: 8
    .kernarg_segment_size: 128
    .language:       OpenCL C
    .language_version:
      - 2
      - 0
    .max_flat_workgroup_size: 384
    .name:           _ZN7rocprim17ROCPRIM_400000_NS6detail17trampoline_kernelINS0_14default_configENS1_25partition_config_selectorILNS1_17partition_subalgoE8EhNS0_10empty_typeEbEEZZNS1_14partition_implILS5_8ELb0ES3_jPKhPS6_PKS6_NS0_5tupleIJPhS6_EEENSE_IJSB_SB_EEENS0_18inequality_wrapperIN6hipcub16HIPCUB_304000_NS8EqualityEEEPlJS6_EEE10hipError_tPvRmT3_T4_T5_T6_T7_T9_mT8_P12ihipStream_tbDpT10_ENKUlT_T0_E_clISt17integral_constantIbLb0EES16_IbLb1EEEEDaS12_S13_EUlS12_E_NS1_11comp_targetILNS1_3genE8ELNS1_11target_archE1030ELNS1_3gpuE2ELNS1_3repE0EEENS1_30default_config_static_selectorELNS0_4arch9wavefront6targetE0EEEvT1_
    .private_segment_fixed_size: 0
    .sgpr_count:     0
    .sgpr_spill_count: 0
    .symbol:         _ZN7rocprim17ROCPRIM_400000_NS6detail17trampoline_kernelINS0_14default_configENS1_25partition_config_selectorILNS1_17partition_subalgoE8EhNS0_10empty_typeEbEEZZNS1_14partition_implILS5_8ELb0ES3_jPKhPS6_PKS6_NS0_5tupleIJPhS6_EEENSE_IJSB_SB_EEENS0_18inequality_wrapperIN6hipcub16HIPCUB_304000_NS8EqualityEEEPlJS6_EEE10hipError_tPvRmT3_T4_T5_T6_T7_T9_mT8_P12ihipStream_tbDpT10_ENKUlT_T0_E_clISt17integral_constantIbLb0EES16_IbLb1EEEEDaS12_S13_EUlS12_E_NS1_11comp_targetILNS1_3genE8ELNS1_11target_archE1030ELNS1_3gpuE2ELNS1_3repE0EEENS1_30default_config_static_selectorELNS0_4arch9wavefront6targetE0EEEvT1_.kd
    .uniform_work_group_size: 1
    .uses_dynamic_stack: false
    .vgpr_count:     0
    .vgpr_spill_count: 0
    .wavefront_size: 32
  - .args:
      - .offset:         0
        .size:           128
        .value_kind:     by_value
    .group_segment_fixed_size: 14336
    .kernarg_segment_align: 8
    .kernarg_segment_size: 128
    .language:       OpenCL C
    .language_version:
      - 2
      - 0
    .max_flat_workgroup_size: 256
    .name:           _ZN7rocprim17ROCPRIM_400000_NS6detail17trampoline_kernelINS0_14default_configENS1_33run_length_encode_config_selectorIhjNS0_4plusIjEEEEZZNS1_33reduce_by_key_impl_wrapped_configILNS1_25lookback_scan_determinismE0ES3_S7_PKhNS0_17constant_iteratorIjlEEPhPlSF_S6_NS0_8equal_toIhEEEE10hipError_tPvRmT2_T3_mT4_T5_T6_T7_T8_P12ihipStream_tbENKUlT_T0_E_clISt17integral_constantIbLb0EESZ_EEDaSU_SV_EUlSU_E_NS1_11comp_targetILNS1_3genE0ELNS1_11target_archE4294967295ELNS1_3gpuE0ELNS1_3repE0EEENS1_30default_config_static_selectorELNS0_4arch9wavefront6targetE0EEEvT1_
    .private_segment_fixed_size: 0
    .sgpr_count:     40
    .sgpr_spill_count: 0
    .symbol:         _ZN7rocprim17ROCPRIM_400000_NS6detail17trampoline_kernelINS0_14default_configENS1_33run_length_encode_config_selectorIhjNS0_4plusIjEEEEZZNS1_33reduce_by_key_impl_wrapped_configILNS1_25lookback_scan_determinismE0ES3_S7_PKhNS0_17constant_iteratorIjlEEPhPlSF_S6_NS0_8equal_toIhEEEE10hipError_tPvRmT2_T3_mT4_T5_T6_T7_T8_P12ihipStream_tbENKUlT_T0_E_clISt17integral_constantIbLb0EESZ_EEDaSU_SV_EUlSU_E_NS1_11comp_targetILNS1_3genE0ELNS1_11target_archE4294967295ELNS1_3gpuE0ELNS1_3repE0EEENS1_30default_config_static_selectorELNS0_4arch9wavefront6targetE0EEEvT1_.kd
    .uniform_work_group_size: 1
    .uses_dynamic_stack: false
    .vgpr_count:     104
    .vgpr_spill_count: 0
    .wavefront_size: 32
  - .args:
      - .offset:         0
        .size:           128
        .value_kind:     by_value
    .group_segment_fixed_size: 0
    .kernarg_segment_align: 8
    .kernarg_segment_size: 128
    .language:       OpenCL C
    .language_version:
      - 2
      - 0
    .max_flat_workgroup_size: 512
    .name:           _ZN7rocprim17ROCPRIM_400000_NS6detail17trampoline_kernelINS0_14default_configENS1_33run_length_encode_config_selectorIhjNS0_4plusIjEEEEZZNS1_33reduce_by_key_impl_wrapped_configILNS1_25lookback_scan_determinismE0ES3_S7_PKhNS0_17constant_iteratorIjlEEPhPlSF_S6_NS0_8equal_toIhEEEE10hipError_tPvRmT2_T3_mT4_T5_T6_T7_T8_P12ihipStream_tbENKUlT_T0_E_clISt17integral_constantIbLb0EESZ_EEDaSU_SV_EUlSU_E_NS1_11comp_targetILNS1_3genE5ELNS1_11target_archE942ELNS1_3gpuE9ELNS1_3repE0EEENS1_30default_config_static_selectorELNS0_4arch9wavefront6targetE0EEEvT1_
    .private_segment_fixed_size: 0
    .sgpr_count:     0
    .sgpr_spill_count: 0
    .symbol:         _ZN7rocprim17ROCPRIM_400000_NS6detail17trampoline_kernelINS0_14default_configENS1_33run_length_encode_config_selectorIhjNS0_4plusIjEEEEZZNS1_33reduce_by_key_impl_wrapped_configILNS1_25lookback_scan_determinismE0ES3_S7_PKhNS0_17constant_iteratorIjlEEPhPlSF_S6_NS0_8equal_toIhEEEE10hipError_tPvRmT2_T3_mT4_T5_T6_T7_T8_P12ihipStream_tbENKUlT_T0_E_clISt17integral_constantIbLb0EESZ_EEDaSU_SV_EUlSU_E_NS1_11comp_targetILNS1_3genE5ELNS1_11target_archE942ELNS1_3gpuE9ELNS1_3repE0EEENS1_30default_config_static_selectorELNS0_4arch9wavefront6targetE0EEEvT1_.kd
    .uniform_work_group_size: 1
    .uses_dynamic_stack: false
    .vgpr_count:     0
    .vgpr_spill_count: 0
    .wavefront_size: 32
  - .args:
      - .offset:         0
        .size:           128
        .value_kind:     by_value
    .group_segment_fixed_size: 0
    .kernarg_segment_align: 8
    .kernarg_segment_size: 128
    .language:       OpenCL C
    .language_version:
      - 2
      - 0
    .max_flat_workgroup_size: 256
    .name:           _ZN7rocprim17ROCPRIM_400000_NS6detail17trampoline_kernelINS0_14default_configENS1_33run_length_encode_config_selectorIhjNS0_4plusIjEEEEZZNS1_33reduce_by_key_impl_wrapped_configILNS1_25lookback_scan_determinismE0ES3_S7_PKhNS0_17constant_iteratorIjlEEPhPlSF_S6_NS0_8equal_toIhEEEE10hipError_tPvRmT2_T3_mT4_T5_T6_T7_T8_P12ihipStream_tbENKUlT_T0_E_clISt17integral_constantIbLb0EESZ_EEDaSU_SV_EUlSU_E_NS1_11comp_targetILNS1_3genE4ELNS1_11target_archE910ELNS1_3gpuE8ELNS1_3repE0EEENS1_30default_config_static_selectorELNS0_4arch9wavefront6targetE0EEEvT1_
    .private_segment_fixed_size: 0
    .sgpr_count:     0
    .sgpr_spill_count: 0
    .symbol:         _ZN7rocprim17ROCPRIM_400000_NS6detail17trampoline_kernelINS0_14default_configENS1_33run_length_encode_config_selectorIhjNS0_4plusIjEEEEZZNS1_33reduce_by_key_impl_wrapped_configILNS1_25lookback_scan_determinismE0ES3_S7_PKhNS0_17constant_iteratorIjlEEPhPlSF_S6_NS0_8equal_toIhEEEE10hipError_tPvRmT2_T3_mT4_T5_T6_T7_T8_P12ihipStream_tbENKUlT_T0_E_clISt17integral_constantIbLb0EESZ_EEDaSU_SV_EUlSU_E_NS1_11comp_targetILNS1_3genE4ELNS1_11target_archE910ELNS1_3gpuE8ELNS1_3repE0EEENS1_30default_config_static_selectorELNS0_4arch9wavefront6targetE0EEEvT1_.kd
    .uniform_work_group_size: 1
    .uses_dynamic_stack: false
    .vgpr_count:     0
    .vgpr_spill_count: 0
    .wavefront_size: 32
  - .args:
      - .offset:         0
        .size:           128
        .value_kind:     by_value
    .group_segment_fixed_size: 0
    .kernarg_segment_align: 8
    .kernarg_segment_size: 128
    .language:       OpenCL C
    .language_version:
      - 2
      - 0
    .max_flat_workgroup_size: 256
    .name:           _ZN7rocprim17ROCPRIM_400000_NS6detail17trampoline_kernelINS0_14default_configENS1_33run_length_encode_config_selectorIhjNS0_4plusIjEEEEZZNS1_33reduce_by_key_impl_wrapped_configILNS1_25lookback_scan_determinismE0ES3_S7_PKhNS0_17constant_iteratorIjlEEPhPlSF_S6_NS0_8equal_toIhEEEE10hipError_tPvRmT2_T3_mT4_T5_T6_T7_T8_P12ihipStream_tbENKUlT_T0_E_clISt17integral_constantIbLb0EESZ_EEDaSU_SV_EUlSU_E_NS1_11comp_targetILNS1_3genE3ELNS1_11target_archE908ELNS1_3gpuE7ELNS1_3repE0EEENS1_30default_config_static_selectorELNS0_4arch9wavefront6targetE0EEEvT1_
    .private_segment_fixed_size: 0
    .sgpr_count:     0
    .sgpr_spill_count: 0
    .symbol:         _ZN7rocprim17ROCPRIM_400000_NS6detail17trampoline_kernelINS0_14default_configENS1_33run_length_encode_config_selectorIhjNS0_4plusIjEEEEZZNS1_33reduce_by_key_impl_wrapped_configILNS1_25lookback_scan_determinismE0ES3_S7_PKhNS0_17constant_iteratorIjlEEPhPlSF_S6_NS0_8equal_toIhEEEE10hipError_tPvRmT2_T3_mT4_T5_T6_T7_T8_P12ihipStream_tbENKUlT_T0_E_clISt17integral_constantIbLb0EESZ_EEDaSU_SV_EUlSU_E_NS1_11comp_targetILNS1_3genE3ELNS1_11target_archE908ELNS1_3gpuE7ELNS1_3repE0EEENS1_30default_config_static_selectorELNS0_4arch9wavefront6targetE0EEEvT1_.kd
    .uniform_work_group_size: 1
    .uses_dynamic_stack: false
    .vgpr_count:     0
    .vgpr_spill_count: 0
    .wavefront_size: 32
  - .args:
      - .offset:         0
        .size:           128
        .value_kind:     by_value
    .group_segment_fixed_size: 0
    .kernarg_segment_align: 8
    .kernarg_segment_size: 128
    .language:       OpenCL C
    .language_version:
      - 2
      - 0
    .max_flat_workgroup_size: 256
    .name:           _ZN7rocprim17ROCPRIM_400000_NS6detail17trampoline_kernelINS0_14default_configENS1_33run_length_encode_config_selectorIhjNS0_4plusIjEEEEZZNS1_33reduce_by_key_impl_wrapped_configILNS1_25lookback_scan_determinismE0ES3_S7_PKhNS0_17constant_iteratorIjlEEPhPlSF_S6_NS0_8equal_toIhEEEE10hipError_tPvRmT2_T3_mT4_T5_T6_T7_T8_P12ihipStream_tbENKUlT_T0_E_clISt17integral_constantIbLb0EESZ_EEDaSU_SV_EUlSU_E_NS1_11comp_targetILNS1_3genE2ELNS1_11target_archE906ELNS1_3gpuE6ELNS1_3repE0EEENS1_30default_config_static_selectorELNS0_4arch9wavefront6targetE0EEEvT1_
    .private_segment_fixed_size: 0
    .sgpr_count:     0
    .sgpr_spill_count: 0
    .symbol:         _ZN7rocprim17ROCPRIM_400000_NS6detail17trampoline_kernelINS0_14default_configENS1_33run_length_encode_config_selectorIhjNS0_4plusIjEEEEZZNS1_33reduce_by_key_impl_wrapped_configILNS1_25lookback_scan_determinismE0ES3_S7_PKhNS0_17constant_iteratorIjlEEPhPlSF_S6_NS0_8equal_toIhEEEE10hipError_tPvRmT2_T3_mT4_T5_T6_T7_T8_P12ihipStream_tbENKUlT_T0_E_clISt17integral_constantIbLb0EESZ_EEDaSU_SV_EUlSU_E_NS1_11comp_targetILNS1_3genE2ELNS1_11target_archE906ELNS1_3gpuE6ELNS1_3repE0EEENS1_30default_config_static_selectorELNS0_4arch9wavefront6targetE0EEEvT1_.kd
    .uniform_work_group_size: 1
    .uses_dynamic_stack: false
    .vgpr_count:     0
    .vgpr_spill_count: 0
    .wavefront_size: 32
  - .args:
      - .offset:         0
        .size:           128
        .value_kind:     by_value
    .group_segment_fixed_size: 0
    .kernarg_segment_align: 8
    .kernarg_segment_size: 128
    .language:       OpenCL C
    .language_version:
      - 2
      - 0
    .max_flat_workgroup_size: 384
    .name:           _ZN7rocprim17ROCPRIM_400000_NS6detail17trampoline_kernelINS0_14default_configENS1_33run_length_encode_config_selectorIhjNS0_4plusIjEEEEZZNS1_33reduce_by_key_impl_wrapped_configILNS1_25lookback_scan_determinismE0ES3_S7_PKhNS0_17constant_iteratorIjlEEPhPlSF_S6_NS0_8equal_toIhEEEE10hipError_tPvRmT2_T3_mT4_T5_T6_T7_T8_P12ihipStream_tbENKUlT_T0_E_clISt17integral_constantIbLb0EESZ_EEDaSU_SV_EUlSU_E_NS1_11comp_targetILNS1_3genE10ELNS1_11target_archE1201ELNS1_3gpuE5ELNS1_3repE0EEENS1_30default_config_static_selectorELNS0_4arch9wavefront6targetE0EEEvT1_
    .private_segment_fixed_size: 0
    .sgpr_count:     0
    .sgpr_spill_count: 0
    .symbol:         _ZN7rocprim17ROCPRIM_400000_NS6detail17trampoline_kernelINS0_14default_configENS1_33run_length_encode_config_selectorIhjNS0_4plusIjEEEEZZNS1_33reduce_by_key_impl_wrapped_configILNS1_25lookback_scan_determinismE0ES3_S7_PKhNS0_17constant_iteratorIjlEEPhPlSF_S6_NS0_8equal_toIhEEEE10hipError_tPvRmT2_T3_mT4_T5_T6_T7_T8_P12ihipStream_tbENKUlT_T0_E_clISt17integral_constantIbLb0EESZ_EEDaSU_SV_EUlSU_E_NS1_11comp_targetILNS1_3genE10ELNS1_11target_archE1201ELNS1_3gpuE5ELNS1_3repE0EEENS1_30default_config_static_selectorELNS0_4arch9wavefront6targetE0EEEvT1_.kd
    .uniform_work_group_size: 1
    .uses_dynamic_stack: false
    .vgpr_count:     0
    .vgpr_spill_count: 0
    .wavefront_size: 32
  - .args:
      - .offset:         0
        .size:           128
        .value_kind:     by_value
    .group_segment_fixed_size: 0
    .kernarg_segment_align: 8
    .kernarg_segment_size: 128
    .language:       OpenCL C
    .language_version:
      - 2
      - 0
    .max_flat_workgroup_size: 384
    .name:           _ZN7rocprim17ROCPRIM_400000_NS6detail17trampoline_kernelINS0_14default_configENS1_33run_length_encode_config_selectorIhjNS0_4plusIjEEEEZZNS1_33reduce_by_key_impl_wrapped_configILNS1_25lookback_scan_determinismE0ES3_S7_PKhNS0_17constant_iteratorIjlEEPhPlSF_S6_NS0_8equal_toIhEEEE10hipError_tPvRmT2_T3_mT4_T5_T6_T7_T8_P12ihipStream_tbENKUlT_T0_E_clISt17integral_constantIbLb0EESZ_EEDaSU_SV_EUlSU_E_NS1_11comp_targetILNS1_3genE10ELNS1_11target_archE1200ELNS1_3gpuE4ELNS1_3repE0EEENS1_30default_config_static_selectorELNS0_4arch9wavefront6targetE0EEEvT1_
    .private_segment_fixed_size: 0
    .sgpr_count:     0
    .sgpr_spill_count: 0
    .symbol:         _ZN7rocprim17ROCPRIM_400000_NS6detail17trampoline_kernelINS0_14default_configENS1_33run_length_encode_config_selectorIhjNS0_4plusIjEEEEZZNS1_33reduce_by_key_impl_wrapped_configILNS1_25lookback_scan_determinismE0ES3_S7_PKhNS0_17constant_iteratorIjlEEPhPlSF_S6_NS0_8equal_toIhEEEE10hipError_tPvRmT2_T3_mT4_T5_T6_T7_T8_P12ihipStream_tbENKUlT_T0_E_clISt17integral_constantIbLb0EESZ_EEDaSU_SV_EUlSU_E_NS1_11comp_targetILNS1_3genE10ELNS1_11target_archE1200ELNS1_3gpuE4ELNS1_3repE0EEENS1_30default_config_static_selectorELNS0_4arch9wavefront6targetE0EEEvT1_.kd
    .uniform_work_group_size: 1
    .uses_dynamic_stack: false
    .vgpr_count:     0
    .vgpr_spill_count: 0
    .wavefront_size: 32
  - .args:
      - .offset:         0
        .size:           128
        .value_kind:     by_value
    .group_segment_fixed_size: 0
    .kernarg_segment_align: 8
    .kernarg_segment_size: 128
    .language:       OpenCL C
    .language_version:
      - 2
      - 0
    .max_flat_workgroup_size: 384
    .name:           _ZN7rocprim17ROCPRIM_400000_NS6detail17trampoline_kernelINS0_14default_configENS1_33run_length_encode_config_selectorIhjNS0_4plusIjEEEEZZNS1_33reduce_by_key_impl_wrapped_configILNS1_25lookback_scan_determinismE0ES3_S7_PKhNS0_17constant_iteratorIjlEEPhPlSF_S6_NS0_8equal_toIhEEEE10hipError_tPvRmT2_T3_mT4_T5_T6_T7_T8_P12ihipStream_tbENKUlT_T0_E_clISt17integral_constantIbLb0EESZ_EEDaSU_SV_EUlSU_E_NS1_11comp_targetILNS1_3genE9ELNS1_11target_archE1100ELNS1_3gpuE3ELNS1_3repE0EEENS1_30default_config_static_selectorELNS0_4arch9wavefront6targetE0EEEvT1_
    .private_segment_fixed_size: 0
    .sgpr_count:     0
    .sgpr_spill_count: 0
    .symbol:         _ZN7rocprim17ROCPRIM_400000_NS6detail17trampoline_kernelINS0_14default_configENS1_33run_length_encode_config_selectorIhjNS0_4plusIjEEEEZZNS1_33reduce_by_key_impl_wrapped_configILNS1_25lookback_scan_determinismE0ES3_S7_PKhNS0_17constant_iteratorIjlEEPhPlSF_S6_NS0_8equal_toIhEEEE10hipError_tPvRmT2_T3_mT4_T5_T6_T7_T8_P12ihipStream_tbENKUlT_T0_E_clISt17integral_constantIbLb0EESZ_EEDaSU_SV_EUlSU_E_NS1_11comp_targetILNS1_3genE9ELNS1_11target_archE1100ELNS1_3gpuE3ELNS1_3repE0EEENS1_30default_config_static_selectorELNS0_4arch9wavefront6targetE0EEEvT1_.kd
    .uniform_work_group_size: 1
    .uses_dynamic_stack: false
    .vgpr_count:     0
    .vgpr_spill_count: 0
    .wavefront_size: 32
  - .args:
      - .offset:         0
        .size:           128
        .value_kind:     by_value
    .group_segment_fixed_size: 0
    .kernarg_segment_align: 8
    .kernarg_segment_size: 128
    .language:       OpenCL C
    .language_version:
      - 2
      - 0
    .max_flat_workgroup_size: 384
    .name:           _ZN7rocprim17ROCPRIM_400000_NS6detail17trampoline_kernelINS0_14default_configENS1_33run_length_encode_config_selectorIhjNS0_4plusIjEEEEZZNS1_33reduce_by_key_impl_wrapped_configILNS1_25lookback_scan_determinismE0ES3_S7_PKhNS0_17constant_iteratorIjlEEPhPlSF_S6_NS0_8equal_toIhEEEE10hipError_tPvRmT2_T3_mT4_T5_T6_T7_T8_P12ihipStream_tbENKUlT_T0_E_clISt17integral_constantIbLb0EESZ_EEDaSU_SV_EUlSU_E_NS1_11comp_targetILNS1_3genE8ELNS1_11target_archE1030ELNS1_3gpuE2ELNS1_3repE0EEENS1_30default_config_static_selectorELNS0_4arch9wavefront6targetE0EEEvT1_
    .private_segment_fixed_size: 0
    .sgpr_count:     0
    .sgpr_spill_count: 0
    .symbol:         _ZN7rocprim17ROCPRIM_400000_NS6detail17trampoline_kernelINS0_14default_configENS1_33run_length_encode_config_selectorIhjNS0_4plusIjEEEEZZNS1_33reduce_by_key_impl_wrapped_configILNS1_25lookback_scan_determinismE0ES3_S7_PKhNS0_17constant_iteratorIjlEEPhPlSF_S6_NS0_8equal_toIhEEEE10hipError_tPvRmT2_T3_mT4_T5_T6_T7_T8_P12ihipStream_tbENKUlT_T0_E_clISt17integral_constantIbLb0EESZ_EEDaSU_SV_EUlSU_E_NS1_11comp_targetILNS1_3genE8ELNS1_11target_archE1030ELNS1_3gpuE2ELNS1_3repE0EEENS1_30default_config_static_selectorELNS0_4arch9wavefront6targetE0EEEvT1_.kd
    .uniform_work_group_size: 1
    .uses_dynamic_stack: false
    .vgpr_count:     0
    .vgpr_spill_count: 0
    .wavefront_size: 32
  - .args:
      - .offset:         0
        .size:           128
        .value_kind:     by_value
    .group_segment_fixed_size: 0
    .kernarg_segment_align: 8
    .kernarg_segment_size: 128
    .language:       OpenCL C
    .language_version:
      - 2
      - 0
    .max_flat_workgroup_size: 256
    .name:           _ZN7rocprim17ROCPRIM_400000_NS6detail17trampoline_kernelINS0_14default_configENS1_33run_length_encode_config_selectorIhjNS0_4plusIjEEEEZZNS1_33reduce_by_key_impl_wrapped_configILNS1_25lookback_scan_determinismE0ES3_S7_PKhNS0_17constant_iteratorIjlEEPhPlSF_S6_NS0_8equal_toIhEEEE10hipError_tPvRmT2_T3_mT4_T5_T6_T7_T8_P12ihipStream_tbENKUlT_T0_E_clISt17integral_constantIbLb1EESZ_EEDaSU_SV_EUlSU_E_NS1_11comp_targetILNS1_3genE0ELNS1_11target_archE4294967295ELNS1_3gpuE0ELNS1_3repE0EEENS1_30default_config_static_selectorELNS0_4arch9wavefront6targetE0EEEvT1_
    .private_segment_fixed_size: 0
    .sgpr_count:     0
    .sgpr_spill_count: 0
    .symbol:         _ZN7rocprim17ROCPRIM_400000_NS6detail17trampoline_kernelINS0_14default_configENS1_33run_length_encode_config_selectorIhjNS0_4plusIjEEEEZZNS1_33reduce_by_key_impl_wrapped_configILNS1_25lookback_scan_determinismE0ES3_S7_PKhNS0_17constant_iteratorIjlEEPhPlSF_S6_NS0_8equal_toIhEEEE10hipError_tPvRmT2_T3_mT4_T5_T6_T7_T8_P12ihipStream_tbENKUlT_T0_E_clISt17integral_constantIbLb1EESZ_EEDaSU_SV_EUlSU_E_NS1_11comp_targetILNS1_3genE0ELNS1_11target_archE4294967295ELNS1_3gpuE0ELNS1_3repE0EEENS1_30default_config_static_selectorELNS0_4arch9wavefront6targetE0EEEvT1_.kd
    .uniform_work_group_size: 1
    .uses_dynamic_stack: false
    .vgpr_count:     0
    .vgpr_spill_count: 0
    .wavefront_size: 32
  - .args:
      - .offset:         0
        .size:           128
        .value_kind:     by_value
    .group_segment_fixed_size: 0
    .kernarg_segment_align: 8
    .kernarg_segment_size: 128
    .language:       OpenCL C
    .language_version:
      - 2
      - 0
    .max_flat_workgroup_size: 512
    .name:           _ZN7rocprim17ROCPRIM_400000_NS6detail17trampoline_kernelINS0_14default_configENS1_33run_length_encode_config_selectorIhjNS0_4plusIjEEEEZZNS1_33reduce_by_key_impl_wrapped_configILNS1_25lookback_scan_determinismE0ES3_S7_PKhNS0_17constant_iteratorIjlEEPhPlSF_S6_NS0_8equal_toIhEEEE10hipError_tPvRmT2_T3_mT4_T5_T6_T7_T8_P12ihipStream_tbENKUlT_T0_E_clISt17integral_constantIbLb1EESZ_EEDaSU_SV_EUlSU_E_NS1_11comp_targetILNS1_3genE5ELNS1_11target_archE942ELNS1_3gpuE9ELNS1_3repE0EEENS1_30default_config_static_selectorELNS0_4arch9wavefront6targetE0EEEvT1_
    .private_segment_fixed_size: 0
    .sgpr_count:     0
    .sgpr_spill_count: 0
    .symbol:         _ZN7rocprim17ROCPRIM_400000_NS6detail17trampoline_kernelINS0_14default_configENS1_33run_length_encode_config_selectorIhjNS0_4plusIjEEEEZZNS1_33reduce_by_key_impl_wrapped_configILNS1_25lookback_scan_determinismE0ES3_S7_PKhNS0_17constant_iteratorIjlEEPhPlSF_S6_NS0_8equal_toIhEEEE10hipError_tPvRmT2_T3_mT4_T5_T6_T7_T8_P12ihipStream_tbENKUlT_T0_E_clISt17integral_constantIbLb1EESZ_EEDaSU_SV_EUlSU_E_NS1_11comp_targetILNS1_3genE5ELNS1_11target_archE942ELNS1_3gpuE9ELNS1_3repE0EEENS1_30default_config_static_selectorELNS0_4arch9wavefront6targetE0EEEvT1_.kd
    .uniform_work_group_size: 1
    .uses_dynamic_stack: false
    .vgpr_count:     0
    .vgpr_spill_count: 0
    .wavefront_size: 32
  - .args:
      - .offset:         0
        .size:           128
        .value_kind:     by_value
    .group_segment_fixed_size: 0
    .kernarg_segment_align: 8
    .kernarg_segment_size: 128
    .language:       OpenCL C
    .language_version:
      - 2
      - 0
    .max_flat_workgroup_size: 256
    .name:           _ZN7rocprim17ROCPRIM_400000_NS6detail17trampoline_kernelINS0_14default_configENS1_33run_length_encode_config_selectorIhjNS0_4plusIjEEEEZZNS1_33reduce_by_key_impl_wrapped_configILNS1_25lookback_scan_determinismE0ES3_S7_PKhNS0_17constant_iteratorIjlEEPhPlSF_S6_NS0_8equal_toIhEEEE10hipError_tPvRmT2_T3_mT4_T5_T6_T7_T8_P12ihipStream_tbENKUlT_T0_E_clISt17integral_constantIbLb1EESZ_EEDaSU_SV_EUlSU_E_NS1_11comp_targetILNS1_3genE4ELNS1_11target_archE910ELNS1_3gpuE8ELNS1_3repE0EEENS1_30default_config_static_selectorELNS0_4arch9wavefront6targetE0EEEvT1_
    .private_segment_fixed_size: 0
    .sgpr_count:     0
    .sgpr_spill_count: 0
    .symbol:         _ZN7rocprim17ROCPRIM_400000_NS6detail17trampoline_kernelINS0_14default_configENS1_33run_length_encode_config_selectorIhjNS0_4plusIjEEEEZZNS1_33reduce_by_key_impl_wrapped_configILNS1_25lookback_scan_determinismE0ES3_S7_PKhNS0_17constant_iteratorIjlEEPhPlSF_S6_NS0_8equal_toIhEEEE10hipError_tPvRmT2_T3_mT4_T5_T6_T7_T8_P12ihipStream_tbENKUlT_T0_E_clISt17integral_constantIbLb1EESZ_EEDaSU_SV_EUlSU_E_NS1_11comp_targetILNS1_3genE4ELNS1_11target_archE910ELNS1_3gpuE8ELNS1_3repE0EEENS1_30default_config_static_selectorELNS0_4arch9wavefront6targetE0EEEvT1_.kd
    .uniform_work_group_size: 1
    .uses_dynamic_stack: false
    .vgpr_count:     0
    .vgpr_spill_count: 0
    .wavefront_size: 32
  - .args:
      - .offset:         0
        .size:           128
        .value_kind:     by_value
    .group_segment_fixed_size: 0
    .kernarg_segment_align: 8
    .kernarg_segment_size: 128
    .language:       OpenCL C
    .language_version:
      - 2
      - 0
    .max_flat_workgroup_size: 256
    .name:           _ZN7rocprim17ROCPRIM_400000_NS6detail17trampoline_kernelINS0_14default_configENS1_33run_length_encode_config_selectorIhjNS0_4plusIjEEEEZZNS1_33reduce_by_key_impl_wrapped_configILNS1_25lookback_scan_determinismE0ES3_S7_PKhNS0_17constant_iteratorIjlEEPhPlSF_S6_NS0_8equal_toIhEEEE10hipError_tPvRmT2_T3_mT4_T5_T6_T7_T8_P12ihipStream_tbENKUlT_T0_E_clISt17integral_constantIbLb1EESZ_EEDaSU_SV_EUlSU_E_NS1_11comp_targetILNS1_3genE3ELNS1_11target_archE908ELNS1_3gpuE7ELNS1_3repE0EEENS1_30default_config_static_selectorELNS0_4arch9wavefront6targetE0EEEvT1_
    .private_segment_fixed_size: 0
    .sgpr_count:     0
    .sgpr_spill_count: 0
    .symbol:         _ZN7rocprim17ROCPRIM_400000_NS6detail17trampoline_kernelINS0_14default_configENS1_33run_length_encode_config_selectorIhjNS0_4plusIjEEEEZZNS1_33reduce_by_key_impl_wrapped_configILNS1_25lookback_scan_determinismE0ES3_S7_PKhNS0_17constant_iteratorIjlEEPhPlSF_S6_NS0_8equal_toIhEEEE10hipError_tPvRmT2_T3_mT4_T5_T6_T7_T8_P12ihipStream_tbENKUlT_T0_E_clISt17integral_constantIbLb1EESZ_EEDaSU_SV_EUlSU_E_NS1_11comp_targetILNS1_3genE3ELNS1_11target_archE908ELNS1_3gpuE7ELNS1_3repE0EEENS1_30default_config_static_selectorELNS0_4arch9wavefront6targetE0EEEvT1_.kd
    .uniform_work_group_size: 1
    .uses_dynamic_stack: false
    .vgpr_count:     0
    .vgpr_spill_count: 0
    .wavefront_size: 32
  - .args:
      - .offset:         0
        .size:           128
        .value_kind:     by_value
    .group_segment_fixed_size: 0
    .kernarg_segment_align: 8
    .kernarg_segment_size: 128
    .language:       OpenCL C
    .language_version:
      - 2
      - 0
    .max_flat_workgroup_size: 256
    .name:           _ZN7rocprim17ROCPRIM_400000_NS6detail17trampoline_kernelINS0_14default_configENS1_33run_length_encode_config_selectorIhjNS0_4plusIjEEEEZZNS1_33reduce_by_key_impl_wrapped_configILNS1_25lookback_scan_determinismE0ES3_S7_PKhNS0_17constant_iteratorIjlEEPhPlSF_S6_NS0_8equal_toIhEEEE10hipError_tPvRmT2_T3_mT4_T5_T6_T7_T8_P12ihipStream_tbENKUlT_T0_E_clISt17integral_constantIbLb1EESZ_EEDaSU_SV_EUlSU_E_NS1_11comp_targetILNS1_3genE2ELNS1_11target_archE906ELNS1_3gpuE6ELNS1_3repE0EEENS1_30default_config_static_selectorELNS0_4arch9wavefront6targetE0EEEvT1_
    .private_segment_fixed_size: 0
    .sgpr_count:     0
    .sgpr_spill_count: 0
    .symbol:         _ZN7rocprim17ROCPRIM_400000_NS6detail17trampoline_kernelINS0_14default_configENS1_33run_length_encode_config_selectorIhjNS0_4plusIjEEEEZZNS1_33reduce_by_key_impl_wrapped_configILNS1_25lookback_scan_determinismE0ES3_S7_PKhNS0_17constant_iteratorIjlEEPhPlSF_S6_NS0_8equal_toIhEEEE10hipError_tPvRmT2_T3_mT4_T5_T6_T7_T8_P12ihipStream_tbENKUlT_T0_E_clISt17integral_constantIbLb1EESZ_EEDaSU_SV_EUlSU_E_NS1_11comp_targetILNS1_3genE2ELNS1_11target_archE906ELNS1_3gpuE6ELNS1_3repE0EEENS1_30default_config_static_selectorELNS0_4arch9wavefront6targetE0EEEvT1_.kd
    .uniform_work_group_size: 1
    .uses_dynamic_stack: false
    .vgpr_count:     0
    .vgpr_spill_count: 0
    .wavefront_size: 32
  - .args:
      - .offset:         0
        .size:           128
        .value_kind:     by_value
    .group_segment_fixed_size: 0
    .kernarg_segment_align: 8
    .kernarg_segment_size: 128
    .language:       OpenCL C
    .language_version:
      - 2
      - 0
    .max_flat_workgroup_size: 384
    .name:           _ZN7rocprim17ROCPRIM_400000_NS6detail17trampoline_kernelINS0_14default_configENS1_33run_length_encode_config_selectorIhjNS0_4plusIjEEEEZZNS1_33reduce_by_key_impl_wrapped_configILNS1_25lookback_scan_determinismE0ES3_S7_PKhNS0_17constant_iteratorIjlEEPhPlSF_S6_NS0_8equal_toIhEEEE10hipError_tPvRmT2_T3_mT4_T5_T6_T7_T8_P12ihipStream_tbENKUlT_T0_E_clISt17integral_constantIbLb1EESZ_EEDaSU_SV_EUlSU_E_NS1_11comp_targetILNS1_3genE10ELNS1_11target_archE1201ELNS1_3gpuE5ELNS1_3repE0EEENS1_30default_config_static_selectorELNS0_4arch9wavefront6targetE0EEEvT1_
    .private_segment_fixed_size: 0
    .sgpr_count:     0
    .sgpr_spill_count: 0
    .symbol:         _ZN7rocprim17ROCPRIM_400000_NS6detail17trampoline_kernelINS0_14default_configENS1_33run_length_encode_config_selectorIhjNS0_4plusIjEEEEZZNS1_33reduce_by_key_impl_wrapped_configILNS1_25lookback_scan_determinismE0ES3_S7_PKhNS0_17constant_iteratorIjlEEPhPlSF_S6_NS0_8equal_toIhEEEE10hipError_tPvRmT2_T3_mT4_T5_T6_T7_T8_P12ihipStream_tbENKUlT_T0_E_clISt17integral_constantIbLb1EESZ_EEDaSU_SV_EUlSU_E_NS1_11comp_targetILNS1_3genE10ELNS1_11target_archE1201ELNS1_3gpuE5ELNS1_3repE0EEENS1_30default_config_static_selectorELNS0_4arch9wavefront6targetE0EEEvT1_.kd
    .uniform_work_group_size: 1
    .uses_dynamic_stack: false
    .vgpr_count:     0
    .vgpr_spill_count: 0
    .wavefront_size: 32
  - .args:
      - .offset:         0
        .size:           128
        .value_kind:     by_value
    .group_segment_fixed_size: 0
    .kernarg_segment_align: 8
    .kernarg_segment_size: 128
    .language:       OpenCL C
    .language_version:
      - 2
      - 0
    .max_flat_workgroup_size: 384
    .name:           _ZN7rocprim17ROCPRIM_400000_NS6detail17trampoline_kernelINS0_14default_configENS1_33run_length_encode_config_selectorIhjNS0_4plusIjEEEEZZNS1_33reduce_by_key_impl_wrapped_configILNS1_25lookback_scan_determinismE0ES3_S7_PKhNS0_17constant_iteratorIjlEEPhPlSF_S6_NS0_8equal_toIhEEEE10hipError_tPvRmT2_T3_mT4_T5_T6_T7_T8_P12ihipStream_tbENKUlT_T0_E_clISt17integral_constantIbLb1EESZ_EEDaSU_SV_EUlSU_E_NS1_11comp_targetILNS1_3genE10ELNS1_11target_archE1200ELNS1_3gpuE4ELNS1_3repE0EEENS1_30default_config_static_selectorELNS0_4arch9wavefront6targetE0EEEvT1_
    .private_segment_fixed_size: 0
    .sgpr_count:     0
    .sgpr_spill_count: 0
    .symbol:         _ZN7rocprim17ROCPRIM_400000_NS6detail17trampoline_kernelINS0_14default_configENS1_33run_length_encode_config_selectorIhjNS0_4plusIjEEEEZZNS1_33reduce_by_key_impl_wrapped_configILNS1_25lookback_scan_determinismE0ES3_S7_PKhNS0_17constant_iteratorIjlEEPhPlSF_S6_NS0_8equal_toIhEEEE10hipError_tPvRmT2_T3_mT4_T5_T6_T7_T8_P12ihipStream_tbENKUlT_T0_E_clISt17integral_constantIbLb1EESZ_EEDaSU_SV_EUlSU_E_NS1_11comp_targetILNS1_3genE10ELNS1_11target_archE1200ELNS1_3gpuE4ELNS1_3repE0EEENS1_30default_config_static_selectorELNS0_4arch9wavefront6targetE0EEEvT1_.kd
    .uniform_work_group_size: 1
    .uses_dynamic_stack: false
    .vgpr_count:     0
    .vgpr_spill_count: 0
    .wavefront_size: 32
  - .args:
      - .offset:         0
        .size:           128
        .value_kind:     by_value
    .group_segment_fixed_size: 0
    .kernarg_segment_align: 8
    .kernarg_segment_size: 128
    .language:       OpenCL C
    .language_version:
      - 2
      - 0
    .max_flat_workgroup_size: 384
    .name:           _ZN7rocprim17ROCPRIM_400000_NS6detail17trampoline_kernelINS0_14default_configENS1_33run_length_encode_config_selectorIhjNS0_4plusIjEEEEZZNS1_33reduce_by_key_impl_wrapped_configILNS1_25lookback_scan_determinismE0ES3_S7_PKhNS0_17constant_iteratorIjlEEPhPlSF_S6_NS0_8equal_toIhEEEE10hipError_tPvRmT2_T3_mT4_T5_T6_T7_T8_P12ihipStream_tbENKUlT_T0_E_clISt17integral_constantIbLb1EESZ_EEDaSU_SV_EUlSU_E_NS1_11comp_targetILNS1_3genE9ELNS1_11target_archE1100ELNS1_3gpuE3ELNS1_3repE0EEENS1_30default_config_static_selectorELNS0_4arch9wavefront6targetE0EEEvT1_
    .private_segment_fixed_size: 0
    .sgpr_count:     0
    .sgpr_spill_count: 0
    .symbol:         _ZN7rocprim17ROCPRIM_400000_NS6detail17trampoline_kernelINS0_14default_configENS1_33run_length_encode_config_selectorIhjNS0_4plusIjEEEEZZNS1_33reduce_by_key_impl_wrapped_configILNS1_25lookback_scan_determinismE0ES3_S7_PKhNS0_17constant_iteratorIjlEEPhPlSF_S6_NS0_8equal_toIhEEEE10hipError_tPvRmT2_T3_mT4_T5_T6_T7_T8_P12ihipStream_tbENKUlT_T0_E_clISt17integral_constantIbLb1EESZ_EEDaSU_SV_EUlSU_E_NS1_11comp_targetILNS1_3genE9ELNS1_11target_archE1100ELNS1_3gpuE3ELNS1_3repE0EEENS1_30default_config_static_selectorELNS0_4arch9wavefront6targetE0EEEvT1_.kd
    .uniform_work_group_size: 1
    .uses_dynamic_stack: false
    .vgpr_count:     0
    .vgpr_spill_count: 0
    .wavefront_size: 32
  - .args:
      - .offset:         0
        .size:           128
        .value_kind:     by_value
    .group_segment_fixed_size: 0
    .kernarg_segment_align: 8
    .kernarg_segment_size: 128
    .language:       OpenCL C
    .language_version:
      - 2
      - 0
    .max_flat_workgroup_size: 384
    .name:           _ZN7rocprim17ROCPRIM_400000_NS6detail17trampoline_kernelINS0_14default_configENS1_33run_length_encode_config_selectorIhjNS0_4plusIjEEEEZZNS1_33reduce_by_key_impl_wrapped_configILNS1_25lookback_scan_determinismE0ES3_S7_PKhNS0_17constant_iteratorIjlEEPhPlSF_S6_NS0_8equal_toIhEEEE10hipError_tPvRmT2_T3_mT4_T5_T6_T7_T8_P12ihipStream_tbENKUlT_T0_E_clISt17integral_constantIbLb1EESZ_EEDaSU_SV_EUlSU_E_NS1_11comp_targetILNS1_3genE8ELNS1_11target_archE1030ELNS1_3gpuE2ELNS1_3repE0EEENS1_30default_config_static_selectorELNS0_4arch9wavefront6targetE0EEEvT1_
    .private_segment_fixed_size: 0
    .sgpr_count:     0
    .sgpr_spill_count: 0
    .symbol:         _ZN7rocprim17ROCPRIM_400000_NS6detail17trampoline_kernelINS0_14default_configENS1_33run_length_encode_config_selectorIhjNS0_4plusIjEEEEZZNS1_33reduce_by_key_impl_wrapped_configILNS1_25lookback_scan_determinismE0ES3_S7_PKhNS0_17constant_iteratorIjlEEPhPlSF_S6_NS0_8equal_toIhEEEE10hipError_tPvRmT2_T3_mT4_T5_T6_T7_T8_P12ihipStream_tbENKUlT_T0_E_clISt17integral_constantIbLb1EESZ_EEDaSU_SV_EUlSU_E_NS1_11comp_targetILNS1_3genE8ELNS1_11target_archE1030ELNS1_3gpuE2ELNS1_3repE0EEENS1_30default_config_static_selectorELNS0_4arch9wavefront6targetE0EEEvT1_.kd
    .uniform_work_group_size: 1
    .uses_dynamic_stack: false
    .vgpr_count:     0
    .vgpr_spill_count: 0
    .wavefront_size: 32
  - .args:
      - .offset:         0
        .size:           128
        .value_kind:     by_value
    .group_segment_fixed_size: 0
    .kernarg_segment_align: 8
    .kernarg_segment_size: 128
    .language:       OpenCL C
    .language_version:
      - 2
      - 0
    .max_flat_workgroup_size: 256
    .name:           _ZN7rocprim17ROCPRIM_400000_NS6detail17trampoline_kernelINS0_14default_configENS1_33run_length_encode_config_selectorIhjNS0_4plusIjEEEEZZNS1_33reduce_by_key_impl_wrapped_configILNS1_25lookback_scan_determinismE0ES3_S7_PKhNS0_17constant_iteratorIjlEEPhPlSF_S6_NS0_8equal_toIhEEEE10hipError_tPvRmT2_T3_mT4_T5_T6_T7_T8_P12ihipStream_tbENKUlT_T0_E_clISt17integral_constantIbLb1EESY_IbLb0EEEEDaSU_SV_EUlSU_E_NS1_11comp_targetILNS1_3genE0ELNS1_11target_archE4294967295ELNS1_3gpuE0ELNS1_3repE0EEENS1_30default_config_static_selectorELNS0_4arch9wavefront6targetE0EEEvT1_
    .private_segment_fixed_size: 0
    .sgpr_count:     0
    .sgpr_spill_count: 0
    .symbol:         _ZN7rocprim17ROCPRIM_400000_NS6detail17trampoline_kernelINS0_14default_configENS1_33run_length_encode_config_selectorIhjNS0_4plusIjEEEEZZNS1_33reduce_by_key_impl_wrapped_configILNS1_25lookback_scan_determinismE0ES3_S7_PKhNS0_17constant_iteratorIjlEEPhPlSF_S6_NS0_8equal_toIhEEEE10hipError_tPvRmT2_T3_mT4_T5_T6_T7_T8_P12ihipStream_tbENKUlT_T0_E_clISt17integral_constantIbLb1EESY_IbLb0EEEEDaSU_SV_EUlSU_E_NS1_11comp_targetILNS1_3genE0ELNS1_11target_archE4294967295ELNS1_3gpuE0ELNS1_3repE0EEENS1_30default_config_static_selectorELNS0_4arch9wavefront6targetE0EEEvT1_.kd
    .uniform_work_group_size: 1
    .uses_dynamic_stack: false
    .vgpr_count:     0
    .vgpr_spill_count: 0
    .wavefront_size: 32
  - .args:
      - .offset:         0
        .size:           128
        .value_kind:     by_value
    .group_segment_fixed_size: 0
    .kernarg_segment_align: 8
    .kernarg_segment_size: 128
    .language:       OpenCL C
    .language_version:
      - 2
      - 0
    .max_flat_workgroup_size: 512
    .name:           _ZN7rocprim17ROCPRIM_400000_NS6detail17trampoline_kernelINS0_14default_configENS1_33run_length_encode_config_selectorIhjNS0_4plusIjEEEEZZNS1_33reduce_by_key_impl_wrapped_configILNS1_25lookback_scan_determinismE0ES3_S7_PKhNS0_17constant_iteratorIjlEEPhPlSF_S6_NS0_8equal_toIhEEEE10hipError_tPvRmT2_T3_mT4_T5_T6_T7_T8_P12ihipStream_tbENKUlT_T0_E_clISt17integral_constantIbLb1EESY_IbLb0EEEEDaSU_SV_EUlSU_E_NS1_11comp_targetILNS1_3genE5ELNS1_11target_archE942ELNS1_3gpuE9ELNS1_3repE0EEENS1_30default_config_static_selectorELNS0_4arch9wavefront6targetE0EEEvT1_
    .private_segment_fixed_size: 0
    .sgpr_count:     0
    .sgpr_spill_count: 0
    .symbol:         _ZN7rocprim17ROCPRIM_400000_NS6detail17trampoline_kernelINS0_14default_configENS1_33run_length_encode_config_selectorIhjNS0_4plusIjEEEEZZNS1_33reduce_by_key_impl_wrapped_configILNS1_25lookback_scan_determinismE0ES3_S7_PKhNS0_17constant_iteratorIjlEEPhPlSF_S6_NS0_8equal_toIhEEEE10hipError_tPvRmT2_T3_mT4_T5_T6_T7_T8_P12ihipStream_tbENKUlT_T0_E_clISt17integral_constantIbLb1EESY_IbLb0EEEEDaSU_SV_EUlSU_E_NS1_11comp_targetILNS1_3genE5ELNS1_11target_archE942ELNS1_3gpuE9ELNS1_3repE0EEENS1_30default_config_static_selectorELNS0_4arch9wavefront6targetE0EEEvT1_.kd
    .uniform_work_group_size: 1
    .uses_dynamic_stack: false
    .vgpr_count:     0
    .vgpr_spill_count: 0
    .wavefront_size: 32
  - .args:
      - .offset:         0
        .size:           128
        .value_kind:     by_value
    .group_segment_fixed_size: 0
    .kernarg_segment_align: 8
    .kernarg_segment_size: 128
    .language:       OpenCL C
    .language_version:
      - 2
      - 0
    .max_flat_workgroup_size: 256
    .name:           _ZN7rocprim17ROCPRIM_400000_NS6detail17trampoline_kernelINS0_14default_configENS1_33run_length_encode_config_selectorIhjNS0_4plusIjEEEEZZNS1_33reduce_by_key_impl_wrapped_configILNS1_25lookback_scan_determinismE0ES3_S7_PKhNS0_17constant_iteratorIjlEEPhPlSF_S6_NS0_8equal_toIhEEEE10hipError_tPvRmT2_T3_mT4_T5_T6_T7_T8_P12ihipStream_tbENKUlT_T0_E_clISt17integral_constantIbLb1EESY_IbLb0EEEEDaSU_SV_EUlSU_E_NS1_11comp_targetILNS1_3genE4ELNS1_11target_archE910ELNS1_3gpuE8ELNS1_3repE0EEENS1_30default_config_static_selectorELNS0_4arch9wavefront6targetE0EEEvT1_
    .private_segment_fixed_size: 0
    .sgpr_count:     0
    .sgpr_spill_count: 0
    .symbol:         _ZN7rocprim17ROCPRIM_400000_NS6detail17trampoline_kernelINS0_14default_configENS1_33run_length_encode_config_selectorIhjNS0_4plusIjEEEEZZNS1_33reduce_by_key_impl_wrapped_configILNS1_25lookback_scan_determinismE0ES3_S7_PKhNS0_17constant_iteratorIjlEEPhPlSF_S6_NS0_8equal_toIhEEEE10hipError_tPvRmT2_T3_mT4_T5_T6_T7_T8_P12ihipStream_tbENKUlT_T0_E_clISt17integral_constantIbLb1EESY_IbLb0EEEEDaSU_SV_EUlSU_E_NS1_11comp_targetILNS1_3genE4ELNS1_11target_archE910ELNS1_3gpuE8ELNS1_3repE0EEENS1_30default_config_static_selectorELNS0_4arch9wavefront6targetE0EEEvT1_.kd
    .uniform_work_group_size: 1
    .uses_dynamic_stack: false
    .vgpr_count:     0
    .vgpr_spill_count: 0
    .wavefront_size: 32
  - .args:
      - .offset:         0
        .size:           128
        .value_kind:     by_value
    .group_segment_fixed_size: 0
    .kernarg_segment_align: 8
    .kernarg_segment_size: 128
    .language:       OpenCL C
    .language_version:
      - 2
      - 0
    .max_flat_workgroup_size: 256
    .name:           _ZN7rocprim17ROCPRIM_400000_NS6detail17trampoline_kernelINS0_14default_configENS1_33run_length_encode_config_selectorIhjNS0_4plusIjEEEEZZNS1_33reduce_by_key_impl_wrapped_configILNS1_25lookback_scan_determinismE0ES3_S7_PKhNS0_17constant_iteratorIjlEEPhPlSF_S6_NS0_8equal_toIhEEEE10hipError_tPvRmT2_T3_mT4_T5_T6_T7_T8_P12ihipStream_tbENKUlT_T0_E_clISt17integral_constantIbLb1EESY_IbLb0EEEEDaSU_SV_EUlSU_E_NS1_11comp_targetILNS1_3genE3ELNS1_11target_archE908ELNS1_3gpuE7ELNS1_3repE0EEENS1_30default_config_static_selectorELNS0_4arch9wavefront6targetE0EEEvT1_
    .private_segment_fixed_size: 0
    .sgpr_count:     0
    .sgpr_spill_count: 0
    .symbol:         _ZN7rocprim17ROCPRIM_400000_NS6detail17trampoline_kernelINS0_14default_configENS1_33run_length_encode_config_selectorIhjNS0_4plusIjEEEEZZNS1_33reduce_by_key_impl_wrapped_configILNS1_25lookback_scan_determinismE0ES3_S7_PKhNS0_17constant_iteratorIjlEEPhPlSF_S6_NS0_8equal_toIhEEEE10hipError_tPvRmT2_T3_mT4_T5_T6_T7_T8_P12ihipStream_tbENKUlT_T0_E_clISt17integral_constantIbLb1EESY_IbLb0EEEEDaSU_SV_EUlSU_E_NS1_11comp_targetILNS1_3genE3ELNS1_11target_archE908ELNS1_3gpuE7ELNS1_3repE0EEENS1_30default_config_static_selectorELNS0_4arch9wavefront6targetE0EEEvT1_.kd
    .uniform_work_group_size: 1
    .uses_dynamic_stack: false
    .vgpr_count:     0
    .vgpr_spill_count: 0
    .wavefront_size: 32
  - .args:
      - .offset:         0
        .size:           128
        .value_kind:     by_value
    .group_segment_fixed_size: 0
    .kernarg_segment_align: 8
    .kernarg_segment_size: 128
    .language:       OpenCL C
    .language_version:
      - 2
      - 0
    .max_flat_workgroup_size: 256
    .name:           _ZN7rocprim17ROCPRIM_400000_NS6detail17trampoline_kernelINS0_14default_configENS1_33run_length_encode_config_selectorIhjNS0_4plusIjEEEEZZNS1_33reduce_by_key_impl_wrapped_configILNS1_25lookback_scan_determinismE0ES3_S7_PKhNS0_17constant_iteratorIjlEEPhPlSF_S6_NS0_8equal_toIhEEEE10hipError_tPvRmT2_T3_mT4_T5_T6_T7_T8_P12ihipStream_tbENKUlT_T0_E_clISt17integral_constantIbLb1EESY_IbLb0EEEEDaSU_SV_EUlSU_E_NS1_11comp_targetILNS1_3genE2ELNS1_11target_archE906ELNS1_3gpuE6ELNS1_3repE0EEENS1_30default_config_static_selectorELNS0_4arch9wavefront6targetE0EEEvT1_
    .private_segment_fixed_size: 0
    .sgpr_count:     0
    .sgpr_spill_count: 0
    .symbol:         _ZN7rocprim17ROCPRIM_400000_NS6detail17trampoline_kernelINS0_14default_configENS1_33run_length_encode_config_selectorIhjNS0_4plusIjEEEEZZNS1_33reduce_by_key_impl_wrapped_configILNS1_25lookback_scan_determinismE0ES3_S7_PKhNS0_17constant_iteratorIjlEEPhPlSF_S6_NS0_8equal_toIhEEEE10hipError_tPvRmT2_T3_mT4_T5_T6_T7_T8_P12ihipStream_tbENKUlT_T0_E_clISt17integral_constantIbLb1EESY_IbLb0EEEEDaSU_SV_EUlSU_E_NS1_11comp_targetILNS1_3genE2ELNS1_11target_archE906ELNS1_3gpuE6ELNS1_3repE0EEENS1_30default_config_static_selectorELNS0_4arch9wavefront6targetE0EEEvT1_.kd
    .uniform_work_group_size: 1
    .uses_dynamic_stack: false
    .vgpr_count:     0
    .vgpr_spill_count: 0
    .wavefront_size: 32
  - .args:
      - .offset:         0
        .size:           128
        .value_kind:     by_value
    .group_segment_fixed_size: 0
    .kernarg_segment_align: 8
    .kernarg_segment_size: 128
    .language:       OpenCL C
    .language_version:
      - 2
      - 0
    .max_flat_workgroup_size: 384
    .name:           _ZN7rocprim17ROCPRIM_400000_NS6detail17trampoline_kernelINS0_14default_configENS1_33run_length_encode_config_selectorIhjNS0_4plusIjEEEEZZNS1_33reduce_by_key_impl_wrapped_configILNS1_25lookback_scan_determinismE0ES3_S7_PKhNS0_17constant_iteratorIjlEEPhPlSF_S6_NS0_8equal_toIhEEEE10hipError_tPvRmT2_T3_mT4_T5_T6_T7_T8_P12ihipStream_tbENKUlT_T0_E_clISt17integral_constantIbLb1EESY_IbLb0EEEEDaSU_SV_EUlSU_E_NS1_11comp_targetILNS1_3genE10ELNS1_11target_archE1201ELNS1_3gpuE5ELNS1_3repE0EEENS1_30default_config_static_selectorELNS0_4arch9wavefront6targetE0EEEvT1_
    .private_segment_fixed_size: 0
    .sgpr_count:     0
    .sgpr_spill_count: 0
    .symbol:         _ZN7rocprim17ROCPRIM_400000_NS6detail17trampoline_kernelINS0_14default_configENS1_33run_length_encode_config_selectorIhjNS0_4plusIjEEEEZZNS1_33reduce_by_key_impl_wrapped_configILNS1_25lookback_scan_determinismE0ES3_S7_PKhNS0_17constant_iteratorIjlEEPhPlSF_S6_NS0_8equal_toIhEEEE10hipError_tPvRmT2_T3_mT4_T5_T6_T7_T8_P12ihipStream_tbENKUlT_T0_E_clISt17integral_constantIbLb1EESY_IbLb0EEEEDaSU_SV_EUlSU_E_NS1_11comp_targetILNS1_3genE10ELNS1_11target_archE1201ELNS1_3gpuE5ELNS1_3repE0EEENS1_30default_config_static_selectorELNS0_4arch9wavefront6targetE0EEEvT1_.kd
    .uniform_work_group_size: 1
    .uses_dynamic_stack: false
    .vgpr_count:     0
    .vgpr_spill_count: 0
    .wavefront_size: 32
  - .args:
      - .offset:         0
        .size:           128
        .value_kind:     by_value
    .group_segment_fixed_size: 0
    .kernarg_segment_align: 8
    .kernarg_segment_size: 128
    .language:       OpenCL C
    .language_version:
      - 2
      - 0
    .max_flat_workgroup_size: 384
    .name:           _ZN7rocprim17ROCPRIM_400000_NS6detail17trampoline_kernelINS0_14default_configENS1_33run_length_encode_config_selectorIhjNS0_4plusIjEEEEZZNS1_33reduce_by_key_impl_wrapped_configILNS1_25lookback_scan_determinismE0ES3_S7_PKhNS0_17constant_iteratorIjlEEPhPlSF_S6_NS0_8equal_toIhEEEE10hipError_tPvRmT2_T3_mT4_T5_T6_T7_T8_P12ihipStream_tbENKUlT_T0_E_clISt17integral_constantIbLb1EESY_IbLb0EEEEDaSU_SV_EUlSU_E_NS1_11comp_targetILNS1_3genE10ELNS1_11target_archE1200ELNS1_3gpuE4ELNS1_3repE0EEENS1_30default_config_static_selectorELNS0_4arch9wavefront6targetE0EEEvT1_
    .private_segment_fixed_size: 0
    .sgpr_count:     0
    .sgpr_spill_count: 0
    .symbol:         _ZN7rocprim17ROCPRIM_400000_NS6detail17trampoline_kernelINS0_14default_configENS1_33run_length_encode_config_selectorIhjNS0_4plusIjEEEEZZNS1_33reduce_by_key_impl_wrapped_configILNS1_25lookback_scan_determinismE0ES3_S7_PKhNS0_17constant_iteratorIjlEEPhPlSF_S6_NS0_8equal_toIhEEEE10hipError_tPvRmT2_T3_mT4_T5_T6_T7_T8_P12ihipStream_tbENKUlT_T0_E_clISt17integral_constantIbLb1EESY_IbLb0EEEEDaSU_SV_EUlSU_E_NS1_11comp_targetILNS1_3genE10ELNS1_11target_archE1200ELNS1_3gpuE4ELNS1_3repE0EEENS1_30default_config_static_selectorELNS0_4arch9wavefront6targetE0EEEvT1_.kd
    .uniform_work_group_size: 1
    .uses_dynamic_stack: false
    .vgpr_count:     0
    .vgpr_spill_count: 0
    .wavefront_size: 32
  - .args:
      - .offset:         0
        .size:           128
        .value_kind:     by_value
    .group_segment_fixed_size: 0
    .kernarg_segment_align: 8
    .kernarg_segment_size: 128
    .language:       OpenCL C
    .language_version:
      - 2
      - 0
    .max_flat_workgroup_size: 384
    .name:           _ZN7rocprim17ROCPRIM_400000_NS6detail17trampoline_kernelINS0_14default_configENS1_33run_length_encode_config_selectorIhjNS0_4plusIjEEEEZZNS1_33reduce_by_key_impl_wrapped_configILNS1_25lookback_scan_determinismE0ES3_S7_PKhNS0_17constant_iteratorIjlEEPhPlSF_S6_NS0_8equal_toIhEEEE10hipError_tPvRmT2_T3_mT4_T5_T6_T7_T8_P12ihipStream_tbENKUlT_T0_E_clISt17integral_constantIbLb1EESY_IbLb0EEEEDaSU_SV_EUlSU_E_NS1_11comp_targetILNS1_3genE9ELNS1_11target_archE1100ELNS1_3gpuE3ELNS1_3repE0EEENS1_30default_config_static_selectorELNS0_4arch9wavefront6targetE0EEEvT1_
    .private_segment_fixed_size: 0
    .sgpr_count:     0
    .sgpr_spill_count: 0
    .symbol:         _ZN7rocprim17ROCPRIM_400000_NS6detail17trampoline_kernelINS0_14default_configENS1_33run_length_encode_config_selectorIhjNS0_4plusIjEEEEZZNS1_33reduce_by_key_impl_wrapped_configILNS1_25lookback_scan_determinismE0ES3_S7_PKhNS0_17constant_iteratorIjlEEPhPlSF_S6_NS0_8equal_toIhEEEE10hipError_tPvRmT2_T3_mT4_T5_T6_T7_T8_P12ihipStream_tbENKUlT_T0_E_clISt17integral_constantIbLb1EESY_IbLb0EEEEDaSU_SV_EUlSU_E_NS1_11comp_targetILNS1_3genE9ELNS1_11target_archE1100ELNS1_3gpuE3ELNS1_3repE0EEENS1_30default_config_static_selectorELNS0_4arch9wavefront6targetE0EEEvT1_.kd
    .uniform_work_group_size: 1
    .uses_dynamic_stack: false
    .vgpr_count:     0
    .vgpr_spill_count: 0
    .wavefront_size: 32
  - .args:
      - .offset:         0
        .size:           128
        .value_kind:     by_value
    .group_segment_fixed_size: 0
    .kernarg_segment_align: 8
    .kernarg_segment_size: 128
    .language:       OpenCL C
    .language_version:
      - 2
      - 0
    .max_flat_workgroup_size: 384
    .name:           _ZN7rocprim17ROCPRIM_400000_NS6detail17trampoline_kernelINS0_14default_configENS1_33run_length_encode_config_selectorIhjNS0_4plusIjEEEEZZNS1_33reduce_by_key_impl_wrapped_configILNS1_25lookback_scan_determinismE0ES3_S7_PKhNS0_17constant_iteratorIjlEEPhPlSF_S6_NS0_8equal_toIhEEEE10hipError_tPvRmT2_T3_mT4_T5_T6_T7_T8_P12ihipStream_tbENKUlT_T0_E_clISt17integral_constantIbLb1EESY_IbLb0EEEEDaSU_SV_EUlSU_E_NS1_11comp_targetILNS1_3genE8ELNS1_11target_archE1030ELNS1_3gpuE2ELNS1_3repE0EEENS1_30default_config_static_selectorELNS0_4arch9wavefront6targetE0EEEvT1_
    .private_segment_fixed_size: 0
    .sgpr_count:     0
    .sgpr_spill_count: 0
    .symbol:         _ZN7rocprim17ROCPRIM_400000_NS6detail17trampoline_kernelINS0_14default_configENS1_33run_length_encode_config_selectorIhjNS0_4plusIjEEEEZZNS1_33reduce_by_key_impl_wrapped_configILNS1_25lookback_scan_determinismE0ES3_S7_PKhNS0_17constant_iteratorIjlEEPhPlSF_S6_NS0_8equal_toIhEEEE10hipError_tPvRmT2_T3_mT4_T5_T6_T7_T8_P12ihipStream_tbENKUlT_T0_E_clISt17integral_constantIbLb1EESY_IbLb0EEEEDaSU_SV_EUlSU_E_NS1_11comp_targetILNS1_3genE8ELNS1_11target_archE1030ELNS1_3gpuE2ELNS1_3repE0EEENS1_30default_config_static_selectorELNS0_4arch9wavefront6targetE0EEEvT1_.kd
    .uniform_work_group_size: 1
    .uses_dynamic_stack: false
    .vgpr_count:     0
    .vgpr_spill_count: 0
    .wavefront_size: 32
  - .args:
      - .offset:         0
        .size:           128
        .value_kind:     by_value
    .group_segment_fixed_size: 14336
    .kernarg_segment_align: 8
    .kernarg_segment_size: 128
    .language:       OpenCL C
    .language_version:
      - 2
      - 0
    .max_flat_workgroup_size: 256
    .name:           _ZN7rocprim17ROCPRIM_400000_NS6detail17trampoline_kernelINS0_14default_configENS1_33run_length_encode_config_selectorIhjNS0_4plusIjEEEEZZNS1_33reduce_by_key_impl_wrapped_configILNS1_25lookback_scan_determinismE0ES3_S7_PKhNS0_17constant_iteratorIjlEEPhPlSF_S6_NS0_8equal_toIhEEEE10hipError_tPvRmT2_T3_mT4_T5_T6_T7_T8_P12ihipStream_tbENKUlT_T0_E_clISt17integral_constantIbLb0EESY_IbLb1EEEEDaSU_SV_EUlSU_E_NS1_11comp_targetILNS1_3genE0ELNS1_11target_archE4294967295ELNS1_3gpuE0ELNS1_3repE0EEENS1_30default_config_static_selectorELNS0_4arch9wavefront6targetE0EEEvT1_
    .private_segment_fixed_size: 0
    .sgpr_count:     45
    .sgpr_spill_count: 0
    .symbol:         _ZN7rocprim17ROCPRIM_400000_NS6detail17trampoline_kernelINS0_14default_configENS1_33run_length_encode_config_selectorIhjNS0_4plusIjEEEEZZNS1_33reduce_by_key_impl_wrapped_configILNS1_25lookback_scan_determinismE0ES3_S7_PKhNS0_17constant_iteratorIjlEEPhPlSF_S6_NS0_8equal_toIhEEEE10hipError_tPvRmT2_T3_mT4_T5_T6_T7_T8_P12ihipStream_tbENKUlT_T0_E_clISt17integral_constantIbLb0EESY_IbLb1EEEEDaSU_SV_EUlSU_E_NS1_11comp_targetILNS1_3genE0ELNS1_11target_archE4294967295ELNS1_3gpuE0ELNS1_3repE0EEENS1_30default_config_static_selectorELNS0_4arch9wavefront6targetE0EEEvT1_.kd
    .uniform_work_group_size: 1
    .uses_dynamic_stack: false
    .vgpr_count:     104
    .vgpr_spill_count: 0
    .wavefront_size: 32
  - .args:
      - .offset:         0
        .size:           128
        .value_kind:     by_value
    .group_segment_fixed_size: 0
    .kernarg_segment_align: 8
    .kernarg_segment_size: 128
    .language:       OpenCL C
    .language_version:
      - 2
      - 0
    .max_flat_workgroup_size: 512
    .name:           _ZN7rocprim17ROCPRIM_400000_NS6detail17trampoline_kernelINS0_14default_configENS1_33run_length_encode_config_selectorIhjNS0_4plusIjEEEEZZNS1_33reduce_by_key_impl_wrapped_configILNS1_25lookback_scan_determinismE0ES3_S7_PKhNS0_17constant_iteratorIjlEEPhPlSF_S6_NS0_8equal_toIhEEEE10hipError_tPvRmT2_T3_mT4_T5_T6_T7_T8_P12ihipStream_tbENKUlT_T0_E_clISt17integral_constantIbLb0EESY_IbLb1EEEEDaSU_SV_EUlSU_E_NS1_11comp_targetILNS1_3genE5ELNS1_11target_archE942ELNS1_3gpuE9ELNS1_3repE0EEENS1_30default_config_static_selectorELNS0_4arch9wavefront6targetE0EEEvT1_
    .private_segment_fixed_size: 0
    .sgpr_count:     0
    .sgpr_spill_count: 0
    .symbol:         _ZN7rocprim17ROCPRIM_400000_NS6detail17trampoline_kernelINS0_14default_configENS1_33run_length_encode_config_selectorIhjNS0_4plusIjEEEEZZNS1_33reduce_by_key_impl_wrapped_configILNS1_25lookback_scan_determinismE0ES3_S7_PKhNS0_17constant_iteratorIjlEEPhPlSF_S6_NS0_8equal_toIhEEEE10hipError_tPvRmT2_T3_mT4_T5_T6_T7_T8_P12ihipStream_tbENKUlT_T0_E_clISt17integral_constantIbLb0EESY_IbLb1EEEEDaSU_SV_EUlSU_E_NS1_11comp_targetILNS1_3genE5ELNS1_11target_archE942ELNS1_3gpuE9ELNS1_3repE0EEENS1_30default_config_static_selectorELNS0_4arch9wavefront6targetE0EEEvT1_.kd
    .uniform_work_group_size: 1
    .uses_dynamic_stack: false
    .vgpr_count:     0
    .vgpr_spill_count: 0
    .wavefront_size: 32
  - .args:
      - .offset:         0
        .size:           128
        .value_kind:     by_value
    .group_segment_fixed_size: 0
    .kernarg_segment_align: 8
    .kernarg_segment_size: 128
    .language:       OpenCL C
    .language_version:
      - 2
      - 0
    .max_flat_workgroup_size: 256
    .name:           _ZN7rocprim17ROCPRIM_400000_NS6detail17trampoline_kernelINS0_14default_configENS1_33run_length_encode_config_selectorIhjNS0_4plusIjEEEEZZNS1_33reduce_by_key_impl_wrapped_configILNS1_25lookback_scan_determinismE0ES3_S7_PKhNS0_17constant_iteratorIjlEEPhPlSF_S6_NS0_8equal_toIhEEEE10hipError_tPvRmT2_T3_mT4_T5_T6_T7_T8_P12ihipStream_tbENKUlT_T0_E_clISt17integral_constantIbLb0EESY_IbLb1EEEEDaSU_SV_EUlSU_E_NS1_11comp_targetILNS1_3genE4ELNS1_11target_archE910ELNS1_3gpuE8ELNS1_3repE0EEENS1_30default_config_static_selectorELNS0_4arch9wavefront6targetE0EEEvT1_
    .private_segment_fixed_size: 0
    .sgpr_count:     0
    .sgpr_spill_count: 0
    .symbol:         _ZN7rocprim17ROCPRIM_400000_NS6detail17trampoline_kernelINS0_14default_configENS1_33run_length_encode_config_selectorIhjNS0_4plusIjEEEEZZNS1_33reduce_by_key_impl_wrapped_configILNS1_25lookback_scan_determinismE0ES3_S7_PKhNS0_17constant_iteratorIjlEEPhPlSF_S6_NS0_8equal_toIhEEEE10hipError_tPvRmT2_T3_mT4_T5_T6_T7_T8_P12ihipStream_tbENKUlT_T0_E_clISt17integral_constantIbLb0EESY_IbLb1EEEEDaSU_SV_EUlSU_E_NS1_11comp_targetILNS1_3genE4ELNS1_11target_archE910ELNS1_3gpuE8ELNS1_3repE0EEENS1_30default_config_static_selectorELNS0_4arch9wavefront6targetE0EEEvT1_.kd
    .uniform_work_group_size: 1
    .uses_dynamic_stack: false
    .vgpr_count:     0
    .vgpr_spill_count: 0
    .wavefront_size: 32
  - .args:
      - .offset:         0
        .size:           128
        .value_kind:     by_value
    .group_segment_fixed_size: 0
    .kernarg_segment_align: 8
    .kernarg_segment_size: 128
    .language:       OpenCL C
    .language_version:
      - 2
      - 0
    .max_flat_workgroup_size: 256
    .name:           _ZN7rocprim17ROCPRIM_400000_NS6detail17trampoline_kernelINS0_14default_configENS1_33run_length_encode_config_selectorIhjNS0_4plusIjEEEEZZNS1_33reduce_by_key_impl_wrapped_configILNS1_25lookback_scan_determinismE0ES3_S7_PKhNS0_17constant_iteratorIjlEEPhPlSF_S6_NS0_8equal_toIhEEEE10hipError_tPvRmT2_T3_mT4_T5_T6_T7_T8_P12ihipStream_tbENKUlT_T0_E_clISt17integral_constantIbLb0EESY_IbLb1EEEEDaSU_SV_EUlSU_E_NS1_11comp_targetILNS1_3genE3ELNS1_11target_archE908ELNS1_3gpuE7ELNS1_3repE0EEENS1_30default_config_static_selectorELNS0_4arch9wavefront6targetE0EEEvT1_
    .private_segment_fixed_size: 0
    .sgpr_count:     0
    .sgpr_spill_count: 0
    .symbol:         _ZN7rocprim17ROCPRIM_400000_NS6detail17trampoline_kernelINS0_14default_configENS1_33run_length_encode_config_selectorIhjNS0_4plusIjEEEEZZNS1_33reduce_by_key_impl_wrapped_configILNS1_25lookback_scan_determinismE0ES3_S7_PKhNS0_17constant_iteratorIjlEEPhPlSF_S6_NS0_8equal_toIhEEEE10hipError_tPvRmT2_T3_mT4_T5_T6_T7_T8_P12ihipStream_tbENKUlT_T0_E_clISt17integral_constantIbLb0EESY_IbLb1EEEEDaSU_SV_EUlSU_E_NS1_11comp_targetILNS1_3genE3ELNS1_11target_archE908ELNS1_3gpuE7ELNS1_3repE0EEENS1_30default_config_static_selectorELNS0_4arch9wavefront6targetE0EEEvT1_.kd
    .uniform_work_group_size: 1
    .uses_dynamic_stack: false
    .vgpr_count:     0
    .vgpr_spill_count: 0
    .wavefront_size: 32
  - .args:
      - .offset:         0
        .size:           128
        .value_kind:     by_value
    .group_segment_fixed_size: 0
    .kernarg_segment_align: 8
    .kernarg_segment_size: 128
    .language:       OpenCL C
    .language_version:
      - 2
      - 0
    .max_flat_workgroup_size: 256
    .name:           _ZN7rocprim17ROCPRIM_400000_NS6detail17trampoline_kernelINS0_14default_configENS1_33run_length_encode_config_selectorIhjNS0_4plusIjEEEEZZNS1_33reduce_by_key_impl_wrapped_configILNS1_25lookback_scan_determinismE0ES3_S7_PKhNS0_17constant_iteratorIjlEEPhPlSF_S6_NS0_8equal_toIhEEEE10hipError_tPvRmT2_T3_mT4_T5_T6_T7_T8_P12ihipStream_tbENKUlT_T0_E_clISt17integral_constantIbLb0EESY_IbLb1EEEEDaSU_SV_EUlSU_E_NS1_11comp_targetILNS1_3genE2ELNS1_11target_archE906ELNS1_3gpuE6ELNS1_3repE0EEENS1_30default_config_static_selectorELNS0_4arch9wavefront6targetE0EEEvT1_
    .private_segment_fixed_size: 0
    .sgpr_count:     0
    .sgpr_spill_count: 0
    .symbol:         _ZN7rocprim17ROCPRIM_400000_NS6detail17trampoline_kernelINS0_14default_configENS1_33run_length_encode_config_selectorIhjNS0_4plusIjEEEEZZNS1_33reduce_by_key_impl_wrapped_configILNS1_25lookback_scan_determinismE0ES3_S7_PKhNS0_17constant_iteratorIjlEEPhPlSF_S6_NS0_8equal_toIhEEEE10hipError_tPvRmT2_T3_mT4_T5_T6_T7_T8_P12ihipStream_tbENKUlT_T0_E_clISt17integral_constantIbLb0EESY_IbLb1EEEEDaSU_SV_EUlSU_E_NS1_11comp_targetILNS1_3genE2ELNS1_11target_archE906ELNS1_3gpuE6ELNS1_3repE0EEENS1_30default_config_static_selectorELNS0_4arch9wavefront6targetE0EEEvT1_.kd
    .uniform_work_group_size: 1
    .uses_dynamic_stack: false
    .vgpr_count:     0
    .vgpr_spill_count: 0
    .wavefront_size: 32
  - .args:
      - .offset:         0
        .size:           128
        .value_kind:     by_value
    .group_segment_fixed_size: 0
    .kernarg_segment_align: 8
    .kernarg_segment_size: 128
    .language:       OpenCL C
    .language_version:
      - 2
      - 0
    .max_flat_workgroup_size: 384
    .name:           _ZN7rocprim17ROCPRIM_400000_NS6detail17trampoline_kernelINS0_14default_configENS1_33run_length_encode_config_selectorIhjNS0_4plusIjEEEEZZNS1_33reduce_by_key_impl_wrapped_configILNS1_25lookback_scan_determinismE0ES3_S7_PKhNS0_17constant_iteratorIjlEEPhPlSF_S6_NS0_8equal_toIhEEEE10hipError_tPvRmT2_T3_mT4_T5_T6_T7_T8_P12ihipStream_tbENKUlT_T0_E_clISt17integral_constantIbLb0EESY_IbLb1EEEEDaSU_SV_EUlSU_E_NS1_11comp_targetILNS1_3genE10ELNS1_11target_archE1201ELNS1_3gpuE5ELNS1_3repE0EEENS1_30default_config_static_selectorELNS0_4arch9wavefront6targetE0EEEvT1_
    .private_segment_fixed_size: 0
    .sgpr_count:     0
    .sgpr_spill_count: 0
    .symbol:         _ZN7rocprim17ROCPRIM_400000_NS6detail17trampoline_kernelINS0_14default_configENS1_33run_length_encode_config_selectorIhjNS0_4plusIjEEEEZZNS1_33reduce_by_key_impl_wrapped_configILNS1_25lookback_scan_determinismE0ES3_S7_PKhNS0_17constant_iteratorIjlEEPhPlSF_S6_NS0_8equal_toIhEEEE10hipError_tPvRmT2_T3_mT4_T5_T6_T7_T8_P12ihipStream_tbENKUlT_T0_E_clISt17integral_constantIbLb0EESY_IbLb1EEEEDaSU_SV_EUlSU_E_NS1_11comp_targetILNS1_3genE10ELNS1_11target_archE1201ELNS1_3gpuE5ELNS1_3repE0EEENS1_30default_config_static_selectorELNS0_4arch9wavefront6targetE0EEEvT1_.kd
    .uniform_work_group_size: 1
    .uses_dynamic_stack: false
    .vgpr_count:     0
    .vgpr_spill_count: 0
    .wavefront_size: 32
  - .args:
      - .offset:         0
        .size:           128
        .value_kind:     by_value
    .group_segment_fixed_size: 0
    .kernarg_segment_align: 8
    .kernarg_segment_size: 128
    .language:       OpenCL C
    .language_version:
      - 2
      - 0
    .max_flat_workgroup_size: 384
    .name:           _ZN7rocprim17ROCPRIM_400000_NS6detail17trampoline_kernelINS0_14default_configENS1_33run_length_encode_config_selectorIhjNS0_4plusIjEEEEZZNS1_33reduce_by_key_impl_wrapped_configILNS1_25lookback_scan_determinismE0ES3_S7_PKhNS0_17constant_iteratorIjlEEPhPlSF_S6_NS0_8equal_toIhEEEE10hipError_tPvRmT2_T3_mT4_T5_T6_T7_T8_P12ihipStream_tbENKUlT_T0_E_clISt17integral_constantIbLb0EESY_IbLb1EEEEDaSU_SV_EUlSU_E_NS1_11comp_targetILNS1_3genE10ELNS1_11target_archE1200ELNS1_3gpuE4ELNS1_3repE0EEENS1_30default_config_static_selectorELNS0_4arch9wavefront6targetE0EEEvT1_
    .private_segment_fixed_size: 0
    .sgpr_count:     0
    .sgpr_spill_count: 0
    .symbol:         _ZN7rocprim17ROCPRIM_400000_NS6detail17trampoline_kernelINS0_14default_configENS1_33run_length_encode_config_selectorIhjNS0_4plusIjEEEEZZNS1_33reduce_by_key_impl_wrapped_configILNS1_25lookback_scan_determinismE0ES3_S7_PKhNS0_17constant_iteratorIjlEEPhPlSF_S6_NS0_8equal_toIhEEEE10hipError_tPvRmT2_T3_mT4_T5_T6_T7_T8_P12ihipStream_tbENKUlT_T0_E_clISt17integral_constantIbLb0EESY_IbLb1EEEEDaSU_SV_EUlSU_E_NS1_11comp_targetILNS1_3genE10ELNS1_11target_archE1200ELNS1_3gpuE4ELNS1_3repE0EEENS1_30default_config_static_selectorELNS0_4arch9wavefront6targetE0EEEvT1_.kd
    .uniform_work_group_size: 1
    .uses_dynamic_stack: false
    .vgpr_count:     0
    .vgpr_spill_count: 0
    .wavefront_size: 32
  - .args:
      - .offset:         0
        .size:           128
        .value_kind:     by_value
    .group_segment_fixed_size: 0
    .kernarg_segment_align: 8
    .kernarg_segment_size: 128
    .language:       OpenCL C
    .language_version:
      - 2
      - 0
    .max_flat_workgroup_size: 384
    .name:           _ZN7rocprim17ROCPRIM_400000_NS6detail17trampoline_kernelINS0_14default_configENS1_33run_length_encode_config_selectorIhjNS0_4plusIjEEEEZZNS1_33reduce_by_key_impl_wrapped_configILNS1_25lookback_scan_determinismE0ES3_S7_PKhNS0_17constant_iteratorIjlEEPhPlSF_S6_NS0_8equal_toIhEEEE10hipError_tPvRmT2_T3_mT4_T5_T6_T7_T8_P12ihipStream_tbENKUlT_T0_E_clISt17integral_constantIbLb0EESY_IbLb1EEEEDaSU_SV_EUlSU_E_NS1_11comp_targetILNS1_3genE9ELNS1_11target_archE1100ELNS1_3gpuE3ELNS1_3repE0EEENS1_30default_config_static_selectorELNS0_4arch9wavefront6targetE0EEEvT1_
    .private_segment_fixed_size: 0
    .sgpr_count:     0
    .sgpr_spill_count: 0
    .symbol:         _ZN7rocprim17ROCPRIM_400000_NS6detail17trampoline_kernelINS0_14default_configENS1_33run_length_encode_config_selectorIhjNS0_4plusIjEEEEZZNS1_33reduce_by_key_impl_wrapped_configILNS1_25lookback_scan_determinismE0ES3_S7_PKhNS0_17constant_iteratorIjlEEPhPlSF_S6_NS0_8equal_toIhEEEE10hipError_tPvRmT2_T3_mT4_T5_T6_T7_T8_P12ihipStream_tbENKUlT_T0_E_clISt17integral_constantIbLb0EESY_IbLb1EEEEDaSU_SV_EUlSU_E_NS1_11comp_targetILNS1_3genE9ELNS1_11target_archE1100ELNS1_3gpuE3ELNS1_3repE0EEENS1_30default_config_static_selectorELNS0_4arch9wavefront6targetE0EEEvT1_.kd
    .uniform_work_group_size: 1
    .uses_dynamic_stack: false
    .vgpr_count:     0
    .vgpr_spill_count: 0
    .wavefront_size: 32
  - .args:
      - .offset:         0
        .size:           128
        .value_kind:     by_value
    .group_segment_fixed_size: 0
    .kernarg_segment_align: 8
    .kernarg_segment_size: 128
    .language:       OpenCL C
    .language_version:
      - 2
      - 0
    .max_flat_workgroup_size: 384
    .name:           _ZN7rocprim17ROCPRIM_400000_NS6detail17trampoline_kernelINS0_14default_configENS1_33run_length_encode_config_selectorIhjNS0_4plusIjEEEEZZNS1_33reduce_by_key_impl_wrapped_configILNS1_25lookback_scan_determinismE0ES3_S7_PKhNS0_17constant_iteratorIjlEEPhPlSF_S6_NS0_8equal_toIhEEEE10hipError_tPvRmT2_T3_mT4_T5_T6_T7_T8_P12ihipStream_tbENKUlT_T0_E_clISt17integral_constantIbLb0EESY_IbLb1EEEEDaSU_SV_EUlSU_E_NS1_11comp_targetILNS1_3genE8ELNS1_11target_archE1030ELNS1_3gpuE2ELNS1_3repE0EEENS1_30default_config_static_selectorELNS0_4arch9wavefront6targetE0EEEvT1_
    .private_segment_fixed_size: 0
    .sgpr_count:     0
    .sgpr_spill_count: 0
    .symbol:         _ZN7rocprim17ROCPRIM_400000_NS6detail17trampoline_kernelINS0_14default_configENS1_33run_length_encode_config_selectorIhjNS0_4plusIjEEEEZZNS1_33reduce_by_key_impl_wrapped_configILNS1_25lookback_scan_determinismE0ES3_S7_PKhNS0_17constant_iteratorIjlEEPhPlSF_S6_NS0_8equal_toIhEEEE10hipError_tPvRmT2_T3_mT4_T5_T6_T7_T8_P12ihipStream_tbENKUlT_T0_E_clISt17integral_constantIbLb0EESY_IbLb1EEEEDaSU_SV_EUlSU_E_NS1_11comp_targetILNS1_3genE8ELNS1_11target_archE1030ELNS1_3gpuE2ELNS1_3repE0EEENS1_30default_config_static_selectorELNS0_4arch9wavefront6targetE0EEEvT1_.kd
    .uniform_work_group_size: 1
    .uses_dynamic_stack: false
    .vgpr_count:     0
    .vgpr_spill_count: 0
    .wavefront_size: 32
  - .args:
      - .offset:         0
        .size:           8
        .value_kind:     by_value
      - .address_space:  global
        .offset:         8
        .size:           8
        .value_kind:     global_buffer
      - .address_space:  global
        .offset:         16
        .size:           8
        .value_kind:     global_buffer
      - .offset:         24
        .size:           4
        .value_kind:     hidden_block_count_x
      - .offset:         28
        .size:           4
        .value_kind:     hidden_block_count_y
      - .offset:         32
        .size:           4
        .value_kind:     hidden_block_count_z
      - .offset:         36
        .size:           2
        .value_kind:     hidden_group_size_x
      - .offset:         38
        .size:           2
        .value_kind:     hidden_group_size_y
      - .offset:         40
        .size:           2
        .value_kind:     hidden_group_size_z
      - .offset:         42
        .size:           2
        .value_kind:     hidden_remainder_x
      - .offset:         44
        .size:           2
        .value_kind:     hidden_remainder_y
      - .offset:         46
        .size:           2
        .value_kind:     hidden_remainder_z
      - .offset:         64
        .size:           8
        .value_kind:     hidden_global_offset_x
      - .offset:         72
        .size:           8
        .value_kind:     hidden_global_offset_y
      - .offset:         80
        .size:           8
        .value_kind:     hidden_global_offset_z
      - .offset:         88
        .size:           2
        .value_kind:     hidden_grid_dims
    .group_segment_fixed_size: 0
    .kernarg_segment_align: 8
    .kernarg_segment_size: 280
    .language:       OpenCL C
    .language_version:
      - 2
      - 0
    .max_flat_workgroup_size: 1024
    .name:           _ZN2at6native8internal12_GLOBAL__N_126adjacent_difference_kernelIPKaEEvlT_Pi
    .private_segment_fixed_size: 0
    .sgpr_count:     20
    .sgpr_spill_count: 0
    .symbol:         _ZN2at6native8internal12_GLOBAL__N_126adjacent_difference_kernelIPKaEEvlT_Pi.kd
    .uniform_work_group_size: 1
    .uses_dynamic_stack: false
    .vgpr_count:     10
    .vgpr_spill_count: 0
    .wavefront_size: 32
  - .args:
      - .offset:         0
        .size:           112
        .value_kind:     by_value
    .group_segment_fixed_size: 7176
    .kernarg_segment_align: 8
    .kernarg_segment_size: 112
    .language:       OpenCL C
    .language_version:
      - 2
      - 0
    .max_flat_workgroup_size: 256
    .name:           _ZN7rocprim17ROCPRIM_400000_NS6detail17trampoline_kernelINS0_14default_configENS1_25partition_config_selectorILNS1_17partition_subalgoE8EaNS0_10empty_typeEbEEZZNS1_14partition_implILS5_8ELb0ES3_jPKaPS6_PKS6_NS0_5tupleIJPaS6_EEENSE_IJSB_SB_EEENS0_18inequality_wrapperIN6hipcub16HIPCUB_304000_NS8EqualityEEEPlJS6_EEE10hipError_tPvRmT3_T4_T5_T6_T7_T9_mT8_P12ihipStream_tbDpT10_ENKUlT_T0_E_clISt17integral_constantIbLb0EES17_EEDaS12_S13_EUlS12_E_NS1_11comp_targetILNS1_3genE0ELNS1_11target_archE4294967295ELNS1_3gpuE0ELNS1_3repE0EEENS1_30default_config_static_selectorELNS0_4arch9wavefront6targetE0EEEvT1_
    .private_segment_fixed_size: 0
    .sgpr_count:     49
    .sgpr_spill_count: 0
    .symbol:         _ZN7rocprim17ROCPRIM_400000_NS6detail17trampoline_kernelINS0_14default_configENS1_25partition_config_selectorILNS1_17partition_subalgoE8EaNS0_10empty_typeEbEEZZNS1_14partition_implILS5_8ELb0ES3_jPKaPS6_PKS6_NS0_5tupleIJPaS6_EEENSE_IJSB_SB_EEENS0_18inequality_wrapperIN6hipcub16HIPCUB_304000_NS8EqualityEEEPlJS6_EEE10hipError_tPvRmT3_T4_T5_T6_T7_T9_mT8_P12ihipStream_tbDpT10_ENKUlT_T0_E_clISt17integral_constantIbLb0EES17_EEDaS12_S13_EUlS12_E_NS1_11comp_targetILNS1_3genE0ELNS1_11target_archE4294967295ELNS1_3gpuE0ELNS1_3repE0EEENS1_30default_config_static_selectorELNS0_4arch9wavefront6targetE0EEEvT1_.kd
    .uniform_work_group_size: 1
    .uses_dynamic_stack: false
    .vgpr_count:     109
    .vgpr_spill_count: 0
    .wavefront_size: 32
  - .args:
      - .offset:         0
        .size:           112
        .value_kind:     by_value
    .group_segment_fixed_size: 0
    .kernarg_segment_align: 8
    .kernarg_segment_size: 112
    .language:       OpenCL C
    .language_version:
      - 2
      - 0
    .max_flat_workgroup_size: 512
    .name:           _ZN7rocprim17ROCPRIM_400000_NS6detail17trampoline_kernelINS0_14default_configENS1_25partition_config_selectorILNS1_17partition_subalgoE8EaNS0_10empty_typeEbEEZZNS1_14partition_implILS5_8ELb0ES3_jPKaPS6_PKS6_NS0_5tupleIJPaS6_EEENSE_IJSB_SB_EEENS0_18inequality_wrapperIN6hipcub16HIPCUB_304000_NS8EqualityEEEPlJS6_EEE10hipError_tPvRmT3_T4_T5_T6_T7_T9_mT8_P12ihipStream_tbDpT10_ENKUlT_T0_E_clISt17integral_constantIbLb0EES17_EEDaS12_S13_EUlS12_E_NS1_11comp_targetILNS1_3genE5ELNS1_11target_archE942ELNS1_3gpuE9ELNS1_3repE0EEENS1_30default_config_static_selectorELNS0_4arch9wavefront6targetE0EEEvT1_
    .private_segment_fixed_size: 0
    .sgpr_count:     0
    .sgpr_spill_count: 0
    .symbol:         _ZN7rocprim17ROCPRIM_400000_NS6detail17trampoline_kernelINS0_14default_configENS1_25partition_config_selectorILNS1_17partition_subalgoE8EaNS0_10empty_typeEbEEZZNS1_14partition_implILS5_8ELb0ES3_jPKaPS6_PKS6_NS0_5tupleIJPaS6_EEENSE_IJSB_SB_EEENS0_18inequality_wrapperIN6hipcub16HIPCUB_304000_NS8EqualityEEEPlJS6_EEE10hipError_tPvRmT3_T4_T5_T6_T7_T9_mT8_P12ihipStream_tbDpT10_ENKUlT_T0_E_clISt17integral_constantIbLb0EES17_EEDaS12_S13_EUlS12_E_NS1_11comp_targetILNS1_3genE5ELNS1_11target_archE942ELNS1_3gpuE9ELNS1_3repE0EEENS1_30default_config_static_selectorELNS0_4arch9wavefront6targetE0EEEvT1_.kd
    .uniform_work_group_size: 1
    .uses_dynamic_stack: false
    .vgpr_count:     0
    .vgpr_spill_count: 0
    .wavefront_size: 32
  - .args:
      - .offset:         0
        .size:           112
        .value_kind:     by_value
    .group_segment_fixed_size: 0
    .kernarg_segment_align: 8
    .kernarg_segment_size: 112
    .language:       OpenCL C
    .language_version:
      - 2
      - 0
    .max_flat_workgroup_size: 128
    .name:           _ZN7rocprim17ROCPRIM_400000_NS6detail17trampoline_kernelINS0_14default_configENS1_25partition_config_selectorILNS1_17partition_subalgoE8EaNS0_10empty_typeEbEEZZNS1_14partition_implILS5_8ELb0ES3_jPKaPS6_PKS6_NS0_5tupleIJPaS6_EEENSE_IJSB_SB_EEENS0_18inequality_wrapperIN6hipcub16HIPCUB_304000_NS8EqualityEEEPlJS6_EEE10hipError_tPvRmT3_T4_T5_T6_T7_T9_mT8_P12ihipStream_tbDpT10_ENKUlT_T0_E_clISt17integral_constantIbLb0EES17_EEDaS12_S13_EUlS12_E_NS1_11comp_targetILNS1_3genE4ELNS1_11target_archE910ELNS1_3gpuE8ELNS1_3repE0EEENS1_30default_config_static_selectorELNS0_4arch9wavefront6targetE0EEEvT1_
    .private_segment_fixed_size: 0
    .sgpr_count:     0
    .sgpr_spill_count: 0
    .symbol:         _ZN7rocprim17ROCPRIM_400000_NS6detail17trampoline_kernelINS0_14default_configENS1_25partition_config_selectorILNS1_17partition_subalgoE8EaNS0_10empty_typeEbEEZZNS1_14partition_implILS5_8ELb0ES3_jPKaPS6_PKS6_NS0_5tupleIJPaS6_EEENSE_IJSB_SB_EEENS0_18inequality_wrapperIN6hipcub16HIPCUB_304000_NS8EqualityEEEPlJS6_EEE10hipError_tPvRmT3_T4_T5_T6_T7_T9_mT8_P12ihipStream_tbDpT10_ENKUlT_T0_E_clISt17integral_constantIbLb0EES17_EEDaS12_S13_EUlS12_E_NS1_11comp_targetILNS1_3genE4ELNS1_11target_archE910ELNS1_3gpuE8ELNS1_3repE0EEENS1_30default_config_static_selectorELNS0_4arch9wavefront6targetE0EEEvT1_.kd
    .uniform_work_group_size: 1
    .uses_dynamic_stack: false
    .vgpr_count:     0
    .vgpr_spill_count: 0
    .wavefront_size: 32
  - .args:
      - .offset:         0
        .size:           112
        .value_kind:     by_value
    .group_segment_fixed_size: 0
    .kernarg_segment_align: 8
    .kernarg_segment_size: 112
    .language:       OpenCL C
    .language_version:
      - 2
      - 0
    .max_flat_workgroup_size: 256
    .name:           _ZN7rocprim17ROCPRIM_400000_NS6detail17trampoline_kernelINS0_14default_configENS1_25partition_config_selectorILNS1_17partition_subalgoE8EaNS0_10empty_typeEbEEZZNS1_14partition_implILS5_8ELb0ES3_jPKaPS6_PKS6_NS0_5tupleIJPaS6_EEENSE_IJSB_SB_EEENS0_18inequality_wrapperIN6hipcub16HIPCUB_304000_NS8EqualityEEEPlJS6_EEE10hipError_tPvRmT3_T4_T5_T6_T7_T9_mT8_P12ihipStream_tbDpT10_ENKUlT_T0_E_clISt17integral_constantIbLb0EES17_EEDaS12_S13_EUlS12_E_NS1_11comp_targetILNS1_3genE3ELNS1_11target_archE908ELNS1_3gpuE7ELNS1_3repE0EEENS1_30default_config_static_selectorELNS0_4arch9wavefront6targetE0EEEvT1_
    .private_segment_fixed_size: 0
    .sgpr_count:     0
    .sgpr_spill_count: 0
    .symbol:         _ZN7rocprim17ROCPRIM_400000_NS6detail17trampoline_kernelINS0_14default_configENS1_25partition_config_selectorILNS1_17partition_subalgoE8EaNS0_10empty_typeEbEEZZNS1_14partition_implILS5_8ELb0ES3_jPKaPS6_PKS6_NS0_5tupleIJPaS6_EEENSE_IJSB_SB_EEENS0_18inequality_wrapperIN6hipcub16HIPCUB_304000_NS8EqualityEEEPlJS6_EEE10hipError_tPvRmT3_T4_T5_T6_T7_T9_mT8_P12ihipStream_tbDpT10_ENKUlT_T0_E_clISt17integral_constantIbLb0EES17_EEDaS12_S13_EUlS12_E_NS1_11comp_targetILNS1_3genE3ELNS1_11target_archE908ELNS1_3gpuE7ELNS1_3repE0EEENS1_30default_config_static_selectorELNS0_4arch9wavefront6targetE0EEEvT1_.kd
    .uniform_work_group_size: 1
    .uses_dynamic_stack: false
    .vgpr_count:     0
    .vgpr_spill_count: 0
    .wavefront_size: 32
  - .args:
      - .offset:         0
        .size:           112
        .value_kind:     by_value
    .group_segment_fixed_size: 0
    .kernarg_segment_align: 8
    .kernarg_segment_size: 112
    .language:       OpenCL C
    .language_version:
      - 2
      - 0
    .max_flat_workgroup_size: 192
    .name:           _ZN7rocprim17ROCPRIM_400000_NS6detail17trampoline_kernelINS0_14default_configENS1_25partition_config_selectorILNS1_17partition_subalgoE8EaNS0_10empty_typeEbEEZZNS1_14partition_implILS5_8ELb0ES3_jPKaPS6_PKS6_NS0_5tupleIJPaS6_EEENSE_IJSB_SB_EEENS0_18inequality_wrapperIN6hipcub16HIPCUB_304000_NS8EqualityEEEPlJS6_EEE10hipError_tPvRmT3_T4_T5_T6_T7_T9_mT8_P12ihipStream_tbDpT10_ENKUlT_T0_E_clISt17integral_constantIbLb0EES17_EEDaS12_S13_EUlS12_E_NS1_11comp_targetILNS1_3genE2ELNS1_11target_archE906ELNS1_3gpuE6ELNS1_3repE0EEENS1_30default_config_static_selectorELNS0_4arch9wavefront6targetE0EEEvT1_
    .private_segment_fixed_size: 0
    .sgpr_count:     0
    .sgpr_spill_count: 0
    .symbol:         _ZN7rocprim17ROCPRIM_400000_NS6detail17trampoline_kernelINS0_14default_configENS1_25partition_config_selectorILNS1_17partition_subalgoE8EaNS0_10empty_typeEbEEZZNS1_14partition_implILS5_8ELb0ES3_jPKaPS6_PKS6_NS0_5tupleIJPaS6_EEENSE_IJSB_SB_EEENS0_18inequality_wrapperIN6hipcub16HIPCUB_304000_NS8EqualityEEEPlJS6_EEE10hipError_tPvRmT3_T4_T5_T6_T7_T9_mT8_P12ihipStream_tbDpT10_ENKUlT_T0_E_clISt17integral_constantIbLb0EES17_EEDaS12_S13_EUlS12_E_NS1_11comp_targetILNS1_3genE2ELNS1_11target_archE906ELNS1_3gpuE6ELNS1_3repE0EEENS1_30default_config_static_selectorELNS0_4arch9wavefront6targetE0EEEvT1_.kd
    .uniform_work_group_size: 1
    .uses_dynamic_stack: false
    .vgpr_count:     0
    .vgpr_spill_count: 0
    .wavefront_size: 32
  - .args:
      - .offset:         0
        .size:           112
        .value_kind:     by_value
    .group_segment_fixed_size: 0
    .kernarg_segment_align: 8
    .kernarg_segment_size: 112
    .language:       OpenCL C
    .language_version:
      - 2
      - 0
    .max_flat_workgroup_size: 256
    .name:           _ZN7rocprim17ROCPRIM_400000_NS6detail17trampoline_kernelINS0_14default_configENS1_25partition_config_selectorILNS1_17partition_subalgoE8EaNS0_10empty_typeEbEEZZNS1_14partition_implILS5_8ELb0ES3_jPKaPS6_PKS6_NS0_5tupleIJPaS6_EEENSE_IJSB_SB_EEENS0_18inequality_wrapperIN6hipcub16HIPCUB_304000_NS8EqualityEEEPlJS6_EEE10hipError_tPvRmT3_T4_T5_T6_T7_T9_mT8_P12ihipStream_tbDpT10_ENKUlT_T0_E_clISt17integral_constantIbLb0EES17_EEDaS12_S13_EUlS12_E_NS1_11comp_targetILNS1_3genE10ELNS1_11target_archE1200ELNS1_3gpuE4ELNS1_3repE0EEENS1_30default_config_static_selectorELNS0_4arch9wavefront6targetE0EEEvT1_
    .private_segment_fixed_size: 0
    .sgpr_count:     0
    .sgpr_spill_count: 0
    .symbol:         _ZN7rocprim17ROCPRIM_400000_NS6detail17trampoline_kernelINS0_14default_configENS1_25partition_config_selectorILNS1_17partition_subalgoE8EaNS0_10empty_typeEbEEZZNS1_14partition_implILS5_8ELb0ES3_jPKaPS6_PKS6_NS0_5tupleIJPaS6_EEENSE_IJSB_SB_EEENS0_18inequality_wrapperIN6hipcub16HIPCUB_304000_NS8EqualityEEEPlJS6_EEE10hipError_tPvRmT3_T4_T5_T6_T7_T9_mT8_P12ihipStream_tbDpT10_ENKUlT_T0_E_clISt17integral_constantIbLb0EES17_EEDaS12_S13_EUlS12_E_NS1_11comp_targetILNS1_3genE10ELNS1_11target_archE1200ELNS1_3gpuE4ELNS1_3repE0EEENS1_30default_config_static_selectorELNS0_4arch9wavefront6targetE0EEEvT1_.kd
    .uniform_work_group_size: 1
    .uses_dynamic_stack: false
    .vgpr_count:     0
    .vgpr_spill_count: 0
    .wavefront_size: 32
  - .args:
      - .offset:         0
        .size:           112
        .value_kind:     by_value
    .group_segment_fixed_size: 0
    .kernarg_segment_align: 8
    .kernarg_segment_size: 112
    .language:       OpenCL C
    .language_version:
      - 2
      - 0
    .max_flat_workgroup_size: 384
    .name:           _ZN7rocprim17ROCPRIM_400000_NS6detail17trampoline_kernelINS0_14default_configENS1_25partition_config_selectorILNS1_17partition_subalgoE8EaNS0_10empty_typeEbEEZZNS1_14partition_implILS5_8ELb0ES3_jPKaPS6_PKS6_NS0_5tupleIJPaS6_EEENSE_IJSB_SB_EEENS0_18inequality_wrapperIN6hipcub16HIPCUB_304000_NS8EqualityEEEPlJS6_EEE10hipError_tPvRmT3_T4_T5_T6_T7_T9_mT8_P12ihipStream_tbDpT10_ENKUlT_T0_E_clISt17integral_constantIbLb0EES17_EEDaS12_S13_EUlS12_E_NS1_11comp_targetILNS1_3genE9ELNS1_11target_archE1100ELNS1_3gpuE3ELNS1_3repE0EEENS1_30default_config_static_selectorELNS0_4arch9wavefront6targetE0EEEvT1_
    .private_segment_fixed_size: 0
    .sgpr_count:     0
    .sgpr_spill_count: 0
    .symbol:         _ZN7rocprim17ROCPRIM_400000_NS6detail17trampoline_kernelINS0_14default_configENS1_25partition_config_selectorILNS1_17partition_subalgoE8EaNS0_10empty_typeEbEEZZNS1_14partition_implILS5_8ELb0ES3_jPKaPS6_PKS6_NS0_5tupleIJPaS6_EEENSE_IJSB_SB_EEENS0_18inequality_wrapperIN6hipcub16HIPCUB_304000_NS8EqualityEEEPlJS6_EEE10hipError_tPvRmT3_T4_T5_T6_T7_T9_mT8_P12ihipStream_tbDpT10_ENKUlT_T0_E_clISt17integral_constantIbLb0EES17_EEDaS12_S13_EUlS12_E_NS1_11comp_targetILNS1_3genE9ELNS1_11target_archE1100ELNS1_3gpuE3ELNS1_3repE0EEENS1_30default_config_static_selectorELNS0_4arch9wavefront6targetE0EEEvT1_.kd
    .uniform_work_group_size: 1
    .uses_dynamic_stack: false
    .vgpr_count:     0
    .vgpr_spill_count: 0
    .wavefront_size: 32
  - .args:
      - .offset:         0
        .size:           112
        .value_kind:     by_value
    .group_segment_fixed_size: 0
    .kernarg_segment_align: 8
    .kernarg_segment_size: 112
    .language:       OpenCL C
    .language_version:
      - 2
      - 0
    .max_flat_workgroup_size: 384
    .name:           _ZN7rocprim17ROCPRIM_400000_NS6detail17trampoline_kernelINS0_14default_configENS1_25partition_config_selectorILNS1_17partition_subalgoE8EaNS0_10empty_typeEbEEZZNS1_14partition_implILS5_8ELb0ES3_jPKaPS6_PKS6_NS0_5tupleIJPaS6_EEENSE_IJSB_SB_EEENS0_18inequality_wrapperIN6hipcub16HIPCUB_304000_NS8EqualityEEEPlJS6_EEE10hipError_tPvRmT3_T4_T5_T6_T7_T9_mT8_P12ihipStream_tbDpT10_ENKUlT_T0_E_clISt17integral_constantIbLb0EES17_EEDaS12_S13_EUlS12_E_NS1_11comp_targetILNS1_3genE8ELNS1_11target_archE1030ELNS1_3gpuE2ELNS1_3repE0EEENS1_30default_config_static_selectorELNS0_4arch9wavefront6targetE0EEEvT1_
    .private_segment_fixed_size: 0
    .sgpr_count:     0
    .sgpr_spill_count: 0
    .symbol:         _ZN7rocprim17ROCPRIM_400000_NS6detail17trampoline_kernelINS0_14default_configENS1_25partition_config_selectorILNS1_17partition_subalgoE8EaNS0_10empty_typeEbEEZZNS1_14partition_implILS5_8ELb0ES3_jPKaPS6_PKS6_NS0_5tupleIJPaS6_EEENSE_IJSB_SB_EEENS0_18inequality_wrapperIN6hipcub16HIPCUB_304000_NS8EqualityEEEPlJS6_EEE10hipError_tPvRmT3_T4_T5_T6_T7_T9_mT8_P12ihipStream_tbDpT10_ENKUlT_T0_E_clISt17integral_constantIbLb0EES17_EEDaS12_S13_EUlS12_E_NS1_11comp_targetILNS1_3genE8ELNS1_11target_archE1030ELNS1_3gpuE2ELNS1_3repE0EEENS1_30default_config_static_selectorELNS0_4arch9wavefront6targetE0EEEvT1_.kd
    .uniform_work_group_size: 1
    .uses_dynamic_stack: false
    .vgpr_count:     0
    .vgpr_spill_count: 0
    .wavefront_size: 32
  - .args:
      - .offset:         0
        .size:           128
        .value_kind:     by_value
    .group_segment_fixed_size: 0
    .kernarg_segment_align: 8
    .kernarg_segment_size: 128
    .language:       OpenCL C
    .language_version:
      - 2
      - 0
    .max_flat_workgroup_size: 256
    .name:           _ZN7rocprim17ROCPRIM_400000_NS6detail17trampoline_kernelINS0_14default_configENS1_25partition_config_selectorILNS1_17partition_subalgoE8EaNS0_10empty_typeEbEEZZNS1_14partition_implILS5_8ELb0ES3_jPKaPS6_PKS6_NS0_5tupleIJPaS6_EEENSE_IJSB_SB_EEENS0_18inequality_wrapperIN6hipcub16HIPCUB_304000_NS8EqualityEEEPlJS6_EEE10hipError_tPvRmT3_T4_T5_T6_T7_T9_mT8_P12ihipStream_tbDpT10_ENKUlT_T0_E_clISt17integral_constantIbLb1EES17_EEDaS12_S13_EUlS12_E_NS1_11comp_targetILNS1_3genE0ELNS1_11target_archE4294967295ELNS1_3gpuE0ELNS1_3repE0EEENS1_30default_config_static_selectorELNS0_4arch9wavefront6targetE0EEEvT1_
    .private_segment_fixed_size: 0
    .sgpr_count:     0
    .sgpr_spill_count: 0
    .symbol:         _ZN7rocprim17ROCPRIM_400000_NS6detail17trampoline_kernelINS0_14default_configENS1_25partition_config_selectorILNS1_17partition_subalgoE8EaNS0_10empty_typeEbEEZZNS1_14partition_implILS5_8ELb0ES3_jPKaPS6_PKS6_NS0_5tupleIJPaS6_EEENSE_IJSB_SB_EEENS0_18inequality_wrapperIN6hipcub16HIPCUB_304000_NS8EqualityEEEPlJS6_EEE10hipError_tPvRmT3_T4_T5_T6_T7_T9_mT8_P12ihipStream_tbDpT10_ENKUlT_T0_E_clISt17integral_constantIbLb1EES17_EEDaS12_S13_EUlS12_E_NS1_11comp_targetILNS1_3genE0ELNS1_11target_archE4294967295ELNS1_3gpuE0ELNS1_3repE0EEENS1_30default_config_static_selectorELNS0_4arch9wavefront6targetE0EEEvT1_.kd
    .uniform_work_group_size: 1
    .uses_dynamic_stack: false
    .vgpr_count:     0
    .vgpr_spill_count: 0
    .wavefront_size: 32
  - .args:
      - .offset:         0
        .size:           128
        .value_kind:     by_value
    .group_segment_fixed_size: 0
    .kernarg_segment_align: 8
    .kernarg_segment_size: 128
    .language:       OpenCL C
    .language_version:
      - 2
      - 0
    .max_flat_workgroup_size: 512
    .name:           _ZN7rocprim17ROCPRIM_400000_NS6detail17trampoline_kernelINS0_14default_configENS1_25partition_config_selectorILNS1_17partition_subalgoE8EaNS0_10empty_typeEbEEZZNS1_14partition_implILS5_8ELb0ES3_jPKaPS6_PKS6_NS0_5tupleIJPaS6_EEENSE_IJSB_SB_EEENS0_18inequality_wrapperIN6hipcub16HIPCUB_304000_NS8EqualityEEEPlJS6_EEE10hipError_tPvRmT3_T4_T5_T6_T7_T9_mT8_P12ihipStream_tbDpT10_ENKUlT_T0_E_clISt17integral_constantIbLb1EES17_EEDaS12_S13_EUlS12_E_NS1_11comp_targetILNS1_3genE5ELNS1_11target_archE942ELNS1_3gpuE9ELNS1_3repE0EEENS1_30default_config_static_selectorELNS0_4arch9wavefront6targetE0EEEvT1_
    .private_segment_fixed_size: 0
    .sgpr_count:     0
    .sgpr_spill_count: 0
    .symbol:         _ZN7rocprim17ROCPRIM_400000_NS6detail17trampoline_kernelINS0_14default_configENS1_25partition_config_selectorILNS1_17partition_subalgoE8EaNS0_10empty_typeEbEEZZNS1_14partition_implILS5_8ELb0ES3_jPKaPS6_PKS6_NS0_5tupleIJPaS6_EEENSE_IJSB_SB_EEENS0_18inequality_wrapperIN6hipcub16HIPCUB_304000_NS8EqualityEEEPlJS6_EEE10hipError_tPvRmT3_T4_T5_T6_T7_T9_mT8_P12ihipStream_tbDpT10_ENKUlT_T0_E_clISt17integral_constantIbLb1EES17_EEDaS12_S13_EUlS12_E_NS1_11comp_targetILNS1_3genE5ELNS1_11target_archE942ELNS1_3gpuE9ELNS1_3repE0EEENS1_30default_config_static_selectorELNS0_4arch9wavefront6targetE0EEEvT1_.kd
    .uniform_work_group_size: 1
    .uses_dynamic_stack: false
    .vgpr_count:     0
    .vgpr_spill_count: 0
    .wavefront_size: 32
  - .args:
      - .offset:         0
        .size:           128
        .value_kind:     by_value
    .group_segment_fixed_size: 0
    .kernarg_segment_align: 8
    .kernarg_segment_size: 128
    .language:       OpenCL C
    .language_version:
      - 2
      - 0
    .max_flat_workgroup_size: 128
    .name:           _ZN7rocprim17ROCPRIM_400000_NS6detail17trampoline_kernelINS0_14default_configENS1_25partition_config_selectorILNS1_17partition_subalgoE8EaNS0_10empty_typeEbEEZZNS1_14partition_implILS5_8ELb0ES3_jPKaPS6_PKS6_NS0_5tupleIJPaS6_EEENSE_IJSB_SB_EEENS0_18inequality_wrapperIN6hipcub16HIPCUB_304000_NS8EqualityEEEPlJS6_EEE10hipError_tPvRmT3_T4_T5_T6_T7_T9_mT8_P12ihipStream_tbDpT10_ENKUlT_T0_E_clISt17integral_constantIbLb1EES17_EEDaS12_S13_EUlS12_E_NS1_11comp_targetILNS1_3genE4ELNS1_11target_archE910ELNS1_3gpuE8ELNS1_3repE0EEENS1_30default_config_static_selectorELNS0_4arch9wavefront6targetE0EEEvT1_
    .private_segment_fixed_size: 0
    .sgpr_count:     0
    .sgpr_spill_count: 0
    .symbol:         _ZN7rocprim17ROCPRIM_400000_NS6detail17trampoline_kernelINS0_14default_configENS1_25partition_config_selectorILNS1_17partition_subalgoE8EaNS0_10empty_typeEbEEZZNS1_14partition_implILS5_8ELb0ES3_jPKaPS6_PKS6_NS0_5tupleIJPaS6_EEENSE_IJSB_SB_EEENS0_18inequality_wrapperIN6hipcub16HIPCUB_304000_NS8EqualityEEEPlJS6_EEE10hipError_tPvRmT3_T4_T5_T6_T7_T9_mT8_P12ihipStream_tbDpT10_ENKUlT_T0_E_clISt17integral_constantIbLb1EES17_EEDaS12_S13_EUlS12_E_NS1_11comp_targetILNS1_3genE4ELNS1_11target_archE910ELNS1_3gpuE8ELNS1_3repE0EEENS1_30default_config_static_selectorELNS0_4arch9wavefront6targetE0EEEvT1_.kd
    .uniform_work_group_size: 1
    .uses_dynamic_stack: false
    .vgpr_count:     0
    .vgpr_spill_count: 0
    .wavefront_size: 32
  - .args:
      - .offset:         0
        .size:           128
        .value_kind:     by_value
    .group_segment_fixed_size: 0
    .kernarg_segment_align: 8
    .kernarg_segment_size: 128
    .language:       OpenCL C
    .language_version:
      - 2
      - 0
    .max_flat_workgroup_size: 256
    .name:           _ZN7rocprim17ROCPRIM_400000_NS6detail17trampoline_kernelINS0_14default_configENS1_25partition_config_selectorILNS1_17partition_subalgoE8EaNS0_10empty_typeEbEEZZNS1_14partition_implILS5_8ELb0ES3_jPKaPS6_PKS6_NS0_5tupleIJPaS6_EEENSE_IJSB_SB_EEENS0_18inequality_wrapperIN6hipcub16HIPCUB_304000_NS8EqualityEEEPlJS6_EEE10hipError_tPvRmT3_T4_T5_T6_T7_T9_mT8_P12ihipStream_tbDpT10_ENKUlT_T0_E_clISt17integral_constantIbLb1EES17_EEDaS12_S13_EUlS12_E_NS1_11comp_targetILNS1_3genE3ELNS1_11target_archE908ELNS1_3gpuE7ELNS1_3repE0EEENS1_30default_config_static_selectorELNS0_4arch9wavefront6targetE0EEEvT1_
    .private_segment_fixed_size: 0
    .sgpr_count:     0
    .sgpr_spill_count: 0
    .symbol:         _ZN7rocprim17ROCPRIM_400000_NS6detail17trampoline_kernelINS0_14default_configENS1_25partition_config_selectorILNS1_17partition_subalgoE8EaNS0_10empty_typeEbEEZZNS1_14partition_implILS5_8ELb0ES3_jPKaPS6_PKS6_NS0_5tupleIJPaS6_EEENSE_IJSB_SB_EEENS0_18inequality_wrapperIN6hipcub16HIPCUB_304000_NS8EqualityEEEPlJS6_EEE10hipError_tPvRmT3_T4_T5_T6_T7_T9_mT8_P12ihipStream_tbDpT10_ENKUlT_T0_E_clISt17integral_constantIbLb1EES17_EEDaS12_S13_EUlS12_E_NS1_11comp_targetILNS1_3genE3ELNS1_11target_archE908ELNS1_3gpuE7ELNS1_3repE0EEENS1_30default_config_static_selectorELNS0_4arch9wavefront6targetE0EEEvT1_.kd
    .uniform_work_group_size: 1
    .uses_dynamic_stack: false
    .vgpr_count:     0
    .vgpr_spill_count: 0
    .wavefront_size: 32
  - .args:
      - .offset:         0
        .size:           128
        .value_kind:     by_value
    .group_segment_fixed_size: 0
    .kernarg_segment_align: 8
    .kernarg_segment_size: 128
    .language:       OpenCL C
    .language_version:
      - 2
      - 0
    .max_flat_workgroup_size: 192
    .name:           _ZN7rocprim17ROCPRIM_400000_NS6detail17trampoline_kernelINS0_14default_configENS1_25partition_config_selectorILNS1_17partition_subalgoE8EaNS0_10empty_typeEbEEZZNS1_14partition_implILS5_8ELb0ES3_jPKaPS6_PKS6_NS0_5tupleIJPaS6_EEENSE_IJSB_SB_EEENS0_18inequality_wrapperIN6hipcub16HIPCUB_304000_NS8EqualityEEEPlJS6_EEE10hipError_tPvRmT3_T4_T5_T6_T7_T9_mT8_P12ihipStream_tbDpT10_ENKUlT_T0_E_clISt17integral_constantIbLb1EES17_EEDaS12_S13_EUlS12_E_NS1_11comp_targetILNS1_3genE2ELNS1_11target_archE906ELNS1_3gpuE6ELNS1_3repE0EEENS1_30default_config_static_selectorELNS0_4arch9wavefront6targetE0EEEvT1_
    .private_segment_fixed_size: 0
    .sgpr_count:     0
    .sgpr_spill_count: 0
    .symbol:         _ZN7rocprim17ROCPRIM_400000_NS6detail17trampoline_kernelINS0_14default_configENS1_25partition_config_selectorILNS1_17partition_subalgoE8EaNS0_10empty_typeEbEEZZNS1_14partition_implILS5_8ELb0ES3_jPKaPS6_PKS6_NS0_5tupleIJPaS6_EEENSE_IJSB_SB_EEENS0_18inequality_wrapperIN6hipcub16HIPCUB_304000_NS8EqualityEEEPlJS6_EEE10hipError_tPvRmT3_T4_T5_T6_T7_T9_mT8_P12ihipStream_tbDpT10_ENKUlT_T0_E_clISt17integral_constantIbLb1EES17_EEDaS12_S13_EUlS12_E_NS1_11comp_targetILNS1_3genE2ELNS1_11target_archE906ELNS1_3gpuE6ELNS1_3repE0EEENS1_30default_config_static_selectorELNS0_4arch9wavefront6targetE0EEEvT1_.kd
    .uniform_work_group_size: 1
    .uses_dynamic_stack: false
    .vgpr_count:     0
    .vgpr_spill_count: 0
    .wavefront_size: 32
  - .args:
      - .offset:         0
        .size:           128
        .value_kind:     by_value
    .group_segment_fixed_size: 0
    .kernarg_segment_align: 8
    .kernarg_segment_size: 128
    .language:       OpenCL C
    .language_version:
      - 2
      - 0
    .max_flat_workgroup_size: 256
    .name:           _ZN7rocprim17ROCPRIM_400000_NS6detail17trampoline_kernelINS0_14default_configENS1_25partition_config_selectorILNS1_17partition_subalgoE8EaNS0_10empty_typeEbEEZZNS1_14partition_implILS5_8ELb0ES3_jPKaPS6_PKS6_NS0_5tupleIJPaS6_EEENSE_IJSB_SB_EEENS0_18inequality_wrapperIN6hipcub16HIPCUB_304000_NS8EqualityEEEPlJS6_EEE10hipError_tPvRmT3_T4_T5_T6_T7_T9_mT8_P12ihipStream_tbDpT10_ENKUlT_T0_E_clISt17integral_constantIbLb1EES17_EEDaS12_S13_EUlS12_E_NS1_11comp_targetILNS1_3genE10ELNS1_11target_archE1200ELNS1_3gpuE4ELNS1_3repE0EEENS1_30default_config_static_selectorELNS0_4arch9wavefront6targetE0EEEvT1_
    .private_segment_fixed_size: 0
    .sgpr_count:     0
    .sgpr_spill_count: 0
    .symbol:         _ZN7rocprim17ROCPRIM_400000_NS6detail17trampoline_kernelINS0_14default_configENS1_25partition_config_selectorILNS1_17partition_subalgoE8EaNS0_10empty_typeEbEEZZNS1_14partition_implILS5_8ELb0ES3_jPKaPS6_PKS6_NS0_5tupleIJPaS6_EEENSE_IJSB_SB_EEENS0_18inequality_wrapperIN6hipcub16HIPCUB_304000_NS8EqualityEEEPlJS6_EEE10hipError_tPvRmT3_T4_T5_T6_T7_T9_mT8_P12ihipStream_tbDpT10_ENKUlT_T0_E_clISt17integral_constantIbLb1EES17_EEDaS12_S13_EUlS12_E_NS1_11comp_targetILNS1_3genE10ELNS1_11target_archE1200ELNS1_3gpuE4ELNS1_3repE0EEENS1_30default_config_static_selectorELNS0_4arch9wavefront6targetE0EEEvT1_.kd
    .uniform_work_group_size: 1
    .uses_dynamic_stack: false
    .vgpr_count:     0
    .vgpr_spill_count: 0
    .wavefront_size: 32
  - .args:
      - .offset:         0
        .size:           128
        .value_kind:     by_value
    .group_segment_fixed_size: 0
    .kernarg_segment_align: 8
    .kernarg_segment_size: 128
    .language:       OpenCL C
    .language_version:
      - 2
      - 0
    .max_flat_workgroup_size: 384
    .name:           _ZN7rocprim17ROCPRIM_400000_NS6detail17trampoline_kernelINS0_14default_configENS1_25partition_config_selectorILNS1_17partition_subalgoE8EaNS0_10empty_typeEbEEZZNS1_14partition_implILS5_8ELb0ES3_jPKaPS6_PKS6_NS0_5tupleIJPaS6_EEENSE_IJSB_SB_EEENS0_18inequality_wrapperIN6hipcub16HIPCUB_304000_NS8EqualityEEEPlJS6_EEE10hipError_tPvRmT3_T4_T5_T6_T7_T9_mT8_P12ihipStream_tbDpT10_ENKUlT_T0_E_clISt17integral_constantIbLb1EES17_EEDaS12_S13_EUlS12_E_NS1_11comp_targetILNS1_3genE9ELNS1_11target_archE1100ELNS1_3gpuE3ELNS1_3repE0EEENS1_30default_config_static_selectorELNS0_4arch9wavefront6targetE0EEEvT1_
    .private_segment_fixed_size: 0
    .sgpr_count:     0
    .sgpr_spill_count: 0
    .symbol:         _ZN7rocprim17ROCPRIM_400000_NS6detail17trampoline_kernelINS0_14default_configENS1_25partition_config_selectorILNS1_17partition_subalgoE8EaNS0_10empty_typeEbEEZZNS1_14partition_implILS5_8ELb0ES3_jPKaPS6_PKS6_NS0_5tupleIJPaS6_EEENSE_IJSB_SB_EEENS0_18inequality_wrapperIN6hipcub16HIPCUB_304000_NS8EqualityEEEPlJS6_EEE10hipError_tPvRmT3_T4_T5_T6_T7_T9_mT8_P12ihipStream_tbDpT10_ENKUlT_T0_E_clISt17integral_constantIbLb1EES17_EEDaS12_S13_EUlS12_E_NS1_11comp_targetILNS1_3genE9ELNS1_11target_archE1100ELNS1_3gpuE3ELNS1_3repE0EEENS1_30default_config_static_selectorELNS0_4arch9wavefront6targetE0EEEvT1_.kd
    .uniform_work_group_size: 1
    .uses_dynamic_stack: false
    .vgpr_count:     0
    .vgpr_spill_count: 0
    .wavefront_size: 32
  - .args:
      - .offset:         0
        .size:           128
        .value_kind:     by_value
    .group_segment_fixed_size: 0
    .kernarg_segment_align: 8
    .kernarg_segment_size: 128
    .language:       OpenCL C
    .language_version:
      - 2
      - 0
    .max_flat_workgroup_size: 384
    .name:           _ZN7rocprim17ROCPRIM_400000_NS6detail17trampoline_kernelINS0_14default_configENS1_25partition_config_selectorILNS1_17partition_subalgoE8EaNS0_10empty_typeEbEEZZNS1_14partition_implILS5_8ELb0ES3_jPKaPS6_PKS6_NS0_5tupleIJPaS6_EEENSE_IJSB_SB_EEENS0_18inequality_wrapperIN6hipcub16HIPCUB_304000_NS8EqualityEEEPlJS6_EEE10hipError_tPvRmT3_T4_T5_T6_T7_T9_mT8_P12ihipStream_tbDpT10_ENKUlT_T0_E_clISt17integral_constantIbLb1EES17_EEDaS12_S13_EUlS12_E_NS1_11comp_targetILNS1_3genE8ELNS1_11target_archE1030ELNS1_3gpuE2ELNS1_3repE0EEENS1_30default_config_static_selectorELNS0_4arch9wavefront6targetE0EEEvT1_
    .private_segment_fixed_size: 0
    .sgpr_count:     0
    .sgpr_spill_count: 0
    .symbol:         _ZN7rocprim17ROCPRIM_400000_NS6detail17trampoline_kernelINS0_14default_configENS1_25partition_config_selectorILNS1_17partition_subalgoE8EaNS0_10empty_typeEbEEZZNS1_14partition_implILS5_8ELb0ES3_jPKaPS6_PKS6_NS0_5tupleIJPaS6_EEENSE_IJSB_SB_EEENS0_18inequality_wrapperIN6hipcub16HIPCUB_304000_NS8EqualityEEEPlJS6_EEE10hipError_tPvRmT3_T4_T5_T6_T7_T9_mT8_P12ihipStream_tbDpT10_ENKUlT_T0_E_clISt17integral_constantIbLb1EES17_EEDaS12_S13_EUlS12_E_NS1_11comp_targetILNS1_3genE8ELNS1_11target_archE1030ELNS1_3gpuE2ELNS1_3repE0EEENS1_30default_config_static_selectorELNS0_4arch9wavefront6targetE0EEEvT1_.kd
    .uniform_work_group_size: 1
    .uses_dynamic_stack: false
    .vgpr_count:     0
    .vgpr_spill_count: 0
    .wavefront_size: 32
  - .args:
      - .offset:         0
        .size:           112
        .value_kind:     by_value
    .group_segment_fixed_size: 0
    .kernarg_segment_align: 8
    .kernarg_segment_size: 112
    .language:       OpenCL C
    .language_version:
      - 2
      - 0
    .max_flat_workgroup_size: 256
    .name:           _ZN7rocprim17ROCPRIM_400000_NS6detail17trampoline_kernelINS0_14default_configENS1_25partition_config_selectorILNS1_17partition_subalgoE8EaNS0_10empty_typeEbEEZZNS1_14partition_implILS5_8ELb0ES3_jPKaPS6_PKS6_NS0_5tupleIJPaS6_EEENSE_IJSB_SB_EEENS0_18inequality_wrapperIN6hipcub16HIPCUB_304000_NS8EqualityEEEPlJS6_EEE10hipError_tPvRmT3_T4_T5_T6_T7_T9_mT8_P12ihipStream_tbDpT10_ENKUlT_T0_E_clISt17integral_constantIbLb1EES16_IbLb0EEEEDaS12_S13_EUlS12_E_NS1_11comp_targetILNS1_3genE0ELNS1_11target_archE4294967295ELNS1_3gpuE0ELNS1_3repE0EEENS1_30default_config_static_selectorELNS0_4arch9wavefront6targetE0EEEvT1_
    .private_segment_fixed_size: 0
    .sgpr_count:     0
    .sgpr_spill_count: 0
    .symbol:         _ZN7rocprim17ROCPRIM_400000_NS6detail17trampoline_kernelINS0_14default_configENS1_25partition_config_selectorILNS1_17partition_subalgoE8EaNS0_10empty_typeEbEEZZNS1_14partition_implILS5_8ELb0ES3_jPKaPS6_PKS6_NS0_5tupleIJPaS6_EEENSE_IJSB_SB_EEENS0_18inequality_wrapperIN6hipcub16HIPCUB_304000_NS8EqualityEEEPlJS6_EEE10hipError_tPvRmT3_T4_T5_T6_T7_T9_mT8_P12ihipStream_tbDpT10_ENKUlT_T0_E_clISt17integral_constantIbLb1EES16_IbLb0EEEEDaS12_S13_EUlS12_E_NS1_11comp_targetILNS1_3genE0ELNS1_11target_archE4294967295ELNS1_3gpuE0ELNS1_3repE0EEENS1_30default_config_static_selectorELNS0_4arch9wavefront6targetE0EEEvT1_.kd
    .uniform_work_group_size: 1
    .uses_dynamic_stack: false
    .vgpr_count:     0
    .vgpr_spill_count: 0
    .wavefront_size: 32
  - .args:
      - .offset:         0
        .size:           112
        .value_kind:     by_value
    .group_segment_fixed_size: 0
    .kernarg_segment_align: 8
    .kernarg_segment_size: 112
    .language:       OpenCL C
    .language_version:
      - 2
      - 0
    .max_flat_workgroup_size: 512
    .name:           _ZN7rocprim17ROCPRIM_400000_NS6detail17trampoline_kernelINS0_14default_configENS1_25partition_config_selectorILNS1_17partition_subalgoE8EaNS0_10empty_typeEbEEZZNS1_14partition_implILS5_8ELb0ES3_jPKaPS6_PKS6_NS0_5tupleIJPaS6_EEENSE_IJSB_SB_EEENS0_18inequality_wrapperIN6hipcub16HIPCUB_304000_NS8EqualityEEEPlJS6_EEE10hipError_tPvRmT3_T4_T5_T6_T7_T9_mT8_P12ihipStream_tbDpT10_ENKUlT_T0_E_clISt17integral_constantIbLb1EES16_IbLb0EEEEDaS12_S13_EUlS12_E_NS1_11comp_targetILNS1_3genE5ELNS1_11target_archE942ELNS1_3gpuE9ELNS1_3repE0EEENS1_30default_config_static_selectorELNS0_4arch9wavefront6targetE0EEEvT1_
    .private_segment_fixed_size: 0
    .sgpr_count:     0
    .sgpr_spill_count: 0
    .symbol:         _ZN7rocprim17ROCPRIM_400000_NS6detail17trampoline_kernelINS0_14default_configENS1_25partition_config_selectorILNS1_17partition_subalgoE8EaNS0_10empty_typeEbEEZZNS1_14partition_implILS5_8ELb0ES3_jPKaPS6_PKS6_NS0_5tupleIJPaS6_EEENSE_IJSB_SB_EEENS0_18inequality_wrapperIN6hipcub16HIPCUB_304000_NS8EqualityEEEPlJS6_EEE10hipError_tPvRmT3_T4_T5_T6_T7_T9_mT8_P12ihipStream_tbDpT10_ENKUlT_T0_E_clISt17integral_constantIbLb1EES16_IbLb0EEEEDaS12_S13_EUlS12_E_NS1_11comp_targetILNS1_3genE5ELNS1_11target_archE942ELNS1_3gpuE9ELNS1_3repE0EEENS1_30default_config_static_selectorELNS0_4arch9wavefront6targetE0EEEvT1_.kd
    .uniform_work_group_size: 1
    .uses_dynamic_stack: false
    .vgpr_count:     0
    .vgpr_spill_count: 0
    .wavefront_size: 32
  - .args:
      - .offset:         0
        .size:           112
        .value_kind:     by_value
    .group_segment_fixed_size: 0
    .kernarg_segment_align: 8
    .kernarg_segment_size: 112
    .language:       OpenCL C
    .language_version:
      - 2
      - 0
    .max_flat_workgroup_size: 128
    .name:           _ZN7rocprim17ROCPRIM_400000_NS6detail17trampoline_kernelINS0_14default_configENS1_25partition_config_selectorILNS1_17partition_subalgoE8EaNS0_10empty_typeEbEEZZNS1_14partition_implILS5_8ELb0ES3_jPKaPS6_PKS6_NS0_5tupleIJPaS6_EEENSE_IJSB_SB_EEENS0_18inequality_wrapperIN6hipcub16HIPCUB_304000_NS8EqualityEEEPlJS6_EEE10hipError_tPvRmT3_T4_T5_T6_T7_T9_mT8_P12ihipStream_tbDpT10_ENKUlT_T0_E_clISt17integral_constantIbLb1EES16_IbLb0EEEEDaS12_S13_EUlS12_E_NS1_11comp_targetILNS1_3genE4ELNS1_11target_archE910ELNS1_3gpuE8ELNS1_3repE0EEENS1_30default_config_static_selectorELNS0_4arch9wavefront6targetE0EEEvT1_
    .private_segment_fixed_size: 0
    .sgpr_count:     0
    .sgpr_spill_count: 0
    .symbol:         _ZN7rocprim17ROCPRIM_400000_NS6detail17trampoline_kernelINS0_14default_configENS1_25partition_config_selectorILNS1_17partition_subalgoE8EaNS0_10empty_typeEbEEZZNS1_14partition_implILS5_8ELb0ES3_jPKaPS6_PKS6_NS0_5tupleIJPaS6_EEENSE_IJSB_SB_EEENS0_18inequality_wrapperIN6hipcub16HIPCUB_304000_NS8EqualityEEEPlJS6_EEE10hipError_tPvRmT3_T4_T5_T6_T7_T9_mT8_P12ihipStream_tbDpT10_ENKUlT_T0_E_clISt17integral_constantIbLb1EES16_IbLb0EEEEDaS12_S13_EUlS12_E_NS1_11comp_targetILNS1_3genE4ELNS1_11target_archE910ELNS1_3gpuE8ELNS1_3repE0EEENS1_30default_config_static_selectorELNS0_4arch9wavefront6targetE0EEEvT1_.kd
    .uniform_work_group_size: 1
    .uses_dynamic_stack: false
    .vgpr_count:     0
    .vgpr_spill_count: 0
    .wavefront_size: 32
  - .args:
      - .offset:         0
        .size:           112
        .value_kind:     by_value
    .group_segment_fixed_size: 0
    .kernarg_segment_align: 8
    .kernarg_segment_size: 112
    .language:       OpenCL C
    .language_version:
      - 2
      - 0
    .max_flat_workgroup_size: 256
    .name:           _ZN7rocprim17ROCPRIM_400000_NS6detail17trampoline_kernelINS0_14default_configENS1_25partition_config_selectorILNS1_17partition_subalgoE8EaNS0_10empty_typeEbEEZZNS1_14partition_implILS5_8ELb0ES3_jPKaPS6_PKS6_NS0_5tupleIJPaS6_EEENSE_IJSB_SB_EEENS0_18inequality_wrapperIN6hipcub16HIPCUB_304000_NS8EqualityEEEPlJS6_EEE10hipError_tPvRmT3_T4_T5_T6_T7_T9_mT8_P12ihipStream_tbDpT10_ENKUlT_T0_E_clISt17integral_constantIbLb1EES16_IbLb0EEEEDaS12_S13_EUlS12_E_NS1_11comp_targetILNS1_3genE3ELNS1_11target_archE908ELNS1_3gpuE7ELNS1_3repE0EEENS1_30default_config_static_selectorELNS0_4arch9wavefront6targetE0EEEvT1_
    .private_segment_fixed_size: 0
    .sgpr_count:     0
    .sgpr_spill_count: 0
    .symbol:         _ZN7rocprim17ROCPRIM_400000_NS6detail17trampoline_kernelINS0_14default_configENS1_25partition_config_selectorILNS1_17partition_subalgoE8EaNS0_10empty_typeEbEEZZNS1_14partition_implILS5_8ELb0ES3_jPKaPS6_PKS6_NS0_5tupleIJPaS6_EEENSE_IJSB_SB_EEENS0_18inequality_wrapperIN6hipcub16HIPCUB_304000_NS8EqualityEEEPlJS6_EEE10hipError_tPvRmT3_T4_T5_T6_T7_T9_mT8_P12ihipStream_tbDpT10_ENKUlT_T0_E_clISt17integral_constantIbLb1EES16_IbLb0EEEEDaS12_S13_EUlS12_E_NS1_11comp_targetILNS1_3genE3ELNS1_11target_archE908ELNS1_3gpuE7ELNS1_3repE0EEENS1_30default_config_static_selectorELNS0_4arch9wavefront6targetE0EEEvT1_.kd
    .uniform_work_group_size: 1
    .uses_dynamic_stack: false
    .vgpr_count:     0
    .vgpr_spill_count: 0
    .wavefront_size: 32
  - .args:
      - .offset:         0
        .size:           112
        .value_kind:     by_value
    .group_segment_fixed_size: 0
    .kernarg_segment_align: 8
    .kernarg_segment_size: 112
    .language:       OpenCL C
    .language_version:
      - 2
      - 0
    .max_flat_workgroup_size: 192
    .name:           _ZN7rocprim17ROCPRIM_400000_NS6detail17trampoline_kernelINS0_14default_configENS1_25partition_config_selectorILNS1_17partition_subalgoE8EaNS0_10empty_typeEbEEZZNS1_14partition_implILS5_8ELb0ES3_jPKaPS6_PKS6_NS0_5tupleIJPaS6_EEENSE_IJSB_SB_EEENS0_18inequality_wrapperIN6hipcub16HIPCUB_304000_NS8EqualityEEEPlJS6_EEE10hipError_tPvRmT3_T4_T5_T6_T7_T9_mT8_P12ihipStream_tbDpT10_ENKUlT_T0_E_clISt17integral_constantIbLb1EES16_IbLb0EEEEDaS12_S13_EUlS12_E_NS1_11comp_targetILNS1_3genE2ELNS1_11target_archE906ELNS1_3gpuE6ELNS1_3repE0EEENS1_30default_config_static_selectorELNS0_4arch9wavefront6targetE0EEEvT1_
    .private_segment_fixed_size: 0
    .sgpr_count:     0
    .sgpr_spill_count: 0
    .symbol:         _ZN7rocprim17ROCPRIM_400000_NS6detail17trampoline_kernelINS0_14default_configENS1_25partition_config_selectorILNS1_17partition_subalgoE8EaNS0_10empty_typeEbEEZZNS1_14partition_implILS5_8ELb0ES3_jPKaPS6_PKS6_NS0_5tupleIJPaS6_EEENSE_IJSB_SB_EEENS0_18inequality_wrapperIN6hipcub16HIPCUB_304000_NS8EqualityEEEPlJS6_EEE10hipError_tPvRmT3_T4_T5_T6_T7_T9_mT8_P12ihipStream_tbDpT10_ENKUlT_T0_E_clISt17integral_constantIbLb1EES16_IbLb0EEEEDaS12_S13_EUlS12_E_NS1_11comp_targetILNS1_3genE2ELNS1_11target_archE906ELNS1_3gpuE6ELNS1_3repE0EEENS1_30default_config_static_selectorELNS0_4arch9wavefront6targetE0EEEvT1_.kd
    .uniform_work_group_size: 1
    .uses_dynamic_stack: false
    .vgpr_count:     0
    .vgpr_spill_count: 0
    .wavefront_size: 32
  - .args:
      - .offset:         0
        .size:           112
        .value_kind:     by_value
    .group_segment_fixed_size: 0
    .kernarg_segment_align: 8
    .kernarg_segment_size: 112
    .language:       OpenCL C
    .language_version:
      - 2
      - 0
    .max_flat_workgroup_size: 256
    .name:           _ZN7rocprim17ROCPRIM_400000_NS6detail17trampoline_kernelINS0_14default_configENS1_25partition_config_selectorILNS1_17partition_subalgoE8EaNS0_10empty_typeEbEEZZNS1_14partition_implILS5_8ELb0ES3_jPKaPS6_PKS6_NS0_5tupleIJPaS6_EEENSE_IJSB_SB_EEENS0_18inequality_wrapperIN6hipcub16HIPCUB_304000_NS8EqualityEEEPlJS6_EEE10hipError_tPvRmT3_T4_T5_T6_T7_T9_mT8_P12ihipStream_tbDpT10_ENKUlT_T0_E_clISt17integral_constantIbLb1EES16_IbLb0EEEEDaS12_S13_EUlS12_E_NS1_11comp_targetILNS1_3genE10ELNS1_11target_archE1200ELNS1_3gpuE4ELNS1_3repE0EEENS1_30default_config_static_selectorELNS0_4arch9wavefront6targetE0EEEvT1_
    .private_segment_fixed_size: 0
    .sgpr_count:     0
    .sgpr_spill_count: 0
    .symbol:         _ZN7rocprim17ROCPRIM_400000_NS6detail17trampoline_kernelINS0_14default_configENS1_25partition_config_selectorILNS1_17partition_subalgoE8EaNS0_10empty_typeEbEEZZNS1_14partition_implILS5_8ELb0ES3_jPKaPS6_PKS6_NS0_5tupleIJPaS6_EEENSE_IJSB_SB_EEENS0_18inequality_wrapperIN6hipcub16HIPCUB_304000_NS8EqualityEEEPlJS6_EEE10hipError_tPvRmT3_T4_T5_T6_T7_T9_mT8_P12ihipStream_tbDpT10_ENKUlT_T0_E_clISt17integral_constantIbLb1EES16_IbLb0EEEEDaS12_S13_EUlS12_E_NS1_11comp_targetILNS1_3genE10ELNS1_11target_archE1200ELNS1_3gpuE4ELNS1_3repE0EEENS1_30default_config_static_selectorELNS0_4arch9wavefront6targetE0EEEvT1_.kd
    .uniform_work_group_size: 1
    .uses_dynamic_stack: false
    .vgpr_count:     0
    .vgpr_spill_count: 0
    .wavefront_size: 32
  - .args:
      - .offset:         0
        .size:           112
        .value_kind:     by_value
    .group_segment_fixed_size: 0
    .kernarg_segment_align: 8
    .kernarg_segment_size: 112
    .language:       OpenCL C
    .language_version:
      - 2
      - 0
    .max_flat_workgroup_size: 384
    .name:           _ZN7rocprim17ROCPRIM_400000_NS6detail17trampoline_kernelINS0_14default_configENS1_25partition_config_selectorILNS1_17partition_subalgoE8EaNS0_10empty_typeEbEEZZNS1_14partition_implILS5_8ELb0ES3_jPKaPS6_PKS6_NS0_5tupleIJPaS6_EEENSE_IJSB_SB_EEENS0_18inequality_wrapperIN6hipcub16HIPCUB_304000_NS8EqualityEEEPlJS6_EEE10hipError_tPvRmT3_T4_T5_T6_T7_T9_mT8_P12ihipStream_tbDpT10_ENKUlT_T0_E_clISt17integral_constantIbLb1EES16_IbLb0EEEEDaS12_S13_EUlS12_E_NS1_11comp_targetILNS1_3genE9ELNS1_11target_archE1100ELNS1_3gpuE3ELNS1_3repE0EEENS1_30default_config_static_selectorELNS0_4arch9wavefront6targetE0EEEvT1_
    .private_segment_fixed_size: 0
    .sgpr_count:     0
    .sgpr_spill_count: 0
    .symbol:         _ZN7rocprim17ROCPRIM_400000_NS6detail17trampoline_kernelINS0_14default_configENS1_25partition_config_selectorILNS1_17partition_subalgoE8EaNS0_10empty_typeEbEEZZNS1_14partition_implILS5_8ELb0ES3_jPKaPS6_PKS6_NS0_5tupleIJPaS6_EEENSE_IJSB_SB_EEENS0_18inequality_wrapperIN6hipcub16HIPCUB_304000_NS8EqualityEEEPlJS6_EEE10hipError_tPvRmT3_T4_T5_T6_T7_T9_mT8_P12ihipStream_tbDpT10_ENKUlT_T0_E_clISt17integral_constantIbLb1EES16_IbLb0EEEEDaS12_S13_EUlS12_E_NS1_11comp_targetILNS1_3genE9ELNS1_11target_archE1100ELNS1_3gpuE3ELNS1_3repE0EEENS1_30default_config_static_selectorELNS0_4arch9wavefront6targetE0EEEvT1_.kd
    .uniform_work_group_size: 1
    .uses_dynamic_stack: false
    .vgpr_count:     0
    .vgpr_spill_count: 0
    .wavefront_size: 32
  - .args:
      - .offset:         0
        .size:           112
        .value_kind:     by_value
    .group_segment_fixed_size: 0
    .kernarg_segment_align: 8
    .kernarg_segment_size: 112
    .language:       OpenCL C
    .language_version:
      - 2
      - 0
    .max_flat_workgroup_size: 384
    .name:           _ZN7rocprim17ROCPRIM_400000_NS6detail17trampoline_kernelINS0_14default_configENS1_25partition_config_selectorILNS1_17partition_subalgoE8EaNS0_10empty_typeEbEEZZNS1_14partition_implILS5_8ELb0ES3_jPKaPS6_PKS6_NS0_5tupleIJPaS6_EEENSE_IJSB_SB_EEENS0_18inequality_wrapperIN6hipcub16HIPCUB_304000_NS8EqualityEEEPlJS6_EEE10hipError_tPvRmT3_T4_T5_T6_T7_T9_mT8_P12ihipStream_tbDpT10_ENKUlT_T0_E_clISt17integral_constantIbLb1EES16_IbLb0EEEEDaS12_S13_EUlS12_E_NS1_11comp_targetILNS1_3genE8ELNS1_11target_archE1030ELNS1_3gpuE2ELNS1_3repE0EEENS1_30default_config_static_selectorELNS0_4arch9wavefront6targetE0EEEvT1_
    .private_segment_fixed_size: 0
    .sgpr_count:     0
    .sgpr_spill_count: 0
    .symbol:         _ZN7rocprim17ROCPRIM_400000_NS6detail17trampoline_kernelINS0_14default_configENS1_25partition_config_selectorILNS1_17partition_subalgoE8EaNS0_10empty_typeEbEEZZNS1_14partition_implILS5_8ELb0ES3_jPKaPS6_PKS6_NS0_5tupleIJPaS6_EEENSE_IJSB_SB_EEENS0_18inequality_wrapperIN6hipcub16HIPCUB_304000_NS8EqualityEEEPlJS6_EEE10hipError_tPvRmT3_T4_T5_T6_T7_T9_mT8_P12ihipStream_tbDpT10_ENKUlT_T0_E_clISt17integral_constantIbLb1EES16_IbLb0EEEEDaS12_S13_EUlS12_E_NS1_11comp_targetILNS1_3genE8ELNS1_11target_archE1030ELNS1_3gpuE2ELNS1_3repE0EEENS1_30default_config_static_selectorELNS0_4arch9wavefront6targetE0EEEvT1_.kd
    .uniform_work_group_size: 1
    .uses_dynamic_stack: false
    .vgpr_count:     0
    .vgpr_spill_count: 0
    .wavefront_size: 32
  - .args:
      - .offset:         0
        .size:           128
        .value_kind:     by_value
    .group_segment_fixed_size: 7176
    .kernarg_segment_align: 8
    .kernarg_segment_size: 128
    .language:       OpenCL C
    .language_version:
      - 2
      - 0
    .max_flat_workgroup_size: 256
    .name:           _ZN7rocprim17ROCPRIM_400000_NS6detail17trampoline_kernelINS0_14default_configENS1_25partition_config_selectorILNS1_17partition_subalgoE8EaNS0_10empty_typeEbEEZZNS1_14partition_implILS5_8ELb0ES3_jPKaPS6_PKS6_NS0_5tupleIJPaS6_EEENSE_IJSB_SB_EEENS0_18inequality_wrapperIN6hipcub16HIPCUB_304000_NS8EqualityEEEPlJS6_EEE10hipError_tPvRmT3_T4_T5_T6_T7_T9_mT8_P12ihipStream_tbDpT10_ENKUlT_T0_E_clISt17integral_constantIbLb0EES16_IbLb1EEEEDaS12_S13_EUlS12_E_NS1_11comp_targetILNS1_3genE0ELNS1_11target_archE4294967295ELNS1_3gpuE0ELNS1_3repE0EEENS1_30default_config_static_selectorELNS0_4arch9wavefront6targetE0EEEvT1_
    .private_segment_fixed_size: 0
    .sgpr_count:     51
    .sgpr_spill_count: 0
    .symbol:         _ZN7rocprim17ROCPRIM_400000_NS6detail17trampoline_kernelINS0_14default_configENS1_25partition_config_selectorILNS1_17partition_subalgoE8EaNS0_10empty_typeEbEEZZNS1_14partition_implILS5_8ELb0ES3_jPKaPS6_PKS6_NS0_5tupleIJPaS6_EEENSE_IJSB_SB_EEENS0_18inequality_wrapperIN6hipcub16HIPCUB_304000_NS8EqualityEEEPlJS6_EEE10hipError_tPvRmT3_T4_T5_T6_T7_T9_mT8_P12ihipStream_tbDpT10_ENKUlT_T0_E_clISt17integral_constantIbLb0EES16_IbLb1EEEEDaS12_S13_EUlS12_E_NS1_11comp_targetILNS1_3genE0ELNS1_11target_archE4294967295ELNS1_3gpuE0ELNS1_3repE0EEENS1_30default_config_static_selectorELNS0_4arch9wavefront6targetE0EEEvT1_.kd
    .uniform_work_group_size: 1
    .uses_dynamic_stack: false
    .vgpr_count:     110
    .vgpr_spill_count: 0
    .wavefront_size: 32
  - .args:
      - .offset:         0
        .size:           128
        .value_kind:     by_value
    .group_segment_fixed_size: 0
    .kernarg_segment_align: 8
    .kernarg_segment_size: 128
    .language:       OpenCL C
    .language_version:
      - 2
      - 0
    .max_flat_workgroup_size: 512
    .name:           _ZN7rocprim17ROCPRIM_400000_NS6detail17trampoline_kernelINS0_14default_configENS1_25partition_config_selectorILNS1_17partition_subalgoE8EaNS0_10empty_typeEbEEZZNS1_14partition_implILS5_8ELb0ES3_jPKaPS6_PKS6_NS0_5tupleIJPaS6_EEENSE_IJSB_SB_EEENS0_18inequality_wrapperIN6hipcub16HIPCUB_304000_NS8EqualityEEEPlJS6_EEE10hipError_tPvRmT3_T4_T5_T6_T7_T9_mT8_P12ihipStream_tbDpT10_ENKUlT_T0_E_clISt17integral_constantIbLb0EES16_IbLb1EEEEDaS12_S13_EUlS12_E_NS1_11comp_targetILNS1_3genE5ELNS1_11target_archE942ELNS1_3gpuE9ELNS1_3repE0EEENS1_30default_config_static_selectorELNS0_4arch9wavefront6targetE0EEEvT1_
    .private_segment_fixed_size: 0
    .sgpr_count:     0
    .sgpr_spill_count: 0
    .symbol:         _ZN7rocprim17ROCPRIM_400000_NS6detail17trampoline_kernelINS0_14default_configENS1_25partition_config_selectorILNS1_17partition_subalgoE8EaNS0_10empty_typeEbEEZZNS1_14partition_implILS5_8ELb0ES3_jPKaPS6_PKS6_NS0_5tupleIJPaS6_EEENSE_IJSB_SB_EEENS0_18inequality_wrapperIN6hipcub16HIPCUB_304000_NS8EqualityEEEPlJS6_EEE10hipError_tPvRmT3_T4_T5_T6_T7_T9_mT8_P12ihipStream_tbDpT10_ENKUlT_T0_E_clISt17integral_constantIbLb0EES16_IbLb1EEEEDaS12_S13_EUlS12_E_NS1_11comp_targetILNS1_3genE5ELNS1_11target_archE942ELNS1_3gpuE9ELNS1_3repE0EEENS1_30default_config_static_selectorELNS0_4arch9wavefront6targetE0EEEvT1_.kd
    .uniform_work_group_size: 1
    .uses_dynamic_stack: false
    .vgpr_count:     0
    .vgpr_spill_count: 0
    .wavefront_size: 32
  - .args:
      - .offset:         0
        .size:           128
        .value_kind:     by_value
    .group_segment_fixed_size: 0
    .kernarg_segment_align: 8
    .kernarg_segment_size: 128
    .language:       OpenCL C
    .language_version:
      - 2
      - 0
    .max_flat_workgroup_size: 128
    .name:           _ZN7rocprim17ROCPRIM_400000_NS6detail17trampoline_kernelINS0_14default_configENS1_25partition_config_selectorILNS1_17partition_subalgoE8EaNS0_10empty_typeEbEEZZNS1_14partition_implILS5_8ELb0ES3_jPKaPS6_PKS6_NS0_5tupleIJPaS6_EEENSE_IJSB_SB_EEENS0_18inequality_wrapperIN6hipcub16HIPCUB_304000_NS8EqualityEEEPlJS6_EEE10hipError_tPvRmT3_T4_T5_T6_T7_T9_mT8_P12ihipStream_tbDpT10_ENKUlT_T0_E_clISt17integral_constantIbLb0EES16_IbLb1EEEEDaS12_S13_EUlS12_E_NS1_11comp_targetILNS1_3genE4ELNS1_11target_archE910ELNS1_3gpuE8ELNS1_3repE0EEENS1_30default_config_static_selectorELNS0_4arch9wavefront6targetE0EEEvT1_
    .private_segment_fixed_size: 0
    .sgpr_count:     0
    .sgpr_spill_count: 0
    .symbol:         _ZN7rocprim17ROCPRIM_400000_NS6detail17trampoline_kernelINS0_14default_configENS1_25partition_config_selectorILNS1_17partition_subalgoE8EaNS0_10empty_typeEbEEZZNS1_14partition_implILS5_8ELb0ES3_jPKaPS6_PKS6_NS0_5tupleIJPaS6_EEENSE_IJSB_SB_EEENS0_18inequality_wrapperIN6hipcub16HIPCUB_304000_NS8EqualityEEEPlJS6_EEE10hipError_tPvRmT3_T4_T5_T6_T7_T9_mT8_P12ihipStream_tbDpT10_ENKUlT_T0_E_clISt17integral_constantIbLb0EES16_IbLb1EEEEDaS12_S13_EUlS12_E_NS1_11comp_targetILNS1_3genE4ELNS1_11target_archE910ELNS1_3gpuE8ELNS1_3repE0EEENS1_30default_config_static_selectorELNS0_4arch9wavefront6targetE0EEEvT1_.kd
    .uniform_work_group_size: 1
    .uses_dynamic_stack: false
    .vgpr_count:     0
    .vgpr_spill_count: 0
    .wavefront_size: 32
  - .args:
      - .offset:         0
        .size:           128
        .value_kind:     by_value
    .group_segment_fixed_size: 0
    .kernarg_segment_align: 8
    .kernarg_segment_size: 128
    .language:       OpenCL C
    .language_version:
      - 2
      - 0
    .max_flat_workgroup_size: 256
    .name:           _ZN7rocprim17ROCPRIM_400000_NS6detail17trampoline_kernelINS0_14default_configENS1_25partition_config_selectorILNS1_17partition_subalgoE8EaNS0_10empty_typeEbEEZZNS1_14partition_implILS5_8ELb0ES3_jPKaPS6_PKS6_NS0_5tupleIJPaS6_EEENSE_IJSB_SB_EEENS0_18inequality_wrapperIN6hipcub16HIPCUB_304000_NS8EqualityEEEPlJS6_EEE10hipError_tPvRmT3_T4_T5_T6_T7_T9_mT8_P12ihipStream_tbDpT10_ENKUlT_T0_E_clISt17integral_constantIbLb0EES16_IbLb1EEEEDaS12_S13_EUlS12_E_NS1_11comp_targetILNS1_3genE3ELNS1_11target_archE908ELNS1_3gpuE7ELNS1_3repE0EEENS1_30default_config_static_selectorELNS0_4arch9wavefront6targetE0EEEvT1_
    .private_segment_fixed_size: 0
    .sgpr_count:     0
    .sgpr_spill_count: 0
    .symbol:         _ZN7rocprim17ROCPRIM_400000_NS6detail17trampoline_kernelINS0_14default_configENS1_25partition_config_selectorILNS1_17partition_subalgoE8EaNS0_10empty_typeEbEEZZNS1_14partition_implILS5_8ELb0ES3_jPKaPS6_PKS6_NS0_5tupleIJPaS6_EEENSE_IJSB_SB_EEENS0_18inequality_wrapperIN6hipcub16HIPCUB_304000_NS8EqualityEEEPlJS6_EEE10hipError_tPvRmT3_T4_T5_T6_T7_T9_mT8_P12ihipStream_tbDpT10_ENKUlT_T0_E_clISt17integral_constantIbLb0EES16_IbLb1EEEEDaS12_S13_EUlS12_E_NS1_11comp_targetILNS1_3genE3ELNS1_11target_archE908ELNS1_3gpuE7ELNS1_3repE0EEENS1_30default_config_static_selectorELNS0_4arch9wavefront6targetE0EEEvT1_.kd
    .uniform_work_group_size: 1
    .uses_dynamic_stack: false
    .vgpr_count:     0
    .vgpr_spill_count: 0
    .wavefront_size: 32
  - .args:
      - .offset:         0
        .size:           128
        .value_kind:     by_value
    .group_segment_fixed_size: 0
    .kernarg_segment_align: 8
    .kernarg_segment_size: 128
    .language:       OpenCL C
    .language_version:
      - 2
      - 0
    .max_flat_workgroup_size: 192
    .name:           _ZN7rocprim17ROCPRIM_400000_NS6detail17trampoline_kernelINS0_14default_configENS1_25partition_config_selectorILNS1_17partition_subalgoE8EaNS0_10empty_typeEbEEZZNS1_14partition_implILS5_8ELb0ES3_jPKaPS6_PKS6_NS0_5tupleIJPaS6_EEENSE_IJSB_SB_EEENS0_18inequality_wrapperIN6hipcub16HIPCUB_304000_NS8EqualityEEEPlJS6_EEE10hipError_tPvRmT3_T4_T5_T6_T7_T9_mT8_P12ihipStream_tbDpT10_ENKUlT_T0_E_clISt17integral_constantIbLb0EES16_IbLb1EEEEDaS12_S13_EUlS12_E_NS1_11comp_targetILNS1_3genE2ELNS1_11target_archE906ELNS1_3gpuE6ELNS1_3repE0EEENS1_30default_config_static_selectorELNS0_4arch9wavefront6targetE0EEEvT1_
    .private_segment_fixed_size: 0
    .sgpr_count:     0
    .sgpr_spill_count: 0
    .symbol:         _ZN7rocprim17ROCPRIM_400000_NS6detail17trampoline_kernelINS0_14default_configENS1_25partition_config_selectorILNS1_17partition_subalgoE8EaNS0_10empty_typeEbEEZZNS1_14partition_implILS5_8ELb0ES3_jPKaPS6_PKS6_NS0_5tupleIJPaS6_EEENSE_IJSB_SB_EEENS0_18inequality_wrapperIN6hipcub16HIPCUB_304000_NS8EqualityEEEPlJS6_EEE10hipError_tPvRmT3_T4_T5_T6_T7_T9_mT8_P12ihipStream_tbDpT10_ENKUlT_T0_E_clISt17integral_constantIbLb0EES16_IbLb1EEEEDaS12_S13_EUlS12_E_NS1_11comp_targetILNS1_3genE2ELNS1_11target_archE906ELNS1_3gpuE6ELNS1_3repE0EEENS1_30default_config_static_selectorELNS0_4arch9wavefront6targetE0EEEvT1_.kd
    .uniform_work_group_size: 1
    .uses_dynamic_stack: false
    .vgpr_count:     0
    .vgpr_spill_count: 0
    .wavefront_size: 32
  - .args:
      - .offset:         0
        .size:           128
        .value_kind:     by_value
    .group_segment_fixed_size: 0
    .kernarg_segment_align: 8
    .kernarg_segment_size: 128
    .language:       OpenCL C
    .language_version:
      - 2
      - 0
    .max_flat_workgroup_size: 256
    .name:           _ZN7rocprim17ROCPRIM_400000_NS6detail17trampoline_kernelINS0_14default_configENS1_25partition_config_selectorILNS1_17partition_subalgoE8EaNS0_10empty_typeEbEEZZNS1_14partition_implILS5_8ELb0ES3_jPKaPS6_PKS6_NS0_5tupleIJPaS6_EEENSE_IJSB_SB_EEENS0_18inequality_wrapperIN6hipcub16HIPCUB_304000_NS8EqualityEEEPlJS6_EEE10hipError_tPvRmT3_T4_T5_T6_T7_T9_mT8_P12ihipStream_tbDpT10_ENKUlT_T0_E_clISt17integral_constantIbLb0EES16_IbLb1EEEEDaS12_S13_EUlS12_E_NS1_11comp_targetILNS1_3genE10ELNS1_11target_archE1200ELNS1_3gpuE4ELNS1_3repE0EEENS1_30default_config_static_selectorELNS0_4arch9wavefront6targetE0EEEvT1_
    .private_segment_fixed_size: 0
    .sgpr_count:     0
    .sgpr_spill_count: 0
    .symbol:         _ZN7rocprim17ROCPRIM_400000_NS6detail17trampoline_kernelINS0_14default_configENS1_25partition_config_selectorILNS1_17partition_subalgoE8EaNS0_10empty_typeEbEEZZNS1_14partition_implILS5_8ELb0ES3_jPKaPS6_PKS6_NS0_5tupleIJPaS6_EEENSE_IJSB_SB_EEENS0_18inequality_wrapperIN6hipcub16HIPCUB_304000_NS8EqualityEEEPlJS6_EEE10hipError_tPvRmT3_T4_T5_T6_T7_T9_mT8_P12ihipStream_tbDpT10_ENKUlT_T0_E_clISt17integral_constantIbLb0EES16_IbLb1EEEEDaS12_S13_EUlS12_E_NS1_11comp_targetILNS1_3genE10ELNS1_11target_archE1200ELNS1_3gpuE4ELNS1_3repE0EEENS1_30default_config_static_selectorELNS0_4arch9wavefront6targetE0EEEvT1_.kd
    .uniform_work_group_size: 1
    .uses_dynamic_stack: false
    .vgpr_count:     0
    .vgpr_spill_count: 0
    .wavefront_size: 32
  - .args:
      - .offset:         0
        .size:           128
        .value_kind:     by_value
    .group_segment_fixed_size: 0
    .kernarg_segment_align: 8
    .kernarg_segment_size: 128
    .language:       OpenCL C
    .language_version:
      - 2
      - 0
    .max_flat_workgroup_size: 384
    .name:           _ZN7rocprim17ROCPRIM_400000_NS6detail17trampoline_kernelINS0_14default_configENS1_25partition_config_selectorILNS1_17partition_subalgoE8EaNS0_10empty_typeEbEEZZNS1_14partition_implILS5_8ELb0ES3_jPKaPS6_PKS6_NS0_5tupleIJPaS6_EEENSE_IJSB_SB_EEENS0_18inequality_wrapperIN6hipcub16HIPCUB_304000_NS8EqualityEEEPlJS6_EEE10hipError_tPvRmT3_T4_T5_T6_T7_T9_mT8_P12ihipStream_tbDpT10_ENKUlT_T0_E_clISt17integral_constantIbLb0EES16_IbLb1EEEEDaS12_S13_EUlS12_E_NS1_11comp_targetILNS1_3genE9ELNS1_11target_archE1100ELNS1_3gpuE3ELNS1_3repE0EEENS1_30default_config_static_selectorELNS0_4arch9wavefront6targetE0EEEvT1_
    .private_segment_fixed_size: 0
    .sgpr_count:     0
    .sgpr_spill_count: 0
    .symbol:         _ZN7rocprim17ROCPRIM_400000_NS6detail17trampoline_kernelINS0_14default_configENS1_25partition_config_selectorILNS1_17partition_subalgoE8EaNS0_10empty_typeEbEEZZNS1_14partition_implILS5_8ELb0ES3_jPKaPS6_PKS6_NS0_5tupleIJPaS6_EEENSE_IJSB_SB_EEENS0_18inequality_wrapperIN6hipcub16HIPCUB_304000_NS8EqualityEEEPlJS6_EEE10hipError_tPvRmT3_T4_T5_T6_T7_T9_mT8_P12ihipStream_tbDpT10_ENKUlT_T0_E_clISt17integral_constantIbLb0EES16_IbLb1EEEEDaS12_S13_EUlS12_E_NS1_11comp_targetILNS1_3genE9ELNS1_11target_archE1100ELNS1_3gpuE3ELNS1_3repE0EEENS1_30default_config_static_selectorELNS0_4arch9wavefront6targetE0EEEvT1_.kd
    .uniform_work_group_size: 1
    .uses_dynamic_stack: false
    .vgpr_count:     0
    .vgpr_spill_count: 0
    .wavefront_size: 32
  - .args:
      - .offset:         0
        .size:           128
        .value_kind:     by_value
    .group_segment_fixed_size: 0
    .kernarg_segment_align: 8
    .kernarg_segment_size: 128
    .language:       OpenCL C
    .language_version:
      - 2
      - 0
    .max_flat_workgroup_size: 384
    .name:           _ZN7rocprim17ROCPRIM_400000_NS6detail17trampoline_kernelINS0_14default_configENS1_25partition_config_selectorILNS1_17partition_subalgoE8EaNS0_10empty_typeEbEEZZNS1_14partition_implILS5_8ELb0ES3_jPKaPS6_PKS6_NS0_5tupleIJPaS6_EEENSE_IJSB_SB_EEENS0_18inequality_wrapperIN6hipcub16HIPCUB_304000_NS8EqualityEEEPlJS6_EEE10hipError_tPvRmT3_T4_T5_T6_T7_T9_mT8_P12ihipStream_tbDpT10_ENKUlT_T0_E_clISt17integral_constantIbLb0EES16_IbLb1EEEEDaS12_S13_EUlS12_E_NS1_11comp_targetILNS1_3genE8ELNS1_11target_archE1030ELNS1_3gpuE2ELNS1_3repE0EEENS1_30default_config_static_selectorELNS0_4arch9wavefront6targetE0EEEvT1_
    .private_segment_fixed_size: 0
    .sgpr_count:     0
    .sgpr_spill_count: 0
    .symbol:         _ZN7rocprim17ROCPRIM_400000_NS6detail17trampoline_kernelINS0_14default_configENS1_25partition_config_selectorILNS1_17partition_subalgoE8EaNS0_10empty_typeEbEEZZNS1_14partition_implILS5_8ELb0ES3_jPKaPS6_PKS6_NS0_5tupleIJPaS6_EEENSE_IJSB_SB_EEENS0_18inequality_wrapperIN6hipcub16HIPCUB_304000_NS8EqualityEEEPlJS6_EEE10hipError_tPvRmT3_T4_T5_T6_T7_T9_mT8_P12ihipStream_tbDpT10_ENKUlT_T0_E_clISt17integral_constantIbLb0EES16_IbLb1EEEEDaS12_S13_EUlS12_E_NS1_11comp_targetILNS1_3genE8ELNS1_11target_archE1030ELNS1_3gpuE2ELNS1_3repE0EEENS1_30default_config_static_selectorELNS0_4arch9wavefront6targetE0EEEvT1_.kd
    .uniform_work_group_size: 1
    .uses_dynamic_stack: false
    .vgpr_count:     0
    .vgpr_spill_count: 0
    .wavefront_size: 32
  - .args:
      - .offset:         0
        .size:           128
        .value_kind:     by_value
    .group_segment_fixed_size: 14336
    .kernarg_segment_align: 8
    .kernarg_segment_size: 128
    .language:       OpenCL C
    .language_version:
      - 2
      - 0
    .max_flat_workgroup_size: 256
    .name:           _ZN7rocprim17ROCPRIM_400000_NS6detail17trampoline_kernelINS0_14default_configENS1_33run_length_encode_config_selectorIajNS0_4plusIjEEEEZZNS1_33reduce_by_key_impl_wrapped_configILNS1_25lookback_scan_determinismE0ES3_S7_PKaNS0_17constant_iteratorIjlEEPaPlSF_S6_NS0_8equal_toIaEEEE10hipError_tPvRmT2_T3_mT4_T5_T6_T7_T8_P12ihipStream_tbENKUlT_T0_E_clISt17integral_constantIbLb0EESZ_EEDaSU_SV_EUlSU_E_NS1_11comp_targetILNS1_3genE0ELNS1_11target_archE4294967295ELNS1_3gpuE0ELNS1_3repE0EEENS1_30default_config_static_selectorELNS0_4arch9wavefront6targetE0EEEvT1_
    .private_segment_fixed_size: 0
    .sgpr_count:     40
    .sgpr_spill_count: 0
    .symbol:         _ZN7rocprim17ROCPRIM_400000_NS6detail17trampoline_kernelINS0_14default_configENS1_33run_length_encode_config_selectorIajNS0_4plusIjEEEEZZNS1_33reduce_by_key_impl_wrapped_configILNS1_25lookback_scan_determinismE0ES3_S7_PKaNS0_17constant_iteratorIjlEEPaPlSF_S6_NS0_8equal_toIaEEEE10hipError_tPvRmT2_T3_mT4_T5_T6_T7_T8_P12ihipStream_tbENKUlT_T0_E_clISt17integral_constantIbLb0EESZ_EEDaSU_SV_EUlSU_E_NS1_11comp_targetILNS1_3genE0ELNS1_11target_archE4294967295ELNS1_3gpuE0ELNS1_3repE0EEENS1_30default_config_static_selectorELNS0_4arch9wavefront6targetE0EEEvT1_.kd
    .uniform_work_group_size: 1
    .uses_dynamic_stack: false
    .vgpr_count:     104
    .vgpr_spill_count: 0
    .wavefront_size: 32
  - .args:
      - .offset:         0
        .size:           128
        .value_kind:     by_value
    .group_segment_fixed_size: 0
    .kernarg_segment_align: 8
    .kernarg_segment_size: 128
    .language:       OpenCL C
    .language_version:
      - 2
      - 0
    .max_flat_workgroup_size: 512
    .name:           _ZN7rocprim17ROCPRIM_400000_NS6detail17trampoline_kernelINS0_14default_configENS1_33run_length_encode_config_selectorIajNS0_4plusIjEEEEZZNS1_33reduce_by_key_impl_wrapped_configILNS1_25lookback_scan_determinismE0ES3_S7_PKaNS0_17constant_iteratorIjlEEPaPlSF_S6_NS0_8equal_toIaEEEE10hipError_tPvRmT2_T3_mT4_T5_T6_T7_T8_P12ihipStream_tbENKUlT_T0_E_clISt17integral_constantIbLb0EESZ_EEDaSU_SV_EUlSU_E_NS1_11comp_targetILNS1_3genE5ELNS1_11target_archE942ELNS1_3gpuE9ELNS1_3repE0EEENS1_30default_config_static_selectorELNS0_4arch9wavefront6targetE0EEEvT1_
    .private_segment_fixed_size: 0
    .sgpr_count:     0
    .sgpr_spill_count: 0
    .symbol:         _ZN7rocprim17ROCPRIM_400000_NS6detail17trampoline_kernelINS0_14default_configENS1_33run_length_encode_config_selectorIajNS0_4plusIjEEEEZZNS1_33reduce_by_key_impl_wrapped_configILNS1_25lookback_scan_determinismE0ES3_S7_PKaNS0_17constant_iteratorIjlEEPaPlSF_S6_NS0_8equal_toIaEEEE10hipError_tPvRmT2_T3_mT4_T5_T6_T7_T8_P12ihipStream_tbENKUlT_T0_E_clISt17integral_constantIbLb0EESZ_EEDaSU_SV_EUlSU_E_NS1_11comp_targetILNS1_3genE5ELNS1_11target_archE942ELNS1_3gpuE9ELNS1_3repE0EEENS1_30default_config_static_selectorELNS0_4arch9wavefront6targetE0EEEvT1_.kd
    .uniform_work_group_size: 1
    .uses_dynamic_stack: false
    .vgpr_count:     0
    .vgpr_spill_count: 0
    .wavefront_size: 32
  - .args:
      - .offset:         0
        .size:           128
        .value_kind:     by_value
    .group_segment_fixed_size: 0
    .kernarg_segment_align: 8
    .kernarg_segment_size: 128
    .language:       OpenCL C
    .language_version:
      - 2
      - 0
    .max_flat_workgroup_size: 256
    .name:           _ZN7rocprim17ROCPRIM_400000_NS6detail17trampoline_kernelINS0_14default_configENS1_33run_length_encode_config_selectorIajNS0_4plusIjEEEEZZNS1_33reduce_by_key_impl_wrapped_configILNS1_25lookback_scan_determinismE0ES3_S7_PKaNS0_17constant_iteratorIjlEEPaPlSF_S6_NS0_8equal_toIaEEEE10hipError_tPvRmT2_T3_mT4_T5_T6_T7_T8_P12ihipStream_tbENKUlT_T0_E_clISt17integral_constantIbLb0EESZ_EEDaSU_SV_EUlSU_E_NS1_11comp_targetILNS1_3genE4ELNS1_11target_archE910ELNS1_3gpuE8ELNS1_3repE0EEENS1_30default_config_static_selectorELNS0_4arch9wavefront6targetE0EEEvT1_
    .private_segment_fixed_size: 0
    .sgpr_count:     0
    .sgpr_spill_count: 0
    .symbol:         _ZN7rocprim17ROCPRIM_400000_NS6detail17trampoline_kernelINS0_14default_configENS1_33run_length_encode_config_selectorIajNS0_4plusIjEEEEZZNS1_33reduce_by_key_impl_wrapped_configILNS1_25lookback_scan_determinismE0ES3_S7_PKaNS0_17constant_iteratorIjlEEPaPlSF_S6_NS0_8equal_toIaEEEE10hipError_tPvRmT2_T3_mT4_T5_T6_T7_T8_P12ihipStream_tbENKUlT_T0_E_clISt17integral_constantIbLb0EESZ_EEDaSU_SV_EUlSU_E_NS1_11comp_targetILNS1_3genE4ELNS1_11target_archE910ELNS1_3gpuE8ELNS1_3repE0EEENS1_30default_config_static_selectorELNS0_4arch9wavefront6targetE0EEEvT1_.kd
    .uniform_work_group_size: 1
    .uses_dynamic_stack: false
    .vgpr_count:     0
    .vgpr_spill_count: 0
    .wavefront_size: 32
  - .args:
      - .offset:         0
        .size:           128
        .value_kind:     by_value
    .group_segment_fixed_size: 0
    .kernarg_segment_align: 8
    .kernarg_segment_size: 128
    .language:       OpenCL C
    .language_version:
      - 2
      - 0
    .max_flat_workgroup_size: 256
    .name:           _ZN7rocprim17ROCPRIM_400000_NS6detail17trampoline_kernelINS0_14default_configENS1_33run_length_encode_config_selectorIajNS0_4plusIjEEEEZZNS1_33reduce_by_key_impl_wrapped_configILNS1_25lookback_scan_determinismE0ES3_S7_PKaNS0_17constant_iteratorIjlEEPaPlSF_S6_NS0_8equal_toIaEEEE10hipError_tPvRmT2_T3_mT4_T5_T6_T7_T8_P12ihipStream_tbENKUlT_T0_E_clISt17integral_constantIbLb0EESZ_EEDaSU_SV_EUlSU_E_NS1_11comp_targetILNS1_3genE3ELNS1_11target_archE908ELNS1_3gpuE7ELNS1_3repE0EEENS1_30default_config_static_selectorELNS0_4arch9wavefront6targetE0EEEvT1_
    .private_segment_fixed_size: 0
    .sgpr_count:     0
    .sgpr_spill_count: 0
    .symbol:         _ZN7rocprim17ROCPRIM_400000_NS6detail17trampoline_kernelINS0_14default_configENS1_33run_length_encode_config_selectorIajNS0_4plusIjEEEEZZNS1_33reduce_by_key_impl_wrapped_configILNS1_25lookback_scan_determinismE0ES3_S7_PKaNS0_17constant_iteratorIjlEEPaPlSF_S6_NS0_8equal_toIaEEEE10hipError_tPvRmT2_T3_mT4_T5_T6_T7_T8_P12ihipStream_tbENKUlT_T0_E_clISt17integral_constantIbLb0EESZ_EEDaSU_SV_EUlSU_E_NS1_11comp_targetILNS1_3genE3ELNS1_11target_archE908ELNS1_3gpuE7ELNS1_3repE0EEENS1_30default_config_static_selectorELNS0_4arch9wavefront6targetE0EEEvT1_.kd
    .uniform_work_group_size: 1
    .uses_dynamic_stack: false
    .vgpr_count:     0
    .vgpr_spill_count: 0
    .wavefront_size: 32
  - .args:
      - .offset:         0
        .size:           128
        .value_kind:     by_value
    .group_segment_fixed_size: 0
    .kernarg_segment_align: 8
    .kernarg_segment_size: 128
    .language:       OpenCL C
    .language_version:
      - 2
      - 0
    .max_flat_workgroup_size: 256
    .name:           _ZN7rocprim17ROCPRIM_400000_NS6detail17trampoline_kernelINS0_14default_configENS1_33run_length_encode_config_selectorIajNS0_4plusIjEEEEZZNS1_33reduce_by_key_impl_wrapped_configILNS1_25lookback_scan_determinismE0ES3_S7_PKaNS0_17constant_iteratorIjlEEPaPlSF_S6_NS0_8equal_toIaEEEE10hipError_tPvRmT2_T3_mT4_T5_T6_T7_T8_P12ihipStream_tbENKUlT_T0_E_clISt17integral_constantIbLb0EESZ_EEDaSU_SV_EUlSU_E_NS1_11comp_targetILNS1_3genE2ELNS1_11target_archE906ELNS1_3gpuE6ELNS1_3repE0EEENS1_30default_config_static_selectorELNS0_4arch9wavefront6targetE0EEEvT1_
    .private_segment_fixed_size: 0
    .sgpr_count:     0
    .sgpr_spill_count: 0
    .symbol:         _ZN7rocprim17ROCPRIM_400000_NS6detail17trampoline_kernelINS0_14default_configENS1_33run_length_encode_config_selectorIajNS0_4plusIjEEEEZZNS1_33reduce_by_key_impl_wrapped_configILNS1_25lookback_scan_determinismE0ES3_S7_PKaNS0_17constant_iteratorIjlEEPaPlSF_S6_NS0_8equal_toIaEEEE10hipError_tPvRmT2_T3_mT4_T5_T6_T7_T8_P12ihipStream_tbENKUlT_T0_E_clISt17integral_constantIbLb0EESZ_EEDaSU_SV_EUlSU_E_NS1_11comp_targetILNS1_3genE2ELNS1_11target_archE906ELNS1_3gpuE6ELNS1_3repE0EEENS1_30default_config_static_selectorELNS0_4arch9wavefront6targetE0EEEvT1_.kd
    .uniform_work_group_size: 1
    .uses_dynamic_stack: false
    .vgpr_count:     0
    .vgpr_spill_count: 0
    .wavefront_size: 32
  - .args:
      - .offset:         0
        .size:           128
        .value_kind:     by_value
    .group_segment_fixed_size: 0
    .kernarg_segment_align: 8
    .kernarg_segment_size: 128
    .language:       OpenCL C
    .language_version:
      - 2
      - 0
    .max_flat_workgroup_size: 384
    .name:           _ZN7rocprim17ROCPRIM_400000_NS6detail17trampoline_kernelINS0_14default_configENS1_33run_length_encode_config_selectorIajNS0_4plusIjEEEEZZNS1_33reduce_by_key_impl_wrapped_configILNS1_25lookback_scan_determinismE0ES3_S7_PKaNS0_17constant_iteratorIjlEEPaPlSF_S6_NS0_8equal_toIaEEEE10hipError_tPvRmT2_T3_mT4_T5_T6_T7_T8_P12ihipStream_tbENKUlT_T0_E_clISt17integral_constantIbLb0EESZ_EEDaSU_SV_EUlSU_E_NS1_11comp_targetILNS1_3genE10ELNS1_11target_archE1201ELNS1_3gpuE5ELNS1_3repE0EEENS1_30default_config_static_selectorELNS0_4arch9wavefront6targetE0EEEvT1_
    .private_segment_fixed_size: 0
    .sgpr_count:     0
    .sgpr_spill_count: 0
    .symbol:         _ZN7rocprim17ROCPRIM_400000_NS6detail17trampoline_kernelINS0_14default_configENS1_33run_length_encode_config_selectorIajNS0_4plusIjEEEEZZNS1_33reduce_by_key_impl_wrapped_configILNS1_25lookback_scan_determinismE0ES3_S7_PKaNS0_17constant_iteratorIjlEEPaPlSF_S6_NS0_8equal_toIaEEEE10hipError_tPvRmT2_T3_mT4_T5_T6_T7_T8_P12ihipStream_tbENKUlT_T0_E_clISt17integral_constantIbLb0EESZ_EEDaSU_SV_EUlSU_E_NS1_11comp_targetILNS1_3genE10ELNS1_11target_archE1201ELNS1_3gpuE5ELNS1_3repE0EEENS1_30default_config_static_selectorELNS0_4arch9wavefront6targetE0EEEvT1_.kd
    .uniform_work_group_size: 1
    .uses_dynamic_stack: false
    .vgpr_count:     0
    .vgpr_spill_count: 0
    .wavefront_size: 32
  - .args:
      - .offset:         0
        .size:           128
        .value_kind:     by_value
    .group_segment_fixed_size: 0
    .kernarg_segment_align: 8
    .kernarg_segment_size: 128
    .language:       OpenCL C
    .language_version:
      - 2
      - 0
    .max_flat_workgroup_size: 384
    .name:           _ZN7rocprim17ROCPRIM_400000_NS6detail17trampoline_kernelINS0_14default_configENS1_33run_length_encode_config_selectorIajNS0_4plusIjEEEEZZNS1_33reduce_by_key_impl_wrapped_configILNS1_25lookback_scan_determinismE0ES3_S7_PKaNS0_17constant_iteratorIjlEEPaPlSF_S6_NS0_8equal_toIaEEEE10hipError_tPvRmT2_T3_mT4_T5_T6_T7_T8_P12ihipStream_tbENKUlT_T0_E_clISt17integral_constantIbLb0EESZ_EEDaSU_SV_EUlSU_E_NS1_11comp_targetILNS1_3genE10ELNS1_11target_archE1200ELNS1_3gpuE4ELNS1_3repE0EEENS1_30default_config_static_selectorELNS0_4arch9wavefront6targetE0EEEvT1_
    .private_segment_fixed_size: 0
    .sgpr_count:     0
    .sgpr_spill_count: 0
    .symbol:         _ZN7rocprim17ROCPRIM_400000_NS6detail17trampoline_kernelINS0_14default_configENS1_33run_length_encode_config_selectorIajNS0_4plusIjEEEEZZNS1_33reduce_by_key_impl_wrapped_configILNS1_25lookback_scan_determinismE0ES3_S7_PKaNS0_17constant_iteratorIjlEEPaPlSF_S6_NS0_8equal_toIaEEEE10hipError_tPvRmT2_T3_mT4_T5_T6_T7_T8_P12ihipStream_tbENKUlT_T0_E_clISt17integral_constantIbLb0EESZ_EEDaSU_SV_EUlSU_E_NS1_11comp_targetILNS1_3genE10ELNS1_11target_archE1200ELNS1_3gpuE4ELNS1_3repE0EEENS1_30default_config_static_selectorELNS0_4arch9wavefront6targetE0EEEvT1_.kd
    .uniform_work_group_size: 1
    .uses_dynamic_stack: false
    .vgpr_count:     0
    .vgpr_spill_count: 0
    .wavefront_size: 32
  - .args:
      - .offset:         0
        .size:           128
        .value_kind:     by_value
    .group_segment_fixed_size: 0
    .kernarg_segment_align: 8
    .kernarg_segment_size: 128
    .language:       OpenCL C
    .language_version:
      - 2
      - 0
    .max_flat_workgroup_size: 384
    .name:           _ZN7rocprim17ROCPRIM_400000_NS6detail17trampoline_kernelINS0_14default_configENS1_33run_length_encode_config_selectorIajNS0_4plusIjEEEEZZNS1_33reduce_by_key_impl_wrapped_configILNS1_25lookback_scan_determinismE0ES3_S7_PKaNS0_17constant_iteratorIjlEEPaPlSF_S6_NS0_8equal_toIaEEEE10hipError_tPvRmT2_T3_mT4_T5_T6_T7_T8_P12ihipStream_tbENKUlT_T0_E_clISt17integral_constantIbLb0EESZ_EEDaSU_SV_EUlSU_E_NS1_11comp_targetILNS1_3genE9ELNS1_11target_archE1100ELNS1_3gpuE3ELNS1_3repE0EEENS1_30default_config_static_selectorELNS0_4arch9wavefront6targetE0EEEvT1_
    .private_segment_fixed_size: 0
    .sgpr_count:     0
    .sgpr_spill_count: 0
    .symbol:         _ZN7rocprim17ROCPRIM_400000_NS6detail17trampoline_kernelINS0_14default_configENS1_33run_length_encode_config_selectorIajNS0_4plusIjEEEEZZNS1_33reduce_by_key_impl_wrapped_configILNS1_25lookback_scan_determinismE0ES3_S7_PKaNS0_17constant_iteratorIjlEEPaPlSF_S6_NS0_8equal_toIaEEEE10hipError_tPvRmT2_T3_mT4_T5_T6_T7_T8_P12ihipStream_tbENKUlT_T0_E_clISt17integral_constantIbLb0EESZ_EEDaSU_SV_EUlSU_E_NS1_11comp_targetILNS1_3genE9ELNS1_11target_archE1100ELNS1_3gpuE3ELNS1_3repE0EEENS1_30default_config_static_selectorELNS0_4arch9wavefront6targetE0EEEvT1_.kd
    .uniform_work_group_size: 1
    .uses_dynamic_stack: false
    .vgpr_count:     0
    .vgpr_spill_count: 0
    .wavefront_size: 32
  - .args:
      - .offset:         0
        .size:           128
        .value_kind:     by_value
    .group_segment_fixed_size: 0
    .kernarg_segment_align: 8
    .kernarg_segment_size: 128
    .language:       OpenCL C
    .language_version:
      - 2
      - 0
    .max_flat_workgroup_size: 384
    .name:           _ZN7rocprim17ROCPRIM_400000_NS6detail17trampoline_kernelINS0_14default_configENS1_33run_length_encode_config_selectorIajNS0_4plusIjEEEEZZNS1_33reduce_by_key_impl_wrapped_configILNS1_25lookback_scan_determinismE0ES3_S7_PKaNS0_17constant_iteratorIjlEEPaPlSF_S6_NS0_8equal_toIaEEEE10hipError_tPvRmT2_T3_mT4_T5_T6_T7_T8_P12ihipStream_tbENKUlT_T0_E_clISt17integral_constantIbLb0EESZ_EEDaSU_SV_EUlSU_E_NS1_11comp_targetILNS1_3genE8ELNS1_11target_archE1030ELNS1_3gpuE2ELNS1_3repE0EEENS1_30default_config_static_selectorELNS0_4arch9wavefront6targetE0EEEvT1_
    .private_segment_fixed_size: 0
    .sgpr_count:     0
    .sgpr_spill_count: 0
    .symbol:         _ZN7rocprim17ROCPRIM_400000_NS6detail17trampoline_kernelINS0_14default_configENS1_33run_length_encode_config_selectorIajNS0_4plusIjEEEEZZNS1_33reduce_by_key_impl_wrapped_configILNS1_25lookback_scan_determinismE0ES3_S7_PKaNS0_17constant_iteratorIjlEEPaPlSF_S6_NS0_8equal_toIaEEEE10hipError_tPvRmT2_T3_mT4_T5_T6_T7_T8_P12ihipStream_tbENKUlT_T0_E_clISt17integral_constantIbLb0EESZ_EEDaSU_SV_EUlSU_E_NS1_11comp_targetILNS1_3genE8ELNS1_11target_archE1030ELNS1_3gpuE2ELNS1_3repE0EEENS1_30default_config_static_selectorELNS0_4arch9wavefront6targetE0EEEvT1_.kd
    .uniform_work_group_size: 1
    .uses_dynamic_stack: false
    .vgpr_count:     0
    .vgpr_spill_count: 0
    .wavefront_size: 32
  - .args:
      - .offset:         0
        .size:           128
        .value_kind:     by_value
    .group_segment_fixed_size: 0
    .kernarg_segment_align: 8
    .kernarg_segment_size: 128
    .language:       OpenCL C
    .language_version:
      - 2
      - 0
    .max_flat_workgroup_size: 256
    .name:           _ZN7rocprim17ROCPRIM_400000_NS6detail17trampoline_kernelINS0_14default_configENS1_33run_length_encode_config_selectorIajNS0_4plusIjEEEEZZNS1_33reduce_by_key_impl_wrapped_configILNS1_25lookback_scan_determinismE0ES3_S7_PKaNS0_17constant_iteratorIjlEEPaPlSF_S6_NS0_8equal_toIaEEEE10hipError_tPvRmT2_T3_mT4_T5_T6_T7_T8_P12ihipStream_tbENKUlT_T0_E_clISt17integral_constantIbLb1EESZ_EEDaSU_SV_EUlSU_E_NS1_11comp_targetILNS1_3genE0ELNS1_11target_archE4294967295ELNS1_3gpuE0ELNS1_3repE0EEENS1_30default_config_static_selectorELNS0_4arch9wavefront6targetE0EEEvT1_
    .private_segment_fixed_size: 0
    .sgpr_count:     0
    .sgpr_spill_count: 0
    .symbol:         _ZN7rocprim17ROCPRIM_400000_NS6detail17trampoline_kernelINS0_14default_configENS1_33run_length_encode_config_selectorIajNS0_4plusIjEEEEZZNS1_33reduce_by_key_impl_wrapped_configILNS1_25lookback_scan_determinismE0ES3_S7_PKaNS0_17constant_iteratorIjlEEPaPlSF_S6_NS0_8equal_toIaEEEE10hipError_tPvRmT2_T3_mT4_T5_T6_T7_T8_P12ihipStream_tbENKUlT_T0_E_clISt17integral_constantIbLb1EESZ_EEDaSU_SV_EUlSU_E_NS1_11comp_targetILNS1_3genE0ELNS1_11target_archE4294967295ELNS1_3gpuE0ELNS1_3repE0EEENS1_30default_config_static_selectorELNS0_4arch9wavefront6targetE0EEEvT1_.kd
    .uniform_work_group_size: 1
    .uses_dynamic_stack: false
    .vgpr_count:     0
    .vgpr_spill_count: 0
    .wavefront_size: 32
  - .args:
      - .offset:         0
        .size:           128
        .value_kind:     by_value
    .group_segment_fixed_size: 0
    .kernarg_segment_align: 8
    .kernarg_segment_size: 128
    .language:       OpenCL C
    .language_version:
      - 2
      - 0
    .max_flat_workgroup_size: 512
    .name:           _ZN7rocprim17ROCPRIM_400000_NS6detail17trampoline_kernelINS0_14default_configENS1_33run_length_encode_config_selectorIajNS0_4plusIjEEEEZZNS1_33reduce_by_key_impl_wrapped_configILNS1_25lookback_scan_determinismE0ES3_S7_PKaNS0_17constant_iteratorIjlEEPaPlSF_S6_NS0_8equal_toIaEEEE10hipError_tPvRmT2_T3_mT4_T5_T6_T7_T8_P12ihipStream_tbENKUlT_T0_E_clISt17integral_constantIbLb1EESZ_EEDaSU_SV_EUlSU_E_NS1_11comp_targetILNS1_3genE5ELNS1_11target_archE942ELNS1_3gpuE9ELNS1_3repE0EEENS1_30default_config_static_selectorELNS0_4arch9wavefront6targetE0EEEvT1_
    .private_segment_fixed_size: 0
    .sgpr_count:     0
    .sgpr_spill_count: 0
    .symbol:         _ZN7rocprim17ROCPRIM_400000_NS6detail17trampoline_kernelINS0_14default_configENS1_33run_length_encode_config_selectorIajNS0_4plusIjEEEEZZNS1_33reduce_by_key_impl_wrapped_configILNS1_25lookback_scan_determinismE0ES3_S7_PKaNS0_17constant_iteratorIjlEEPaPlSF_S6_NS0_8equal_toIaEEEE10hipError_tPvRmT2_T3_mT4_T5_T6_T7_T8_P12ihipStream_tbENKUlT_T0_E_clISt17integral_constantIbLb1EESZ_EEDaSU_SV_EUlSU_E_NS1_11comp_targetILNS1_3genE5ELNS1_11target_archE942ELNS1_3gpuE9ELNS1_3repE0EEENS1_30default_config_static_selectorELNS0_4arch9wavefront6targetE0EEEvT1_.kd
    .uniform_work_group_size: 1
    .uses_dynamic_stack: false
    .vgpr_count:     0
    .vgpr_spill_count: 0
    .wavefront_size: 32
  - .args:
      - .offset:         0
        .size:           128
        .value_kind:     by_value
    .group_segment_fixed_size: 0
    .kernarg_segment_align: 8
    .kernarg_segment_size: 128
    .language:       OpenCL C
    .language_version:
      - 2
      - 0
    .max_flat_workgroup_size: 256
    .name:           _ZN7rocprim17ROCPRIM_400000_NS6detail17trampoline_kernelINS0_14default_configENS1_33run_length_encode_config_selectorIajNS0_4plusIjEEEEZZNS1_33reduce_by_key_impl_wrapped_configILNS1_25lookback_scan_determinismE0ES3_S7_PKaNS0_17constant_iteratorIjlEEPaPlSF_S6_NS0_8equal_toIaEEEE10hipError_tPvRmT2_T3_mT4_T5_T6_T7_T8_P12ihipStream_tbENKUlT_T0_E_clISt17integral_constantIbLb1EESZ_EEDaSU_SV_EUlSU_E_NS1_11comp_targetILNS1_3genE4ELNS1_11target_archE910ELNS1_3gpuE8ELNS1_3repE0EEENS1_30default_config_static_selectorELNS0_4arch9wavefront6targetE0EEEvT1_
    .private_segment_fixed_size: 0
    .sgpr_count:     0
    .sgpr_spill_count: 0
    .symbol:         _ZN7rocprim17ROCPRIM_400000_NS6detail17trampoline_kernelINS0_14default_configENS1_33run_length_encode_config_selectorIajNS0_4plusIjEEEEZZNS1_33reduce_by_key_impl_wrapped_configILNS1_25lookback_scan_determinismE0ES3_S7_PKaNS0_17constant_iteratorIjlEEPaPlSF_S6_NS0_8equal_toIaEEEE10hipError_tPvRmT2_T3_mT4_T5_T6_T7_T8_P12ihipStream_tbENKUlT_T0_E_clISt17integral_constantIbLb1EESZ_EEDaSU_SV_EUlSU_E_NS1_11comp_targetILNS1_3genE4ELNS1_11target_archE910ELNS1_3gpuE8ELNS1_3repE0EEENS1_30default_config_static_selectorELNS0_4arch9wavefront6targetE0EEEvT1_.kd
    .uniform_work_group_size: 1
    .uses_dynamic_stack: false
    .vgpr_count:     0
    .vgpr_spill_count: 0
    .wavefront_size: 32
  - .args:
      - .offset:         0
        .size:           128
        .value_kind:     by_value
    .group_segment_fixed_size: 0
    .kernarg_segment_align: 8
    .kernarg_segment_size: 128
    .language:       OpenCL C
    .language_version:
      - 2
      - 0
    .max_flat_workgroup_size: 256
    .name:           _ZN7rocprim17ROCPRIM_400000_NS6detail17trampoline_kernelINS0_14default_configENS1_33run_length_encode_config_selectorIajNS0_4plusIjEEEEZZNS1_33reduce_by_key_impl_wrapped_configILNS1_25lookback_scan_determinismE0ES3_S7_PKaNS0_17constant_iteratorIjlEEPaPlSF_S6_NS0_8equal_toIaEEEE10hipError_tPvRmT2_T3_mT4_T5_T6_T7_T8_P12ihipStream_tbENKUlT_T0_E_clISt17integral_constantIbLb1EESZ_EEDaSU_SV_EUlSU_E_NS1_11comp_targetILNS1_3genE3ELNS1_11target_archE908ELNS1_3gpuE7ELNS1_3repE0EEENS1_30default_config_static_selectorELNS0_4arch9wavefront6targetE0EEEvT1_
    .private_segment_fixed_size: 0
    .sgpr_count:     0
    .sgpr_spill_count: 0
    .symbol:         _ZN7rocprim17ROCPRIM_400000_NS6detail17trampoline_kernelINS0_14default_configENS1_33run_length_encode_config_selectorIajNS0_4plusIjEEEEZZNS1_33reduce_by_key_impl_wrapped_configILNS1_25lookback_scan_determinismE0ES3_S7_PKaNS0_17constant_iteratorIjlEEPaPlSF_S6_NS0_8equal_toIaEEEE10hipError_tPvRmT2_T3_mT4_T5_T6_T7_T8_P12ihipStream_tbENKUlT_T0_E_clISt17integral_constantIbLb1EESZ_EEDaSU_SV_EUlSU_E_NS1_11comp_targetILNS1_3genE3ELNS1_11target_archE908ELNS1_3gpuE7ELNS1_3repE0EEENS1_30default_config_static_selectorELNS0_4arch9wavefront6targetE0EEEvT1_.kd
    .uniform_work_group_size: 1
    .uses_dynamic_stack: false
    .vgpr_count:     0
    .vgpr_spill_count: 0
    .wavefront_size: 32
  - .args:
      - .offset:         0
        .size:           128
        .value_kind:     by_value
    .group_segment_fixed_size: 0
    .kernarg_segment_align: 8
    .kernarg_segment_size: 128
    .language:       OpenCL C
    .language_version:
      - 2
      - 0
    .max_flat_workgroup_size: 256
    .name:           _ZN7rocprim17ROCPRIM_400000_NS6detail17trampoline_kernelINS0_14default_configENS1_33run_length_encode_config_selectorIajNS0_4plusIjEEEEZZNS1_33reduce_by_key_impl_wrapped_configILNS1_25lookback_scan_determinismE0ES3_S7_PKaNS0_17constant_iteratorIjlEEPaPlSF_S6_NS0_8equal_toIaEEEE10hipError_tPvRmT2_T3_mT4_T5_T6_T7_T8_P12ihipStream_tbENKUlT_T0_E_clISt17integral_constantIbLb1EESZ_EEDaSU_SV_EUlSU_E_NS1_11comp_targetILNS1_3genE2ELNS1_11target_archE906ELNS1_3gpuE6ELNS1_3repE0EEENS1_30default_config_static_selectorELNS0_4arch9wavefront6targetE0EEEvT1_
    .private_segment_fixed_size: 0
    .sgpr_count:     0
    .sgpr_spill_count: 0
    .symbol:         _ZN7rocprim17ROCPRIM_400000_NS6detail17trampoline_kernelINS0_14default_configENS1_33run_length_encode_config_selectorIajNS0_4plusIjEEEEZZNS1_33reduce_by_key_impl_wrapped_configILNS1_25lookback_scan_determinismE0ES3_S7_PKaNS0_17constant_iteratorIjlEEPaPlSF_S6_NS0_8equal_toIaEEEE10hipError_tPvRmT2_T3_mT4_T5_T6_T7_T8_P12ihipStream_tbENKUlT_T0_E_clISt17integral_constantIbLb1EESZ_EEDaSU_SV_EUlSU_E_NS1_11comp_targetILNS1_3genE2ELNS1_11target_archE906ELNS1_3gpuE6ELNS1_3repE0EEENS1_30default_config_static_selectorELNS0_4arch9wavefront6targetE0EEEvT1_.kd
    .uniform_work_group_size: 1
    .uses_dynamic_stack: false
    .vgpr_count:     0
    .vgpr_spill_count: 0
    .wavefront_size: 32
  - .args:
      - .offset:         0
        .size:           128
        .value_kind:     by_value
    .group_segment_fixed_size: 0
    .kernarg_segment_align: 8
    .kernarg_segment_size: 128
    .language:       OpenCL C
    .language_version:
      - 2
      - 0
    .max_flat_workgroup_size: 384
    .name:           _ZN7rocprim17ROCPRIM_400000_NS6detail17trampoline_kernelINS0_14default_configENS1_33run_length_encode_config_selectorIajNS0_4plusIjEEEEZZNS1_33reduce_by_key_impl_wrapped_configILNS1_25lookback_scan_determinismE0ES3_S7_PKaNS0_17constant_iteratorIjlEEPaPlSF_S6_NS0_8equal_toIaEEEE10hipError_tPvRmT2_T3_mT4_T5_T6_T7_T8_P12ihipStream_tbENKUlT_T0_E_clISt17integral_constantIbLb1EESZ_EEDaSU_SV_EUlSU_E_NS1_11comp_targetILNS1_3genE10ELNS1_11target_archE1201ELNS1_3gpuE5ELNS1_3repE0EEENS1_30default_config_static_selectorELNS0_4arch9wavefront6targetE0EEEvT1_
    .private_segment_fixed_size: 0
    .sgpr_count:     0
    .sgpr_spill_count: 0
    .symbol:         _ZN7rocprim17ROCPRIM_400000_NS6detail17trampoline_kernelINS0_14default_configENS1_33run_length_encode_config_selectorIajNS0_4plusIjEEEEZZNS1_33reduce_by_key_impl_wrapped_configILNS1_25lookback_scan_determinismE0ES3_S7_PKaNS0_17constant_iteratorIjlEEPaPlSF_S6_NS0_8equal_toIaEEEE10hipError_tPvRmT2_T3_mT4_T5_T6_T7_T8_P12ihipStream_tbENKUlT_T0_E_clISt17integral_constantIbLb1EESZ_EEDaSU_SV_EUlSU_E_NS1_11comp_targetILNS1_3genE10ELNS1_11target_archE1201ELNS1_3gpuE5ELNS1_3repE0EEENS1_30default_config_static_selectorELNS0_4arch9wavefront6targetE0EEEvT1_.kd
    .uniform_work_group_size: 1
    .uses_dynamic_stack: false
    .vgpr_count:     0
    .vgpr_spill_count: 0
    .wavefront_size: 32
  - .args:
      - .offset:         0
        .size:           128
        .value_kind:     by_value
    .group_segment_fixed_size: 0
    .kernarg_segment_align: 8
    .kernarg_segment_size: 128
    .language:       OpenCL C
    .language_version:
      - 2
      - 0
    .max_flat_workgroup_size: 384
    .name:           _ZN7rocprim17ROCPRIM_400000_NS6detail17trampoline_kernelINS0_14default_configENS1_33run_length_encode_config_selectorIajNS0_4plusIjEEEEZZNS1_33reduce_by_key_impl_wrapped_configILNS1_25lookback_scan_determinismE0ES3_S7_PKaNS0_17constant_iteratorIjlEEPaPlSF_S6_NS0_8equal_toIaEEEE10hipError_tPvRmT2_T3_mT4_T5_T6_T7_T8_P12ihipStream_tbENKUlT_T0_E_clISt17integral_constantIbLb1EESZ_EEDaSU_SV_EUlSU_E_NS1_11comp_targetILNS1_3genE10ELNS1_11target_archE1200ELNS1_3gpuE4ELNS1_3repE0EEENS1_30default_config_static_selectorELNS0_4arch9wavefront6targetE0EEEvT1_
    .private_segment_fixed_size: 0
    .sgpr_count:     0
    .sgpr_spill_count: 0
    .symbol:         _ZN7rocprim17ROCPRIM_400000_NS6detail17trampoline_kernelINS0_14default_configENS1_33run_length_encode_config_selectorIajNS0_4plusIjEEEEZZNS1_33reduce_by_key_impl_wrapped_configILNS1_25lookback_scan_determinismE0ES3_S7_PKaNS0_17constant_iteratorIjlEEPaPlSF_S6_NS0_8equal_toIaEEEE10hipError_tPvRmT2_T3_mT4_T5_T6_T7_T8_P12ihipStream_tbENKUlT_T0_E_clISt17integral_constantIbLb1EESZ_EEDaSU_SV_EUlSU_E_NS1_11comp_targetILNS1_3genE10ELNS1_11target_archE1200ELNS1_3gpuE4ELNS1_3repE0EEENS1_30default_config_static_selectorELNS0_4arch9wavefront6targetE0EEEvT1_.kd
    .uniform_work_group_size: 1
    .uses_dynamic_stack: false
    .vgpr_count:     0
    .vgpr_spill_count: 0
    .wavefront_size: 32
  - .args:
      - .offset:         0
        .size:           128
        .value_kind:     by_value
    .group_segment_fixed_size: 0
    .kernarg_segment_align: 8
    .kernarg_segment_size: 128
    .language:       OpenCL C
    .language_version:
      - 2
      - 0
    .max_flat_workgroup_size: 384
    .name:           _ZN7rocprim17ROCPRIM_400000_NS6detail17trampoline_kernelINS0_14default_configENS1_33run_length_encode_config_selectorIajNS0_4plusIjEEEEZZNS1_33reduce_by_key_impl_wrapped_configILNS1_25lookback_scan_determinismE0ES3_S7_PKaNS0_17constant_iteratorIjlEEPaPlSF_S6_NS0_8equal_toIaEEEE10hipError_tPvRmT2_T3_mT4_T5_T6_T7_T8_P12ihipStream_tbENKUlT_T0_E_clISt17integral_constantIbLb1EESZ_EEDaSU_SV_EUlSU_E_NS1_11comp_targetILNS1_3genE9ELNS1_11target_archE1100ELNS1_3gpuE3ELNS1_3repE0EEENS1_30default_config_static_selectorELNS0_4arch9wavefront6targetE0EEEvT1_
    .private_segment_fixed_size: 0
    .sgpr_count:     0
    .sgpr_spill_count: 0
    .symbol:         _ZN7rocprim17ROCPRIM_400000_NS6detail17trampoline_kernelINS0_14default_configENS1_33run_length_encode_config_selectorIajNS0_4plusIjEEEEZZNS1_33reduce_by_key_impl_wrapped_configILNS1_25lookback_scan_determinismE0ES3_S7_PKaNS0_17constant_iteratorIjlEEPaPlSF_S6_NS0_8equal_toIaEEEE10hipError_tPvRmT2_T3_mT4_T5_T6_T7_T8_P12ihipStream_tbENKUlT_T0_E_clISt17integral_constantIbLb1EESZ_EEDaSU_SV_EUlSU_E_NS1_11comp_targetILNS1_3genE9ELNS1_11target_archE1100ELNS1_3gpuE3ELNS1_3repE0EEENS1_30default_config_static_selectorELNS0_4arch9wavefront6targetE0EEEvT1_.kd
    .uniform_work_group_size: 1
    .uses_dynamic_stack: false
    .vgpr_count:     0
    .vgpr_spill_count: 0
    .wavefront_size: 32
  - .args:
      - .offset:         0
        .size:           128
        .value_kind:     by_value
    .group_segment_fixed_size: 0
    .kernarg_segment_align: 8
    .kernarg_segment_size: 128
    .language:       OpenCL C
    .language_version:
      - 2
      - 0
    .max_flat_workgroup_size: 384
    .name:           _ZN7rocprim17ROCPRIM_400000_NS6detail17trampoline_kernelINS0_14default_configENS1_33run_length_encode_config_selectorIajNS0_4plusIjEEEEZZNS1_33reduce_by_key_impl_wrapped_configILNS1_25lookback_scan_determinismE0ES3_S7_PKaNS0_17constant_iteratorIjlEEPaPlSF_S6_NS0_8equal_toIaEEEE10hipError_tPvRmT2_T3_mT4_T5_T6_T7_T8_P12ihipStream_tbENKUlT_T0_E_clISt17integral_constantIbLb1EESZ_EEDaSU_SV_EUlSU_E_NS1_11comp_targetILNS1_3genE8ELNS1_11target_archE1030ELNS1_3gpuE2ELNS1_3repE0EEENS1_30default_config_static_selectorELNS0_4arch9wavefront6targetE0EEEvT1_
    .private_segment_fixed_size: 0
    .sgpr_count:     0
    .sgpr_spill_count: 0
    .symbol:         _ZN7rocprim17ROCPRIM_400000_NS6detail17trampoline_kernelINS0_14default_configENS1_33run_length_encode_config_selectorIajNS0_4plusIjEEEEZZNS1_33reduce_by_key_impl_wrapped_configILNS1_25lookback_scan_determinismE0ES3_S7_PKaNS0_17constant_iteratorIjlEEPaPlSF_S6_NS0_8equal_toIaEEEE10hipError_tPvRmT2_T3_mT4_T5_T6_T7_T8_P12ihipStream_tbENKUlT_T0_E_clISt17integral_constantIbLb1EESZ_EEDaSU_SV_EUlSU_E_NS1_11comp_targetILNS1_3genE8ELNS1_11target_archE1030ELNS1_3gpuE2ELNS1_3repE0EEENS1_30default_config_static_selectorELNS0_4arch9wavefront6targetE0EEEvT1_.kd
    .uniform_work_group_size: 1
    .uses_dynamic_stack: false
    .vgpr_count:     0
    .vgpr_spill_count: 0
    .wavefront_size: 32
  - .args:
      - .offset:         0
        .size:           128
        .value_kind:     by_value
    .group_segment_fixed_size: 0
    .kernarg_segment_align: 8
    .kernarg_segment_size: 128
    .language:       OpenCL C
    .language_version:
      - 2
      - 0
    .max_flat_workgroup_size: 256
    .name:           _ZN7rocprim17ROCPRIM_400000_NS6detail17trampoline_kernelINS0_14default_configENS1_33run_length_encode_config_selectorIajNS0_4plusIjEEEEZZNS1_33reduce_by_key_impl_wrapped_configILNS1_25lookback_scan_determinismE0ES3_S7_PKaNS0_17constant_iteratorIjlEEPaPlSF_S6_NS0_8equal_toIaEEEE10hipError_tPvRmT2_T3_mT4_T5_T6_T7_T8_P12ihipStream_tbENKUlT_T0_E_clISt17integral_constantIbLb1EESY_IbLb0EEEEDaSU_SV_EUlSU_E_NS1_11comp_targetILNS1_3genE0ELNS1_11target_archE4294967295ELNS1_3gpuE0ELNS1_3repE0EEENS1_30default_config_static_selectorELNS0_4arch9wavefront6targetE0EEEvT1_
    .private_segment_fixed_size: 0
    .sgpr_count:     0
    .sgpr_spill_count: 0
    .symbol:         _ZN7rocprim17ROCPRIM_400000_NS6detail17trampoline_kernelINS0_14default_configENS1_33run_length_encode_config_selectorIajNS0_4plusIjEEEEZZNS1_33reduce_by_key_impl_wrapped_configILNS1_25lookback_scan_determinismE0ES3_S7_PKaNS0_17constant_iteratorIjlEEPaPlSF_S6_NS0_8equal_toIaEEEE10hipError_tPvRmT2_T3_mT4_T5_T6_T7_T8_P12ihipStream_tbENKUlT_T0_E_clISt17integral_constantIbLb1EESY_IbLb0EEEEDaSU_SV_EUlSU_E_NS1_11comp_targetILNS1_3genE0ELNS1_11target_archE4294967295ELNS1_3gpuE0ELNS1_3repE0EEENS1_30default_config_static_selectorELNS0_4arch9wavefront6targetE0EEEvT1_.kd
    .uniform_work_group_size: 1
    .uses_dynamic_stack: false
    .vgpr_count:     0
    .vgpr_spill_count: 0
    .wavefront_size: 32
  - .args:
      - .offset:         0
        .size:           128
        .value_kind:     by_value
    .group_segment_fixed_size: 0
    .kernarg_segment_align: 8
    .kernarg_segment_size: 128
    .language:       OpenCL C
    .language_version:
      - 2
      - 0
    .max_flat_workgroup_size: 512
    .name:           _ZN7rocprim17ROCPRIM_400000_NS6detail17trampoline_kernelINS0_14default_configENS1_33run_length_encode_config_selectorIajNS0_4plusIjEEEEZZNS1_33reduce_by_key_impl_wrapped_configILNS1_25lookback_scan_determinismE0ES3_S7_PKaNS0_17constant_iteratorIjlEEPaPlSF_S6_NS0_8equal_toIaEEEE10hipError_tPvRmT2_T3_mT4_T5_T6_T7_T8_P12ihipStream_tbENKUlT_T0_E_clISt17integral_constantIbLb1EESY_IbLb0EEEEDaSU_SV_EUlSU_E_NS1_11comp_targetILNS1_3genE5ELNS1_11target_archE942ELNS1_3gpuE9ELNS1_3repE0EEENS1_30default_config_static_selectorELNS0_4arch9wavefront6targetE0EEEvT1_
    .private_segment_fixed_size: 0
    .sgpr_count:     0
    .sgpr_spill_count: 0
    .symbol:         _ZN7rocprim17ROCPRIM_400000_NS6detail17trampoline_kernelINS0_14default_configENS1_33run_length_encode_config_selectorIajNS0_4plusIjEEEEZZNS1_33reduce_by_key_impl_wrapped_configILNS1_25lookback_scan_determinismE0ES3_S7_PKaNS0_17constant_iteratorIjlEEPaPlSF_S6_NS0_8equal_toIaEEEE10hipError_tPvRmT2_T3_mT4_T5_T6_T7_T8_P12ihipStream_tbENKUlT_T0_E_clISt17integral_constantIbLb1EESY_IbLb0EEEEDaSU_SV_EUlSU_E_NS1_11comp_targetILNS1_3genE5ELNS1_11target_archE942ELNS1_3gpuE9ELNS1_3repE0EEENS1_30default_config_static_selectorELNS0_4arch9wavefront6targetE0EEEvT1_.kd
    .uniform_work_group_size: 1
    .uses_dynamic_stack: false
    .vgpr_count:     0
    .vgpr_spill_count: 0
    .wavefront_size: 32
  - .args:
      - .offset:         0
        .size:           128
        .value_kind:     by_value
    .group_segment_fixed_size: 0
    .kernarg_segment_align: 8
    .kernarg_segment_size: 128
    .language:       OpenCL C
    .language_version:
      - 2
      - 0
    .max_flat_workgroup_size: 256
    .name:           _ZN7rocprim17ROCPRIM_400000_NS6detail17trampoline_kernelINS0_14default_configENS1_33run_length_encode_config_selectorIajNS0_4plusIjEEEEZZNS1_33reduce_by_key_impl_wrapped_configILNS1_25lookback_scan_determinismE0ES3_S7_PKaNS0_17constant_iteratorIjlEEPaPlSF_S6_NS0_8equal_toIaEEEE10hipError_tPvRmT2_T3_mT4_T5_T6_T7_T8_P12ihipStream_tbENKUlT_T0_E_clISt17integral_constantIbLb1EESY_IbLb0EEEEDaSU_SV_EUlSU_E_NS1_11comp_targetILNS1_3genE4ELNS1_11target_archE910ELNS1_3gpuE8ELNS1_3repE0EEENS1_30default_config_static_selectorELNS0_4arch9wavefront6targetE0EEEvT1_
    .private_segment_fixed_size: 0
    .sgpr_count:     0
    .sgpr_spill_count: 0
    .symbol:         _ZN7rocprim17ROCPRIM_400000_NS6detail17trampoline_kernelINS0_14default_configENS1_33run_length_encode_config_selectorIajNS0_4plusIjEEEEZZNS1_33reduce_by_key_impl_wrapped_configILNS1_25lookback_scan_determinismE0ES3_S7_PKaNS0_17constant_iteratorIjlEEPaPlSF_S6_NS0_8equal_toIaEEEE10hipError_tPvRmT2_T3_mT4_T5_T6_T7_T8_P12ihipStream_tbENKUlT_T0_E_clISt17integral_constantIbLb1EESY_IbLb0EEEEDaSU_SV_EUlSU_E_NS1_11comp_targetILNS1_3genE4ELNS1_11target_archE910ELNS1_3gpuE8ELNS1_3repE0EEENS1_30default_config_static_selectorELNS0_4arch9wavefront6targetE0EEEvT1_.kd
    .uniform_work_group_size: 1
    .uses_dynamic_stack: false
    .vgpr_count:     0
    .vgpr_spill_count: 0
    .wavefront_size: 32
  - .args:
      - .offset:         0
        .size:           128
        .value_kind:     by_value
    .group_segment_fixed_size: 0
    .kernarg_segment_align: 8
    .kernarg_segment_size: 128
    .language:       OpenCL C
    .language_version:
      - 2
      - 0
    .max_flat_workgroup_size: 256
    .name:           _ZN7rocprim17ROCPRIM_400000_NS6detail17trampoline_kernelINS0_14default_configENS1_33run_length_encode_config_selectorIajNS0_4plusIjEEEEZZNS1_33reduce_by_key_impl_wrapped_configILNS1_25lookback_scan_determinismE0ES3_S7_PKaNS0_17constant_iteratorIjlEEPaPlSF_S6_NS0_8equal_toIaEEEE10hipError_tPvRmT2_T3_mT4_T5_T6_T7_T8_P12ihipStream_tbENKUlT_T0_E_clISt17integral_constantIbLb1EESY_IbLb0EEEEDaSU_SV_EUlSU_E_NS1_11comp_targetILNS1_3genE3ELNS1_11target_archE908ELNS1_3gpuE7ELNS1_3repE0EEENS1_30default_config_static_selectorELNS0_4arch9wavefront6targetE0EEEvT1_
    .private_segment_fixed_size: 0
    .sgpr_count:     0
    .sgpr_spill_count: 0
    .symbol:         _ZN7rocprim17ROCPRIM_400000_NS6detail17trampoline_kernelINS0_14default_configENS1_33run_length_encode_config_selectorIajNS0_4plusIjEEEEZZNS1_33reduce_by_key_impl_wrapped_configILNS1_25lookback_scan_determinismE0ES3_S7_PKaNS0_17constant_iteratorIjlEEPaPlSF_S6_NS0_8equal_toIaEEEE10hipError_tPvRmT2_T3_mT4_T5_T6_T7_T8_P12ihipStream_tbENKUlT_T0_E_clISt17integral_constantIbLb1EESY_IbLb0EEEEDaSU_SV_EUlSU_E_NS1_11comp_targetILNS1_3genE3ELNS1_11target_archE908ELNS1_3gpuE7ELNS1_3repE0EEENS1_30default_config_static_selectorELNS0_4arch9wavefront6targetE0EEEvT1_.kd
    .uniform_work_group_size: 1
    .uses_dynamic_stack: false
    .vgpr_count:     0
    .vgpr_spill_count: 0
    .wavefront_size: 32
  - .args:
      - .offset:         0
        .size:           128
        .value_kind:     by_value
    .group_segment_fixed_size: 0
    .kernarg_segment_align: 8
    .kernarg_segment_size: 128
    .language:       OpenCL C
    .language_version:
      - 2
      - 0
    .max_flat_workgroup_size: 256
    .name:           _ZN7rocprim17ROCPRIM_400000_NS6detail17trampoline_kernelINS0_14default_configENS1_33run_length_encode_config_selectorIajNS0_4plusIjEEEEZZNS1_33reduce_by_key_impl_wrapped_configILNS1_25lookback_scan_determinismE0ES3_S7_PKaNS0_17constant_iteratorIjlEEPaPlSF_S6_NS0_8equal_toIaEEEE10hipError_tPvRmT2_T3_mT4_T5_T6_T7_T8_P12ihipStream_tbENKUlT_T0_E_clISt17integral_constantIbLb1EESY_IbLb0EEEEDaSU_SV_EUlSU_E_NS1_11comp_targetILNS1_3genE2ELNS1_11target_archE906ELNS1_3gpuE6ELNS1_3repE0EEENS1_30default_config_static_selectorELNS0_4arch9wavefront6targetE0EEEvT1_
    .private_segment_fixed_size: 0
    .sgpr_count:     0
    .sgpr_spill_count: 0
    .symbol:         _ZN7rocprim17ROCPRIM_400000_NS6detail17trampoline_kernelINS0_14default_configENS1_33run_length_encode_config_selectorIajNS0_4plusIjEEEEZZNS1_33reduce_by_key_impl_wrapped_configILNS1_25lookback_scan_determinismE0ES3_S7_PKaNS0_17constant_iteratorIjlEEPaPlSF_S6_NS0_8equal_toIaEEEE10hipError_tPvRmT2_T3_mT4_T5_T6_T7_T8_P12ihipStream_tbENKUlT_T0_E_clISt17integral_constantIbLb1EESY_IbLb0EEEEDaSU_SV_EUlSU_E_NS1_11comp_targetILNS1_3genE2ELNS1_11target_archE906ELNS1_3gpuE6ELNS1_3repE0EEENS1_30default_config_static_selectorELNS0_4arch9wavefront6targetE0EEEvT1_.kd
    .uniform_work_group_size: 1
    .uses_dynamic_stack: false
    .vgpr_count:     0
    .vgpr_spill_count: 0
    .wavefront_size: 32
  - .args:
      - .offset:         0
        .size:           128
        .value_kind:     by_value
    .group_segment_fixed_size: 0
    .kernarg_segment_align: 8
    .kernarg_segment_size: 128
    .language:       OpenCL C
    .language_version:
      - 2
      - 0
    .max_flat_workgroup_size: 384
    .name:           _ZN7rocprim17ROCPRIM_400000_NS6detail17trampoline_kernelINS0_14default_configENS1_33run_length_encode_config_selectorIajNS0_4plusIjEEEEZZNS1_33reduce_by_key_impl_wrapped_configILNS1_25lookback_scan_determinismE0ES3_S7_PKaNS0_17constant_iteratorIjlEEPaPlSF_S6_NS0_8equal_toIaEEEE10hipError_tPvRmT2_T3_mT4_T5_T6_T7_T8_P12ihipStream_tbENKUlT_T0_E_clISt17integral_constantIbLb1EESY_IbLb0EEEEDaSU_SV_EUlSU_E_NS1_11comp_targetILNS1_3genE10ELNS1_11target_archE1201ELNS1_3gpuE5ELNS1_3repE0EEENS1_30default_config_static_selectorELNS0_4arch9wavefront6targetE0EEEvT1_
    .private_segment_fixed_size: 0
    .sgpr_count:     0
    .sgpr_spill_count: 0
    .symbol:         _ZN7rocprim17ROCPRIM_400000_NS6detail17trampoline_kernelINS0_14default_configENS1_33run_length_encode_config_selectorIajNS0_4plusIjEEEEZZNS1_33reduce_by_key_impl_wrapped_configILNS1_25lookback_scan_determinismE0ES3_S7_PKaNS0_17constant_iteratorIjlEEPaPlSF_S6_NS0_8equal_toIaEEEE10hipError_tPvRmT2_T3_mT4_T5_T6_T7_T8_P12ihipStream_tbENKUlT_T0_E_clISt17integral_constantIbLb1EESY_IbLb0EEEEDaSU_SV_EUlSU_E_NS1_11comp_targetILNS1_3genE10ELNS1_11target_archE1201ELNS1_3gpuE5ELNS1_3repE0EEENS1_30default_config_static_selectorELNS0_4arch9wavefront6targetE0EEEvT1_.kd
    .uniform_work_group_size: 1
    .uses_dynamic_stack: false
    .vgpr_count:     0
    .vgpr_spill_count: 0
    .wavefront_size: 32
  - .args:
      - .offset:         0
        .size:           128
        .value_kind:     by_value
    .group_segment_fixed_size: 0
    .kernarg_segment_align: 8
    .kernarg_segment_size: 128
    .language:       OpenCL C
    .language_version:
      - 2
      - 0
    .max_flat_workgroup_size: 384
    .name:           _ZN7rocprim17ROCPRIM_400000_NS6detail17trampoline_kernelINS0_14default_configENS1_33run_length_encode_config_selectorIajNS0_4plusIjEEEEZZNS1_33reduce_by_key_impl_wrapped_configILNS1_25lookback_scan_determinismE0ES3_S7_PKaNS0_17constant_iteratorIjlEEPaPlSF_S6_NS0_8equal_toIaEEEE10hipError_tPvRmT2_T3_mT4_T5_T6_T7_T8_P12ihipStream_tbENKUlT_T0_E_clISt17integral_constantIbLb1EESY_IbLb0EEEEDaSU_SV_EUlSU_E_NS1_11comp_targetILNS1_3genE10ELNS1_11target_archE1200ELNS1_3gpuE4ELNS1_3repE0EEENS1_30default_config_static_selectorELNS0_4arch9wavefront6targetE0EEEvT1_
    .private_segment_fixed_size: 0
    .sgpr_count:     0
    .sgpr_spill_count: 0
    .symbol:         _ZN7rocprim17ROCPRIM_400000_NS6detail17trampoline_kernelINS0_14default_configENS1_33run_length_encode_config_selectorIajNS0_4plusIjEEEEZZNS1_33reduce_by_key_impl_wrapped_configILNS1_25lookback_scan_determinismE0ES3_S7_PKaNS0_17constant_iteratorIjlEEPaPlSF_S6_NS0_8equal_toIaEEEE10hipError_tPvRmT2_T3_mT4_T5_T6_T7_T8_P12ihipStream_tbENKUlT_T0_E_clISt17integral_constantIbLb1EESY_IbLb0EEEEDaSU_SV_EUlSU_E_NS1_11comp_targetILNS1_3genE10ELNS1_11target_archE1200ELNS1_3gpuE4ELNS1_3repE0EEENS1_30default_config_static_selectorELNS0_4arch9wavefront6targetE0EEEvT1_.kd
    .uniform_work_group_size: 1
    .uses_dynamic_stack: false
    .vgpr_count:     0
    .vgpr_spill_count: 0
    .wavefront_size: 32
  - .args:
      - .offset:         0
        .size:           128
        .value_kind:     by_value
    .group_segment_fixed_size: 0
    .kernarg_segment_align: 8
    .kernarg_segment_size: 128
    .language:       OpenCL C
    .language_version:
      - 2
      - 0
    .max_flat_workgroup_size: 384
    .name:           _ZN7rocprim17ROCPRIM_400000_NS6detail17trampoline_kernelINS0_14default_configENS1_33run_length_encode_config_selectorIajNS0_4plusIjEEEEZZNS1_33reduce_by_key_impl_wrapped_configILNS1_25lookback_scan_determinismE0ES3_S7_PKaNS0_17constant_iteratorIjlEEPaPlSF_S6_NS0_8equal_toIaEEEE10hipError_tPvRmT2_T3_mT4_T5_T6_T7_T8_P12ihipStream_tbENKUlT_T0_E_clISt17integral_constantIbLb1EESY_IbLb0EEEEDaSU_SV_EUlSU_E_NS1_11comp_targetILNS1_3genE9ELNS1_11target_archE1100ELNS1_3gpuE3ELNS1_3repE0EEENS1_30default_config_static_selectorELNS0_4arch9wavefront6targetE0EEEvT1_
    .private_segment_fixed_size: 0
    .sgpr_count:     0
    .sgpr_spill_count: 0
    .symbol:         _ZN7rocprim17ROCPRIM_400000_NS6detail17trampoline_kernelINS0_14default_configENS1_33run_length_encode_config_selectorIajNS0_4plusIjEEEEZZNS1_33reduce_by_key_impl_wrapped_configILNS1_25lookback_scan_determinismE0ES3_S7_PKaNS0_17constant_iteratorIjlEEPaPlSF_S6_NS0_8equal_toIaEEEE10hipError_tPvRmT2_T3_mT4_T5_T6_T7_T8_P12ihipStream_tbENKUlT_T0_E_clISt17integral_constantIbLb1EESY_IbLb0EEEEDaSU_SV_EUlSU_E_NS1_11comp_targetILNS1_3genE9ELNS1_11target_archE1100ELNS1_3gpuE3ELNS1_3repE0EEENS1_30default_config_static_selectorELNS0_4arch9wavefront6targetE0EEEvT1_.kd
    .uniform_work_group_size: 1
    .uses_dynamic_stack: false
    .vgpr_count:     0
    .vgpr_spill_count: 0
    .wavefront_size: 32
  - .args:
      - .offset:         0
        .size:           128
        .value_kind:     by_value
    .group_segment_fixed_size: 0
    .kernarg_segment_align: 8
    .kernarg_segment_size: 128
    .language:       OpenCL C
    .language_version:
      - 2
      - 0
    .max_flat_workgroup_size: 384
    .name:           _ZN7rocprim17ROCPRIM_400000_NS6detail17trampoline_kernelINS0_14default_configENS1_33run_length_encode_config_selectorIajNS0_4plusIjEEEEZZNS1_33reduce_by_key_impl_wrapped_configILNS1_25lookback_scan_determinismE0ES3_S7_PKaNS0_17constant_iteratorIjlEEPaPlSF_S6_NS0_8equal_toIaEEEE10hipError_tPvRmT2_T3_mT4_T5_T6_T7_T8_P12ihipStream_tbENKUlT_T0_E_clISt17integral_constantIbLb1EESY_IbLb0EEEEDaSU_SV_EUlSU_E_NS1_11comp_targetILNS1_3genE8ELNS1_11target_archE1030ELNS1_3gpuE2ELNS1_3repE0EEENS1_30default_config_static_selectorELNS0_4arch9wavefront6targetE0EEEvT1_
    .private_segment_fixed_size: 0
    .sgpr_count:     0
    .sgpr_spill_count: 0
    .symbol:         _ZN7rocprim17ROCPRIM_400000_NS6detail17trampoline_kernelINS0_14default_configENS1_33run_length_encode_config_selectorIajNS0_4plusIjEEEEZZNS1_33reduce_by_key_impl_wrapped_configILNS1_25lookback_scan_determinismE0ES3_S7_PKaNS0_17constant_iteratorIjlEEPaPlSF_S6_NS0_8equal_toIaEEEE10hipError_tPvRmT2_T3_mT4_T5_T6_T7_T8_P12ihipStream_tbENKUlT_T0_E_clISt17integral_constantIbLb1EESY_IbLb0EEEEDaSU_SV_EUlSU_E_NS1_11comp_targetILNS1_3genE8ELNS1_11target_archE1030ELNS1_3gpuE2ELNS1_3repE0EEENS1_30default_config_static_selectorELNS0_4arch9wavefront6targetE0EEEvT1_.kd
    .uniform_work_group_size: 1
    .uses_dynamic_stack: false
    .vgpr_count:     0
    .vgpr_spill_count: 0
    .wavefront_size: 32
  - .args:
      - .offset:         0
        .size:           128
        .value_kind:     by_value
    .group_segment_fixed_size: 14336
    .kernarg_segment_align: 8
    .kernarg_segment_size: 128
    .language:       OpenCL C
    .language_version:
      - 2
      - 0
    .max_flat_workgroup_size: 256
    .name:           _ZN7rocprim17ROCPRIM_400000_NS6detail17trampoline_kernelINS0_14default_configENS1_33run_length_encode_config_selectorIajNS0_4plusIjEEEEZZNS1_33reduce_by_key_impl_wrapped_configILNS1_25lookback_scan_determinismE0ES3_S7_PKaNS0_17constant_iteratorIjlEEPaPlSF_S6_NS0_8equal_toIaEEEE10hipError_tPvRmT2_T3_mT4_T5_T6_T7_T8_P12ihipStream_tbENKUlT_T0_E_clISt17integral_constantIbLb0EESY_IbLb1EEEEDaSU_SV_EUlSU_E_NS1_11comp_targetILNS1_3genE0ELNS1_11target_archE4294967295ELNS1_3gpuE0ELNS1_3repE0EEENS1_30default_config_static_selectorELNS0_4arch9wavefront6targetE0EEEvT1_
    .private_segment_fixed_size: 0
    .sgpr_count:     45
    .sgpr_spill_count: 0
    .symbol:         _ZN7rocprim17ROCPRIM_400000_NS6detail17trampoline_kernelINS0_14default_configENS1_33run_length_encode_config_selectorIajNS0_4plusIjEEEEZZNS1_33reduce_by_key_impl_wrapped_configILNS1_25lookback_scan_determinismE0ES3_S7_PKaNS0_17constant_iteratorIjlEEPaPlSF_S6_NS0_8equal_toIaEEEE10hipError_tPvRmT2_T3_mT4_T5_T6_T7_T8_P12ihipStream_tbENKUlT_T0_E_clISt17integral_constantIbLb0EESY_IbLb1EEEEDaSU_SV_EUlSU_E_NS1_11comp_targetILNS1_3genE0ELNS1_11target_archE4294967295ELNS1_3gpuE0ELNS1_3repE0EEENS1_30default_config_static_selectorELNS0_4arch9wavefront6targetE0EEEvT1_.kd
    .uniform_work_group_size: 1
    .uses_dynamic_stack: false
    .vgpr_count:     104
    .vgpr_spill_count: 0
    .wavefront_size: 32
  - .args:
      - .offset:         0
        .size:           128
        .value_kind:     by_value
    .group_segment_fixed_size: 0
    .kernarg_segment_align: 8
    .kernarg_segment_size: 128
    .language:       OpenCL C
    .language_version:
      - 2
      - 0
    .max_flat_workgroup_size: 512
    .name:           _ZN7rocprim17ROCPRIM_400000_NS6detail17trampoline_kernelINS0_14default_configENS1_33run_length_encode_config_selectorIajNS0_4plusIjEEEEZZNS1_33reduce_by_key_impl_wrapped_configILNS1_25lookback_scan_determinismE0ES3_S7_PKaNS0_17constant_iteratorIjlEEPaPlSF_S6_NS0_8equal_toIaEEEE10hipError_tPvRmT2_T3_mT4_T5_T6_T7_T8_P12ihipStream_tbENKUlT_T0_E_clISt17integral_constantIbLb0EESY_IbLb1EEEEDaSU_SV_EUlSU_E_NS1_11comp_targetILNS1_3genE5ELNS1_11target_archE942ELNS1_3gpuE9ELNS1_3repE0EEENS1_30default_config_static_selectorELNS0_4arch9wavefront6targetE0EEEvT1_
    .private_segment_fixed_size: 0
    .sgpr_count:     0
    .sgpr_spill_count: 0
    .symbol:         _ZN7rocprim17ROCPRIM_400000_NS6detail17trampoline_kernelINS0_14default_configENS1_33run_length_encode_config_selectorIajNS0_4plusIjEEEEZZNS1_33reduce_by_key_impl_wrapped_configILNS1_25lookback_scan_determinismE0ES3_S7_PKaNS0_17constant_iteratorIjlEEPaPlSF_S6_NS0_8equal_toIaEEEE10hipError_tPvRmT2_T3_mT4_T5_T6_T7_T8_P12ihipStream_tbENKUlT_T0_E_clISt17integral_constantIbLb0EESY_IbLb1EEEEDaSU_SV_EUlSU_E_NS1_11comp_targetILNS1_3genE5ELNS1_11target_archE942ELNS1_3gpuE9ELNS1_3repE0EEENS1_30default_config_static_selectorELNS0_4arch9wavefront6targetE0EEEvT1_.kd
    .uniform_work_group_size: 1
    .uses_dynamic_stack: false
    .vgpr_count:     0
    .vgpr_spill_count: 0
    .wavefront_size: 32
  - .args:
      - .offset:         0
        .size:           128
        .value_kind:     by_value
    .group_segment_fixed_size: 0
    .kernarg_segment_align: 8
    .kernarg_segment_size: 128
    .language:       OpenCL C
    .language_version:
      - 2
      - 0
    .max_flat_workgroup_size: 256
    .name:           _ZN7rocprim17ROCPRIM_400000_NS6detail17trampoline_kernelINS0_14default_configENS1_33run_length_encode_config_selectorIajNS0_4plusIjEEEEZZNS1_33reduce_by_key_impl_wrapped_configILNS1_25lookback_scan_determinismE0ES3_S7_PKaNS0_17constant_iteratorIjlEEPaPlSF_S6_NS0_8equal_toIaEEEE10hipError_tPvRmT2_T3_mT4_T5_T6_T7_T8_P12ihipStream_tbENKUlT_T0_E_clISt17integral_constantIbLb0EESY_IbLb1EEEEDaSU_SV_EUlSU_E_NS1_11comp_targetILNS1_3genE4ELNS1_11target_archE910ELNS1_3gpuE8ELNS1_3repE0EEENS1_30default_config_static_selectorELNS0_4arch9wavefront6targetE0EEEvT1_
    .private_segment_fixed_size: 0
    .sgpr_count:     0
    .sgpr_spill_count: 0
    .symbol:         _ZN7rocprim17ROCPRIM_400000_NS6detail17trampoline_kernelINS0_14default_configENS1_33run_length_encode_config_selectorIajNS0_4plusIjEEEEZZNS1_33reduce_by_key_impl_wrapped_configILNS1_25lookback_scan_determinismE0ES3_S7_PKaNS0_17constant_iteratorIjlEEPaPlSF_S6_NS0_8equal_toIaEEEE10hipError_tPvRmT2_T3_mT4_T5_T6_T7_T8_P12ihipStream_tbENKUlT_T0_E_clISt17integral_constantIbLb0EESY_IbLb1EEEEDaSU_SV_EUlSU_E_NS1_11comp_targetILNS1_3genE4ELNS1_11target_archE910ELNS1_3gpuE8ELNS1_3repE0EEENS1_30default_config_static_selectorELNS0_4arch9wavefront6targetE0EEEvT1_.kd
    .uniform_work_group_size: 1
    .uses_dynamic_stack: false
    .vgpr_count:     0
    .vgpr_spill_count: 0
    .wavefront_size: 32
  - .args:
      - .offset:         0
        .size:           128
        .value_kind:     by_value
    .group_segment_fixed_size: 0
    .kernarg_segment_align: 8
    .kernarg_segment_size: 128
    .language:       OpenCL C
    .language_version:
      - 2
      - 0
    .max_flat_workgroup_size: 256
    .name:           _ZN7rocprim17ROCPRIM_400000_NS6detail17trampoline_kernelINS0_14default_configENS1_33run_length_encode_config_selectorIajNS0_4plusIjEEEEZZNS1_33reduce_by_key_impl_wrapped_configILNS1_25lookback_scan_determinismE0ES3_S7_PKaNS0_17constant_iteratorIjlEEPaPlSF_S6_NS0_8equal_toIaEEEE10hipError_tPvRmT2_T3_mT4_T5_T6_T7_T8_P12ihipStream_tbENKUlT_T0_E_clISt17integral_constantIbLb0EESY_IbLb1EEEEDaSU_SV_EUlSU_E_NS1_11comp_targetILNS1_3genE3ELNS1_11target_archE908ELNS1_3gpuE7ELNS1_3repE0EEENS1_30default_config_static_selectorELNS0_4arch9wavefront6targetE0EEEvT1_
    .private_segment_fixed_size: 0
    .sgpr_count:     0
    .sgpr_spill_count: 0
    .symbol:         _ZN7rocprim17ROCPRIM_400000_NS6detail17trampoline_kernelINS0_14default_configENS1_33run_length_encode_config_selectorIajNS0_4plusIjEEEEZZNS1_33reduce_by_key_impl_wrapped_configILNS1_25lookback_scan_determinismE0ES3_S7_PKaNS0_17constant_iteratorIjlEEPaPlSF_S6_NS0_8equal_toIaEEEE10hipError_tPvRmT2_T3_mT4_T5_T6_T7_T8_P12ihipStream_tbENKUlT_T0_E_clISt17integral_constantIbLb0EESY_IbLb1EEEEDaSU_SV_EUlSU_E_NS1_11comp_targetILNS1_3genE3ELNS1_11target_archE908ELNS1_3gpuE7ELNS1_3repE0EEENS1_30default_config_static_selectorELNS0_4arch9wavefront6targetE0EEEvT1_.kd
    .uniform_work_group_size: 1
    .uses_dynamic_stack: false
    .vgpr_count:     0
    .vgpr_spill_count: 0
    .wavefront_size: 32
  - .args:
      - .offset:         0
        .size:           128
        .value_kind:     by_value
    .group_segment_fixed_size: 0
    .kernarg_segment_align: 8
    .kernarg_segment_size: 128
    .language:       OpenCL C
    .language_version:
      - 2
      - 0
    .max_flat_workgroup_size: 256
    .name:           _ZN7rocprim17ROCPRIM_400000_NS6detail17trampoline_kernelINS0_14default_configENS1_33run_length_encode_config_selectorIajNS0_4plusIjEEEEZZNS1_33reduce_by_key_impl_wrapped_configILNS1_25lookback_scan_determinismE0ES3_S7_PKaNS0_17constant_iteratorIjlEEPaPlSF_S6_NS0_8equal_toIaEEEE10hipError_tPvRmT2_T3_mT4_T5_T6_T7_T8_P12ihipStream_tbENKUlT_T0_E_clISt17integral_constantIbLb0EESY_IbLb1EEEEDaSU_SV_EUlSU_E_NS1_11comp_targetILNS1_3genE2ELNS1_11target_archE906ELNS1_3gpuE6ELNS1_3repE0EEENS1_30default_config_static_selectorELNS0_4arch9wavefront6targetE0EEEvT1_
    .private_segment_fixed_size: 0
    .sgpr_count:     0
    .sgpr_spill_count: 0
    .symbol:         _ZN7rocprim17ROCPRIM_400000_NS6detail17trampoline_kernelINS0_14default_configENS1_33run_length_encode_config_selectorIajNS0_4plusIjEEEEZZNS1_33reduce_by_key_impl_wrapped_configILNS1_25lookback_scan_determinismE0ES3_S7_PKaNS0_17constant_iteratorIjlEEPaPlSF_S6_NS0_8equal_toIaEEEE10hipError_tPvRmT2_T3_mT4_T5_T6_T7_T8_P12ihipStream_tbENKUlT_T0_E_clISt17integral_constantIbLb0EESY_IbLb1EEEEDaSU_SV_EUlSU_E_NS1_11comp_targetILNS1_3genE2ELNS1_11target_archE906ELNS1_3gpuE6ELNS1_3repE0EEENS1_30default_config_static_selectorELNS0_4arch9wavefront6targetE0EEEvT1_.kd
    .uniform_work_group_size: 1
    .uses_dynamic_stack: false
    .vgpr_count:     0
    .vgpr_spill_count: 0
    .wavefront_size: 32
  - .args:
      - .offset:         0
        .size:           128
        .value_kind:     by_value
    .group_segment_fixed_size: 0
    .kernarg_segment_align: 8
    .kernarg_segment_size: 128
    .language:       OpenCL C
    .language_version:
      - 2
      - 0
    .max_flat_workgroup_size: 384
    .name:           _ZN7rocprim17ROCPRIM_400000_NS6detail17trampoline_kernelINS0_14default_configENS1_33run_length_encode_config_selectorIajNS0_4plusIjEEEEZZNS1_33reduce_by_key_impl_wrapped_configILNS1_25lookback_scan_determinismE0ES3_S7_PKaNS0_17constant_iteratorIjlEEPaPlSF_S6_NS0_8equal_toIaEEEE10hipError_tPvRmT2_T3_mT4_T5_T6_T7_T8_P12ihipStream_tbENKUlT_T0_E_clISt17integral_constantIbLb0EESY_IbLb1EEEEDaSU_SV_EUlSU_E_NS1_11comp_targetILNS1_3genE10ELNS1_11target_archE1201ELNS1_3gpuE5ELNS1_3repE0EEENS1_30default_config_static_selectorELNS0_4arch9wavefront6targetE0EEEvT1_
    .private_segment_fixed_size: 0
    .sgpr_count:     0
    .sgpr_spill_count: 0
    .symbol:         _ZN7rocprim17ROCPRIM_400000_NS6detail17trampoline_kernelINS0_14default_configENS1_33run_length_encode_config_selectorIajNS0_4plusIjEEEEZZNS1_33reduce_by_key_impl_wrapped_configILNS1_25lookback_scan_determinismE0ES3_S7_PKaNS0_17constant_iteratorIjlEEPaPlSF_S6_NS0_8equal_toIaEEEE10hipError_tPvRmT2_T3_mT4_T5_T6_T7_T8_P12ihipStream_tbENKUlT_T0_E_clISt17integral_constantIbLb0EESY_IbLb1EEEEDaSU_SV_EUlSU_E_NS1_11comp_targetILNS1_3genE10ELNS1_11target_archE1201ELNS1_3gpuE5ELNS1_3repE0EEENS1_30default_config_static_selectorELNS0_4arch9wavefront6targetE0EEEvT1_.kd
    .uniform_work_group_size: 1
    .uses_dynamic_stack: false
    .vgpr_count:     0
    .vgpr_spill_count: 0
    .wavefront_size: 32
  - .args:
      - .offset:         0
        .size:           128
        .value_kind:     by_value
    .group_segment_fixed_size: 0
    .kernarg_segment_align: 8
    .kernarg_segment_size: 128
    .language:       OpenCL C
    .language_version:
      - 2
      - 0
    .max_flat_workgroup_size: 384
    .name:           _ZN7rocprim17ROCPRIM_400000_NS6detail17trampoline_kernelINS0_14default_configENS1_33run_length_encode_config_selectorIajNS0_4plusIjEEEEZZNS1_33reduce_by_key_impl_wrapped_configILNS1_25lookback_scan_determinismE0ES3_S7_PKaNS0_17constant_iteratorIjlEEPaPlSF_S6_NS0_8equal_toIaEEEE10hipError_tPvRmT2_T3_mT4_T5_T6_T7_T8_P12ihipStream_tbENKUlT_T0_E_clISt17integral_constantIbLb0EESY_IbLb1EEEEDaSU_SV_EUlSU_E_NS1_11comp_targetILNS1_3genE10ELNS1_11target_archE1200ELNS1_3gpuE4ELNS1_3repE0EEENS1_30default_config_static_selectorELNS0_4arch9wavefront6targetE0EEEvT1_
    .private_segment_fixed_size: 0
    .sgpr_count:     0
    .sgpr_spill_count: 0
    .symbol:         _ZN7rocprim17ROCPRIM_400000_NS6detail17trampoline_kernelINS0_14default_configENS1_33run_length_encode_config_selectorIajNS0_4plusIjEEEEZZNS1_33reduce_by_key_impl_wrapped_configILNS1_25lookback_scan_determinismE0ES3_S7_PKaNS0_17constant_iteratorIjlEEPaPlSF_S6_NS0_8equal_toIaEEEE10hipError_tPvRmT2_T3_mT4_T5_T6_T7_T8_P12ihipStream_tbENKUlT_T0_E_clISt17integral_constantIbLb0EESY_IbLb1EEEEDaSU_SV_EUlSU_E_NS1_11comp_targetILNS1_3genE10ELNS1_11target_archE1200ELNS1_3gpuE4ELNS1_3repE0EEENS1_30default_config_static_selectorELNS0_4arch9wavefront6targetE0EEEvT1_.kd
    .uniform_work_group_size: 1
    .uses_dynamic_stack: false
    .vgpr_count:     0
    .vgpr_spill_count: 0
    .wavefront_size: 32
  - .args:
      - .offset:         0
        .size:           128
        .value_kind:     by_value
    .group_segment_fixed_size: 0
    .kernarg_segment_align: 8
    .kernarg_segment_size: 128
    .language:       OpenCL C
    .language_version:
      - 2
      - 0
    .max_flat_workgroup_size: 384
    .name:           _ZN7rocprim17ROCPRIM_400000_NS6detail17trampoline_kernelINS0_14default_configENS1_33run_length_encode_config_selectorIajNS0_4plusIjEEEEZZNS1_33reduce_by_key_impl_wrapped_configILNS1_25lookback_scan_determinismE0ES3_S7_PKaNS0_17constant_iteratorIjlEEPaPlSF_S6_NS0_8equal_toIaEEEE10hipError_tPvRmT2_T3_mT4_T5_T6_T7_T8_P12ihipStream_tbENKUlT_T0_E_clISt17integral_constantIbLb0EESY_IbLb1EEEEDaSU_SV_EUlSU_E_NS1_11comp_targetILNS1_3genE9ELNS1_11target_archE1100ELNS1_3gpuE3ELNS1_3repE0EEENS1_30default_config_static_selectorELNS0_4arch9wavefront6targetE0EEEvT1_
    .private_segment_fixed_size: 0
    .sgpr_count:     0
    .sgpr_spill_count: 0
    .symbol:         _ZN7rocprim17ROCPRIM_400000_NS6detail17trampoline_kernelINS0_14default_configENS1_33run_length_encode_config_selectorIajNS0_4plusIjEEEEZZNS1_33reduce_by_key_impl_wrapped_configILNS1_25lookback_scan_determinismE0ES3_S7_PKaNS0_17constant_iteratorIjlEEPaPlSF_S6_NS0_8equal_toIaEEEE10hipError_tPvRmT2_T3_mT4_T5_T6_T7_T8_P12ihipStream_tbENKUlT_T0_E_clISt17integral_constantIbLb0EESY_IbLb1EEEEDaSU_SV_EUlSU_E_NS1_11comp_targetILNS1_3genE9ELNS1_11target_archE1100ELNS1_3gpuE3ELNS1_3repE0EEENS1_30default_config_static_selectorELNS0_4arch9wavefront6targetE0EEEvT1_.kd
    .uniform_work_group_size: 1
    .uses_dynamic_stack: false
    .vgpr_count:     0
    .vgpr_spill_count: 0
    .wavefront_size: 32
  - .args:
      - .offset:         0
        .size:           128
        .value_kind:     by_value
    .group_segment_fixed_size: 0
    .kernarg_segment_align: 8
    .kernarg_segment_size: 128
    .language:       OpenCL C
    .language_version:
      - 2
      - 0
    .max_flat_workgroup_size: 384
    .name:           _ZN7rocprim17ROCPRIM_400000_NS6detail17trampoline_kernelINS0_14default_configENS1_33run_length_encode_config_selectorIajNS0_4plusIjEEEEZZNS1_33reduce_by_key_impl_wrapped_configILNS1_25lookback_scan_determinismE0ES3_S7_PKaNS0_17constant_iteratorIjlEEPaPlSF_S6_NS0_8equal_toIaEEEE10hipError_tPvRmT2_T3_mT4_T5_T6_T7_T8_P12ihipStream_tbENKUlT_T0_E_clISt17integral_constantIbLb0EESY_IbLb1EEEEDaSU_SV_EUlSU_E_NS1_11comp_targetILNS1_3genE8ELNS1_11target_archE1030ELNS1_3gpuE2ELNS1_3repE0EEENS1_30default_config_static_selectorELNS0_4arch9wavefront6targetE0EEEvT1_
    .private_segment_fixed_size: 0
    .sgpr_count:     0
    .sgpr_spill_count: 0
    .symbol:         _ZN7rocprim17ROCPRIM_400000_NS6detail17trampoline_kernelINS0_14default_configENS1_33run_length_encode_config_selectorIajNS0_4plusIjEEEEZZNS1_33reduce_by_key_impl_wrapped_configILNS1_25lookback_scan_determinismE0ES3_S7_PKaNS0_17constant_iteratorIjlEEPaPlSF_S6_NS0_8equal_toIaEEEE10hipError_tPvRmT2_T3_mT4_T5_T6_T7_T8_P12ihipStream_tbENKUlT_T0_E_clISt17integral_constantIbLb0EESY_IbLb1EEEEDaSU_SV_EUlSU_E_NS1_11comp_targetILNS1_3genE8ELNS1_11target_archE1030ELNS1_3gpuE2ELNS1_3repE0EEENS1_30default_config_static_selectorELNS0_4arch9wavefront6targetE0EEEvT1_.kd
    .uniform_work_group_size: 1
    .uses_dynamic_stack: false
    .vgpr_count:     0
    .vgpr_spill_count: 0
    .wavefront_size: 32
  - .args:
      - .offset:         0
        .size:           8
        .value_kind:     by_value
      - .address_space:  global
        .offset:         8
        .size:           8
        .value_kind:     global_buffer
      - .address_space:  global
        .offset:         16
        .size:           8
        .value_kind:     global_buffer
      - .offset:         24
        .size:           4
        .value_kind:     hidden_block_count_x
      - .offset:         28
        .size:           4
        .value_kind:     hidden_block_count_y
      - .offset:         32
        .size:           4
        .value_kind:     hidden_block_count_z
      - .offset:         36
        .size:           2
        .value_kind:     hidden_group_size_x
      - .offset:         38
        .size:           2
        .value_kind:     hidden_group_size_y
      - .offset:         40
        .size:           2
        .value_kind:     hidden_group_size_z
      - .offset:         42
        .size:           2
        .value_kind:     hidden_remainder_x
      - .offset:         44
        .size:           2
        .value_kind:     hidden_remainder_y
      - .offset:         46
        .size:           2
        .value_kind:     hidden_remainder_z
      - .offset:         64
        .size:           8
        .value_kind:     hidden_global_offset_x
      - .offset:         72
        .size:           8
        .value_kind:     hidden_global_offset_y
      - .offset:         80
        .size:           8
        .value_kind:     hidden_global_offset_z
      - .offset:         88
        .size:           2
        .value_kind:     hidden_grid_dims
    .group_segment_fixed_size: 0
    .kernarg_segment_align: 8
    .kernarg_segment_size: 280
    .language:       OpenCL C
    .language_version:
      - 2
      - 0
    .max_flat_workgroup_size: 1024
    .name:           _ZN2at6native8internal12_GLOBAL__N_126adjacent_difference_kernelIPKdEEvlT_Pi
    .private_segment_fixed_size: 0
    .sgpr_count:     20
    .sgpr_spill_count: 0
    .symbol:         _ZN2at6native8internal12_GLOBAL__N_126adjacent_difference_kernelIPKdEEvlT_Pi.kd
    .uniform_work_group_size: 1
    .uses_dynamic_stack: false
    .vgpr_count:     12
    .vgpr_spill_count: 0
    .wavefront_size: 32
  - .args:
      - .offset:         0
        .size:           112
        .value_kind:     by_value
    .group_segment_fixed_size: 28680
    .kernarg_segment_align: 8
    .kernarg_segment_size: 112
    .language:       OpenCL C
    .language_version:
      - 2
      - 0
    .max_flat_workgroup_size: 512
    .name:           _ZN7rocprim17ROCPRIM_400000_NS6detail17trampoline_kernelINS0_14default_configENS1_25partition_config_selectorILNS1_17partition_subalgoE8EdNS0_10empty_typeEbEEZZNS1_14partition_implILS5_8ELb0ES3_jPKdPS6_PKS6_NS0_5tupleIJPdS6_EEENSE_IJSB_SB_EEENS0_18inequality_wrapperIN6hipcub16HIPCUB_304000_NS8EqualityEEEPlJS6_EEE10hipError_tPvRmT3_T4_T5_T6_T7_T9_mT8_P12ihipStream_tbDpT10_ENKUlT_T0_E_clISt17integral_constantIbLb0EES17_EEDaS12_S13_EUlS12_E_NS1_11comp_targetILNS1_3genE0ELNS1_11target_archE4294967295ELNS1_3gpuE0ELNS1_3repE0EEENS1_30default_config_static_selectorELNS0_4arch9wavefront6targetE0EEEvT1_
    .private_segment_fixed_size: 0
    .sgpr_count:     26
    .sgpr_spill_count: 0
    .symbol:         _ZN7rocprim17ROCPRIM_400000_NS6detail17trampoline_kernelINS0_14default_configENS1_25partition_config_selectorILNS1_17partition_subalgoE8EdNS0_10empty_typeEbEEZZNS1_14partition_implILS5_8ELb0ES3_jPKdPS6_PKS6_NS0_5tupleIJPdS6_EEENSE_IJSB_SB_EEENS0_18inequality_wrapperIN6hipcub16HIPCUB_304000_NS8EqualityEEEPlJS6_EEE10hipError_tPvRmT3_T4_T5_T6_T7_T9_mT8_P12ihipStream_tbDpT10_ENKUlT_T0_E_clISt17integral_constantIbLb0EES17_EEDaS12_S13_EUlS12_E_NS1_11comp_targetILNS1_3genE0ELNS1_11target_archE4294967295ELNS1_3gpuE0ELNS1_3repE0EEENS1_30default_config_static_selectorELNS0_4arch9wavefront6targetE0EEEvT1_.kd
    .uniform_work_group_size: 1
    .uses_dynamic_stack: false
    .vgpr_count:     55
    .vgpr_spill_count: 0
    .wavefront_size: 32
  - .args:
      - .offset:         0
        .size:           112
        .value_kind:     by_value
    .group_segment_fixed_size: 0
    .kernarg_segment_align: 8
    .kernarg_segment_size: 112
    .language:       OpenCL C
    .language_version:
      - 2
      - 0
    .max_flat_workgroup_size: 512
    .name:           _ZN7rocprim17ROCPRIM_400000_NS6detail17trampoline_kernelINS0_14default_configENS1_25partition_config_selectorILNS1_17partition_subalgoE8EdNS0_10empty_typeEbEEZZNS1_14partition_implILS5_8ELb0ES3_jPKdPS6_PKS6_NS0_5tupleIJPdS6_EEENSE_IJSB_SB_EEENS0_18inequality_wrapperIN6hipcub16HIPCUB_304000_NS8EqualityEEEPlJS6_EEE10hipError_tPvRmT3_T4_T5_T6_T7_T9_mT8_P12ihipStream_tbDpT10_ENKUlT_T0_E_clISt17integral_constantIbLb0EES17_EEDaS12_S13_EUlS12_E_NS1_11comp_targetILNS1_3genE5ELNS1_11target_archE942ELNS1_3gpuE9ELNS1_3repE0EEENS1_30default_config_static_selectorELNS0_4arch9wavefront6targetE0EEEvT1_
    .private_segment_fixed_size: 0
    .sgpr_count:     0
    .sgpr_spill_count: 0
    .symbol:         _ZN7rocprim17ROCPRIM_400000_NS6detail17trampoline_kernelINS0_14default_configENS1_25partition_config_selectorILNS1_17partition_subalgoE8EdNS0_10empty_typeEbEEZZNS1_14partition_implILS5_8ELb0ES3_jPKdPS6_PKS6_NS0_5tupleIJPdS6_EEENSE_IJSB_SB_EEENS0_18inequality_wrapperIN6hipcub16HIPCUB_304000_NS8EqualityEEEPlJS6_EEE10hipError_tPvRmT3_T4_T5_T6_T7_T9_mT8_P12ihipStream_tbDpT10_ENKUlT_T0_E_clISt17integral_constantIbLb0EES17_EEDaS12_S13_EUlS12_E_NS1_11comp_targetILNS1_3genE5ELNS1_11target_archE942ELNS1_3gpuE9ELNS1_3repE0EEENS1_30default_config_static_selectorELNS0_4arch9wavefront6targetE0EEEvT1_.kd
    .uniform_work_group_size: 1
    .uses_dynamic_stack: false
    .vgpr_count:     0
    .vgpr_spill_count: 0
    .wavefront_size: 32
  - .args:
      - .offset:         0
        .size:           112
        .value_kind:     by_value
    .group_segment_fixed_size: 0
    .kernarg_segment_align: 8
    .kernarg_segment_size: 112
    .language:       OpenCL C
    .language_version:
      - 2
      - 0
    .max_flat_workgroup_size: 256
    .name:           _ZN7rocprim17ROCPRIM_400000_NS6detail17trampoline_kernelINS0_14default_configENS1_25partition_config_selectorILNS1_17partition_subalgoE8EdNS0_10empty_typeEbEEZZNS1_14partition_implILS5_8ELb0ES3_jPKdPS6_PKS6_NS0_5tupleIJPdS6_EEENSE_IJSB_SB_EEENS0_18inequality_wrapperIN6hipcub16HIPCUB_304000_NS8EqualityEEEPlJS6_EEE10hipError_tPvRmT3_T4_T5_T6_T7_T9_mT8_P12ihipStream_tbDpT10_ENKUlT_T0_E_clISt17integral_constantIbLb0EES17_EEDaS12_S13_EUlS12_E_NS1_11comp_targetILNS1_3genE4ELNS1_11target_archE910ELNS1_3gpuE8ELNS1_3repE0EEENS1_30default_config_static_selectorELNS0_4arch9wavefront6targetE0EEEvT1_
    .private_segment_fixed_size: 0
    .sgpr_count:     0
    .sgpr_spill_count: 0
    .symbol:         _ZN7rocprim17ROCPRIM_400000_NS6detail17trampoline_kernelINS0_14default_configENS1_25partition_config_selectorILNS1_17partition_subalgoE8EdNS0_10empty_typeEbEEZZNS1_14partition_implILS5_8ELb0ES3_jPKdPS6_PKS6_NS0_5tupleIJPdS6_EEENSE_IJSB_SB_EEENS0_18inequality_wrapperIN6hipcub16HIPCUB_304000_NS8EqualityEEEPlJS6_EEE10hipError_tPvRmT3_T4_T5_T6_T7_T9_mT8_P12ihipStream_tbDpT10_ENKUlT_T0_E_clISt17integral_constantIbLb0EES17_EEDaS12_S13_EUlS12_E_NS1_11comp_targetILNS1_3genE4ELNS1_11target_archE910ELNS1_3gpuE8ELNS1_3repE0EEENS1_30default_config_static_selectorELNS0_4arch9wavefront6targetE0EEEvT1_.kd
    .uniform_work_group_size: 1
    .uses_dynamic_stack: false
    .vgpr_count:     0
    .vgpr_spill_count: 0
    .wavefront_size: 32
  - .args:
      - .offset:         0
        .size:           112
        .value_kind:     by_value
    .group_segment_fixed_size: 0
    .kernarg_segment_align: 8
    .kernarg_segment_size: 112
    .language:       OpenCL C
    .language_version:
      - 2
      - 0
    .max_flat_workgroup_size: 512
    .name:           _ZN7rocprim17ROCPRIM_400000_NS6detail17trampoline_kernelINS0_14default_configENS1_25partition_config_selectorILNS1_17partition_subalgoE8EdNS0_10empty_typeEbEEZZNS1_14partition_implILS5_8ELb0ES3_jPKdPS6_PKS6_NS0_5tupleIJPdS6_EEENSE_IJSB_SB_EEENS0_18inequality_wrapperIN6hipcub16HIPCUB_304000_NS8EqualityEEEPlJS6_EEE10hipError_tPvRmT3_T4_T5_T6_T7_T9_mT8_P12ihipStream_tbDpT10_ENKUlT_T0_E_clISt17integral_constantIbLb0EES17_EEDaS12_S13_EUlS12_E_NS1_11comp_targetILNS1_3genE3ELNS1_11target_archE908ELNS1_3gpuE7ELNS1_3repE0EEENS1_30default_config_static_selectorELNS0_4arch9wavefront6targetE0EEEvT1_
    .private_segment_fixed_size: 0
    .sgpr_count:     0
    .sgpr_spill_count: 0
    .symbol:         _ZN7rocprim17ROCPRIM_400000_NS6detail17trampoline_kernelINS0_14default_configENS1_25partition_config_selectorILNS1_17partition_subalgoE8EdNS0_10empty_typeEbEEZZNS1_14partition_implILS5_8ELb0ES3_jPKdPS6_PKS6_NS0_5tupleIJPdS6_EEENSE_IJSB_SB_EEENS0_18inequality_wrapperIN6hipcub16HIPCUB_304000_NS8EqualityEEEPlJS6_EEE10hipError_tPvRmT3_T4_T5_T6_T7_T9_mT8_P12ihipStream_tbDpT10_ENKUlT_T0_E_clISt17integral_constantIbLb0EES17_EEDaS12_S13_EUlS12_E_NS1_11comp_targetILNS1_3genE3ELNS1_11target_archE908ELNS1_3gpuE7ELNS1_3repE0EEENS1_30default_config_static_selectorELNS0_4arch9wavefront6targetE0EEEvT1_.kd
    .uniform_work_group_size: 1
    .uses_dynamic_stack: false
    .vgpr_count:     0
    .vgpr_spill_count: 0
    .wavefront_size: 32
  - .args:
      - .offset:         0
        .size:           112
        .value_kind:     by_value
    .group_segment_fixed_size: 0
    .kernarg_segment_align: 8
    .kernarg_segment_size: 112
    .language:       OpenCL C
    .language_version:
      - 2
      - 0
    .max_flat_workgroup_size: 256
    .name:           _ZN7rocprim17ROCPRIM_400000_NS6detail17trampoline_kernelINS0_14default_configENS1_25partition_config_selectorILNS1_17partition_subalgoE8EdNS0_10empty_typeEbEEZZNS1_14partition_implILS5_8ELb0ES3_jPKdPS6_PKS6_NS0_5tupleIJPdS6_EEENSE_IJSB_SB_EEENS0_18inequality_wrapperIN6hipcub16HIPCUB_304000_NS8EqualityEEEPlJS6_EEE10hipError_tPvRmT3_T4_T5_T6_T7_T9_mT8_P12ihipStream_tbDpT10_ENKUlT_T0_E_clISt17integral_constantIbLb0EES17_EEDaS12_S13_EUlS12_E_NS1_11comp_targetILNS1_3genE2ELNS1_11target_archE906ELNS1_3gpuE6ELNS1_3repE0EEENS1_30default_config_static_selectorELNS0_4arch9wavefront6targetE0EEEvT1_
    .private_segment_fixed_size: 0
    .sgpr_count:     0
    .sgpr_spill_count: 0
    .symbol:         _ZN7rocprim17ROCPRIM_400000_NS6detail17trampoline_kernelINS0_14default_configENS1_25partition_config_selectorILNS1_17partition_subalgoE8EdNS0_10empty_typeEbEEZZNS1_14partition_implILS5_8ELb0ES3_jPKdPS6_PKS6_NS0_5tupleIJPdS6_EEENSE_IJSB_SB_EEENS0_18inequality_wrapperIN6hipcub16HIPCUB_304000_NS8EqualityEEEPlJS6_EEE10hipError_tPvRmT3_T4_T5_T6_T7_T9_mT8_P12ihipStream_tbDpT10_ENKUlT_T0_E_clISt17integral_constantIbLb0EES17_EEDaS12_S13_EUlS12_E_NS1_11comp_targetILNS1_3genE2ELNS1_11target_archE906ELNS1_3gpuE6ELNS1_3repE0EEENS1_30default_config_static_selectorELNS0_4arch9wavefront6targetE0EEEvT1_.kd
    .uniform_work_group_size: 1
    .uses_dynamic_stack: false
    .vgpr_count:     0
    .vgpr_spill_count: 0
    .wavefront_size: 32
  - .args:
      - .offset:         0
        .size:           112
        .value_kind:     by_value
    .group_segment_fixed_size: 0
    .kernarg_segment_align: 8
    .kernarg_segment_size: 112
    .language:       OpenCL C
    .language_version:
      - 2
      - 0
    .max_flat_workgroup_size: 384
    .name:           _ZN7rocprim17ROCPRIM_400000_NS6detail17trampoline_kernelINS0_14default_configENS1_25partition_config_selectorILNS1_17partition_subalgoE8EdNS0_10empty_typeEbEEZZNS1_14partition_implILS5_8ELb0ES3_jPKdPS6_PKS6_NS0_5tupleIJPdS6_EEENSE_IJSB_SB_EEENS0_18inequality_wrapperIN6hipcub16HIPCUB_304000_NS8EqualityEEEPlJS6_EEE10hipError_tPvRmT3_T4_T5_T6_T7_T9_mT8_P12ihipStream_tbDpT10_ENKUlT_T0_E_clISt17integral_constantIbLb0EES17_EEDaS12_S13_EUlS12_E_NS1_11comp_targetILNS1_3genE10ELNS1_11target_archE1200ELNS1_3gpuE4ELNS1_3repE0EEENS1_30default_config_static_selectorELNS0_4arch9wavefront6targetE0EEEvT1_
    .private_segment_fixed_size: 0
    .sgpr_count:     0
    .sgpr_spill_count: 0
    .symbol:         _ZN7rocprim17ROCPRIM_400000_NS6detail17trampoline_kernelINS0_14default_configENS1_25partition_config_selectorILNS1_17partition_subalgoE8EdNS0_10empty_typeEbEEZZNS1_14partition_implILS5_8ELb0ES3_jPKdPS6_PKS6_NS0_5tupleIJPdS6_EEENSE_IJSB_SB_EEENS0_18inequality_wrapperIN6hipcub16HIPCUB_304000_NS8EqualityEEEPlJS6_EEE10hipError_tPvRmT3_T4_T5_T6_T7_T9_mT8_P12ihipStream_tbDpT10_ENKUlT_T0_E_clISt17integral_constantIbLb0EES17_EEDaS12_S13_EUlS12_E_NS1_11comp_targetILNS1_3genE10ELNS1_11target_archE1200ELNS1_3gpuE4ELNS1_3repE0EEENS1_30default_config_static_selectorELNS0_4arch9wavefront6targetE0EEEvT1_.kd
    .uniform_work_group_size: 1
    .uses_dynamic_stack: false
    .vgpr_count:     0
    .vgpr_spill_count: 0
    .wavefront_size: 32
  - .args:
      - .offset:         0
        .size:           112
        .value_kind:     by_value
    .group_segment_fixed_size: 0
    .kernarg_segment_align: 8
    .kernarg_segment_size: 112
    .language:       OpenCL C
    .language_version:
      - 2
      - 0
    .max_flat_workgroup_size: 512
    .name:           _ZN7rocprim17ROCPRIM_400000_NS6detail17trampoline_kernelINS0_14default_configENS1_25partition_config_selectorILNS1_17partition_subalgoE8EdNS0_10empty_typeEbEEZZNS1_14partition_implILS5_8ELb0ES3_jPKdPS6_PKS6_NS0_5tupleIJPdS6_EEENSE_IJSB_SB_EEENS0_18inequality_wrapperIN6hipcub16HIPCUB_304000_NS8EqualityEEEPlJS6_EEE10hipError_tPvRmT3_T4_T5_T6_T7_T9_mT8_P12ihipStream_tbDpT10_ENKUlT_T0_E_clISt17integral_constantIbLb0EES17_EEDaS12_S13_EUlS12_E_NS1_11comp_targetILNS1_3genE9ELNS1_11target_archE1100ELNS1_3gpuE3ELNS1_3repE0EEENS1_30default_config_static_selectorELNS0_4arch9wavefront6targetE0EEEvT1_
    .private_segment_fixed_size: 0
    .sgpr_count:     0
    .sgpr_spill_count: 0
    .symbol:         _ZN7rocprim17ROCPRIM_400000_NS6detail17trampoline_kernelINS0_14default_configENS1_25partition_config_selectorILNS1_17partition_subalgoE8EdNS0_10empty_typeEbEEZZNS1_14partition_implILS5_8ELb0ES3_jPKdPS6_PKS6_NS0_5tupleIJPdS6_EEENSE_IJSB_SB_EEENS0_18inequality_wrapperIN6hipcub16HIPCUB_304000_NS8EqualityEEEPlJS6_EEE10hipError_tPvRmT3_T4_T5_T6_T7_T9_mT8_P12ihipStream_tbDpT10_ENKUlT_T0_E_clISt17integral_constantIbLb0EES17_EEDaS12_S13_EUlS12_E_NS1_11comp_targetILNS1_3genE9ELNS1_11target_archE1100ELNS1_3gpuE3ELNS1_3repE0EEENS1_30default_config_static_selectorELNS0_4arch9wavefront6targetE0EEEvT1_.kd
    .uniform_work_group_size: 1
    .uses_dynamic_stack: false
    .vgpr_count:     0
    .vgpr_spill_count: 0
    .wavefront_size: 32
  - .args:
      - .offset:         0
        .size:           112
        .value_kind:     by_value
    .group_segment_fixed_size: 0
    .kernarg_segment_align: 8
    .kernarg_segment_size: 112
    .language:       OpenCL C
    .language_version:
      - 2
      - 0
    .max_flat_workgroup_size: 512
    .name:           _ZN7rocprim17ROCPRIM_400000_NS6detail17trampoline_kernelINS0_14default_configENS1_25partition_config_selectorILNS1_17partition_subalgoE8EdNS0_10empty_typeEbEEZZNS1_14partition_implILS5_8ELb0ES3_jPKdPS6_PKS6_NS0_5tupleIJPdS6_EEENSE_IJSB_SB_EEENS0_18inequality_wrapperIN6hipcub16HIPCUB_304000_NS8EqualityEEEPlJS6_EEE10hipError_tPvRmT3_T4_T5_T6_T7_T9_mT8_P12ihipStream_tbDpT10_ENKUlT_T0_E_clISt17integral_constantIbLb0EES17_EEDaS12_S13_EUlS12_E_NS1_11comp_targetILNS1_3genE8ELNS1_11target_archE1030ELNS1_3gpuE2ELNS1_3repE0EEENS1_30default_config_static_selectorELNS0_4arch9wavefront6targetE0EEEvT1_
    .private_segment_fixed_size: 0
    .sgpr_count:     0
    .sgpr_spill_count: 0
    .symbol:         _ZN7rocprim17ROCPRIM_400000_NS6detail17trampoline_kernelINS0_14default_configENS1_25partition_config_selectorILNS1_17partition_subalgoE8EdNS0_10empty_typeEbEEZZNS1_14partition_implILS5_8ELb0ES3_jPKdPS6_PKS6_NS0_5tupleIJPdS6_EEENSE_IJSB_SB_EEENS0_18inequality_wrapperIN6hipcub16HIPCUB_304000_NS8EqualityEEEPlJS6_EEE10hipError_tPvRmT3_T4_T5_T6_T7_T9_mT8_P12ihipStream_tbDpT10_ENKUlT_T0_E_clISt17integral_constantIbLb0EES17_EEDaS12_S13_EUlS12_E_NS1_11comp_targetILNS1_3genE8ELNS1_11target_archE1030ELNS1_3gpuE2ELNS1_3repE0EEENS1_30default_config_static_selectorELNS0_4arch9wavefront6targetE0EEEvT1_.kd
    .uniform_work_group_size: 1
    .uses_dynamic_stack: false
    .vgpr_count:     0
    .vgpr_spill_count: 0
    .wavefront_size: 32
  - .args:
      - .offset:         0
        .size:           128
        .value_kind:     by_value
    .group_segment_fixed_size: 0
    .kernarg_segment_align: 8
    .kernarg_segment_size: 128
    .language:       OpenCL C
    .language_version:
      - 2
      - 0
    .max_flat_workgroup_size: 512
    .name:           _ZN7rocprim17ROCPRIM_400000_NS6detail17trampoline_kernelINS0_14default_configENS1_25partition_config_selectorILNS1_17partition_subalgoE8EdNS0_10empty_typeEbEEZZNS1_14partition_implILS5_8ELb0ES3_jPKdPS6_PKS6_NS0_5tupleIJPdS6_EEENSE_IJSB_SB_EEENS0_18inequality_wrapperIN6hipcub16HIPCUB_304000_NS8EqualityEEEPlJS6_EEE10hipError_tPvRmT3_T4_T5_T6_T7_T9_mT8_P12ihipStream_tbDpT10_ENKUlT_T0_E_clISt17integral_constantIbLb1EES17_EEDaS12_S13_EUlS12_E_NS1_11comp_targetILNS1_3genE0ELNS1_11target_archE4294967295ELNS1_3gpuE0ELNS1_3repE0EEENS1_30default_config_static_selectorELNS0_4arch9wavefront6targetE0EEEvT1_
    .private_segment_fixed_size: 0
    .sgpr_count:     0
    .sgpr_spill_count: 0
    .symbol:         _ZN7rocprim17ROCPRIM_400000_NS6detail17trampoline_kernelINS0_14default_configENS1_25partition_config_selectorILNS1_17partition_subalgoE8EdNS0_10empty_typeEbEEZZNS1_14partition_implILS5_8ELb0ES3_jPKdPS6_PKS6_NS0_5tupleIJPdS6_EEENSE_IJSB_SB_EEENS0_18inequality_wrapperIN6hipcub16HIPCUB_304000_NS8EqualityEEEPlJS6_EEE10hipError_tPvRmT3_T4_T5_T6_T7_T9_mT8_P12ihipStream_tbDpT10_ENKUlT_T0_E_clISt17integral_constantIbLb1EES17_EEDaS12_S13_EUlS12_E_NS1_11comp_targetILNS1_3genE0ELNS1_11target_archE4294967295ELNS1_3gpuE0ELNS1_3repE0EEENS1_30default_config_static_selectorELNS0_4arch9wavefront6targetE0EEEvT1_.kd
    .uniform_work_group_size: 1
    .uses_dynamic_stack: false
    .vgpr_count:     0
    .vgpr_spill_count: 0
    .wavefront_size: 32
  - .args:
      - .offset:         0
        .size:           128
        .value_kind:     by_value
    .group_segment_fixed_size: 0
    .kernarg_segment_align: 8
    .kernarg_segment_size: 128
    .language:       OpenCL C
    .language_version:
      - 2
      - 0
    .max_flat_workgroup_size: 512
    .name:           _ZN7rocprim17ROCPRIM_400000_NS6detail17trampoline_kernelINS0_14default_configENS1_25partition_config_selectorILNS1_17partition_subalgoE8EdNS0_10empty_typeEbEEZZNS1_14partition_implILS5_8ELb0ES3_jPKdPS6_PKS6_NS0_5tupleIJPdS6_EEENSE_IJSB_SB_EEENS0_18inequality_wrapperIN6hipcub16HIPCUB_304000_NS8EqualityEEEPlJS6_EEE10hipError_tPvRmT3_T4_T5_T6_T7_T9_mT8_P12ihipStream_tbDpT10_ENKUlT_T0_E_clISt17integral_constantIbLb1EES17_EEDaS12_S13_EUlS12_E_NS1_11comp_targetILNS1_3genE5ELNS1_11target_archE942ELNS1_3gpuE9ELNS1_3repE0EEENS1_30default_config_static_selectorELNS0_4arch9wavefront6targetE0EEEvT1_
    .private_segment_fixed_size: 0
    .sgpr_count:     0
    .sgpr_spill_count: 0
    .symbol:         _ZN7rocprim17ROCPRIM_400000_NS6detail17trampoline_kernelINS0_14default_configENS1_25partition_config_selectorILNS1_17partition_subalgoE8EdNS0_10empty_typeEbEEZZNS1_14partition_implILS5_8ELb0ES3_jPKdPS6_PKS6_NS0_5tupleIJPdS6_EEENSE_IJSB_SB_EEENS0_18inequality_wrapperIN6hipcub16HIPCUB_304000_NS8EqualityEEEPlJS6_EEE10hipError_tPvRmT3_T4_T5_T6_T7_T9_mT8_P12ihipStream_tbDpT10_ENKUlT_T0_E_clISt17integral_constantIbLb1EES17_EEDaS12_S13_EUlS12_E_NS1_11comp_targetILNS1_3genE5ELNS1_11target_archE942ELNS1_3gpuE9ELNS1_3repE0EEENS1_30default_config_static_selectorELNS0_4arch9wavefront6targetE0EEEvT1_.kd
    .uniform_work_group_size: 1
    .uses_dynamic_stack: false
    .vgpr_count:     0
    .vgpr_spill_count: 0
    .wavefront_size: 32
  - .args:
      - .offset:         0
        .size:           128
        .value_kind:     by_value
    .group_segment_fixed_size: 0
    .kernarg_segment_align: 8
    .kernarg_segment_size: 128
    .language:       OpenCL C
    .language_version:
      - 2
      - 0
    .max_flat_workgroup_size: 256
    .name:           _ZN7rocprim17ROCPRIM_400000_NS6detail17trampoline_kernelINS0_14default_configENS1_25partition_config_selectorILNS1_17partition_subalgoE8EdNS0_10empty_typeEbEEZZNS1_14partition_implILS5_8ELb0ES3_jPKdPS6_PKS6_NS0_5tupleIJPdS6_EEENSE_IJSB_SB_EEENS0_18inequality_wrapperIN6hipcub16HIPCUB_304000_NS8EqualityEEEPlJS6_EEE10hipError_tPvRmT3_T4_T5_T6_T7_T9_mT8_P12ihipStream_tbDpT10_ENKUlT_T0_E_clISt17integral_constantIbLb1EES17_EEDaS12_S13_EUlS12_E_NS1_11comp_targetILNS1_3genE4ELNS1_11target_archE910ELNS1_3gpuE8ELNS1_3repE0EEENS1_30default_config_static_selectorELNS0_4arch9wavefront6targetE0EEEvT1_
    .private_segment_fixed_size: 0
    .sgpr_count:     0
    .sgpr_spill_count: 0
    .symbol:         _ZN7rocprim17ROCPRIM_400000_NS6detail17trampoline_kernelINS0_14default_configENS1_25partition_config_selectorILNS1_17partition_subalgoE8EdNS0_10empty_typeEbEEZZNS1_14partition_implILS5_8ELb0ES3_jPKdPS6_PKS6_NS0_5tupleIJPdS6_EEENSE_IJSB_SB_EEENS0_18inequality_wrapperIN6hipcub16HIPCUB_304000_NS8EqualityEEEPlJS6_EEE10hipError_tPvRmT3_T4_T5_T6_T7_T9_mT8_P12ihipStream_tbDpT10_ENKUlT_T0_E_clISt17integral_constantIbLb1EES17_EEDaS12_S13_EUlS12_E_NS1_11comp_targetILNS1_3genE4ELNS1_11target_archE910ELNS1_3gpuE8ELNS1_3repE0EEENS1_30default_config_static_selectorELNS0_4arch9wavefront6targetE0EEEvT1_.kd
    .uniform_work_group_size: 1
    .uses_dynamic_stack: false
    .vgpr_count:     0
    .vgpr_spill_count: 0
    .wavefront_size: 32
  - .args:
      - .offset:         0
        .size:           128
        .value_kind:     by_value
    .group_segment_fixed_size: 0
    .kernarg_segment_align: 8
    .kernarg_segment_size: 128
    .language:       OpenCL C
    .language_version:
      - 2
      - 0
    .max_flat_workgroup_size: 512
    .name:           _ZN7rocprim17ROCPRIM_400000_NS6detail17trampoline_kernelINS0_14default_configENS1_25partition_config_selectorILNS1_17partition_subalgoE8EdNS0_10empty_typeEbEEZZNS1_14partition_implILS5_8ELb0ES3_jPKdPS6_PKS6_NS0_5tupleIJPdS6_EEENSE_IJSB_SB_EEENS0_18inequality_wrapperIN6hipcub16HIPCUB_304000_NS8EqualityEEEPlJS6_EEE10hipError_tPvRmT3_T4_T5_T6_T7_T9_mT8_P12ihipStream_tbDpT10_ENKUlT_T0_E_clISt17integral_constantIbLb1EES17_EEDaS12_S13_EUlS12_E_NS1_11comp_targetILNS1_3genE3ELNS1_11target_archE908ELNS1_3gpuE7ELNS1_3repE0EEENS1_30default_config_static_selectorELNS0_4arch9wavefront6targetE0EEEvT1_
    .private_segment_fixed_size: 0
    .sgpr_count:     0
    .sgpr_spill_count: 0
    .symbol:         _ZN7rocprim17ROCPRIM_400000_NS6detail17trampoline_kernelINS0_14default_configENS1_25partition_config_selectorILNS1_17partition_subalgoE8EdNS0_10empty_typeEbEEZZNS1_14partition_implILS5_8ELb0ES3_jPKdPS6_PKS6_NS0_5tupleIJPdS6_EEENSE_IJSB_SB_EEENS0_18inequality_wrapperIN6hipcub16HIPCUB_304000_NS8EqualityEEEPlJS6_EEE10hipError_tPvRmT3_T4_T5_T6_T7_T9_mT8_P12ihipStream_tbDpT10_ENKUlT_T0_E_clISt17integral_constantIbLb1EES17_EEDaS12_S13_EUlS12_E_NS1_11comp_targetILNS1_3genE3ELNS1_11target_archE908ELNS1_3gpuE7ELNS1_3repE0EEENS1_30default_config_static_selectorELNS0_4arch9wavefront6targetE0EEEvT1_.kd
    .uniform_work_group_size: 1
    .uses_dynamic_stack: false
    .vgpr_count:     0
    .vgpr_spill_count: 0
    .wavefront_size: 32
  - .args:
      - .offset:         0
        .size:           128
        .value_kind:     by_value
    .group_segment_fixed_size: 0
    .kernarg_segment_align: 8
    .kernarg_segment_size: 128
    .language:       OpenCL C
    .language_version:
      - 2
      - 0
    .max_flat_workgroup_size: 256
    .name:           _ZN7rocprim17ROCPRIM_400000_NS6detail17trampoline_kernelINS0_14default_configENS1_25partition_config_selectorILNS1_17partition_subalgoE8EdNS0_10empty_typeEbEEZZNS1_14partition_implILS5_8ELb0ES3_jPKdPS6_PKS6_NS0_5tupleIJPdS6_EEENSE_IJSB_SB_EEENS0_18inequality_wrapperIN6hipcub16HIPCUB_304000_NS8EqualityEEEPlJS6_EEE10hipError_tPvRmT3_T4_T5_T6_T7_T9_mT8_P12ihipStream_tbDpT10_ENKUlT_T0_E_clISt17integral_constantIbLb1EES17_EEDaS12_S13_EUlS12_E_NS1_11comp_targetILNS1_3genE2ELNS1_11target_archE906ELNS1_3gpuE6ELNS1_3repE0EEENS1_30default_config_static_selectorELNS0_4arch9wavefront6targetE0EEEvT1_
    .private_segment_fixed_size: 0
    .sgpr_count:     0
    .sgpr_spill_count: 0
    .symbol:         _ZN7rocprim17ROCPRIM_400000_NS6detail17trampoline_kernelINS0_14default_configENS1_25partition_config_selectorILNS1_17partition_subalgoE8EdNS0_10empty_typeEbEEZZNS1_14partition_implILS5_8ELb0ES3_jPKdPS6_PKS6_NS0_5tupleIJPdS6_EEENSE_IJSB_SB_EEENS0_18inequality_wrapperIN6hipcub16HIPCUB_304000_NS8EqualityEEEPlJS6_EEE10hipError_tPvRmT3_T4_T5_T6_T7_T9_mT8_P12ihipStream_tbDpT10_ENKUlT_T0_E_clISt17integral_constantIbLb1EES17_EEDaS12_S13_EUlS12_E_NS1_11comp_targetILNS1_3genE2ELNS1_11target_archE906ELNS1_3gpuE6ELNS1_3repE0EEENS1_30default_config_static_selectorELNS0_4arch9wavefront6targetE0EEEvT1_.kd
    .uniform_work_group_size: 1
    .uses_dynamic_stack: false
    .vgpr_count:     0
    .vgpr_spill_count: 0
    .wavefront_size: 32
  - .args:
      - .offset:         0
        .size:           128
        .value_kind:     by_value
    .group_segment_fixed_size: 0
    .kernarg_segment_align: 8
    .kernarg_segment_size: 128
    .language:       OpenCL C
    .language_version:
      - 2
      - 0
    .max_flat_workgroup_size: 384
    .name:           _ZN7rocprim17ROCPRIM_400000_NS6detail17trampoline_kernelINS0_14default_configENS1_25partition_config_selectorILNS1_17partition_subalgoE8EdNS0_10empty_typeEbEEZZNS1_14partition_implILS5_8ELb0ES3_jPKdPS6_PKS6_NS0_5tupleIJPdS6_EEENSE_IJSB_SB_EEENS0_18inequality_wrapperIN6hipcub16HIPCUB_304000_NS8EqualityEEEPlJS6_EEE10hipError_tPvRmT3_T4_T5_T6_T7_T9_mT8_P12ihipStream_tbDpT10_ENKUlT_T0_E_clISt17integral_constantIbLb1EES17_EEDaS12_S13_EUlS12_E_NS1_11comp_targetILNS1_3genE10ELNS1_11target_archE1200ELNS1_3gpuE4ELNS1_3repE0EEENS1_30default_config_static_selectorELNS0_4arch9wavefront6targetE0EEEvT1_
    .private_segment_fixed_size: 0
    .sgpr_count:     0
    .sgpr_spill_count: 0
    .symbol:         _ZN7rocprim17ROCPRIM_400000_NS6detail17trampoline_kernelINS0_14default_configENS1_25partition_config_selectorILNS1_17partition_subalgoE8EdNS0_10empty_typeEbEEZZNS1_14partition_implILS5_8ELb0ES3_jPKdPS6_PKS6_NS0_5tupleIJPdS6_EEENSE_IJSB_SB_EEENS0_18inequality_wrapperIN6hipcub16HIPCUB_304000_NS8EqualityEEEPlJS6_EEE10hipError_tPvRmT3_T4_T5_T6_T7_T9_mT8_P12ihipStream_tbDpT10_ENKUlT_T0_E_clISt17integral_constantIbLb1EES17_EEDaS12_S13_EUlS12_E_NS1_11comp_targetILNS1_3genE10ELNS1_11target_archE1200ELNS1_3gpuE4ELNS1_3repE0EEENS1_30default_config_static_selectorELNS0_4arch9wavefront6targetE0EEEvT1_.kd
    .uniform_work_group_size: 1
    .uses_dynamic_stack: false
    .vgpr_count:     0
    .vgpr_spill_count: 0
    .wavefront_size: 32
  - .args:
      - .offset:         0
        .size:           128
        .value_kind:     by_value
    .group_segment_fixed_size: 0
    .kernarg_segment_align: 8
    .kernarg_segment_size: 128
    .language:       OpenCL C
    .language_version:
      - 2
      - 0
    .max_flat_workgroup_size: 512
    .name:           _ZN7rocprim17ROCPRIM_400000_NS6detail17trampoline_kernelINS0_14default_configENS1_25partition_config_selectorILNS1_17partition_subalgoE8EdNS0_10empty_typeEbEEZZNS1_14partition_implILS5_8ELb0ES3_jPKdPS6_PKS6_NS0_5tupleIJPdS6_EEENSE_IJSB_SB_EEENS0_18inequality_wrapperIN6hipcub16HIPCUB_304000_NS8EqualityEEEPlJS6_EEE10hipError_tPvRmT3_T4_T5_T6_T7_T9_mT8_P12ihipStream_tbDpT10_ENKUlT_T0_E_clISt17integral_constantIbLb1EES17_EEDaS12_S13_EUlS12_E_NS1_11comp_targetILNS1_3genE9ELNS1_11target_archE1100ELNS1_3gpuE3ELNS1_3repE0EEENS1_30default_config_static_selectorELNS0_4arch9wavefront6targetE0EEEvT1_
    .private_segment_fixed_size: 0
    .sgpr_count:     0
    .sgpr_spill_count: 0
    .symbol:         _ZN7rocprim17ROCPRIM_400000_NS6detail17trampoline_kernelINS0_14default_configENS1_25partition_config_selectorILNS1_17partition_subalgoE8EdNS0_10empty_typeEbEEZZNS1_14partition_implILS5_8ELb0ES3_jPKdPS6_PKS6_NS0_5tupleIJPdS6_EEENSE_IJSB_SB_EEENS0_18inequality_wrapperIN6hipcub16HIPCUB_304000_NS8EqualityEEEPlJS6_EEE10hipError_tPvRmT3_T4_T5_T6_T7_T9_mT8_P12ihipStream_tbDpT10_ENKUlT_T0_E_clISt17integral_constantIbLb1EES17_EEDaS12_S13_EUlS12_E_NS1_11comp_targetILNS1_3genE9ELNS1_11target_archE1100ELNS1_3gpuE3ELNS1_3repE0EEENS1_30default_config_static_selectorELNS0_4arch9wavefront6targetE0EEEvT1_.kd
    .uniform_work_group_size: 1
    .uses_dynamic_stack: false
    .vgpr_count:     0
    .vgpr_spill_count: 0
    .wavefront_size: 32
  - .args:
      - .offset:         0
        .size:           128
        .value_kind:     by_value
    .group_segment_fixed_size: 0
    .kernarg_segment_align: 8
    .kernarg_segment_size: 128
    .language:       OpenCL C
    .language_version:
      - 2
      - 0
    .max_flat_workgroup_size: 512
    .name:           _ZN7rocprim17ROCPRIM_400000_NS6detail17trampoline_kernelINS0_14default_configENS1_25partition_config_selectorILNS1_17partition_subalgoE8EdNS0_10empty_typeEbEEZZNS1_14partition_implILS5_8ELb0ES3_jPKdPS6_PKS6_NS0_5tupleIJPdS6_EEENSE_IJSB_SB_EEENS0_18inequality_wrapperIN6hipcub16HIPCUB_304000_NS8EqualityEEEPlJS6_EEE10hipError_tPvRmT3_T4_T5_T6_T7_T9_mT8_P12ihipStream_tbDpT10_ENKUlT_T0_E_clISt17integral_constantIbLb1EES17_EEDaS12_S13_EUlS12_E_NS1_11comp_targetILNS1_3genE8ELNS1_11target_archE1030ELNS1_3gpuE2ELNS1_3repE0EEENS1_30default_config_static_selectorELNS0_4arch9wavefront6targetE0EEEvT1_
    .private_segment_fixed_size: 0
    .sgpr_count:     0
    .sgpr_spill_count: 0
    .symbol:         _ZN7rocprim17ROCPRIM_400000_NS6detail17trampoline_kernelINS0_14default_configENS1_25partition_config_selectorILNS1_17partition_subalgoE8EdNS0_10empty_typeEbEEZZNS1_14partition_implILS5_8ELb0ES3_jPKdPS6_PKS6_NS0_5tupleIJPdS6_EEENSE_IJSB_SB_EEENS0_18inequality_wrapperIN6hipcub16HIPCUB_304000_NS8EqualityEEEPlJS6_EEE10hipError_tPvRmT3_T4_T5_T6_T7_T9_mT8_P12ihipStream_tbDpT10_ENKUlT_T0_E_clISt17integral_constantIbLb1EES17_EEDaS12_S13_EUlS12_E_NS1_11comp_targetILNS1_3genE8ELNS1_11target_archE1030ELNS1_3gpuE2ELNS1_3repE0EEENS1_30default_config_static_selectorELNS0_4arch9wavefront6targetE0EEEvT1_.kd
    .uniform_work_group_size: 1
    .uses_dynamic_stack: false
    .vgpr_count:     0
    .vgpr_spill_count: 0
    .wavefront_size: 32
  - .args:
      - .offset:         0
        .size:           112
        .value_kind:     by_value
    .group_segment_fixed_size: 0
    .kernarg_segment_align: 8
    .kernarg_segment_size: 112
    .language:       OpenCL C
    .language_version:
      - 2
      - 0
    .max_flat_workgroup_size: 512
    .name:           _ZN7rocprim17ROCPRIM_400000_NS6detail17trampoline_kernelINS0_14default_configENS1_25partition_config_selectorILNS1_17partition_subalgoE8EdNS0_10empty_typeEbEEZZNS1_14partition_implILS5_8ELb0ES3_jPKdPS6_PKS6_NS0_5tupleIJPdS6_EEENSE_IJSB_SB_EEENS0_18inequality_wrapperIN6hipcub16HIPCUB_304000_NS8EqualityEEEPlJS6_EEE10hipError_tPvRmT3_T4_T5_T6_T7_T9_mT8_P12ihipStream_tbDpT10_ENKUlT_T0_E_clISt17integral_constantIbLb1EES16_IbLb0EEEEDaS12_S13_EUlS12_E_NS1_11comp_targetILNS1_3genE0ELNS1_11target_archE4294967295ELNS1_3gpuE0ELNS1_3repE0EEENS1_30default_config_static_selectorELNS0_4arch9wavefront6targetE0EEEvT1_
    .private_segment_fixed_size: 0
    .sgpr_count:     0
    .sgpr_spill_count: 0
    .symbol:         _ZN7rocprim17ROCPRIM_400000_NS6detail17trampoline_kernelINS0_14default_configENS1_25partition_config_selectorILNS1_17partition_subalgoE8EdNS0_10empty_typeEbEEZZNS1_14partition_implILS5_8ELb0ES3_jPKdPS6_PKS6_NS0_5tupleIJPdS6_EEENSE_IJSB_SB_EEENS0_18inequality_wrapperIN6hipcub16HIPCUB_304000_NS8EqualityEEEPlJS6_EEE10hipError_tPvRmT3_T4_T5_T6_T7_T9_mT8_P12ihipStream_tbDpT10_ENKUlT_T0_E_clISt17integral_constantIbLb1EES16_IbLb0EEEEDaS12_S13_EUlS12_E_NS1_11comp_targetILNS1_3genE0ELNS1_11target_archE4294967295ELNS1_3gpuE0ELNS1_3repE0EEENS1_30default_config_static_selectorELNS0_4arch9wavefront6targetE0EEEvT1_.kd
    .uniform_work_group_size: 1
    .uses_dynamic_stack: false
    .vgpr_count:     0
    .vgpr_spill_count: 0
    .wavefront_size: 32
  - .args:
      - .offset:         0
        .size:           112
        .value_kind:     by_value
    .group_segment_fixed_size: 0
    .kernarg_segment_align: 8
    .kernarg_segment_size: 112
    .language:       OpenCL C
    .language_version:
      - 2
      - 0
    .max_flat_workgroup_size: 512
    .name:           _ZN7rocprim17ROCPRIM_400000_NS6detail17trampoline_kernelINS0_14default_configENS1_25partition_config_selectorILNS1_17partition_subalgoE8EdNS0_10empty_typeEbEEZZNS1_14partition_implILS5_8ELb0ES3_jPKdPS6_PKS6_NS0_5tupleIJPdS6_EEENSE_IJSB_SB_EEENS0_18inequality_wrapperIN6hipcub16HIPCUB_304000_NS8EqualityEEEPlJS6_EEE10hipError_tPvRmT3_T4_T5_T6_T7_T9_mT8_P12ihipStream_tbDpT10_ENKUlT_T0_E_clISt17integral_constantIbLb1EES16_IbLb0EEEEDaS12_S13_EUlS12_E_NS1_11comp_targetILNS1_3genE5ELNS1_11target_archE942ELNS1_3gpuE9ELNS1_3repE0EEENS1_30default_config_static_selectorELNS0_4arch9wavefront6targetE0EEEvT1_
    .private_segment_fixed_size: 0
    .sgpr_count:     0
    .sgpr_spill_count: 0
    .symbol:         _ZN7rocprim17ROCPRIM_400000_NS6detail17trampoline_kernelINS0_14default_configENS1_25partition_config_selectorILNS1_17partition_subalgoE8EdNS0_10empty_typeEbEEZZNS1_14partition_implILS5_8ELb0ES3_jPKdPS6_PKS6_NS0_5tupleIJPdS6_EEENSE_IJSB_SB_EEENS0_18inequality_wrapperIN6hipcub16HIPCUB_304000_NS8EqualityEEEPlJS6_EEE10hipError_tPvRmT3_T4_T5_T6_T7_T9_mT8_P12ihipStream_tbDpT10_ENKUlT_T0_E_clISt17integral_constantIbLb1EES16_IbLb0EEEEDaS12_S13_EUlS12_E_NS1_11comp_targetILNS1_3genE5ELNS1_11target_archE942ELNS1_3gpuE9ELNS1_3repE0EEENS1_30default_config_static_selectorELNS0_4arch9wavefront6targetE0EEEvT1_.kd
    .uniform_work_group_size: 1
    .uses_dynamic_stack: false
    .vgpr_count:     0
    .vgpr_spill_count: 0
    .wavefront_size: 32
  - .args:
      - .offset:         0
        .size:           112
        .value_kind:     by_value
    .group_segment_fixed_size: 0
    .kernarg_segment_align: 8
    .kernarg_segment_size: 112
    .language:       OpenCL C
    .language_version:
      - 2
      - 0
    .max_flat_workgroup_size: 256
    .name:           _ZN7rocprim17ROCPRIM_400000_NS6detail17trampoline_kernelINS0_14default_configENS1_25partition_config_selectorILNS1_17partition_subalgoE8EdNS0_10empty_typeEbEEZZNS1_14partition_implILS5_8ELb0ES3_jPKdPS6_PKS6_NS0_5tupleIJPdS6_EEENSE_IJSB_SB_EEENS0_18inequality_wrapperIN6hipcub16HIPCUB_304000_NS8EqualityEEEPlJS6_EEE10hipError_tPvRmT3_T4_T5_T6_T7_T9_mT8_P12ihipStream_tbDpT10_ENKUlT_T0_E_clISt17integral_constantIbLb1EES16_IbLb0EEEEDaS12_S13_EUlS12_E_NS1_11comp_targetILNS1_3genE4ELNS1_11target_archE910ELNS1_3gpuE8ELNS1_3repE0EEENS1_30default_config_static_selectorELNS0_4arch9wavefront6targetE0EEEvT1_
    .private_segment_fixed_size: 0
    .sgpr_count:     0
    .sgpr_spill_count: 0
    .symbol:         _ZN7rocprim17ROCPRIM_400000_NS6detail17trampoline_kernelINS0_14default_configENS1_25partition_config_selectorILNS1_17partition_subalgoE8EdNS0_10empty_typeEbEEZZNS1_14partition_implILS5_8ELb0ES3_jPKdPS6_PKS6_NS0_5tupleIJPdS6_EEENSE_IJSB_SB_EEENS0_18inequality_wrapperIN6hipcub16HIPCUB_304000_NS8EqualityEEEPlJS6_EEE10hipError_tPvRmT3_T4_T5_T6_T7_T9_mT8_P12ihipStream_tbDpT10_ENKUlT_T0_E_clISt17integral_constantIbLb1EES16_IbLb0EEEEDaS12_S13_EUlS12_E_NS1_11comp_targetILNS1_3genE4ELNS1_11target_archE910ELNS1_3gpuE8ELNS1_3repE0EEENS1_30default_config_static_selectorELNS0_4arch9wavefront6targetE0EEEvT1_.kd
    .uniform_work_group_size: 1
    .uses_dynamic_stack: false
    .vgpr_count:     0
    .vgpr_spill_count: 0
    .wavefront_size: 32
  - .args:
      - .offset:         0
        .size:           112
        .value_kind:     by_value
    .group_segment_fixed_size: 0
    .kernarg_segment_align: 8
    .kernarg_segment_size: 112
    .language:       OpenCL C
    .language_version:
      - 2
      - 0
    .max_flat_workgroup_size: 512
    .name:           _ZN7rocprim17ROCPRIM_400000_NS6detail17trampoline_kernelINS0_14default_configENS1_25partition_config_selectorILNS1_17partition_subalgoE8EdNS0_10empty_typeEbEEZZNS1_14partition_implILS5_8ELb0ES3_jPKdPS6_PKS6_NS0_5tupleIJPdS6_EEENSE_IJSB_SB_EEENS0_18inequality_wrapperIN6hipcub16HIPCUB_304000_NS8EqualityEEEPlJS6_EEE10hipError_tPvRmT3_T4_T5_T6_T7_T9_mT8_P12ihipStream_tbDpT10_ENKUlT_T0_E_clISt17integral_constantIbLb1EES16_IbLb0EEEEDaS12_S13_EUlS12_E_NS1_11comp_targetILNS1_3genE3ELNS1_11target_archE908ELNS1_3gpuE7ELNS1_3repE0EEENS1_30default_config_static_selectorELNS0_4arch9wavefront6targetE0EEEvT1_
    .private_segment_fixed_size: 0
    .sgpr_count:     0
    .sgpr_spill_count: 0
    .symbol:         _ZN7rocprim17ROCPRIM_400000_NS6detail17trampoline_kernelINS0_14default_configENS1_25partition_config_selectorILNS1_17partition_subalgoE8EdNS0_10empty_typeEbEEZZNS1_14partition_implILS5_8ELb0ES3_jPKdPS6_PKS6_NS0_5tupleIJPdS6_EEENSE_IJSB_SB_EEENS0_18inequality_wrapperIN6hipcub16HIPCUB_304000_NS8EqualityEEEPlJS6_EEE10hipError_tPvRmT3_T4_T5_T6_T7_T9_mT8_P12ihipStream_tbDpT10_ENKUlT_T0_E_clISt17integral_constantIbLb1EES16_IbLb0EEEEDaS12_S13_EUlS12_E_NS1_11comp_targetILNS1_3genE3ELNS1_11target_archE908ELNS1_3gpuE7ELNS1_3repE0EEENS1_30default_config_static_selectorELNS0_4arch9wavefront6targetE0EEEvT1_.kd
    .uniform_work_group_size: 1
    .uses_dynamic_stack: false
    .vgpr_count:     0
    .vgpr_spill_count: 0
    .wavefront_size: 32
  - .args:
      - .offset:         0
        .size:           112
        .value_kind:     by_value
    .group_segment_fixed_size: 0
    .kernarg_segment_align: 8
    .kernarg_segment_size: 112
    .language:       OpenCL C
    .language_version:
      - 2
      - 0
    .max_flat_workgroup_size: 256
    .name:           _ZN7rocprim17ROCPRIM_400000_NS6detail17trampoline_kernelINS0_14default_configENS1_25partition_config_selectorILNS1_17partition_subalgoE8EdNS0_10empty_typeEbEEZZNS1_14partition_implILS5_8ELb0ES3_jPKdPS6_PKS6_NS0_5tupleIJPdS6_EEENSE_IJSB_SB_EEENS0_18inequality_wrapperIN6hipcub16HIPCUB_304000_NS8EqualityEEEPlJS6_EEE10hipError_tPvRmT3_T4_T5_T6_T7_T9_mT8_P12ihipStream_tbDpT10_ENKUlT_T0_E_clISt17integral_constantIbLb1EES16_IbLb0EEEEDaS12_S13_EUlS12_E_NS1_11comp_targetILNS1_3genE2ELNS1_11target_archE906ELNS1_3gpuE6ELNS1_3repE0EEENS1_30default_config_static_selectorELNS0_4arch9wavefront6targetE0EEEvT1_
    .private_segment_fixed_size: 0
    .sgpr_count:     0
    .sgpr_spill_count: 0
    .symbol:         _ZN7rocprim17ROCPRIM_400000_NS6detail17trampoline_kernelINS0_14default_configENS1_25partition_config_selectorILNS1_17partition_subalgoE8EdNS0_10empty_typeEbEEZZNS1_14partition_implILS5_8ELb0ES3_jPKdPS6_PKS6_NS0_5tupleIJPdS6_EEENSE_IJSB_SB_EEENS0_18inequality_wrapperIN6hipcub16HIPCUB_304000_NS8EqualityEEEPlJS6_EEE10hipError_tPvRmT3_T4_T5_T6_T7_T9_mT8_P12ihipStream_tbDpT10_ENKUlT_T0_E_clISt17integral_constantIbLb1EES16_IbLb0EEEEDaS12_S13_EUlS12_E_NS1_11comp_targetILNS1_3genE2ELNS1_11target_archE906ELNS1_3gpuE6ELNS1_3repE0EEENS1_30default_config_static_selectorELNS0_4arch9wavefront6targetE0EEEvT1_.kd
    .uniform_work_group_size: 1
    .uses_dynamic_stack: false
    .vgpr_count:     0
    .vgpr_spill_count: 0
    .wavefront_size: 32
  - .args:
      - .offset:         0
        .size:           112
        .value_kind:     by_value
    .group_segment_fixed_size: 0
    .kernarg_segment_align: 8
    .kernarg_segment_size: 112
    .language:       OpenCL C
    .language_version:
      - 2
      - 0
    .max_flat_workgroup_size: 384
    .name:           _ZN7rocprim17ROCPRIM_400000_NS6detail17trampoline_kernelINS0_14default_configENS1_25partition_config_selectorILNS1_17partition_subalgoE8EdNS0_10empty_typeEbEEZZNS1_14partition_implILS5_8ELb0ES3_jPKdPS6_PKS6_NS0_5tupleIJPdS6_EEENSE_IJSB_SB_EEENS0_18inequality_wrapperIN6hipcub16HIPCUB_304000_NS8EqualityEEEPlJS6_EEE10hipError_tPvRmT3_T4_T5_T6_T7_T9_mT8_P12ihipStream_tbDpT10_ENKUlT_T0_E_clISt17integral_constantIbLb1EES16_IbLb0EEEEDaS12_S13_EUlS12_E_NS1_11comp_targetILNS1_3genE10ELNS1_11target_archE1200ELNS1_3gpuE4ELNS1_3repE0EEENS1_30default_config_static_selectorELNS0_4arch9wavefront6targetE0EEEvT1_
    .private_segment_fixed_size: 0
    .sgpr_count:     0
    .sgpr_spill_count: 0
    .symbol:         _ZN7rocprim17ROCPRIM_400000_NS6detail17trampoline_kernelINS0_14default_configENS1_25partition_config_selectorILNS1_17partition_subalgoE8EdNS0_10empty_typeEbEEZZNS1_14partition_implILS5_8ELb0ES3_jPKdPS6_PKS6_NS0_5tupleIJPdS6_EEENSE_IJSB_SB_EEENS0_18inequality_wrapperIN6hipcub16HIPCUB_304000_NS8EqualityEEEPlJS6_EEE10hipError_tPvRmT3_T4_T5_T6_T7_T9_mT8_P12ihipStream_tbDpT10_ENKUlT_T0_E_clISt17integral_constantIbLb1EES16_IbLb0EEEEDaS12_S13_EUlS12_E_NS1_11comp_targetILNS1_3genE10ELNS1_11target_archE1200ELNS1_3gpuE4ELNS1_3repE0EEENS1_30default_config_static_selectorELNS0_4arch9wavefront6targetE0EEEvT1_.kd
    .uniform_work_group_size: 1
    .uses_dynamic_stack: false
    .vgpr_count:     0
    .vgpr_spill_count: 0
    .wavefront_size: 32
  - .args:
      - .offset:         0
        .size:           112
        .value_kind:     by_value
    .group_segment_fixed_size: 0
    .kernarg_segment_align: 8
    .kernarg_segment_size: 112
    .language:       OpenCL C
    .language_version:
      - 2
      - 0
    .max_flat_workgroup_size: 512
    .name:           _ZN7rocprim17ROCPRIM_400000_NS6detail17trampoline_kernelINS0_14default_configENS1_25partition_config_selectorILNS1_17partition_subalgoE8EdNS0_10empty_typeEbEEZZNS1_14partition_implILS5_8ELb0ES3_jPKdPS6_PKS6_NS0_5tupleIJPdS6_EEENSE_IJSB_SB_EEENS0_18inequality_wrapperIN6hipcub16HIPCUB_304000_NS8EqualityEEEPlJS6_EEE10hipError_tPvRmT3_T4_T5_T6_T7_T9_mT8_P12ihipStream_tbDpT10_ENKUlT_T0_E_clISt17integral_constantIbLb1EES16_IbLb0EEEEDaS12_S13_EUlS12_E_NS1_11comp_targetILNS1_3genE9ELNS1_11target_archE1100ELNS1_3gpuE3ELNS1_3repE0EEENS1_30default_config_static_selectorELNS0_4arch9wavefront6targetE0EEEvT1_
    .private_segment_fixed_size: 0
    .sgpr_count:     0
    .sgpr_spill_count: 0
    .symbol:         _ZN7rocprim17ROCPRIM_400000_NS6detail17trampoline_kernelINS0_14default_configENS1_25partition_config_selectorILNS1_17partition_subalgoE8EdNS0_10empty_typeEbEEZZNS1_14partition_implILS5_8ELb0ES3_jPKdPS6_PKS6_NS0_5tupleIJPdS6_EEENSE_IJSB_SB_EEENS0_18inequality_wrapperIN6hipcub16HIPCUB_304000_NS8EqualityEEEPlJS6_EEE10hipError_tPvRmT3_T4_T5_T6_T7_T9_mT8_P12ihipStream_tbDpT10_ENKUlT_T0_E_clISt17integral_constantIbLb1EES16_IbLb0EEEEDaS12_S13_EUlS12_E_NS1_11comp_targetILNS1_3genE9ELNS1_11target_archE1100ELNS1_3gpuE3ELNS1_3repE0EEENS1_30default_config_static_selectorELNS0_4arch9wavefront6targetE0EEEvT1_.kd
    .uniform_work_group_size: 1
    .uses_dynamic_stack: false
    .vgpr_count:     0
    .vgpr_spill_count: 0
    .wavefront_size: 32
  - .args:
      - .offset:         0
        .size:           112
        .value_kind:     by_value
    .group_segment_fixed_size: 0
    .kernarg_segment_align: 8
    .kernarg_segment_size: 112
    .language:       OpenCL C
    .language_version:
      - 2
      - 0
    .max_flat_workgroup_size: 512
    .name:           _ZN7rocprim17ROCPRIM_400000_NS6detail17trampoline_kernelINS0_14default_configENS1_25partition_config_selectorILNS1_17partition_subalgoE8EdNS0_10empty_typeEbEEZZNS1_14partition_implILS5_8ELb0ES3_jPKdPS6_PKS6_NS0_5tupleIJPdS6_EEENSE_IJSB_SB_EEENS0_18inequality_wrapperIN6hipcub16HIPCUB_304000_NS8EqualityEEEPlJS6_EEE10hipError_tPvRmT3_T4_T5_T6_T7_T9_mT8_P12ihipStream_tbDpT10_ENKUlT_T0_E_clISt17integral_constantIbLb1EES16_IbLb0EEEEDaS12_S13_EUlS12_E_NS1_11comp_targetILNS1_3genE8ELNS1_11target_archE1030ELNS1_3gpuE2ELNS1_3repE0EEENS1_30default_config_static_selectorELNS0_4arch9wavefront6targetE0EEEvT1_
    .private_segment_fixed_size: 0
    .sgpr_count:     0
    .sgpr_spill_count: 0
    .symbol:         _ZN7rocprim17ROCPRIM_400000_NS6detail17trampoline_kernelINS0_14default_configENS1_25partition_config_selectorILNS1_17partition_subalgoE8EdNS0_10empty_typeEbEEZZNS1_14partition_implILS5_8ELb0ES3_jPKdPS6_PKS6_NS0_5tupleIJPdS6_EEENSE_IJSB_SB_EEENS0_18inequality_wrapperIN6hipcub16HIPCUB_304000_NS8EqualityEEEPlJS6_EEE10hipError_tPvRmT3_T4_T5_T6_T7_T9_mT8_P12ihipStream_tbDpT10_ENKUlT_T0_E_clISt17integral_constantIbLb1EES16_IbLb0EEEEDaS12_S13_EUlS12_E_NS1_11comp_targetILNS1_3genE8ELNS1_11target_archE1030ELNS1_3gpuE2ELNS1_3repE0EEENS1_30default_config_static_selectorELNS0_4arch9wavefront6targetE0EEEvT1_.kd
    .uniform_work_group_size: 1
    .uses_dynamic_stack: false
    .vgpr_count:     0
    .vgpr_spill_count: 0
    .wavefront_size: 32
  - .args:
      - .offset:         0
        .size:           128
        .value_kind:     by_value
    .group_segment_fixed_size: 28680
    .kernarg_segment_align: 8
    .kernarg_segment_size: 128
    .language:       OpenCL C
    .language_version:
      - 2
      - 0
    .max_flat_workgroup_size: 512
    .name:           _ZN7rocprim17ROCPRIM_400000_NS6detail17trampoline_kernelINS0_14default_configENS1_25partition_config_selectorILNS1_17partition_subalgoE8EdNS0_10empty_typeEbEEZZNS1_14partition_implILS5_8ELb0ES3_jPKdPS6_PKS6_NS0_5tupleIJPdS6_EEENSE_IJSB_SB_EEENS0_18inequality_wrapperIN6hipcub16HIPCUB_304000_NS8EqualityEEEPlJS6_EEE10hipError_tPvRmT3_T4_T5_T6_T7_T9_mT8_P12ihipStream_tbDpT10_ENKUlT_T0_E_clISt17integral_constantIbLb0EES16_IbLb1EEEEDaS12_S13_EUlS12_E_NS1_11comp_targetILNS1_3genE0ELNS1_11target_archE4294967295ELNS1_3gpuE0ELNS1_3repE0EEENS1_30default_config_static_selectorELNS0_4arch9wavefront6targetE0EEEvT1_
    .private_segment_fixed_size: 0
    .sgpr_count:     25
    .sgpr_spill_count: 0
    .symbol:         _ZN7rocprim17ROCPRIM_400000_NS6detail17trampoline_kernelINS0_14default_configENS1_25partition_config_selectorILNS1_17partition_subalgoE8EdNS0_10empty_typeEbEEZZNS1_14partition_implILS5_8ELb0ES3_jPKdPS6_PKS6_NS0_5tupleIJPdS6_EEENSE_IJSB_SB_EEENS0_18inequality_wrapperIN6hipcub16HIPCUB_304000_NS8EqualityEEEPlJS6_EEE10hipError_tPvRmT3_T4_T5_T6_T7_T9_mT8_P12ihipStream_tbDpT10_ENKUlT_T0_E_clISt17integral_constantIbLb0EES16_IbLb1EEEEDaS12_S13_EUlS12_E_NS1_11comp_targetILNS1_3genE0ELNS1_11target_archE4294967295ELNS1_3gpuE0ELNS1_3repE0EEENS1_30default_config_static_selectorELNS0_4arch9wavefront6targetE0EEEvT1_.kd
    .uniform_work_group_size: 1
    .uses_dynamic_stack: false
    .vgpr_count:     56
    .vgpr_spill_count: 0
    .wavefront_size: 32
  - .args:
      - .offset:         0
        .size:           128
        .value_kind:     by_value
    .group_segment_fixed_size: 0
    .kernarg_segment_align: 8
    .kernarg_segment_size: 128
    .language:       OpenCL C
    .language_version:
      - 2
      - 0
    .max_flat_workgroup_size: 512
    .name:           _ZN7rocprim17ROCPRIM_400000_NS6detail17trampoline_kernelINS0_14default_configENS1_25partition_config_selectorILNS1_17partition_subalgoE8EdNS0_10empty_typeEbEEZZNS1_14partition_implILS5_8ELb0ES3_jPKdPS6_PKS6_NS0_5tupleIJPdS6_EEENSE_IJSB_SB_EEENS0_18inequality_wrapperIN6hipcub16HIPCUB_304000_NS8EqualityEEEPlJS6_EEE10hipError_tPvRmT3_T4_T5_T6_T7_T9_mT8_P12ihipStream_tbDpT10_ENKUlT_T0_E_clISt17integral_constantIbLb0EES16_IbLb1EEEEDaS12_S13_EUlS12_E_NS1_11comp_targetILNS1_3genE5ELNS1_11target_archE942ELNS1_3gpuE9ELNS1_3repE0EEENS1_30default_config_static_selectorELNS0_4arch9wavefront6targetE0EEEvT1_
    .private_segment_fixed_size: 0
    .sgpr_count:     0
    .sgpr_spill_count: 0
    .symbol:         _ZN7rocprim17ROCPRIM_400000_NS6detail17trampoline_kernelINS0_14default_configENS1_25partition_config_selectorILNS1_17partition_subalgoE8EdNS0_10empty_typeEbEEZZNS1_14partition_implILS5_8ELb0ES3_jPKdPS6_PKS6_NS0_5tupleIJPdS6_EEENSE_IJSB_SB_EEENS0_18inequality_wrapperIN6hipcub16HIPCUB_304000_NS8EqualityEEEPlJS6_EEE10hipError_tPvRmT3_T4_T5_T6_T7_T9_mT8_P12ihipStream_tbDpT10_ENKUlT_T0_E_clISt17integral_constantIbLb0EES16_IbLb1EEEEDaS12_S13_EUlS12_E_NS1_11comp_targetILNS1_3genE5ELNS1_11target_archE942ELNS1_3gpuE9ELNS1_3repE0EEENS1_30default_config_static_selectorELNS0_4arch9wavefront6targetE0EEEvT1_.kd
    .uniform_work_group_size: 1
    .uses_dynamic_stack: false
    .vgpr_count:     0
    .vgpr_spill_count: 0
    .wavefront_size: 32
  - .args:
      - .offset:         0
        .size:           128
        .value_kind:     by_value
    .group_segment_fixed_size: 0
    .kernarg_segment_align: 8
    .kernarg_segment_size: 128
    .language:       OpenCL C
    .language_version:
      - 2
      - 0
    .max_flat_workgroup_size: 256
    .name:           _ZN7rocprim17ROCPRIM_400000_NS6detail17trampoline_kernelINS0_14default_configENS1_25partition_config_selectorILNS1_17partition_subalgoE8EdNS0_10empty_typeEbEEZZNS1_14partition_implILS5_8ELb0ES3_jPKdPS6_PKS6_NS0_5tupleIJPdS6_EEENSE_IJSB_SB_EEENS0_18inequality_wrapperIN6hipcub16HIPCUB_304000_NS8EqualityEEEPlJS6_EEE10hipError_tPvRmT3_T4_T5_T6_T7_T9_mT8_P12ihipStream_tbDpT10_ENKUlT_T0_E_clISt17integral_constantIbLb0EES16_IbLb1EEEEDaS12_S13_EUlS12_E_NS1_11comp_targetILNS1_3genE4ELNS1_11target_archE910ELNS1_3gpuE8ELNS1_3repE0EEENS1_30default_config_static_selectorELNS0_4arch9wavefront6targetE0EEEvT1_
    .private_segment_fixed_size: 0
    .sgpr_count:     0
    .sgpr_spill_count: 0
    .symbol:         _ZN7rocprim17ROCPRIM_400000_NS6detail17trampoline_kernelINS0_14default_configENS1_25partition_config_selectorILNS1_17partition_subalgoE8EdNS0_10empty_typeEbEEZZNS1_14partition_implILS5_8ELb0ES3_jPKdPS6_PKS6_NS0_5tupleIJPdS6_EEENSE_IJSB_SB_EEENS0_18inequality_wrapperIN6hipcub16HIPCUB_304000_NS8EqualityEEEPlJS6_EEE10hipError_tPvRmT3_T4_T5_T6_T7_T9_mT8_P12ihipStream_tbDpT10_ENKUlT_T0_E_clISt17integral_constantIbLb0EES16_IbLb1EEEEDaS12_S13_EUlS12_E_NS1_11comp_targetILNS1_3genE4ELNS1_11target_archE910ELNS1_3gpuE8ELNS1_3repE0EEENS1_30default_config_static_selectorELNS0_4arch9wavefront6targetE0EEEvT1_.kd
    .uniform_work_group_size: 1
    .uses_dynamic_stack: false
    .vgpr_count:     0
    .vgpr_spill_count: 0
    .wavefront_size: 32
  - .args:
      - .offset:         0
        .size:           128
        .value_kind:     by_value
    .group_segment_fixed_size: 0
    .kernarg_segment_align: 8
    .kernarg_segment_size: 128
    .language:       OpenCL C
    .language_version:
      - 2
      - 0
    .max_flat_workgroup_size: 512
    .name:           _ZN7rocprim17ROCPRIM_400000_NS6detail17trampoline_kernelINS0_14default_configENS1_25partition_config_selectorILNS1_17partition_subalgoE8EdNS0_10empty_typeEbEEZZNS1_14partition_implILS5_8ELb0ES3_jPKdPS6_PKS6_NS0_5tupleIJPdS6_EEENSE_IJSB_SB_EEENS0_18inequality_wrapperIN6hipcub16HIPCUB_304000_NS8EqualityEEEPlJS6_EEE10hipError_tPvRmT3_T4_T5_T6_T7_T9_mT8_P12ihipStream_tbDpT10_ENKUlT_T0_E_clISt17integral_constantIbLb0EES16_IbLb1EEEEDaS12_S13_EUlS12_E_NS1_11comp_targetILNS1_3genE3ELNS1_11target_archE908ELNS1_3gpuE7ELNS1_3repE0EEENS1_30default_config_static_selectorELNS0_4arch9wavefront6targetE0EEEvT1_
    .private_segment_fixed_size: 0
    .sgpr_count:     0
    .sgpr_spill_count: 0
    .symbol:         _ZN7rocprim17ROCPRIM_400000_NS6detail17trampoline_kernelINS0_14default_configENS1_25partition_config_selectorILNS1_17partition_subalgoE8EdNS0_10empty_typeEbEEZZNS1_14partition_implILS5_8ELb0ES3_jPKdPS6_PKS6_NS0_5tupleIJPdS6_EEENSE_IJSB_SB_EEENS0_18inequality_wrapperIN6hipcub16HIPCUB_304000_NS8EqualityEEEPlJS6_EEE10hipError_tPvRmT3_T4_T5_T6_T7_T9_mT8_P12ihipStream_tbDpT10_ENKUlT_T0_E_clISt17integral_constantIbLb0EES16_IbLb1EEEEDaS12_S13_EUlS12_E_NS1_11comp_targetILNS1_3genE3ELNS1_11target_archE908ELNS1_3gpuE7ELNS1_3repE0EEENS1_30default_config_static_selectorELNS0_4arch9wavefront6targetE0EEEvT1_.kd
    .uniform_work_group_size: 1
    .uses_dynamic_stack: false
    .vgpr_count:     0
    .vgpr_spill_count: 0
    .wavefront_size: 32
  - .args:
      - .offset:         0
        .size:           128
        .value_kind:     by_value
    .group_segment_fixed_size: 0
    .kernarg_segment_align: 8
    .kernarg_segment_size: 128
    .language:       OpenCL C
    .language_version:
      - 2
      - 0
    .max_flat_workgroup_size: 256
    .name:           _ZN7rocprim17ROCPRIM_400000_NS6detail17trampoline_kernelINS0_14default_configENS1_25partition_config_selectorILNS1_17partition_subalgoE8EdNS0_10empty_typeEbEEZZNS1_14partition_implILS5_8ELb0ES3_jPKdPS6_PKS6_NS0_5tupleIJPdS6_EEENSE_IJSB_SB_EEENS0_18inequality_wrapperIN6hipcub16HIPCUB_304000_NS8EqualityEEEPlJS6_EEE10hipError_tPvRmT3_T4_T5_T6_T7_T9_mT8_P12ihipStream_tbDpT10_ENKUlT_T0_E_clISt17integral_constantIbLb0EES16_IbLb1EEEEDaS12_S13_EUlS12_E_NS1_11comp_targetILNS1_3genE2ELNS1_11target_archE906ELNS1_3gpuE6ELNS1_3repE0EEENS1_30default_config_static_selectorELNS0_4arch9wavefront6targetE0EEEvT1_
    .private_segment_fixed_size: 0
    .sgpr_count:     0
    .sgpr_spill_count: 0
    .symbol:         _ZN7rocprim17ROCPRIM_400000_NS6detail17trampoline_kernelINS0_14default_configENS1_25partition_config_selectorILNS1_17partition_subalgoE8EdNS0_10empty_typeEbEEZZNS1_14partition_implILS5_8ELb0ES3_jPKdPS6_PKS6_NS0_5tupleIJPdS6_EEENSE_IJSB_SB_EEENS0_18inequality_wrapperIN6hipcub16HIPCUB_304000_NS8EqualityEEEPlJS6_EEE10hipError_tPvRmT3_T4_T5_T6_T7_T9_mT8_P12ihipStream_tbDpT10_ENKUlT_T0_E_clISt17integral_constantIbLb0EES16_IbLb1EEEEDaS12_S13_EUlS12_E_NS1_11comp_targetILNS1_3genE2ELNS1_11target_archE906ELNS1_3gpuE6ELNS1_3repE0EEENS1_30default_config_static_selectorELNS0_4arch9wavefront6targetE0EEEvT1_.kd
    .uniform_work_group_size: 1
    .uses_dynamic_stack: false
    .vgpr_count:     0
    .vgpr_spill_count: 0
    .wavefront_size: 32
  - .args:
      - .offset:         0
        .size:           128
        .value_kind:     by_value
    .group_segment_fixed_size: 0
    .kernarg_segment_align: 8
    .kernarg_segment_size: 128
    .language:       OpenCL C
    .language_version:
      - 2
      - 0
    .max_flat_workgroup_size: 384
    .name:           _ZN7rocprim17ROCPRIM_400000_NS6detail17trampoline_kernelINS0_14default_configENS1_25partition_config_selectorILNS1_17partition_subalgoE8EdNS0_10empty_typeEbEEZZNS1_14partition_implILS5_8ELb0ES3_jPKdPS6_PKS6_NS0_5tupleIJPdS6_EEENSE_IJSB_SB_EEENS0_18inequality_wrapperIN6hipcub16HIPCUB_304000_NS8EqualityEEEPlJS6_EEE10hipError_tPvRmT3_T4_T5_T6_T7_T9_mT8_P12ihipStream_tbDpT10_ENKUlT_T0_E_clISt17integral_constantIbLb0EES16_IbLb1EEEEDaS12_S13_EUlS12_E_NS1_11comp_targetILNS1_3genE10ELNS1_11target_archE1200ELNS1_3gpuE4ELNS1_3repE0EEENS1_30default_config_static_selectorELNS0_4arch9wavefront6targetE0EEEvT1_
    .private_segment_fixed_size: 0
    .sgpr_count:     0
    .sgpr_spill_count: 0
    .symbol:         _ZN7rocprim17ROCPRIM_400000_NS6detail17trampoline_kernelINS0_14default_configENS1_25partition_config_selectorILNS1_17partition_subalgoE8EdNS0_10empty_typeEbEEZZNS1_14partition_implILS5_8ELb0ES3_jPKdPS6_PKS6_NS0_5tupleIJPdS6_EEENSE_IJSB_SB_EEENS0_18inequality_wrapperIN6hipcub16HIPCUB_304000_NS8EqualityEEEPlJS6_EEE10hipError_tPvRmT3_T4_T5_T6_T7_T9_mT8_P12ihipStream_tbDpT10_ENKUlT_T0_E_clISt17integral_constantIbLb0EES16_IbLb1EEEEDaS12_S13_EUlS12_E_NS1_11comp_targetILNS1_3genE10ELNS1_11target_archE1200ELNS1_3gpuE4ELNS1_3repE0EEENS1_30default_config_static_selectorELNS0_4arch9wavefront6targetE0EEEvT1_.kd
    .uniform_work_group_size: 1
    .uses_dynamic_stack: false
    .vgpr_count:     0
    .vgpr_spill_count: 0
    .wavefront_size: 32
  - .args:
      - .offset:         0
        .size:           128
        .value_kind:     by_value
    .group_segment_fixed_size: 0
    .kernarg_segment_align: 8
    .kernarg_segment_size: 128
    .language:       OpenCL C
    .language_version:
      - 2
      - 0
    .max_flat_workgroup_size: 512
    .name:           _ZN7rocprim17ROCPRIM_400000_NS6detail17trampoline_kernelINS0_14default_configENS1_25partition_config_selectorILNS1_17partition_subalgoE8EdNS0_10empty_typeEbEEZZNS1_14partition_implILS5_8ELb0ES3_jPKdPS6_PKS6_NS0_5tupleIJPdS6_EEENSE_IJSB_SB_EEENS0_18inequality_wrapperIN6hipcub16HIPCUB_304000_NS8EqualityEEEPlJS6_EEE10hipError_tPvRmT3_T4_T5_T6_T7_T9_mT8_P12ihipStream_tbDpT10_ENKUlT_T0_E_clISt17integral_constantIbLb0EES16_IbLb1EEEEDaS12_S13_EUlS12_E_NS1_11comp_targetILNS1_3genE9ELNS1_11target_archE1100ELNS1_3gpuE3ELNS1_3repE0EEENS1_30default_config_static_selectorELNS0_4arch9wavefront6targetE0EEEvT1_
    .private_segment_fixed_size: 0
    .sgpr_count:     0
    .sgpr_spill_count: 0
    .symbol:         _ZN7rocprim17ROCPRIM_400000_NS6detail17trampoline_kernelINS0_14default_configENS1_25partition_config_selectorILNS1_17partition_subalgoE8EdNS0_10empty_typeEbEEZZNS1_14partition_implILS5_8ELb0ES3_jPKdPS6_PKS6_NS0_5tupleIJPdS6_EEENSE_IJSB_SB_EEENS0_18inequality_wrapperIN6hipcub16HIPCUB_304000_NS8EqualityEEEPlJS6_EEE10hipError_tPvRmT3_T4_T5_T6_T7_T9_mT8_P12ihipStream_tbDpT10_ENKUlT_T0_E_clISt17integral_constantIbLb0EES16_IbLb1EEEEDaS12_S13_EUlS12_E_NS1_11comp_targetILNS1_3genE9ELNS1_11target_archE1100ELNS1_3gpuE3ELNS1_3repE0EEENS1_30default_config_static_selectorELNS0_4arch9wavefront6targetE0EEEvT1_.kd
    .uniform_work_group_size: 1
    .uses_dynamic_stack: false
    .vgpr_count:     0
    .vgpr_spill_count: 0
    .wavefront_size: 32
  - .args:
      - .offset:         0
        .size:           128
        .value_kind:     by_value
    .group_segment_fixed_size: 0
    .kernarg_segment_align: 8
    .kernarg_segment_size: 128
    .language:       OpenCL C
    .language_version:
      - 2
      - 0
    .max_flat_workgroup_size: 512
    .name:           _ZN7rocprim17ROCPRIM_400000_NS6detail17trampoline_kernelINS0_14default_configENS1_25partition_config_selectorILNS1_17partition_subalgoE8EdNS0_10empty_typeEbEEZZNS1_14partition_implILS5_8ELb0ES3_jPKdPS6_PKS6_NS0_5tupleIJPdS6_EEENSE_IJSB_SB_EEENS0_18inequality_wrapperIN6hipcub16HIPCUB_304000_NS8EqualityEEEPlJS6_EEE10hipError_tPvRmT3_T4_T5_T6_T7_T9_mT8_P12ihipStream_tbDpT10_ENKUlT_T0_E_clISt17integral_constantIbLb0EES16_IbLb1EEEEDaS12_S13_EUlS12_E_NS1_11comp_targetILNS1_3genE8ELNS1_11target_archE1030ELNS1_3gpuE2ELNS1_3repE0EEENS1_30default_config_static_selectorELNS0_4arch9wavefront6targetE0EEEvT1_
    .private_segment_fixed_size: 0
    .sgpr_count:     0
    .sgpr_spill_count: 0
    .symbol:         _ZN7rocprim17ROCPRIM_400000_NS6detail17trampoline_kernelINS0_14default_configENS1_25partition_config_selectorILNS1_17partition_subalgoE8EdNS0_10empty_typeEbEEZZNS1_14partition_implILS5_8ELb0ES3_jPKdPS6_PKS6_NS0_5tupleIJPdS6_EEENSE_IJSB_SB_EEENS0_18inequality_wrapperIN6hipcub16HIPCUB_304000_NS8EqualityEEEPlJS6_EEE10hipError_tPvRmT3_T4_T5_T6_T7_T9_mT8_P12ihipStream_tbDpT10_ENKUlT_T0_E_clISt17integral_constantIbLb0EES16_IbLb1EEEEDaS12_S13_EUlS12_E_NS1_11comp_targetILNS1_3genE8ELNS1_11target_archE1030ELNS1_3gpuE2ELNS1_3repE0EEENS1_30default_config_static_selectorELNS0_4arch9wavefront6targetE0EEEvT1_.kd
    .uniform_work_group_size: 1
    .uses_dynamic_stack: false
    .vgpr_count:     0
    .vgpr_spill_count: 0
    .wavefront_size: 32
  - .args:
      - .offset:         0
        .size:           128
        .value_kind:     by_value
    .group_segment_fixed_size: 30720
    .kernarg_segment_align: 8
    .kernarg_segment_size: 128
    .language:       OpenCL C
    .language_version:
      - 2
      - 0
    .max_flat_workgroup_size: 256
    .name:           _ZN7rocprim17ROCPRIM_400000_NS6detail17trampoline_kernelINS0_14default_configENS1_33run_length_encode_config_selectorIdjNS0_4plusIjEEEEZZNS1_33reduce_by_key_impl_wrapped_configILNS1_25lookback_scan_determinismE0ES3_S7_PKdNS0_17constant_iteratorIjlEEPdPlSF_S6_NS0_8equal_toIdEEEE10hipError_tPvRmT2_T3_mT4_T5_T6_T7_T8_P12ihipStream_tbENKUlT_T0_E_clISt17integral_constantIbLb0EESZ_EEDaSU_SV_EUlSU_E_NS1_11comp_targetILNS1_3genE0ELNS1_11target_archE4294967295ELNS1_3gpuE0ELNS1_3repE0EEENS1_30default_config_static_selectorELNS0_4arch9wavefront6targetE0EEEvT1_
    .private_segment_fixed_size: 0
    .sgpr_count:     42
    .sgpr_spill_count: 0
    .symbol:         _ZN7rocprim17ROCPRIM_400000_NS6detail17trampoline_kernelINS0_14default_configENS1_33run_length_encode_config_selectorIdjNS0_4plusIjEEEEZZNS1_33reduce_by_key_impl_wrapped_configILNS1_25lookback_scan_determinismE0ES3_S7_PKdNS0_17constant_iteratorIjlEEPdPlSF_S6_NS0_8equal_toIdEEEE10hipError_tPvRmT2_T3_mT4_T5_T6_T7_T8_P12ihipStream_tbENKUlT_T0_E_clISt17integral_constantIbLb0EESZ_EEDaSU_SV_EUlSU_E_NS1_11comp_targetILNS1_3genE0ELNS1_11target_archE4294967295ELNS1_3gpuE0ELNS1_3repE0EEENS1_30default_config_static_selectorELNS0_4arch9wavefront6targetE0EEEvT1_.kd
    .uniform_work_group_size: 1
    .uses_dynamic_stack: false
    .vgpr_count:     101
    .vgpr_spill_count: 0
    .wavefront_size: 32
  - .args:
      - .offset:         0
        .size:           128
        .value_kind:     by_value
    .group_segment_fixed_size: 0
    .kernarg_segment_align: 8
    .kernarg_segment_size: 128
    .language:       OpenCL C
    .language_version:
      - 2
      - 0
    .max_flat_workgroup_size: 512
    .name:           _ZN7rocprim17ROCPRIM_400000_NS6detail17trampoline_kernelINS0_14default_configENS1_33run_length_encode_config_selectorIdjNS0_4plusIjEEEEZZNS1_33reduce_by_key_impl_wrapped_configILNS1_25lookback_scan_determinismE0ES3_S7_PKdNS0_17constant_iteratorIjlEEPdPlSF_S6_NS0_8equal_toIdEEEE10hipError_tPvRmT2_T3_mT4_T5_T6_T7_T8_P12ihipStream_tbENKUlT_T0_E_clISt17integral_constantIbLb0EESZ_EEDaSU_SV_EUlSU_E_NS1_11comp_targetILNS1_3genE5ELNS1_11target_archE942ELNS1_3gpuE9ELNS1_3repE0EEENS1_30default_config_static_selectorELNS0_4arch9wavefront6targetE0EEEvT1_
    .private_segment_fixed_size: 0
    .sgpr_count:     0
    .sgpr_spill_count: 0
    .symbol:         _ZN7rocprim17ROCPRIM_400000_NS6detail17trampoline_kernelINS0_14default_configENS1_33run_length_encode_config_selectorIdjNS0_4plusIjEEEEZZNS1_33reduce_by_key_impl_wrapped_configILNS1_25lookback_scan_determinismE0ES3_S7_PKdNS0_17constant_iteratorIjlEEPdPlSF_S6_NS0_8equal_toIdEEEE10hipError_tPvRmT2_T3_mT4_T5_T6_T7_T8_P12ihipStream_tbENKUlT_T0_E_clISt17integral_constantIbLb0EESZ_EEDaSU_SV_EUlSU_E_NS1_11comp_targetILNS1_3genE5ELNS1_11target_archE942ELNS1_3gpuE9ELNS1_3repE0EEENS1_30default_config_static_selectorELNS0_4arch9wavefront6targetE0EEEvT1_.kd
    .uniform_work_group_size: 1
    .uses_dynamic_stack: false
    .vgpr_count:     0
    .vgpr_spill_count: 0
    .wavefront_size: 32
  - .args:
      - .offset:         0
        .size:           128
        .value_kind:     by_value
    .group_segment_fixed_size: 0
    .kernarg_segment_align: 8
    .kernarg_segment_size: 128
    .language:       OpenCL C
    .language_version:
      - 2
      - 0
    .max_flat_workgroup_size: 256
    .name:           _ZN7rocprim17ROCPRIM_400000_NS6detail17trampoline_kernelINS0_14default_configENS1_33run_length_encode_config_selectorIdjNS0_4plusIjEEEEZZNS1_33reduce_by_key_impl_wrapped_configILNS1_25lookback_scan_determinismE0ES3_S7_PKdNS0_17constant_iteratorIjlEEPdPlSF_S6_NS0_8equal_toIdEEEE10hipError_tPvRmT2_T3_mT4_T5_T6_T7_T8_P12ihipStream_tbENKUlT_T0_E_clISt17integral_constantIbLb0EESZ_EEDaSU_SV_EUlSU_E_NS1_11comp_targetILNS1_3genE4ELNS1_11target_archE910ELNS1_3gpuE8ELNS1_3repE0EEENS1_30default_config_static_selectorELNS0_4arch9wavefront6targetE0EEEvT1_
    .private_segment_fixed_size: 0
    .sgpr_count:     0
    .sgpr_spill_count: 0
    .symbol:         _ZN7rocprim17ROCPRIM_400000_NS6detail17trampoline_kernelINS0_14default_configENS1_33run_length_encode_config_selectorIdjNS0_4plusIjEEEEZZNS1_33reduce_by_key_impl_wrapped_configILNS1_25lookback_scan_determinismE0ES3_S7_PKdNS0_17constant_iteratorIjlEEPdPlSF_S6_NS0_8equal_toIdEEEE10hipError_tPvRmT2_T3_mT4_T5_T6_T7_T8_P12ihipStream_tbENKUlT_T0_E_clISt17integral_constantIbLb0EESZ_EEDaSU_SV_EUlSU_E_NS1_11comp_targetILNS1_3genE4ELNS1_11target_archE910ELNS1_3gpuE8ELNS1_3repE0EEENS1_30default_config_static_selectorELNS0_4arch9wavefront6targetE0EEEvT1_.kd
    .uniform_work_group_size: 1
    .uses_dynamic_stack: false
    .vgpr_count:     0
    .vgpr_spill_count: 0
    .wavefront_size: 32
  - .args:
      - .offset:         0
        .size:           128
        .value_kind:     by_value
    .group_segment_fixed_size: 0
    .kernarg_segment_align: 8
    .kernarg_segment_size: 128
    .language:       OpenCL C
    .language_version:
      - 2
      - 0
    .max_flat_workgroup_size: 256
    .name:           _ZN7rocprim17ROCPRIM_400000_NS6detail17trampoline_kernelINS0_14default_configENS1_33run_length_encode_config_selectorIdjNS0_4plusIjEEEEZZNS1_33reduce_by_key_impl_wrapped_configILNS1_25lookback_scan_determinismE0ES3_S7_PKdNS0_17constant_iteratorIjlEEPdPlSF_S6_NS0_8equal_toIdEEEE10hipError_tPvRmT2_T3_mT4_T5_T6_T7_T8_P12ihipStream_tbENKUlT_T0_E_clISt17integral_constantIbLb0EESZ_EEDaSU_SV_EUlSU_E_NS1_11comp_targetILNS1_3genE3ELNS1_11target_archE908ELNS1_3gpuE7ELNS1_3repE0EEENS1_30default_config_static_selectorELNS0_4arch9wavefront6targetE0EEEvT1_
    .private_segment_fixed_size: 0
    .sgpr_count:     0
    .sgpr_spill_count: 0
    .symbol:         _ZN7rocprim17ROCPRIM_400000_NS6detail17trampoline_kernelINS0_14default_configENS1_33run_length_encode_config_selectorIdjNS0_4plusIjEEEEZZNS1_33reduce_by_key_impl_wrapped_configILNS1_25lookback_scan_determinismE0ES3_S7_PKdNS0_17constant_iteratorIjlEEPdPlSF_S6_NS0_8equal_toIdEEEE10hipError_tPvRmT2_T3_mT4_T5_T6_T7_T8_P12ihipStream_tbENKUlT_T0_E_clISt17integral_constantIbLb0EESZ_EEDaSU_SV_EUlSU_E_NS1_11comp_targetILNS1_3genE3ELNS1_11target_archE908ELNS1_3gpuE7ELNS1_3repE0EEENS1_30default_config_static_selectorELNS0_4arch9wavefront6targetE0EEEvT1_.kd
    .uniform_work_group_size: 1
    .uses_dynamic_stack: false
    .vgpr_count:     0
    .vgpr_spill_count: 0
    .wavefront_size: 32
  - .args:
      - .offset:         0
        .size:           128
        .value_kind:     by_value
    .group_segment_fixed_size: 0
    .kernarg_segment_align: 8
    .kernarg_segment_size: 128
    .language:       OpenCL C
    .language_version:
      - 2
      - 0
    .max_flat_workgroup_size: 256
    .name:           _ZN7rocprim17ROCPRIM_400000_NS6detail17trampoline_kernelINS0_14default_configENS1_33run_length_encode_config_selectorIdjNS0_4plusIjEEEEZZNS1_33reduce_by_key_impl_wrapped_configILNS1_25lookback_scan_determinismE0ES3_S7_PKdNS0_17constant_iteratorIjlEEPdPlSF_S6_NS0_8equal_toIdEEEE10hipError_tPvRmT2_T3_mT4_T5_T6_T7_T8_P12ihipStream_tbENKUlT_T0_E_clISt17integral_constantIbLb0EESZ_EEDaSU_SV_EUlSU_E_NS1_11comp_targetILNS1_3genE2ELNS1_11target_archE906ELNS1_3gpuE6ELNS1_3repE0EEENS1_30default_config_static_selectorELNS0_4arch9wavefront6targetE0EEEvT1_
    .private_segment_fixed_size: 0
    .sgpr_count:     0
    .sgpr_spill_count: 0
    .symbol:         _ZN7rocprim17ROCPRIM_400000_NS6detail17trampoline_kernelINS0_14default_configENS1_33run_length_encode_config_selectorIdjNS0_4plusIjEEEEZZNS1_33reduce_by_key_impl_wrapped_configILNS1_25lookback_scan_determinismE0ES3_S7_PKdNS0_17constant_iteratorIjlEEPdPlSF_S6_NS0_8equal_toIdEEEE10hipError_tPvRmT2_T3_mT4_T5_T6_T7_T8_P12ihipStream_tbENKUlT_T0_E_clISt17integral_constantIbLb0EESZ_EEDaSU_SV_EUlSU_E_NS1_11comp_targetILNS1_3genE2ELNS1_11target_archE906ELNS1_3gpuE6ELNS1_3repE0EEENS1_30default_config_static_selectorELNS0_4arch9wavefront6targetE0EEEvT1_.kd
    .uniform_work_group_size: 1
    .uses_dynamic_stack: false
    .vgpr_count:     0
    .vgpr_spill_count: 0
    .wavefront_size: 32
  - .args:
      - .offset:         0
        .size:           128
        .value_kind:     by_value
    .group_segment_fixed_size: 0
    .kernarg_segment_align: 8
    .kernarg_segment_size: 128
    .language:       OpenCL C
    .language_version:
      - 2
      - 0
    .max_flat_workgroup_size: 512
    .name:           _ZN7rocprim17ROCPRIM_400000_NS6detail17trampoline_kernelINS0_14default_configENS1_33run_length_encode_config_selectorIdjNS0_4plusIjEEEEZZNS1_33reduce_by_key_impl_wrapped_configILNS1_25lookback_scan_determinismE0ES3_S7_PKdNS0_17constant_iteratorIjlEEPdPlSF_S6_NS0_8equal_toIdEEEE10hipError_tPvRmT2_T3_mT4_T5_T6_T7_T8_P12ihipStream_tbENKUlT_T0_E_clISt17integral_constantIbLb0EESZ_EEDaSU_SV_EUlSU_E_NS1_11comp_targetILNS1_3genE10ELNS1_11target_archE1201ELNS1_3gpuE5ELNS1_3repE0EEENS1_30default_config_static_selectorELNS0_4arch9wavefront6targetE0EEEvT1_
    .private_segment_fixed_size: 0
    .sgpr_count:     0
    .sgpr_spill_count: 0
    .symbol:         _ZN7rocprim17ROCPRIM_400000_NS6detail17trampoline_kernelINS0_14default_configENS1_33run_length_encode_config_selectorIdjNS0_4plusIjEEEEZZNS1_33reduce_by_key_impl_wrapped_configILNS1_25lookback_scan_determinismE0ES3_S7_PKdNS0_17constant_iteratorIjlEEPdPlSF_S6_NS0_8equal_toIdEEEE10hipError_tPvRmT2_T3_mT4_T5_T6_T7_T8_P12ihipStream_tbENKUlT_T0_E_clISt17integral_constantIbLb0EESZ_EEDaSU_SV_EUlSU_E_NS1_11comp_targetILNS1_3genE10ELNS1_11target_archE1201ELNS1_3gpuE5ELNS1_3repE0EEENS1_30default_config_static_selectorELNS0_4arch9wavefront6targetE0EEEvT1_.kd
    .uniform_work_group_size: 1
    .uses_dynamic_stack: false
    .vgpr_count:     0
    .vgpr_spill_count: 0
    .wavefront_size: 32
  - .args:
      - .offset:         0
        .size:           128
        .value_kind:     by_value
    .group_segment_fixed_size: 0
    .kernarg_segment_align: 8
    .kernarg_segment_size: 128
    .language:       OpenCL C
    .language_version:
      - 2
      - 0
    .max_flat_workgroup_size: 512
    .name:           _ZN7rocprim17ROCPRIM_400000_NS6detail17trampoline_kernelINS0_14default_configENS1_33run_length_encode_config_selectorIdjNS0_4plusIjEEEEZZNS1_33reduce_by_key_impl_wrapped_configILNS1_25lookback_scan_determinismE0ES3_S7_PKdNS0_17constant_iteratorIjlEEPdPlSF_S6_NS0_8equal_toIdEEEE10hipError_tPvRmT2_T3_mT4_T5_T6_T7_T8_P12ihipStream_tbENKUlT_T0_E_clISt17integral_constantIbLb0EESZ_EEDaSU_SV_EUlSU_E_NS1_11comp_targetILNS1_3genE10ELNS1_11target_archE1200ELNS1_3gpuE4ELNS1_3repE0EEENS1_30default_config_static_selectorELNS0_4arch9wavefront6targetE0EEEvT1_
    .private_segment_fixed_size: 0
    .sgpr_count:     0
    .sgpr_spill_count: 0
    .symbol:         _ZN7rocprim17ROCPRIM_400000_NS6detail17trampoline_kernelINS0_14default_configENS1_33run_length_encode_config_selectorIdjNS0_4plusIjEEEEZZNS1_33reduce_by_key_impl_wrapped_configILNS1_25lookback_scan_determinismE0ES3_S7_PKdNS0_17constant_iteratorIjlEEPdPlSF_S6_NS0_8equal_toIdEEEE10hipError_tPvRmT2_T3_mT4_T5_T6_T7_T8_P12ihipStream_tbENKUlT_T0_E_clISt17integral_constantIbLb0EESZ_EEDaSU_SV_EUlSU_E_NS1_11comp_targetILNS1_3genE10ELNS1_11target_archE1200ELNS1_3gpuE4ELNS1_3repE0EEENS1_30default_config_static_selectorELNS0_4arch9wavefront6targetE0EEEvT1_.kd
    .uniform_work_group_size: 1
    .uses_dynamic_stack: false
    .vgpr_count:     0
    .vgpr_spill_count: 0
    .wavefront_size: 32
  - .args:
      - .offset:         0
        .size:           128
        .value_kind:     by_value
    .group_segment_fixed_size: 0
    .kernarg_segment_align: 8
    .kernarg_segment_size: 128
    .language:       OpenCL C
    .language_version:
      - 2
      - 0
    .max_flat_workgroup_size: 512
    .name:           _ZN7rocprim17ROCPRIM_400000_NS6detail17trampoline_kernelINS0_14default_configENS1_33run_length_encode_config_selectorIdjNS0_4plusIjEEEEZZNS1_33reduce_by_key_impl_wrapped_configILNS1_25lookback_scan_determinismE0ES3_S7_PKdNS0_17constant_iteratorIjlEEPdPlSF_S6_NS0_8equal_toIdEEEE10hipError_tPvRmT2_T3_mT4_T5_T6_T7_T8_P12ihipStream_tbENKUlT_T0_E_clISt17integral_constantIbLb0EESZ_EEDaSU_SV_EUlSU_E_NS1_11comp_targetILNS1_3genE9ELNS1_11target_archE1100ELNS1_3gpuE3ELNS1_3repE0EEENS1_30default_config_static_selectorELNS0_4arch9wavefront6targetE0EEEvT1_
    .private_segment_fixed_size: 0
    .sgpr_count:     0
    .sgpr_spill_count: 0
    .symbol:         _ZN7rocprim17ROCPRIM_400000_NS6detail17trampoline_kernelINS0_14default_configENS1_33run_length_encode_config_selectorIdjNS0_4plusIjEEEEZZNS1_33reduce_by_key_impl_wrapped_configILNS1_25lookback_scan_determinismE0ES3_S7_PKdNS0_17constant_iteratorIjlEEPdPlSF_S6_NS0_8equal_toIdEEEE10hipError_tPvRmT2_T3_mT4_T5_T6_T7_T8_P12ihipStream_tbENKUlT_T0_E_clISt17integral_constantIbLb0EESZ_EEDaSU_SV_EUlSU_E_NS1_11comp_targetILNS1_3genE9ELNS1_11target_archE1100ELNS1_3gpuE3ELNS1_3repE0EEENS1_30default_config_static_selectorELNS0_4arch9wavefront6targetE0EEEvT1_.kd
    .uniform_work_group_size: 1
    .uses_dynamic_stack: false
    .vgpr_count:     0
    .vgpr_spill_count: 0
    .wavefront_size: 32
  - .args:
      - .offset:         0
        .size:           128
        .value_kind:     by_value
    .group_segment_fixed_size: 0
    .kernarg_segment_align: 8
    .kernarg_segment_size: 128
    .language:       OpenCL C
    .language_version:
      - 2
      - 0
    .max_flat_workgroup_size: 512
    .name:           _ZN7rocprim17ROCPRIM_400000_NS6detail17trampoline_kernelINS0_14default_configENS1_33run_length_encode_config_selectorIdjNS0_4plusIjEEEEZZNS1_33reduce_by_key_impl_wrapped_configILNS1_25lookback_scan_determinismE0ES3_S7_PKdNS0_17constant_iteratorIjlEEPdPlSF_S6_NS0_8equal_toIdEEEE10hipError_tPvRmT2_T3_mT4_T5_T6_T7_T8_P12ihipStream_tbENKUlT_T0_E_clISt17integral_constantIbLb0EESZ_EEDaSU_SV_EUlSU_E_NS1_11comp_targetILNS1_3genE8ELNS1_11target_archE1030ELNS1_3gpuE2ELNS1_3repE0EEENS1_30default_config_static_selectorELNS0_4arch9wavefront6targetE0EEEvT1_
    .private_segment_fixed_size: 0
    .sgpr_count:     0
    .sgpr_spill_count: 0
    .symbol:         _ZN7rocprim17ROCPRIM_400000_NS6detail17trampoline_kernelINS0_14default_configENS1_33run_length_encode_config_selectorIdjNS0_4plusIjEEEEZZNS1_33reduce_by_key_impl_wrapped_configILNS1_25lookback_scan_determinismE0ES3_S7_PKdNS0_17constant_iteratorIjlEEPdPlSF_S6_NS0_8equal_toIdEEEE10hipError_tPvRmT2_T3_mT4_T5_T6_T7_T8_P12ihipStream_tbENKUlT_T0_E_clISt17integral_constantIbLb0EESZ_EEDaSU_SV_EUlSU_E_NS1_11comp_targetILNS1_3genE8ELNS1_11target_archE1030ELNS1_3gpuE2ELNS1_3repE0EEENS1_30default_config_static_selectorELNS0_4arch9wavefront6targetE0EEEvT1_.kd
    .uniform_work_group_size: 1
    .uses_dynamic_stack: false
    .vgpr_count:     0
    .vgpr_spill_count: 0
    .wavefront_size: 32
  - .args:
      - .offset:         0
        .size:           128
        .value_kind:     by_value
    .group_segment_fixed_size: 0
    .kernarg_segment_align: 8
    .kernarg_segment_size: 128
    .language:       OpenCL C
    .language_version:
      - 2
      - 0
    .max_flat_workgroup_size: 256
    .name:           _ZN7rocprim17ROCPRIM_400000_NS6detail17trampoline_kernelINS0_14default_configENS1_33run_length_encode_config_selectorIdjNS0_4plusIjEEEEZZNS1_33reduce_by_key_impl_wrapped_configILNS1_25lookback_scan_determinismE0ES3_S7_PKdNS0_17constant_iteratorIjlEEPdPlSF_S6_NS0_8equal_toIdEEEE10hipError_tPvRmT2_T3_mT4_T5_T6_T7_T8_P12ihipStream_tbENKUlT_T0_E_clISt17integral_constantIbLb1EESZ_EEDaSU_SV_EUlSU_E_NS1_11comp_targetILNS1_3genE0ELNS1_11target_archE4294967295ELNS1_3gpuE0ELNS1_3repE0EEENS1_30default_config_static_selectorELNS0_4arch9wavefront6targetE0EEEvT1_
    .private_segment_fixed_size: 0
    .sgpr_count:     0
    .sgpr_spill_count: 0
    .symbol:         _ZN7rocprim17ROCPRIM_400000_NS6detail17trampoline_kernelINS0_14default_configENS1_33run_length_encode_config_selectorIdjNS0_4plusIjEEEEZZNS1_33reduce_by_key_impl_wrapped_configILNS1_25lookback_scan_determinismE0ES3_S7_PKdNS0_17constant_iteratorIjlEEPdPlSF_S6_NS0_8equal_toIdEEEE10hipError_tPvRmT2_T3_mT4_T5_T6_T7_T8_P12ihipStream_tbENKUlT_T0_E_clISt17integral_constantIbLb1EESZ_EEDaSU_SV_EUlSU_E_NS1_11comp_targetILNS1_3genE0ELNS1_11target_archE4294967295ELNS1_3gpuE0ELNS1_3repE0EEENS1_30default_config_static_selectorELNS0_4arch9wavefront6targetE0EEEvT1_.kd
    .uniform_work_group_size: 1
    .uses_dynamic_stack: false
    .vgpr_count:     0
    .vgpr_spill_count: 0
    .wavefront_size: 32
  - .args:
      - .offset:         0
        .size:           128
        .value_kind:     by_value
    .group_segment_fixed_size: 0
    .kernarg_segment_align: 8
    .kernarg_segment_size: 128
    .language:       OpenCL C
    .language_version:
      - 2
      - 0
    .max_flat_workgroup_size: 512
    .name:           _ZN7rocprim17ROCPRIM_400000_NS6detail17trampoline_kernelINS0_14default_configENS1_33run_length_encode_config_selectorIdjNS0_4plusIjEEEEZZNS1_33reduce_by_key_impl_wrapped_configILNS1_25lookback_scan_determinismE0ES3_S7_PKdNS0_17constant_iteratorIjlEEPdPlSF_S6_NS0_8equal_toIdEEEE10hipError_tPvRmT2_T3_mT4_T5_T6_T7_T8_P12ihipStream_tbENKUlT_T0_E_clISt17integral_constantIbLb1EESZ_EEDaSU_SV_EUlSU_E_NS1_11comp_targetILNS1_3genE5ELNS1_11target_archE942ELNS1_3gpuE9ELNS1_3repE0EEENS1_30default_config_static_selectorELNS0_4arch9wavefront6targetE0EEEvT1_
    .private_segment_fixed_size: 0
    .sgpr_count:     0
    .sgpr_spill_count: 0
    .symbol:         _ZN7rocprim17ROCPRIM_400000_NS6detail17trampoline_kernelINS0_14default_configENS1_33run_length_encode_config_selectorIdjNS0_4plusIjEEEEZZNS1_33reduce_by_key_impl_wrapped_configILNS1_25lookback_scan_determinismE0ES3_S7_PKdNS0_17constant_iteratorIjlEEPdPlSF_S6_NS0_8equal_toIdEEEE10hipError_tPvRmT2_T3_mT4_T5_T6_T7_T8_P12ihipStream_tbENKUlT_T0_E_clISt17integral_constantIbLb1EESZ_EEDaSU_SV_EUlSU_E_NS1_11comp_targetILNS1_3genE5ELNS1_11target_archE942ELNS1_3gpuE9ELNS1_3repE0EEENS1_30default_config_static_selectorELNS0_4arch9wavefront6targetE0EEEvT1_.kd
    .uniform_work_group_size: 1
    .uses_dynamic_stack: false
    .vgpr_count:     0
    .vgpr_spill_count: 0
    .wavefront_size: 32
  - .args:
      - .offset:         0
        .size:           128
        .value_kind:     by_value
    .group_segment_fixed_size: 0
    .kernarg_segment_align: 8
    .kernarg_segment_size: 128
    .language:       OpenCL C
    .language_version:
      - 2
      - 0
    .max_flat_workgroup_size: 256
    .name:           _ZN7rocprim17ROCPRIM_400000_NS6detail17trampoline_kernelINS0_14default_configENS1_33run_length_encode_config_selectorIdjNS0_4plusIjEEEEZZNS1_33reduce_by_key_impl_wrapped_configILNS1_25lookback_scan_determinismE0ES3_S7_PKdNS0_17constant_iteratorIjlEEPdPlSF_S6_NS0_8equal_toIdEEEE10hipError_tPvRmT2_T3_mT4_T5_T6_T7_T8_P12ihipStream_tbENKUlT_T0_E_clISt17integral_constantIbLb1EESZ_EEDaSU_SV_EUlSU_E_NS1_11comp_targetILNS1_3genE4ELNS1_11target_archE910ELNS1_3gpuE8ELNS1_3repE0EEENS1_30default_config_static_selectorELNS0_4arch9wavefront6targetE0EEEvT1_
    .private_segment_fixed_size: 0
    .sgpr_count:     0
    .sgpr_spill_count: 0
    .symbol:         _ZN7rocprim17ROCPRIM_400000_NS6detail17trampoline_kernelINS0_14default_configENS1_33run_length_encode_config_selectorIdjNS0_4plusIjEEEEZZNS1_33reduce_by_key_impl_wrapped_configILNS1_25lookback_scan_determinismE0ES3_S7_PKdNS0_17constant_iteratorIjlEEPdPlSF_S6_NS0_8equal_toIdEEEE10hipError_tPvRmT2_T3_mT4_T5_T6_T7_T8_P12ihipStream_tbENKUlT_T0_E_clISt17integral_constantIbLb1EESZ_EEDaSU_SV_EUlSU_E_NS1_11comp_targetILNS1_3genE4ELNS1_11target_archE910ELNS1_3gpuE8ELNS1_3repE0EEENS1_30default_config_static_selectorELNS0_4arch9wavefront6targetE0EEEvT1_.kd
    .uniform_work_group_size: 1
    .uses_dynamic_stack: false
    .vgpr_count:     0
    .vgpr_spill_count: 0
    .wavefront_size: 32
  - .args:
      - .offset:         0
        .size:           128
        .value_kind:     by_value
    .group_segment_fixed_size: 0
    .kernarg_segment_align: 8
    .kernarg_segment_size: 128
    .language:       OpenCL C
    .language_version:
      - 2
      - 0
    .max_flat_workgroup_size: 256
    .name:           _ZN7rocprim17ROCPRIM_400000_NS6detail17trampoline_kernelINS0_14default_configENS1_33run_length_encode_config_selectorIdjNS0_4plusIjEEEEZZNS1_33reduce_by_key_impl_wrapped_configILNS1_25lookback_scan_determinismE0ES3_S7_PKdNS0_17constant_iteratorIjlEEPdPlSF_S6_NS0_8equal_toIdEEEE10hipError_tPvRmT2_T3_mT4_T5_T6_T7_T8_P12ihipStream_tbENKUlT_T0_E_clISt17integral_constantIbLb1EESZ_EEDaSU_SV_EUlSU_E_NS1_11comp_targetILNS1_3genE3ELNS1_11target_archE908ELNS1_3gpuE7ELNS1_3repE0EEENS1_30default_config_static_selectorELNS0_4arch9wavefront6targetE0EEEvT1_
    .private_segment_fixed_size: 0
    .sgpr_count:     0
    .sgpr_spill_count: 0
    .symbol:         _ZN7rocprim17ROCPRIM_400000_NS6detail17trampoline_kernelINS0_14default_configENS1_33run_length_encode_config_selectorIdjNS0_4plusIjEEEEZZNS1_33reduce_by_key_impl_wrapped_configILNS1_25lookback_scan_determinismE0ES3_S7_PKdNS0_17constant_iteratorIjlEEPdPlSF_S6_NS0_8equal_toIdEEEE10hipError_tPvRmT2_T3_mT4_T5_T6_T7_T8_P12ihipStream_tbENKUlT_T0_E_clISt17integral_constantIbLb1EESZ_EEDaSU_SV_EUlSU_E_NS1_11comp_targetILNS1_3genE3ELNS1_11target_archE908ELNS1_3gpuE7ELNS1_3repE0EEENS1_30default_config_static_selectorELNS0_4arch9wavefront6targetE0EEEvT1_.kd
    .uniform_work_group_size: 1
    .uses_dynamic_stack: false
    .vgpr_count:     0
    .vgpr_spill_count: 0
    .wavefront_size: 32
  - .args:
      - .offset:         0
        .size:           128
        .value_kind:     by_value
    .group_segment_fixed_size: 0
    .kernarg_segment_align: 8
    .kernarg_segment_size: 128
    .language:       OpenCL C
    .language_version:
      - 2
      - 0
    .max_flat_workgroup_size: 256
    .name:           _ZN7rocprim17ROCPRIM_400000_NS6detail17trampoline_kernelINS0_14default_configENS1_33run_length_encode_config_selectorIdjNS0_4plusIjEEEEZZNS1_33reduce_by_key_impl_wrapped_configILNS1_25lookback_scan_determinismE0ES3_S7_PKdNS0_17constant_iteratorIjlEEPdPlSF_S6_NS0_8equal_toIdEEEE10hipError_tPvRmT2_T3_mT4_T5_T6_T7_T8_P12ihipStream_tbENKUlT_T0_E_clISt17integral_constantIbLb1EESZ_EEDaSU_SV_EUlSU_E_NS1_11comp_targetILNS1_3genE2ELNS1_11target_archE906ELNS1_3gpuE6ELNS1_3repE0EEENS1_30default_config_static_selectorELNS0_4arch9wavefront6targetE0EEEvT1_
    .private_segment_fixed_size: 0
    .sgpr_count:     0
    .sgpr_spill_count: 0
    .symbol:         _ZN7rocprim17ROCPRIM_400000_NS6detail17trampoline_kernelINS0_14default_configENS1_33run_length_encode_config_selectorIdjNS0_4plusIjEEEEZZNS1_33reduce_by_key_impl_wrapped_configILNS1_25lookback_scan_determinismE0ES3_S7_PKdNS0_17constant_iteratorIjlEEPdPlSF_S6_NS0_8equal_toIdEEEE10hipError_tPvRmT2_T3_mT4_T5_T6_T7_T8_P12ihipStream_tbENKUlT_T0_E_clISt17integral_constantIbLb1EESZ_EEDaSU_SV_EUlSU_E_NS1_11comp_targetILNS1_3genE2ELNS1_11target_archE906ELNS1_3gpuE6ELNS1_3repE0EEENS1_30default_config_static_selectorELNS0_4arch9wavefront6targetE0EEEvT1_.kd
    .uniform_work_group_size: 1
    .uses_dynamic_stack: false
    .vgpr_count:     0
    .vgpr_spill_count: 0
    .wavefront_size: 32
  - .args:
      - .offset:         0
        .size:           128
        .value_kind:     by_value
    .group_segment_fixed_size: 0
    .kernarg_segment_align: 8
    .kernarg_segment_size: 128
    .language:       OpenCL C
    .language_version:
      - 2
      - 0
    .max_flat_workgroup_size: 512
    .name:           _ZN7rocprim17ROCPRIM_400000_NS6detail17trampoline_kernelINS0_14default_configENS1_33run_length_encode_config_selectorIdjNS0_4plusIjEEEEZZNS1_33reduce_by_key_impl_wrapped_configILNS1_25lookback_scan_determinismE0ES3_S7_PKdNS0_17constant_iteratorIjlEEPdPlSF_S6_NS0_8equal_toIdEEEE10hipError_tPvRmT2_T3_mT4_T5_T6_T7_T8_P12ihipStream_tbENKUlT_T0_E_clISt17integral_constantIbLb1EESZ_EEDaSU_SV_EUlSU_E_NS1_11comp_targetILNS1_3genE10ELNS1_11target_archE1201ELNS1_3gpuE5ELNS1_3repE0EEENS1_30default_config_static_selectorELNS0_4arch9wavefront6targetE0EEEvT1_
    .private_segment_fixed_size: 0
    .sgpr_count:     0
    .sgpr_spill_count: 0
    .symbol:         _ZN7rocprim17ROCPRIM_400000_NS6detail17trampoline_kernelINS0_14default_configENS1_33run_length_encode_config_selectorIdjNS0_4plusIjEEEEZZNS1_33reduce_by_key_impl_wrapped_configILNS1_25lookback_scan_determinismE0ES3_S7_PKdNS0_17constant_iteratorIjlEEPdPlSF_S6_NS0_8equal_toIdEEEE10hipError_tPvRmT2_T3_mT4_T5_T6_T7_T8_P12ihipStream_tbENKUlT_T0_E_clISt17integral_constantIbLb1EESZ_EEDaSU_SV_EUlSU_E_NS1_11comp_targetILNS1_3genE10ELNS1_11target_archE1201ELNS1_3gpuE5ELNS1_3repE0EEENS1_30default_config_static_selectorELNS0_4arch9wavefront6targetE0EEEvT1_.kd
    .uniform_work_group_size: 1
    .uses_dynamic_stack: false
    .vgpr_count:     0
    .vgpr_spill_count: 0
    .wavefront_size: 32
  - .args:
      - .offset:         0
        .size:           128
        .value_kind:     by_value
    .group_segment_fixed_size: 0
    .kernarg_segment_align: 8
    .kernarg_segment_size: 128
    .language:       OpenCL C
    .language_version:
      - 2
      - 0
    .max_flat_workgroup_size: 512
    .name:           _ZN7rocprim17ROCPRIM_400000_NS6detail17trampoline_kernelINS0_14default_configENS1_33run_length_encode_config_selectorIdjNS0_4plusIjEEEEZZNS1_33reduce_by_key_impl_wrapped_configILNS1_25lookback_scan_determinismE0ES3_S7_PKdNS0_17constant_iteratorIjlEEPdPlSF_S6_NS0_8equal_toIdEEEE10hipError_tPvRmT2_T3_mT4_T5_T6_T7_T8_P12ihipStream_tbENKUlT_T0_E_clISt17integral_constantIbLb1EESZ_EEDaSU_SV_EUlSU_E_NS1_11comp_targetILNS1_3genE10ELNS1_11target_archE1200ELNS1_3gpuE4ELNS1_3repE0EEENS1_30default_config_static_selectorELNS0_4arch9wavefront6targetE0EEEvT1_
    .private_segment_fixed_size: 0
    .sgpr_count:     0
    .sgpr_spill_count: 0
    .symbol:         _ZN7rocprim17ROCPRIM_400000_NS6detail17trampoline_kernelINS0_14default_configENS1_33run_length_encode_config_selectorIdjNS0_4plusIjEEEEZZNS1_33reduce_by_key_impl_wrapped_configILNS1_25lookback_scan_determinismE0ES3_S7_PKdNS0_17constant_iteratorIjlEEPdPlSF_S6_NS0_8equal_toIdEEEE10hipError_tPvRmT2_T3_mT4_T5_T6_T7_T8_P12ihipStream_tbENKUlT_T0_E_clISt17integral_constantIbLb1EESZ_EEDaSU_SV_EUlSU_E_NS1_11comp_targetILNS1_3genE10ELNS1_11target_archE1200ELNS1_3gpuE4ELNS1_3repE0EEENS1_30default_config_static_selectorELNS0_4arch9wavefront6targetE0EEEvT1_.kd
    .uniform_work_group_size: 1
    .uses_dynamic_stack: false
    .vgpr_count:     0
    .vgpr_spill_count: 0
    .wavefront_size: 32
  - .args:
      - .offset:         0
        .size:           128
        .value_kind:     by_value
    .group_segment_fixed_size: 0
    .kernarg_segment_align: 8
    .kernarg_segment_size: 128
    .language:       OpenCL C
    .language_version:
      - 2
      - 0
    .max_flat_workgroup_size: 512
    .name:           _ZN7rocprim17ROCPRIM_400000_NS6detail17trampoline_kernelINS0_14default_configENS1_33run_length_encode_config_selectorIdjNS0_4plusIjEEEEZZNS1_33reduce_by_key_impl_wrapped_configILNS1_25lookback_scan_determinismE0ES3_S7_PKdNS0_17constant_iteratorIjlEEPdPlSF_S6_NS0_8equal_toIdEEEE10hipError_tPvRmT2_T3_mT4_T5_T6_T7_T8_P12ihipStream_tbENKUlT_T0_E_clISt17integral_constantIbLb1EESZ_EEDaSU_SV_EUlSU_E_NS1_11comp_targetILNS1_3genE9ELNS1_11target_archE1100ELNS1_3gpuE3ELNS1_3repE0EEENS1_30default_config_static_selectorELNS0_4arch9wavefront6targetE0EEEvT1_
    .private_segment_fixed_size: 0
    .sgpr_count:     0
    .sgpr_spill_count: 0
    .symbol:         _ZN7rocprim17ROCPRIM_400000_NS6detail17trampoline_kernelINS0_14default_configENS1_33run_length_encode_config_selectorIdjNS0_4plusIjEEEEZZNS1_33reduce_by_key_impl_wrapped_configILNS1_25lookback_scan_determinismE0ES3_S7_PKdNS0_17constant_iteratorIjlEEPdPlSF_S6_NS0_8equal_toIdEEEE10hipError_tPvRmT2_T3_mT4_T5_T6_T7_T8_P12ihipStream_tbENKUlT_T0_E_clISt17integral_constantIbLb1EESZ_EEDaSU_SV_EUlSU_E_NS1_11comp_targetILNS1_3genE9ELNS1_11target_archE1100ELNS1_3gpuE3ELNS1_3repE0EEENS1_30default_config_static_selectorELNS0_4arch9wavefront6targetE0EEEvT1_.kd
    .uniform_work_group_size: 1
    .uses_dynamic_stack: false
    .vgpr_count:     0
    .vgpr_spill_count: 0
    .wavefront_size: 32
  - .args:
      - .offset:         0
        .size:           128
        .value_kind:     by_value
    .group_segment_fixed_size: 0
    .kernarg_segment_align: 8
    .kernarg_segment_size: 128
    .language:       OpenCL C
    .language_version:
      - 2
      - 0
    .max_flat_workgroup_size: 512
    .name:           _ZN7rocprim17ROCPRIM_400000_NS6detail17trampoline_kernelINS0_14default_configENS1_33run_length_encode_config_selectorIdjNS0_4plusIjEEEEZZNS1_33reduce_by_key_impl_wrapped_configILNS1_25lookback_scan_determinismE0ES3_S7_PKdNS0_17constant_iteratorIjlEEPdPlSF_S6_NS0_8equal_toIdEEEE10hipError_tPvRmT2_T3_mT4_T5_T6_T7_T8_P12ihipStream_tbENKUlT_T0_E_clISt17integral_constantIbLb1EESZ_EEDaSU_SV_EUlSU_E_NS1_11comp_targetILNS1_3genE8ELNS1_11target_archE1030ELNS1_3gpuE2ELNS1_3repE0EEENS1_30default_config_static_selectorELNS0_4arch9wavefront6targetE0EEEvT1_
    .private_segment_fixed_size: 0
    .sgpr_count:     0
    .sgpr_spill_count: 0
    .symbol:         _ZN7rocprim17ROCPRIM_400000_NS6detail17trampoline_kernelINS0_14default_configENS1_33run_length_encode_config_selectorIdjNS0_4plusIjEEEEZZNS1_33reduce_by_key_impl_wrapped_configILNS1_25lookback_scan_determinismE0ES3_S7_PKdNS0_17constant_iteratorIjlEEPdPlSF_S6_NS0_8equal_toIdEEEE10hipError_tPvRmT2_T3_mT4_T5_T6_T7_T8_P12ihipStream_tbENKUlT_T0_E_clISt17integral_constantIbLb1EESZ_EEDaSU_SV_EUlSU_E_NS1_11comp_targetILNS1_3genE8ELNS1_11target_archE1030ELNS1_3gpuE2ELNS1_3repE0EEENS1_30default_config_static_selectorELNS0_4arch9wavefront6targetE0EEEvT1_.kd
    .uniform_work_group_size: 1
    .uses_dynamic_stack: false
    .vgpr_count:     0
    .vgpr_spill_count: 0
    .wavefront_size: 32
  - .args:
      - .offset:         0
        .size:           128
        .value_kind:     by_value
    .group_segment_fixed_size: 0
    .kernarg_segment_align: 8
    .kernarg_segment_size: 128
    .language:       OpenCL C
    .language_version:
      - 2
      - 0
    .max_flat_workgroup_size: 256
    .name:           _ZN7rocprim17ROCPRIM_400000_NS6detail17trampoline_kernelINS0_14default_configENS1_33run_length_encode_config_selectorIdjNS0_4plusIjEEEEZZNS1_33reduce_by_key_impl_wrapped_configILNS1_25lookback_scan_determinismE0ES3_S7_PKdNS0_17constant_iteratorIjlEEPdPlSF_S6_NS0_8equal_toIdEEEE10hipError_tPvRmT2_T3_mT4_T5_T6_T7_T8_P12ihipStream_tbENKUlT_T0_E_clISt17integral_constantIbLb1EESY_IbLb0EEEEDaSU_SV_EUlSU_E_NS1_11comp_targetILNS1_3genE0ELNS1_11target_archE4294967295ELNS1_3gpuE0ELNS1_3repE0EEENS1_30default_config_static_selectorELNS0_4arch9wavefront6targetE0EEEvT1_
    .private_segment_fixed_size: 0
    .sgpr_count:     0
    .sgpr_spill_count: 0
    .symbol:         _ZN7rocprim17ROCPRIM_400000_NS6detail17trampoline_kernelINS0_14default_configENS1_33run_length_encode_config_selectorIdjNS0_4plusIjEEEEZZNS1_33reduce_by_key_impl_wrapped_configILNS1_25lookback_scan_determinismE0ES3_S7_PKdNS0_17constant_iteratorIjlEEPdPlSF_S6_NS0_8equal_toIdEEEE10hipError_tPvRmT2_T3_mT4_T5_T6_T7_T8_P12ihipStream_tbENKUlT_T0_E_clISt17integral_constantIbLb1EESY_IbLb0EEEEDaSU_SV_EUlSU_E_NS1_11comp_targetILNS1_3genE0ELNS1_11target_archE4294967295ELNS1_3gpuE0ELNS1_3repE0EEENS1_30default_config_static_selectorELNS0_4arch9wavefront6targetE0EEEvT1_.kd
    .uniform_work_group_size: 1
    .uses_dynamic_stack: false
    .vgpr_count:     0
    .vgpr_spill_count: 0
    .wavefront_size: 32
  - .args:
      - .offset:         0
        .size:           128
        .value_kind:     by_value
    .group_segment_fixed_size: 0
    .kernarg_segment_align: 8
    .kernarg_segment_size: 128
    .language:       OpenCL C
    .language_version:
      - 2
      - 0
    .max_flat_workgroup_size: 512
    .name:           _ZN7rocprim17ROCPRIM_400000_NS6detail17trampoline_kernelINS0_14default_configENS1_33run_length_encode_config_selectorIdjNS0_4plusIjEEEEZZNS1_33reduce_by_key_impl_wrapped_configILNS1_25lookback_scan_determinismE0ES3_S7_PKdNS0_17constant_iteratorIjlEEPdPlSF_S6_NS0_8equal_toIdEEEE10hipError_tPvRmT2_T3_mT4_T5_T6_T7_T8_P12ihipStream_tbENKUlT_T0_E_clISt17integral_constantIbLb1EESY_IbLb0EEEEDaSU_SV_EUlSU_E_NS1_11comp_targetILNS1_3genE5ELNS1_11target_archE942ELNS1_3gpuE9ELNS1_3repE0EEENS1_30default_config_static_selectorELNS0_4arch9wavefront6targetE0EEEvT1_
    .private_segment_fixed_size: 0
    .sgpr_count:     0
    .sgpr_spill_count: 0
    .symbol:         _ZN7rocprim17ROCPRIM_400000_NS6detail17trampoline_kernelINS0_14default_configENS1_33run_length_encode_config_selectorIdjNS0_4plusIjEEEEZZNS1_33reduce_by_key_impl_wrapped_configILNS1_25lookback_scan_determinismE0ES3_S7_PKdNS0_17constant_iteratorIjlEEPdPlSF_S6_NS0_8equal_toIdEEEE10hipError_tPvRmT2_T3_mT4_T5_T6_T7_T8_P12ihipStream_tbENKUlT_T0_E_clISt17integral_constantIbLb1EESY_IbLb0EEEEDaSU_SV_EUlSU_E_NS1_11comp_targetILNS1_3genE5ELNS1_11target_archE942ELNS1_3gpuE9ELNS1_3repE0EEENS1_30default_config_static_selectorELNS0_4arch9wavefront6targetE0EEEvT1_.kd
    .uniform_work_group_size: 1
    .uses_dynamic_stack: false
    .vgpr_count:     0
    .vgpr_spill_count: 0
    .wavefront_size: 32
  - .args:
      - .offset:         0
        .size:           128
        .value_kind:     by_value
    .group_segment_fixed_size: 0
    .kernarg_segment_align: 8
    .kernarg_segment_size: 128
    .language:       OpenCL C
    .language_version:
      - 2
      - 0
    .max_flat_workgroup_size: 256
    .name:           _ZN7rocprim17ROCPRIM_400000_NS6detail17trampoline_kernelINS0_14default_configENS1_33run_length_encode_config_selectorIdjNS0_4plusIjEEEEZZNS1_33reduce_by_key_impl_wrapped_configILNS1_25lookback_scan_determinismE0ES3_S7_PKdNS0_17constant_iteratorIjlEEPdPlSF_S6_NS0_8equal_toIdEEEE10hipError_tPvRmT2_T3_mT4_T5_T6_T7_T8_P12ihipStream_tbENKUlT_T0_E_clISt17integral_constantIbLb1EESY_IbLb0EEEEDaSU_SV_EUlSU_E_NS1_11comp_targetILNS1_3genE4ELNS1_11target_archE910ELNS1_3gpuE8ELNS1_3repE0EEENS1_30default_config_static_selectorELNS0_4arch9wavefront6targetE0EEEvT1_
    .private_segment_fixed_size: 0
    .sgpr_count:     0
    .sgpr_spill_count: 0
    .symbol:         _ZN7rocprim17ROCPRIM_400000_NS6detail17trampoline_kernelINS0_14default_configENS1_33run_length_encode_config_selectorIdjNS0_4plusIjEEEEZZNS1_33reduce_by_key_impl_wrapped_configILNS1_25lookback_scan_determinismE0ES3_S7_PKdNS0_17constant_iteratorIjlEEPdPlSF_S6_NS0_8equal_toIdEEEE10hipError_tPvRmT2_T3_mT4_T5_T6_T7_T8_P12ihipStream_tbENKUlT_T0_E_clISt17integral_constantIbLb1EESY_IbLb0EEEEDaSU_SV_EUlSU_E_NS1_11comp_targetILNS1_3genE4ELNS1_11target_archE910ELNS1_3gpuE8ELNS1_3repE0EEENS1_30default_config_static_selectorELNS0_4arch9wavefront6targetE0EEEvT1_.kd
    .uniform_work_group_size: 1
    .uses_dynamic_stack: false
    .vgpr_count:     0
    .vgpr_spill_count: 0
    .wavefront_size: 32
  - .args:
      - .offset:         0
        .size:           128
        .value_kind:     by_value
    .group_segment_fixed_size: 0
    .kernarg_segment_align: 8
    .kernarg_segment_size: 128
    .language:       OpenCL C
    .language_version:
      - 2
      - 0
    .max_flat_workgroup_size: 256
    .name:           _ZN7rocprim17ROCPRIM_400000_NS6detail17trampoline_kernelINS0_14default_configENS1_33run_length_encode_config_selectorIdjNS0_4plusIjEEEEZZNS1_33reduce_by_key_impl_wrapped_configILNS1_25lookback_scan_determinismE0ES3_S7_PKdNS0_17constant_iteratorIjlEEPdPlSF_S6_NS0_8equal_toIdEEEE10hipError_tPvRmT2_T3_mT4_T5_T6_T7_T8_P12ihipStream_tbENKUlT_T0_E_clISt17integral_constantIbLb1EESY_IbLb0EEEEDaSU_SV_EUlSU_E_NS1_11comp_targetILNS1_3genE3ELNS1_11target_archE908ELNS1_3gpuE7ELNS1_3repE0EEENS1_30default_config_static_selectorELNS0_4arch9wavefront6targetE0EEEvT1_
    .private_segment_fixed_size: 0
    .sgpr_count:     0
    .sgpr_spill_count: 0
    .symbol:         _ZN7rocprim17ROCPRIM_400000_NS6detail17trampoline_kernelINS0_14default_configENS1_33run_length_encode_config_selectorIdjNS0_4plusIjEEEEZZNS1_33reduce_by_key_impl_wrapped_configILNS1_25lookback_scan_determinismE0ES3_S7_PKdNS0_17constant_iteratorIjlEEPdPlSF_S6_NS0_8equal_toIdEEEE10hipError_tPvRmT2_T3_mT4_T5_T6_T7_T8_P12ihipStream_tbENKUlT_T0_E_clISt17integral_constantIbLb1EESY_IbLb0EEEEDaSU_SV_EUlSU_E_NS1_11comp_targetILNS1_3genE3ELNS1_11target_archE908ELNS1_3gpuE7ELNS1_3repE0EEENS1_30default_config_static_selectorELNS0_4arch9wavefront6targetE0EEEvT1_.kd
    .uniform_work_group_size: 1
    .uses_dynamic_stack: false
    .vgpr_count:     0
    .vgpr_spill_count: 0
    .wavefront_size: 32
  - .args:
      - .offset:         0
        .size:           128
        .value_kind:     by_value
    .group_segment_fixed_size: 0
    .kernarg_segment_align: 8
    .kernarg_segment_size: 128
    .language:       OpenCL C
    .language_version:
      - 2
      - 0
    .max_flat_workgroup_size: 256
    .name:           _ZN7rocprim17ROCPRIM_400000_NS6detail17trampoline_kernelINS0_14default_configENS1_33run_length_encode_config_selectorIdjNS0_4plusIjEEEEZZNS1_33reduce_by_key_impl_wrapped_configILNS1_25lookback_scan_determinismE0ES3_S7_PKdNS0_17constant_iteratorIjlEEPdPlSF_S6_NS0_8equal_toIdEEEE10hipError_tPvRmT2_T3_mT4_T5_T6_T7_T8_P12ihipStream_tbENKUlT_T0_E_clISt17integral_constantIbLb1EESY_IbLb0EEEEDaSU_SV_EUlSU_E_NS1_11comp_targetILNS1_3genE2ELNS1_11target_archE906ELNS1_3gpuE6ELNS1_3repE0EEENS1_30default_config_static_selectorELNS0_4arch9wavefront6targetE0EEEvT1_
    .private_segment_fixed_size: 0
    .sgpr_count:     0
    .sgpr_spill_count: 0
    .symbol:         _ZN7rocprim17ROCPRIM_400000_NS6detail17trampoline_kernelINS0_14default_configENS1_33run_length_encode_config_selectorIdjNS0_4plusIjEEEEZZNS1_33reduce_by_key_impl_wrapped_configILNS1_25lookback_scan_determinismE0ES3_S7_PKdNS0_17constant_iteratorIjlEEPdPlSF_S6_NS0_8equal_toIdEEEE10hipError_tPvRmT2_T3_mT4_T5_T6_T7_T8_P12ihipStream_tbENKUlT_T0_E_clISt17integral_constantIbLb1EESY_IbLb0EEEEDaSU_SV_EUlSU_E_NS1_11comp_targetILNS1_3genE2ELNS1_11target_archE906ELNS1_3gpuE6ELNS1_3repE0EEENS1_30default_config_static_selectorELNS0_4arch9wavefront6targetE0EEEvT1_.kd
    .uniform_work_group_size: 1
    .uses_dynamic_stack: false
    .vgpr_count:     0
    .vgpr_spill_count: 0
    .wavefront_size: 32
  - .args:
      - .offset:         0
        .size:           128
        .value_kind:     by_value
    .group_segment_fixed_size: 0
    .kernarg_segment_align: 8
    .kernarg_segment_size: 128
    .language:       OpenCL C
    .language_version:
      - 2
      - 0
    .max_flat_workgroup_size: 512
    .name:           _ZN7rocprim17ROCPRIM_400000_NS6detail17trampoline_kernelINS0_14default_configENS1_33run_length_encode_config_selectorIdjNS0_4plusIjEEEEZZNS1_33reduce_by_key_impl_wrapped_configILNS1_25lookback_scan_determinismE0ES3_S7_PKdNS0_17constant_iteratorIjlEEPdPlSF_S6_NS0_8equal_toIdEEEE10hipError_tPvRmT2_T3_mT4_T5_T6_T7_T8_P12ihipStream_tbENKUlT_T0_E_clISt17integral_constantIbLb1EESY_IbLb0EEEEDaSU_SV_EUlSU_E_NS1_11comp_targetILNS1_3genE10ELNS1_11target_archE1201ELNS1_3gpuE5ELNS1_3repE0EEENS1_30default_config_static_selectorELNS0_4arch9wavefront6targetE0EEEvT1_
    .private_segment_fixed_size: 0
    .sgpr_count:     0
    .sgpr_spill_count: 0
    .symbol:         _ZN7rocprim17ROCPRIM_400000_NS6detail17trampoline_kernelINS0_14default_configENS1_33run_length_encode_config_selectorIdjNS0_4plusIjEEEEZZNS1_33reduce_by_key_impl_wrapped_configILNS1_25lookback_scan_determinismE0ES3_S7_PKdNS0_17constant_iteratorIjlEEPdPlSF_S6_NS0_8equal_toIdEEEE10hipError_tPvRmT2_T3_mT4_T5_T6_T7_T8_P12ihipStream_tbENKUlT_T0_E_clISt17integral_constantIbLb1EESY_IbLb0EEEEDaSU_SV_EUlSU_E_NS1_11comp_targetILNS1_3genE10ELNS1_11target_archE1201ELNS1_3gpuE5ELNS1_3repE0EEENS1_30default_config_static_selectorELNS0_4arch9wavefront6targetE0EEEvT1_.kd
    .uniform_work_group_size: 1
    .uses_dynamic_stack: false
    .vgpr_count:     0
    .vgpr_spill_count: 0
    .wavefront_size: 32
  - .args:
      - .offset:         0
        .size:           128
        .value_kind:     by_value
    .group_segment_fixed_size: 0
    .kernarg_segment_align: 8
    .kernarg_segment_size: 128
    .language:       OpenCL C
    .language_version:
      - 2
      - 0
    .max_flat_workgroup_size: 512
    .name:           _ZN7rocprim17ROCPRIM_400000_NS6detail17trampoline_kernelINS0_14default_configENS1_33run_length_encode_config_selectorIdjNS0_4plusIjEEEEZZNS1_33reduce_by_key_impl_wrapped_configILNS1_25lookback_scan_determinismE0ES3_S7_PKdNS0_17constant_iteratorIjlEEPdPlSF_S6_NS0_8equal_toIdEEEE10hipError_tPvRmT2_T3_mT4_T5_T6_T7_T8_P12ihipStream_tbENKUlT_T0_E_clISt17integral_constantIbLb1EESY_IbLb0EEEEDaSU_SV_EUlSU_E_NS1_11comp_targetILNS1_3genE10ELNS1_11target_archE1200ELNS1_3gpuE4ELNS1_3repE0EEENS1_30default_config_static_selectorELNS0_4arch9wavefront6targetE0EEEvT1_
    .private_segment_fixed_size: 0
    .sgpr_count:     0
    .sgpr_spill_count: 0
    .symbol:         _ZN7rocprim17ROCPRIM_400000_NS6detail17trampoline_kernelINS0_14default_configENS1_33run_length_encode_config_selectorIdjNS0_4plusIjEEEEZZNS1_33reduce_by_key_impl_wrapped_configILNS1_25lookback_scan_determinismE0ES3_S7_PKdNS0_17constant_iteratorIjlEEPdPlSF_S6_NS0_8equal_toIdEEEE10hipError_tPvRmT2_T3_mT4_T5_T6_T7_T8_P12ihipStream_tbENKUlT_T0_E_clISt17integral_constantIbLb1EESY_IbLb0EEEEDaSU_SV_EUlSU_E_NS1_11comp_targetILNS1_3genE10ELNS1_11target_archE1200ELNS1_3gpuE4ELNS1_3repE0EEENS1_30default_config_static_selectorELNS0_4arch9wavefront6targetE0EEEvT1_.kd
    .uniform_work_group_size: 1
    .uses_dynamic_stack: false
    .vgpr_count:     0
    .vgpr_spill_count: 0
    .wavefront_size: 32
  - .args:
      - .offset:         0
        .size:           128
        .value_kind:     by_value
    .group_segment_fixed_size: 0
    .kernarg_segment_align: 8
    .kernarg_segment_size: 128
    .language:       OpenCL C
    .language_version:
      - 2
      - 0
    .max_flat_workgroup_size: 512
    .name:           _ZN7rocprim17ROCPRIM_400000_NS6detail17trampoline_kernelINS0_14default_configENS1_33run_length_encode_config_selectorIdjNS0_4plusIjEEEEZZNS1_33reduce_by_key_impl_wrapped_configILNS1_25lookback_scan_determinismE0ES3_S7_PKdNS0_17constant_iteratorIjlEEPdPlSF_S6_NS0_8equal_toIdEEEE10hipError_tPvRmT2_T3_mT4_T5_T6_T7_T8_P12ihipStream_tbENKUlT_T0_E_clISt17integral_constantIbLb1EESY_IbLb0EEEEDaSU_SV_EUlSU_E_NS1_11comp_targetILNS1_3genE9ELNS1_11target_archE1100ELNS1_3gpuE3ELNS1_3repE0EEENS1_30default_config_static_selectorELNS0_4arch9wavefront6targetE0EEEvT1_
    .private_segment_fixed_size: 0
    .sgpr_count:     0
    .sgpr_spill_count: 0
    .symbol:         _ZN7rocprim17ROCPRIM_400000_NS6detail17trampoline_kernelINS0_14default_configENS1_33run_length_encode_config_selectorIdjNS0_4plusIjEEEEZZNS1_33reduce_by_key_impl_wrapped_configILNS1_25lookback_scan_determinismE0ES3_S7_PKdNS0_17constant_iteratorIjlEEPdPlSF_S6_NS0_8equal_toIdEEEE10hipError_tPvRmT2_T3_mT4_T5_T6_T7_T8_P12ihipStream_tbENKUlT_T0_E_clISt17integral_constantIbLb1EESY_IbLb0EEEEDaSU_SV_EUlSU_E_NS1_11comp_targetILNS1_3genE9ELNS1_11target_archE1100ELNS1_3gpuE3ELNS1_3repE0EEENS1_30default_config_static_selectorELNS0_4arch9wavefront6targetE0EEEvT1_.kd
    .uniform_work_group_size: 1
    .uses_dynamic_stack: false
    .vgpr_count:     0
    .vgpr_spill_count: 0
    .wavefront_size: 32
  - .args:
      - .offset:         0
        .size:           128
        .value_kind:     by_value
    .group_segment_fixed_size: 0
    .kernarg_segment_align: 8
    .kernarg_segment_size: 128
    .language:       OpenCL C
    .language_version:
      - 2
      - 0
    .max_flat_workgroup_size: 512
    .name:           _ZN7rocprim17ROCPRIM_400000_NS6detail17trampoline_kernelINS0_14default_configENS1_33run_length_encode_config_selectorIdjNS0_4plusIjEEEEZZNS1_33reduce_by_key_impl_wrapped_configILNS1_25lookback_scan_determinismE0ES3_S7_PKdNS0_17constant_iteratorIjlEEPdPlSF_S6_NS0_8equal_toIdEEEE10hipError_tPvRmT2_T3_mT4_T5_T6_T7_T8_P12ihipStream_tbENKUlT_T0_E_clISt17integral_constantIbLb1EESY_IbLb0EEEEDaSU_SV_EUlSU_E_NS1_11comp_targetILNS1_3genE8ELNS1_11target_archE1030ELNS1_3gpuE2ELNS1_3repE0EEENS1_30default_config_static_selectorELNS0_4arch9wavefront6targetE0EEEvT1_
    .private_segment_fixed_size: 0
    .sgpr_count:     0
    .sgpr_spill_count: 0
    .symbol:         _ZN7rocprim17ROCPRIM_400000_NS6detail17trampoline_kernelINS0_14default_configENS1_33run_length_encode_config_selectorIdjNS0_4plusIjEEEEZZNS1_33reduce_by_key_impl_wrapped_configILNS1_25lookback_scan_determinismE0ES3_S7_PKdNS0_17constant_iteratorIjlEEPdPlSF_S6_NS0_8equal_toIdEEEE10hipError_tPvRmT2_T3_mT4_T5_T6_T7_T8_P12ihipStream_tbENKUlT_T0_E_clISt17integral_constantIbLb1EESY_IbLb0EEEEDaSU_SV_EUlSU_E_NS1_11comp_targetILNS1_3genE8ELNS1_11target_archE1030ELNS1_3gpuE2ELNS1_3repE0EEENS1_30default_config_static_selectorELNS0_4arch9wavefront6targetE0EEEvT1_.kd
    .uniform_work_group_size: 1
    .uses_dynamic_stack: false
    .vgpr_count:     0
    .vgpr_spill_count: 0
    .wavefront_size: 32
  - .args:
      - .offset:         0
        .size:           128
        .value_kind:     by_value
    .group_segment_fixed_size: 30720
    .kernarg_segment_align: 8
    .kernarg_segment_size: 128
    .language:       OpenCL C
    .language_version:
      - 2
      - 0
    .max_flat_workgroup_size: 256
    .name:           _ZN7rocprim17ROCPRIM_400000_NS6detail17trampoline_kernelINS0_14default_configENS1_33run_length_encode_config_selectorIdjNS0_4plusIjEEEEZZNS1_33reduce_by_key_impl_wrapped_configILNS1_25lookback_scan_determinismE0ES3_S7_PKdNS0_17constant_iteratorIjlEEPdPlSF_S6_NS0_8equal_toIdEEEE10hipError_tPvRmT2_T3_mT4_T5_T6_T7_T8_P12ihipStream_tbENKUlT_T0_E_clISt17integral_constantIbLb0EESY_IbLb1EEEEDaSU_SV_EUlSU_E_NS1_11comp_targetILNS1_3genE0ELNS1_11target_archE4294967295ELNS1_3gpuE0ELNS1_3repE0EEENS1_30default_config_static_selectorELNS0_4arch9wavefront6targetE0EEEvT1_
    .private_segment_fixed_size: 0
    .sgpr_count:     47
    .sgpr_spill_count: 0
    .symbol:         _ZN7rocprim17ROCPRIM_400000_NS6detail17trampoline_kernelINS0_14default_configENS1_33run_length_encode_config_selectorIdjNS0_4plusIjEEEEZZNS1_33reduce_by_key_impl_wrapped_configILNS1_25lookback_scan_determinismE0ES3_S7_PKdNS0_17constant_iteratorIjlEEPdPlSF_S6_NS0_8equal_toIdEEEE10hipError_tPvRmT2_T3_mT4_T5_T6_T7_T8_P12ihipStream_tbENKUlT_T0_E_clISt17integral_constantIbLb0EESY_IbLb1EEEEDaSU_SV_EUlSU_E_NS1_11comp_targetILNS1_3genE0ELNS1_11target_archE4294967295ELNS1_3gpuE0ELNS1_3repE0EEENS1_30default_config_static_selectorELNS0_4arch9wavefront6targetE0EEEvT1_.kd
    .uniform_work_group_size: 1
    .uses_dynamic_stack: false
    .vgpr_count:     101
    .vgpr_spill_count: 0
    .wavefront_size: 32
  - .args:
      - .offset:         0
        .size:           128
        .value_kind:     by_value
    .group_segment_fixed_size: 0
    .kernarg_segment_align: 8
    .kernarg_segment_size: 128
    .language:       OpenCL C
    .language_version:
      - 2
      - 0
    .max_flat_workgroup_size: 512
    .name:           _ZN7rocprim17ROCPRIM_400000_NS6detail17trampoline_kernelINS0_14default_configENS1_33run_length_encode_config_selectorIdjNS0_4plusIjEEEEZZNS1_33reduce_by_key_impl_wrapped_configILNS1_25lookback_scan_determinismE0ES3_S7_PKdNS0_17constant_iteratorIjlEEPdPlSF_S6_NS0_8equal_toIdEEEE10hipError_tPvRmT2_T3_mT4_T5_T6_T7_T8_P12ihipStream_tbENKUlT_T0_E_clISt17integral_constantIbLb0EESY_IbLb1EEEEDaSU_SV_EUlSU_E_NS1_11comp_targetILNS1_3genE5ELNS1_11target_archE942ELNS1_3gpuE9ELNS1_3repE0EEENS1_30default_config_static_selectorELNS0_4arch9wavefront6targetE0EEEvT1_
    .private_segment_fixed_size: 0
    .sgpr_count:     0
    .sgpr_spill_count: 0
    .symbol:         _ZN7rocprim17ROCPRIM_400000_NS6detail17trampoline_kernelINS0_14default_configENS1_33run_length_encode_config_selectorIdjNS0_4plusIjEEEEZZNS1_33reduce_by_key_impl_wrapped_configILNS1_25lookback_scan_determinismE0ES3_S7_PKdNS0_17constant_iteratorIjlEEPdPlSF_S6_NS0_8equal_toIdEEEE10hipError_tPvRmT2_T3_mT4_T5_T6_T7_T8_P12ihipStream_tbENKUlT_T0_E_clISt17integral_constantIbLb0EESY_IbLb1EEEEDaSU_SV_EUlSU_E_NS1_11comp_targetILNS1_3genE5ELNS1_11target_archE942ELNS1_3gpuE9ELNS1_3repE0EEENS1_30default_config_static_selectorELNS0_4arch9wavefront6targetE0EEEvT1_.kd
    .uniform_work_group_size: 1
    .uses_dynamic_stack: false
    .vgpr_count:     0
    .vgpr_spill_count: 0
    .wavefront_size: 32
  - .args:
      - .offset:         0
        .size:           128
        .value_kind:     by_value
    .group_segment_fixed_size: 0
    .kernarg_segment_align: 8
    .kernarg_segment_size: 128
    .language:       OpenCL C
    .language_version:
      - 2
      - 0
    .max_flat_workgroup_size: 256
    .name:           _ZN7rocprim17ROCPRIM_400000_NS6detail17trampoline_kernelINS0_14default_configENS1_33run_length_encode_config_selectorIdjNS0_4plusIjEEEEZZNS1_33reduce_by_key_impl_wrapped_configILNS1_25lookback_scan_determinismE0ES3_S7_PKdNS0_17constant_iteratorIjlEEPdPlSF_S6_NS0_8equal_toIdEEEE10hipError_tPvRmT2_T3_mT4_T5_T6_T7_T8_P12ihipStream_tbENKUlT_T0_E_clISt17integral_constantIbLb0EESY_IbLb1EEEEDaSU_SV_EUlSU_E_NS1_11comp_targetILNS1_3genE4ELNS1_11target_archE910ELNS1_3gpuE8ELNS1_3repE0EEENS1_30default_config_static_selectorELNS0_4arch9wavefront6targetE0EEEvT1_
    .private_segment_fixed_size: 0
    .sgpr_count:     0
    .sgpr_spill_count: 0
    .symbol:         _ZN7rocprim17ROCPRIM_400000_NS6detail17trampoline_kernelINS0_14default_configENS1_33run_length_encode_config_selectorIdjNS0_4plusIjEEEEZZNS1_33reduce_by_key_impl_wrapped_configILNS1_25lookback_scan_determinismE0ES3_S7_PKdNS0_17constant_iteratorIjlEEPdPlSF_S6_NS0_8equal_toIdEEEE10hipError_tPvRmT2_T3_mT4_T5_T6_T7_T8_P12ihipStream_tbENKUlT_T0_E_clISt17integral_constantIbLb0EESY_IbLb1EEEEDaSU_SV_EUlSU_E_NS1_11comp_targetILNS1_3genE4ELNS1_11target_archE910ELNS1_3gpuE8ELNS1_3repE0EEENS1_30default_config_static_selectorELNS0_4arch9wavefront6targetE0EEEvT1_.kd
    .uniform_work_group_size: 1
    .uses_dynamic_stack: false
    .vgpr_count:     0
    .vgpr_spill_count: 0
    .wavefront_size: 32
  - .args:
      - .offset:         0
        .size:           128
        .value_kind:     by_value
    .group_segment_fixed_size: 0
    .kernarg_segment_align: 8
    .kernarg_segment_size: 128
    .language:       OpenCL C
    .language_version:
      - 2
      - 0
    .max_flat_workgroup_size: 256
    .name:           _ZN7rocprim17ROCPRIM_400000_NS6detail17trampoline_kernelINS0_14default_configENS1_33run_length_encode_config_selectorIdjNS0_4plusIjEEEEZZNS1_33reduce_by_key_impl_wrapped_configILNS1_25lookback_scan_determinismE0ES3_S7_PKdNS0_17constant_iteratorIjlEEPdPlSF_S6_NS0_8equal_toIdEEEE10hipError_tPvRmT2_T3_mT4_T5_T6_T7_T8_P12ihipStream_tbENKUlT_T0_E_clISt17integral_constantIbLb0EESY_IbLb1EEEEDaSU_SV_EUlSU_E_NS1_11comp_targetILNS1_3genE3ELNS1_11target_archE908ELNS1_3gpuE7ELNS1_3repE0EEENS1_30default_config_static_selectorELNS0_4arch9wavefront6targetE0EEEvT1_
    .private_segment_fixed_size: 0
    .sgpr_count:     0
    .sgpr_spill_count: 0
    .symbol:         _ZN7rocprim17ROCPRIM_400000_NS6detail17trampoline_kernelINS0_14default_configENS1_33run_length_encode_config_selectorIdjNS0_4plusIjEEEEZZNS1_33reduce_by_key_impl_wrapped_configILNS1_25lookback_scan_determinismE0ES3_S7_PKdNS0_17constant_iteratorIjlEEPdPlSF_S6_NS0_8equal_toIdEEEE10hipError_tPvRmT2_T3_mT4_T5_T6_T7_T8_P12ihipStream_tbENKUlT_T0_E_clISt17integral_constantIbLb0EESY_IbLb1EEEEDaSU_SV_EUlSU_E_NS1_11comp_targetILNS1_3genE3ELNS1_11target_archE908ELNS1_3gpuE7ELNS1_3repE0EEENS1_30default_config_static_selectorELNS0_4arch9wavefront6targetE0EEEvT1_.kd
    .uniform_work_group_size: 1
    .uses_dynamic_stack: false
    .vgpr_count:     0
    .vgpr_spill_count: 0
    .wavefront_size: 32
  - .args:
      - .offset:         0
        .size:           128
        .value_kind:     by_value
    .group_segment_fixed_size: 0
    .kernarg_segment_align: 8
    .kernarg_segment_size: 128
    .language:       OpenCL C
    .language_version:
      - 2
      - 0
    .max_flat_workgroup_size: 256
    .name:           _ZN7rocprim17ROCPRIM_400000_NS6detail17trampoline_kernelINS0_14default_configENS1_33run_length_encode_config_selectorIdjNS0_4plusIjEEEEZZNS1_33reduce_by_key_impl_wrapped_configILNS1_25lookback_scan_determinismE0ES3_S7_PKdNS0_17constant_iteratorIjlEEPdPlSF_S6_NS0_8equal_toIdEEEE10hipError_tPvRmT2_T3_mT4_T5_T6_T7_T8_P12ihipStream_tbENKUlT_T0_E_clISt17integral_constantIbLb0EESY_IbLb1EEEEDaSU_SV_EUlSU_E_NS1_11comp_targetILNS1_3genE2ELNS1_11target_archE906ELNS1_3gpuE6ELNS1_3repE0EEENS1_30default_config_static_selectorELNS0_4arch9wavefront6targetE0EEEvT1_
    .private_segment_fixed_size: 0
    .sgpr_count:     0
    .sgpr_spill_count: 0
    .symbol:         _ZN7rocprim17ROCPRIM_400000_NS6detail17trampoline_kernelINS0_14default_configENS1_33run_length_encode_config_selectorIdjNS0_4plusIjEEEEZZNS1_33reduce_by_key_impl_wrapped_configILNS1_25lookback_scan_determinismE0ES3_S7_PKdNS0_17constant_iteratorIjlEEPdPlSF_S6_NS0_8equal_toIdEEEE10hipError_tPvRmT2_T3_mT4_T5_T6_T7_T8_P12ihipStream_tbENKUlT_T0_E_clISt17integral_constantIbLb0EESY_IbLb1EEEEDaSU_SV_EUlSU_E_NS1_11comp_targetILNS1_3genE2ELNS1_11target_archE906ELNS1_3gpuE6ELNS1_3repE0EEENS1_30default_config_static_selectorELNS0_4arch9wavefront6targetE0EEEvT1_.kd
    .uniform_work_group_size: 1
    .uses_dynamic_stack: false
    .vgpr_count:     0
    .vgpr_spill_count: 0
    .wavefront_size: 32
  - .args:
      - .offset:         0
        .size:           128
        .value_kind:     by_value
    .group_segment_fixed_size: 0
    .kernarg_segment_align: 8
    .kernarg_segment_size: 128
    .language:       OpenCL C
    .language_version:
      - 2
      - 0
    .max_flat_workgroup_size: 512
    .name:           _ZN7rocprim17ROCPRIM_400000_NS6detail17trampoline_kernelINS0_14default_configENS1_33run_length_encode_config_selectorIdjNS0_4plusIjEEEEZZNS1_33reduce_by_key_impl_wrapped_configILNS1_25lookback_scan_determinismE0ES3_S7_PKdNS0_17constant_iteratorIjlEEPdPlSF_S6_NS0_8equal_toIdEEEE10hipError_tPvRmT2_T3_mT4_T5_T6_T7_T8_P12ihipStream_tbENKUlT_T0_E_clISt17integral_constantIbLb0EESY_IbLb1EEEEDaSU_SV_EUlSU_E_NS1_11comp_targetILNS1_3genE10ELNS1_11target_archE1201ELNS1_3gpuE5ELNS1_3repE0EEENS1_30default_config_static_selectorELNS0_4arch9wavefront6targetE0EEEvT1_
    .private_segment_fixed_size: 0
    .sgpr_count:     0
    .sgpr_spill_count: 0
    .symbol:         _ZN7rocprim17ROCPRIM_400000_NS6detail17trampoline_kernelINS0_14default_configENS1_33run_length_encode_config_selectorIdjNS0_4plusIjEEEEZZNS1_33reduce_by_key_impl_wrapped_configILNS1_25lookback_scan_determinismE0ES3_S7_PKdNS0_17constant_iteratorIjlEEPdPlSF_S6_NS0_8equal_toIdEEEE10hipError_tPvRmT2_T3_mT4_T5_T6_T7_T8_P12ihipStream_tbENKUlT_T0_E_clISt17integral_constantIbLb0EESY_IbLb1EEEEDaSU_SV_EUlSU_E_NS1_11comp_targetILNS1_3genE10ELNS1_11target_archE1201ELNS1_3gpuE5ELNS1_3repE0EEENS1_30default_config_static_selectorELNS0_4arch9wavefront6targetE0EEEvT1_.kd
    .uniform_work_group_size: 1
    .uses_dynamic_stack: false
    .vgpr_count:     0
    .vgpr_spill_count: 0
    .wavefront_size: 32
  - .args:
      - .offset:         0
        .size:           128
        .value_kind:     by_value
    .group_segment_fixed_size: 0
    .kernarg_segment_align: 8
    .kernarg_segment_size: 128
    .language:       OpenCL C
    .language_version:
      - 2
      - 0
    .max_flat_workgroup_size: 512
    .name:           _ZN7rocprim17ROCPRIM_400000_NS6detail17trampoline_kernelINS0_14default_configENS1_33run_length_encode_config_selectorIdjNS0_4plusIjEEEEZZNS1_33reduce_by_key_impl_wrapped_configILNS1_25lookback_scan_determinismE0ES3_S7_PKdNS0_17constant_iteratorIjlEEPdPlSF_S6_NS0_8equal_toIdEEEE10hipError_tPvRmT2_T3_mT4_T5_T6_T7_T8_P12ihipStream_tbENKUlT_T0_E_clISt17integral_constantIbLb0EESY_IbLb1EEEEDaSU_SV_EUlSU_E_NS1_11comp_targetILNS1_3genE10ELNS1_11target_archE1200ELNS1_3gpuE4ELNS1_3repE0EEENS1_30default_config_static_selectorELNS0_4arch9wavefront6targetE0EEEvT1_
    .private_segment_fixed_size: 0
    .sgpr_count:     0
    .sgpr_spill_count: 0
    .symbol:         _ZN7rocprim17ROCPRIM_400000_NS6detail17trampoline_kernelINS0_14default_configENS1_33run_length_encode_config_selectorIdjNS0_4plusIjEEEEZZNS1_33reduce_by_key_impl_wrapped_configILNS1_25lookback_scan_determinismE0ES3_S7_PKdNS0_17constant_iteratorIjlEEPdPlSF_S6_NS0_8equal_toIdEEEE10hipError_tPvRmT2_T3_mT4_T5_T6_T7_T8_P12ihipStream_tbENKUlT_T0_E_clISt17integral_constantIbLb0EESY_IbLb1EEEEDaSU_SV_EUlSU_E_NS1_11comp_targetILNS1_3genE10ELNS1_11target_archE1200ELNS1_3gpuE4ELNS1_3repE0EEENS1_30default_config_static_selectorELNS0_4arch9wavefront6targetE0EEEvT1_.kd
    .uniform_work_group_size: 1
    .uses_dynamic_stack: false
    .vgpr_count:     0
    .vgpr_spill_count: 0
    .wavefront_size: 32
  - .args:
      - .offset:         0
        .size:           128
        .value_kind:     by_value
    .group_segment_fixed_size: 0
    .kernarg_segment_align: 8
    .kernarg_segment_size: 128
    .language:       OpenCL C
    .language_version:
      - 2
      - 0
    .max_flat_workgroup_size: 512
    .name:           _ZN7rocprim17ROCPRIM_400000_NS6detail17trampoline_kernelINS0_14default_configENS1_33run_length_encode_config_selectorIdjNS0_4plusIjEEEEZZNS1_33reduce_by_key_impl_wrapped_configILNS1_25lookback_scan_determinismE0ES3_S7_PKdNS0_17constant_iteratorIjlEEPdPlSF_S6_NS0_8equal_toIdEEEE10hipError_tPvRmT2_T3_mT4_T5_T6_T7_T8_P12ihipStream_tbENKUlT_T0_E_clISt17integral_constantIbLb0EESY_IbLb1EEEEDaSU_SV_EUlSU_E_NS1_11comp_targetILNS1_3genE9ELNS1_11target_archE1100ELNS1_3gpuE3ELNS1_3repE0EEENS1_30default_config_static_selectorELNS0_4arch9wavefront6targetE0EEEvT1_
    .private_segment_fixed_size: 0
    .sgpr_count:     0
    .sgpr_spill_count: 0
    .symbol:         _ZN7rocprim17ROCPRIM_400000_NS6detail17trampoline_kernelINS0_14default_configENS1_33run_length_encode_config_selectorIdjNS0_4plusIjEEEEZZNS1_33reduce_by_key_impl_wrapped_configILNS1_25lookback_scan_determinismE0ES3_S7_PKdNS0_17constant_iteratorIjlEEPdPlSF_S6_NS0_8equal_toIdEEEE10hipError_tPvRmT2_T3_mT4_T5_T6_T7_T8_P12ihipStream_tbENKUlT_T0_E_clISt17integral_constantIbLb0EESY_IbLb1EEEEDaSU_SV_EUlSU_E_NS1_11comp_targetILNS1_3genE9ELNS1_11target_archE1100ELNS1_3gpuE3ELNS1_3repE0EEENS1_30default_config_static_selectorELNS0_4arch9wavefront6targetE0EEEvT1_.kd
    .uniform_work_group_size: 1
    .uses_dynamic_stack: false
    .vgpr_count:     0
    .vgpr_spill_count: 0
    .wavefront_size: 32
  - .args:
      - .offset:         0
        .size:           128
        .value_kind:     by_value
    .group_segment_fixed_size: 0
    .kernarg_segment_align: 8
    .kernarg_segment_size: 128
    .language:       OpenCL C
    .language_version:
      - 2
      - 0
    .max_flat_workgroup_size: 512
    .name:           _ZN7rocprim17ROCPRIM_400000_NS6detail17trampoline_kernelINS0_14default_configENS1_33run_length_encode_config_selectorIdjNS0_4plusIjEEEEZZNS1_33reduce_by_key_impl_wrapped_configILNS1_25lookback_scan_determinismE0ES3_S7_PKdNS0_17constant_iteratorIjlEEPdPlSF_S6_NS0_8equal_toIdEEEE10hipError_tPvRmT2_T3_mT4_T5_T6_T7_T8_P12ihipStream_tbENKUlT_T0_E_clISt17integral_constantIbLb0EESY_IbLb1EEEEDaSU_SV_EUlSU_E_NS1_11comp_targetILNS1_3genE8ELNS1_11target_archE1030ELNS1_3gpuE2ELNS1_3repE0EEENS1_30default_config_static_selectorELNS0_4arch9wavefront6targetE0EEEvT1_
    .private_segment_fixed_size: 0
    .sgpr_count:     0
    .sgpr_spill_count: 0
    .symbol:         _ZN7rocprim17ROCPRIM_400000_NS6detail17trampoline_kernelINS0_14default_configENS1_33run_length_encode_config_selectorIdjNS0_4plusIjEEEEZZNS1_33reduce_by_key_impl_wrapped_configILNS1_25lookback_scan_determinismE0ES3_S7_PKdNS0_17constant_iteratorIjlEEPdPlSF_S6_NS0_8equal_toIdEEEE10hipError_tPvRmT2_T3_mT4_T5_T6_T7_T8_P12ihipStream_tbENKUlT_T0_E_clISt17integral_constantIbLb0EESY_IbLb1EEEEDaSU_SV_EUlSU_E_NS1_11comp_targetILNS1_3genE8ELNS1_11target_archE1030ELNS1_3gpuE2ELNS1_3repE0EEENS1_30default_config_static_selectorELNS0_4arch9wavefront6targetE0EEEvT1_.kd
    .uniform_work_group_size: 1
    .uses_dynamic_stack: false
    .vgpr_count:     0
    .vgpr_spill_count: 0
    .wavefront_size: 32
  - .args:
      - .offset:         0
        .size:           8
        .value_kind:     by_value
      - .address_space:  global
        .offset:         8
        .size:           8
        .value_kind:     global_buffer
      - .address_space:  global
        .offset:         16
        .size:           8
        .value_kind:     global_buffer
      - .offset:         24
        .size:           4
        .value_kind:     hidden_block_count_x
      - .offset:         28
        .size:           4
        .value_kind:     hidden_block_count_y
      - .offset:         32
        .size:           4
        .value_kind:     hidden_block_count_z
      - .offset:         36
        .size:           2
        .value_kind:     hidden_group_size_x
      - .offset:         38
        .size:           2
        .value_kind:     hidden_group_size_y
      - .offset:         40
        .size:           2
        .value_kind:     hidden_group_size_z
      - .offset:         42
        .size:           2
        .value_kind:     hidden_remainder_x
      - .offset:         44
        .size:           2
        .value_kind:     hidden_remainder_y
      - .offset:         46
        .size:           2
        .value_kind:     hidden_remainder_z
      - .offset:         64
        .size:           8
        .value_kind:     hidden_global_offset_x
      - .offset:         72
        .size:           8
        .value_kind:     hidden_global_offset_y
      - .offset:         80
        .size:           8
        .value_kind:     hidden_global_offset_z
      - .offset:         88
        .size:           2
        .value_kind:     hidden_grid_dims
    .group_segment_fixed_size: 0
    .kernarg_segment_align: 8
    .kernarg_segment_size: 280
    .language:       OpenCL C
    .language_version:
      - 2
      - 0
    .max_flat_workgroup_size: 1024
    .name:           _ZN2at6native8internal12_GLOBAL__N_126adjacent_difference_kernelIPKfEEvlT_Pi
    .private_segment_fixed_size: 0
    .sgpr_count:     20
    .sgpr_spill_count: 0
    .symbol:         _ZN2at6native8internal12_GLOBAL__N_126adjacent_difference_kernelIPKfEEvlT_Pi.kd
    .uniform_work_group_size: 1
    .uses_dynamic_stack: false
    .vgpr_count:     10
    .vgpr_spill_count: 0
    .wavefront_size: 32
  - .args:
      - .offset:         0
        .size:           112
        .value_kind:     by_value
    .group_segment_fixed_size: 22536
    .kernarg_segment_align: 8
    .kernarg_segment_size: 112
    .language:       OpenCL C
    .language_version:
      - 2
      - 0
    .max_flat_workgroup_size: 512
    .name:           _ZN7rocprim17ROCPRIM_400000_NS6detail17trampoline_kernelINS0_14default_configENS1_25partition_config_selectorILNS1_17partition_subalgoE8EfNS0_10empty_typeEbEEZZNS1_14partition_implILS5_8ELb0ES3_jPKfPS6_PKS6_NS0_5tupleIJPfS6_EEENSE_IJSB_SB_EEENS0_18inequality_wrapperIN6hipcub16HIPCUB_304000_NS8EqualityEEEPlJS6_EEE10hipError_tPvRmT3_T4_T5_T6_T7_T9_mT8_P12ihipStream_tbDpT10_ENKUlT_T0_E_clISt17integral_constantIbLb0EES17_EEDaS12_S13_EUlS12_E_NS1_11comp_targetILNS1_3genE0ELNS1_11target_archE4294967295ELNS1_3gpuE0ELNS1_3repE0EEENS1_30default_config_static_selectorELNS0_4arch9wavefront6targetE0EEEvT1_
    .private_segment_fixed_size: 0
    .sgpr_count:     32
    .sgpr_spill_count: 0
    .symbol:         _ZN7rocprim17ROCPRIM_400000_NS6detail17trampoline_kernelINS0_14default_configENS1_25partition_config_selectorILNS1_17partition_subalgoE8EfNS0_10empty_typeEbEEZZNS1_14partition_implILS5_8ELb0ES3_jPKfPS6_PKS6_NS0_5tupleIJPfS6_EEENSE_IJSB_SB_EEENS0_18inequality_wrapperIN6hipcub16HIPCUB_304000_NS8EqualityEEEPlJS6_EEE10hipError_tPvRmT3_T4_T5_T6_T7_T9_mT8_P12ihipStream_tbDpT10_ENKUlT_T0_E_clISt17integral_constantIbLb0EES17_EEDaS12_S13_EUlS12_E_NS1_11comp_targetILNS1_3genE0ELNS1_11target_archE4294967295ELNS1_3gpuE0ELNS1_3repE0EEENS1_30default_config_static_selectorELNS0_4arch9wavefront6targetE0EEEvT1_.kd
    .uniform_work_group_size: 1
    .uses_dynamic_stack: false
    .vgpr_count:     58
    .vgpr_spill_count: 0
    .wavefront_size: 32
  - .args:
      - .offset:         0
        .size:           112
        .value_kind:     by_value
    .group_segment_fixed_size: 0
    .kernarg_segment_align: 8
    .kernarg_segment_size: 112
    .language:       OpenCL C
    .language_version:
      - 2
      - 0
    .max_flat_workgroup_size: 512
    .name:           _ZN7rocprim17ROCPRIM_400000_NS6detail17trampoline_kernelINS0_14default_configENS1_25partition_config_selectorILNS1_17partition_subalgoE8EfNS0_10empty_typeEbEEZZNS1_14partition_implILS5_8ELb0ES3_jPKfPS6_PKS6_NS0_5tupleIJPfS6_EEENSE_IJSB_SB_EEENS0_18inequality_wrapperIN6hipcub16HIPCUB_304000_NS8EqualityEEEPlJS6_EEE10hipError_tPvRmT3_T4_T5_T6_T7_T9_mT8_P12ihipStream_tbDpT10_ENKUlT_T0_E_clISt17integral_constantIbLb0EES17_EEDaS12_S13_EUlS12_E_NS1_11comp_targetILNS1_3genE5ELNS1_11target_archE942ELNS1_3gpuE9ELNS1_3repE0EEENS1_30default_config_static_selectorELNS0_4arch9wavefront6targetE0EEEvT1_
    .private_segment_fixed_size: 0
    .sgpr_count:     0
    .sgpr_spill_count: 0
    .symbol:         _ZN7rocprim17ROCPRIM_400000_NS6detail17trampoline_kernelINS0_14default_configENS1_25partition_config_selectorILNS1_17partition_subalgoE8EfNS0_10empty_typeEbEEZZNS1_14partition_implILS5_8ELb0ES3_jPKfPS6_PKS6_NS0_5tupleIJPfS6_EEENSE_IJSB_SB_EEENS0_18inequality_wrapperIN6hipcub16HIPCUB_304000_NS8EqualityEEEPlJS6_EEE10hipError_tPvRmT3_T4_T5_T6_T7_T9_mT8_P12ihipStream_tbDpT10_ENKUlT_T0_E_clISt17integral_constantIbLb0EES17_EEDaS12_S13_EUlS12_E_NS1_11comp_targetILNS1_3genE5ELNS1_11target_archE942ELNS1_3gpuE9ELNS1_3repE0EEENS1_30default_config_static_selectorELNS0_4arch9wavefront6targetE0EEEvT1_.kd
    .uniform_work_group_size: 1
    .uses_dynamic_stack: false
    .vgpr_count:     0
    .vgpr_spill_count: 0
    .wavefront_size: 32
  - .args:
      - .offset:         0
        .size:           112
        .value_kind:     by_value
    .group_segment_fixed_size: 0
    .kernarg_segment_align: 8
    .kernarg_segment_size: 112
    .language:       OpenCL C
    .language_version:
      - 2
      - 0
    .max_flat_workgroup_size: 256
    .name:           _ZN7rocprim17ROCPRIM_400000_NS6detail17trampoline_kernelINS0_14default_configENS1_25partition_config_selectorILNS1_17partition_subalgoE8EfNS0_10empty_typeEbEEZZNS1_14partition_implILS5_8ELb0ES3_jPKfPS6_PKS6_NS0_5tupleIJPfS6_EEENSE_IJSB_SB_EEENS0_18inequality_wrapperIN6hipcub16HIPCUB_304000_NS8EqualityEEEPlJS6_EEE10hipError_tPvRmT3_T4_T5_T6_T7_T9_mT8_P12ihipStream_tbDpT10_ENKUlT_T0_E_clISt17integral_constantIbLb0EES17_EEDaS12_S13_EUlS12_E_NS1_11comp_targetILNS1_3genE4ELNS1_11target_archE910ELNS1_3gpuE8ELNS1_3repE0EEENS1_30default_config_static_selectorELNS0_4arch9wavefront6targetE0EEEvT1_
    .private_segment_fixed_size: 0
    .sgpr_count:     0
    .sgpr_spill_count: 0
    .symbol:         _ZN7rocprim17ROCPRIM_400000_NS6detail17trampoline_kernelINS0_14default_configENS1_25partition_config_selectorILNS1_17partition_subalgoE8EfNS0_10empty_typeEbEEZZNS1_14partition_implILS5_8ELb0ES3_jPKfPS6_PKS6_NS0_5tupleIJPfS6_EEENSE_IJSB_SB_EEENS0_18inequality_wrapperIN6hipcub16HIPCUB_304000_NS8EqualityEEEPlJS6_EEE10hipError_tPvRmT3_T4_T5_T6_T7_T9_mT8_P12ihipStream_tbDpT10_ENKUlT_T0_E_clISt17integral_constantIbLb0EES17_EEDaS12_S13_EUlS12_E_NS1_11comp_targetILNS1_3genE4ELNS1_11target_archE910ELNS1_3gpuE8ELNS1_3repE0EEENS1_30default_config_static_selectorELNS0_4arch9wavefront6targetE0EEEvT1_.kd
    .uniform_work_group_size: 1
    .uses_dynamic_stack: false
    .vgpr_count:     0
    .vgpr_spill_count: 0
    .wavefront_size: 32
  - .args:
      - .offset:         0
        .size:           112
        .value_kind:     by_value
    .group_segment_fixed_size: 0
    .kernarg_segment_align: 8
    .kernarg_segment_size: 112
    .language:       OpenCL C
    .language_version:
      - 2
      - 0
    .max_flat_workgroup_size: 512
    .name:           _ZN7rocprim17ROCPRIM_400000_NS6detail17trampoline_kernelINS0_14default_configENS1_25partition_config_selectorILNS1_17partition_subalgoE8EfNS0_10empty_typeEbEEZZNS1_14partition_implILS5_8ELb0ES3_jPKfPS6_PKS6_NS0_5tupleIJPfS6_EEENSE_IJSB_SB_EEENS0_18inequality_wrapperIN6hipcub16HIPCUB_304000_NS8EqualityEEEPlJS6_EEE10hipError_tPvRmT3_T4_T5_T6_T7_T9_mT8_P12ihipStream_tbDpT10_ENKUlT_T0_E_clISt17integral_constantIbLb0EES17_EEDaS12_S13_EUlS12_E_NS1_11comp_targetILNS1_3genE3ELNS1_11target_archE908ELNS1_3gpuE7ELNS1_3repE0EEENS1_30default_config_static_selectorELNS0_4arch9wavefront6targetE0EEEvT1_
    .private_segment_fixed_size: 0
    .sgpr_count:     0
    .sgpr_spill_count: 0
    .symbol:         _ZN7rocprim17ROCPRIM_400000_NS6detail17trampoline_kernelINS0_14default_configENS1_25partition_config_selectorILNS1_17partition_subalgoE8EfNS0_10empty_typeEbEEZZNS1_14partition_implILS5_8ELb0ES3_jPKfPS6_PKS6_NS0_5tupleIJPfS6_EEENSE_IJSB_SB_EEENS0_18inequality_wrapperIN6hipcub16HIPCUB_304000_NS8EqualityEEEPlJS6_EEE10hipError_tPvRmT3_T4_T5_T6_T7_T9_mT8_P12ihipStream_tbDpT10_ENKUlT_T0_E_clISt17integral_constantIbLb0EES17_EEDaS12_S13_EUlS12_E_NS1_11comp_targetILNS1_3genE3ELNS1_11target_archE908ELNS1_3gpuE7ELNS1_3repE0EEENS1_30default_config_static_selectorELNS0_4arch9wavefront6targetE0EEEvT1_.kd
    .uniform_work_group_size: 1
    .uses_dynamic_stack: false
    .vgpr_count:     0
    .vgpr_spill_count: 0
    .wavefront_size: 32
  - .args:
      - .offset:         0
        .size:           112
        .value_kind:     by_value
    .group_segment_fixed_size: 0
    .kernarg_segment_align: 8
    .kernarg_segment_size: 112
    .language:       OpenCL C
    .language_version:
      - 2
      - 0
    .max_flat_workgroup_size: 256
    .name:           _ZN7rocprim17ROCPRIM_400000_NS6detail17trampoline_kernelINS0_14default_configENS1_25partition_config_selectorILNS1_17partition_subalgoE8EfNS0_10empty_typeEbEEZZNS1_14partition_implILS5_8ELb0ES3_jPKfPS6_PKS6_NS0_5tupleIJPfS6_EEENSE_IJSB_SB_EEENS0_18inequality_wrapperIN6hipcub16HIPCUB_304000_NS8EqualityEEEPlJS6_EEE10hipError_tPvRmT3_T4_T5_T6_T7_T9_mT8_P12ihipStream_tbDpT10_ENKUlT_T0_E_clISt17integral_constantIbLb0EES17_EEDaS12_S13_EUlS12_E_NS1_11comp_targetILNS1_3genE2ELNS1_11target_archE906ELNS1_3gpuE6ELNS1_3repE0EEENS1_30default_config_static_selectorELNS0_4arch9wavefront6targetE0EEEvT1_
    .private_segment_fixed_size: 0
    .sgpr_count:     0
    .sgpr_spill_count: 0
    .symbol:         _ZN7rocprim17ROCPRIM_400000_NS6detail17trampoline_kernelINS0_14default_configENS1_25partition_config_selectorILNS1_17partition_subalgoE8EfNS0_10empty_typeEbEEZZNS1_14partition_implILS5_8ELb0ES3_jPKfPS6_PKS6_NS0_5tupleIJPfS6_EEENSE_IJSB_SB_EEENS0_18inequality_wrapperIN6hipcub16HIPCUB_304000_NS8EqualityEEEPlJS6_EEE10hipError_tPvRmT3_T4_T5_T6_T7_T9_mT8_P12ihipStream_tbDpT10_ENKUlT_T0_E_clISt17integral_constantIbLb0EES17_EEDaS12_S13_EUlS12_E_NS1_11comp_targetILNS1_3genE2ELNS1_11target_archE906ELNS1_3gpuE6ELNS1_3repE0EEENS1_30default_config_static_selectorELNS0_4arch9wavefront6targetE0EEEvT1_.kd
    .uniform_work_group_size: 1
    .uses_dynamic_stack: false
    .vgpr_count:     0
    .vgpr_spill_count: 0
    .wavefront_size: 32
  - .args:
      - .offset:         0
        .size:           112
        .value_kind:     by_value
    .group_segment_fixed_size: 0
    .kernarg_segment_align: 8
    .kernarg_segment_size: 112
    .language:       OpenCL C
    .language_version:
      - 2
      - 0
    .max_flat_workgroup_size: 384
    .name:           _ZN7rocprim17ROCPRIM_400000_NS6detail17trampoline_kernelINS0_14default_configENS1_25partition_config_selectorILNS1_17partition_subalgoE8EfNS0_10empty_typeEbEEZZNS1_14partition_implILS5_8ELb0ES3_jPKfPS6_PKS6_NS0_5tupleIJPfS6_EEENSE_IJSB_SB_EEENS0_18inequality_wrapperIN6hipcub16HIPCUB_304000_NS8EqualityEEEPlJS6_EEE10hipError_tPvRmT3_T4_T5_T6_T7_T9_mT8_P12ihipStream_tbDpT10_ENKUlT_T0_E_clISt17integral_constantIbLb0EES17_EEDaS12_S13_EUlS12_E_NS1_11comp_targetILNS1_3genE10ELNS1_11target_archE1200ELNS1_3gpuE4ELNS1_3repE0EEENS1_30default_config_static_selectorELNS0_4arch9wavefront6targetE0EEEvT1_
    .private_segment_fixed_size: 0
    .sgpr_count:     0
    .sgpr_spill_count: 0
    .symbol:         _ZN7rocprim17ROCPRIM_400000_NS6detail17trampoline_kernelINS0_14default_configENS1_25partition_config_selectorILNS1_17partition_subalgoE8EfNS0_10empty_typeEbEEZZNS1_14partition_implILS5_8ELb0ES3_jPKfPS6_PKS6_NS0_5tupleIJPfS6_EEENSE_IJSB_SB_EEENS0_18inequality_wrapperIN6hipcub16HIPCUB_304000_NS8EqualityEEEPlJS6_EEE10hipError_tPvRmT3_T4_T5_T6_T7_T9_mT8_P12ihipStream_tbDpT10_ENKUlT_T0_E_clISt17integral_constantIbLb0EES17_EEDaS12_S13_EUlS12_E_NS1_11comp_targetILNS1_3genE10ELNS1_11target_archE1200ELNS1_3gpuE4ELNS1_3repE0EEENS1_30default_config_static_selectorELNS0_4arch9wavefront6targetE0EEEvT1_.kd
    .uniform_work_group_size: 1
    .uses_dynamic_stack: false
    .vgpr_count:     0
    .vgpr_spill_count: 0
    .wavefront_size: 32
  - .args:
      - .offset:         0
        .size:           112
        .value_kind:     by_value
    .group_segment_fixed_size: 0
    .kernarg_segment_align: 8
    .kernarg_segment_size: 112
    .language:       OpenCL C
    .language_version:
      - 2
      - 0
    .max_flat_workgroup_size: 128
    .name:           _ZN7rocprim17ROCPRIM_400000_NS6detail17trampoline_kernelINS0_14default_configENS1_25partition_config_selectorILNS1_17partition_subalgoE8EfNS0_10empty_typeEbEEZZNS1_14partition_implILS5_8ELb0ES3_jPKfPS6_PKS6_NS0_5tupleIJPfS6_EEENSE_IJSB_SB_EEENS0_18inequality_wrapperIN6hipcub16HIPCUB_304000_NS8EqualityEEEPlJS6_EEE10hipError_tPvRmT3_T4_T5_T6_T7_T9_mT8_P12ihipStream_tbDpT10_ENKUlT_T0_E_clISt17integral_constantIbLb0EES17_EEDaS12_S13_EUlS12_E_NS1_11comp_targetILNS1_3genE9ELNS1_11target_archE1100ELNS1_3gpuE3ELNS1_3repE0EEENS1_30default_config_static_selectorELNS0_4arch9wavefront6targetE0EEEvT1_
    .private_segment_fixed_size: 0
    .sgpr_count:     0
    .sgpr_spill_count: 0
    .symbol:         _ZN7rocprim17ROCPRIM_400000_NS6detail17trampoline_kernelINS0_14default_configENS1_25partition_config_selectorILNS1_17partition_subalgoE8EfNS0_10empty_typeEbEEZZNS1_14partition_implILS5_8ELb0ES3_jPKfPS6_PKS6_NS0_5tupleIJPfS6_EEENSE_IJSB_SB_EEENS0_18inequality_wrapperIN6hipcub16HIPCUB_304000_NS8EqualityEEEPlJS6_EEE10hipError_tPvRmT3_T4_T5_T6_T7_T9_mT8_P12ihipStream_tbDpT10_ENKUlT_T0_E_clISt17integral_constantIbLb0EES17_EEDaS12_S13_EUlS12_E_NS1_11comp_targetILNS1_3genE9ELNS1_11target_archE1100ELNS1_3gpuE3ELNS1_3repE0EEENS1_30default_config_static_selectorELNS0_4arch9wavefront6targetE0EEEvT1_.kd
    .uniform_work_group_size: 1
    .uses_dynamic_stack: false
    .vgpr_count:     0
    .vgpr_spill_count: 0
    .wavefront_size: 32
  - .args:
      - .offset:         0
        .size:           112
        .value_kind:     by_value
    .group_segment_fixed_size: 0
    .kernarg_segment_align: 8
    .kernarg_segment_size: 112
    .language:       OpenCL C
    .language_version:
      - 2
      - 0
    .max_flat_workgroup_size: 512
    .name:           _ZN7rocprim17ROCPRIM_400000_NS6detail17trampoline_kernelINS0_14default_configENS1_25partition_config_selectorILNS1_17partition_subalgoE8EfNS0_10empty_typeEbEEZZNS1_14partition_implILS5_8ELb0ES3_jPKfPS6_PKS6_NS0_5tupleIJPfS6_EEENSE_IJSB_SB_EEENS0_18inequality_wrapperIN6hipcub16HIPCUB_304000_NS8EqualityEEEPlJS6_EEE10hipError_tPvRmT3_T4_T5_T6_T7_T9_mT8_P12ihipStream_tbDpT10_ENKUlT_T0_E_clISt17integral_constantIbLb0EES17_EEDaS12_S13_EUlS12_E_NS1_11comp_targetILNS1_3genE8ELNS1_11target_archE1030ELNS1_3gpuE2ELNS1_3repE0EEENS1_30default_config_static_selectorELNS0_4arch9wavefront6targetE0EEEvT1_
    .private_segment_fixed_size: 0
    .sgpr_count:     0
    .sgpr_spill_count: 0
    .symbol:         _ZN7rocprim17ROCPRIM_400000_NS6detail17trampoline_kernelINS0_14default_configENS1_25partition_config_selectorILNS1_17partition_subalgoE8EfNS0_10empty_typeEbEEZZNS1_14partition_implILS5_8ELb0ES3_jPKfPS6_PKS6_NS0_5tupleIJPfS6_EEENSE_IJSB_SB_EEENS0_18inequality_wrapperIN6hipcub16HIPCUB_304000_NS8EqualityEEEPlJS6_EEE10hipError_tPvRmT3_T4_T5_T6_T7_T9_mT8_P12ihipStream_tbDpT10_ENKUlT_T0_E_clISt17integral_constantIbLb0EES17_EEDaS12_S13_EUlS12_E_NS1_11comp_targetILNS1_3genE8ELNS1_11target_archE1030ELNS1_3gpuE2ELNS1_3repE0EEENS1_30default_config_static_selectorELNS0_4arch9wavefront6targetE0EEEvT1_.kd
    .uniform_work_group_size: 1
    .uses_dynamic_stack: false
    .vgpr_count:     0
    .vgpr_spill_count: 0
    .wavefront_size: 32
  - .args:
      - .offset:         0
        .size:           128
        .value_kind:     by_value
    .group_segment_fixed_size: 0
    .kernarg_segment_align: 8
    .kernarg_segment_size: 128
    .language:       OpenCL C
    .language_version:
      - 2
      - 0
    .max_flat_workgroup_size: 512
    .name:           _ZN7rocprim17ROCPRIM_400000_NS6detail17trampoline_kernelINS0_14default_configENS1_25partition_config_selectorILNS1_17partition_subalgoE8EfNS0_10empty_typeEbEEZZNS1_14partition_implILS5_8ELb0ES3_jPKfPS6_PKS6_NS0_5tupleIJPfS6_EEENSE_IJSB_SB_EEENS0_18inequality_wrapperIN6hipcub16HIPCUB_304000_NS8EqualityEEEPlJS6_EEE10hipError_tPvRmT3_T4_T5_T6_T7_T9_mT8_P12ihipStream_tbDpT10_ENKUlT_T0_E_clISt17integral_constantIbLb1EES17_EEDaS12_S13_EUlS12_E_NS1_11comp_targetILNS1_3genE0ELNS1_11target_archE4294967295ELNS1_3gpuE0ELNS1_3repE0EEENS1_30default_config_static_selectorELNS0_4arch9wavefront6targetE0EEEvT1_
    .private_segment_fixed_size: 0
    .sgpr_count:     0
    .sgpr_spill_count: 0
    .symbol:         _ZN7rocprim17ROCPRIM_400000_NS6detail17trampoline_kernelINS0_14default_configENS1_25partition_config_selectorILNS1_17partition_subalgoE8EfNS0_10empty_typeEbEEZZNS1_14partition_implILS5_8ELb0ES3_jPKfPS6_PKS6_NS0_5tupleIJPfS6_EEENSE_IJSB_SB_EEENS0_18inequality_wrapperIN6hipcub16HIPCUB_304000_NS8EqualityEEEPlJS6_EEE10hipError_tPvRmT3_T4_T5_T6_T7_T9_mT8_P12ihipStream_tbDpT10_ENKUlT_T0_E_clISt17integral_constantIbLb1EES17_EEDaS12_S13_EUlS12_E_NS1_11comp_targetILNS1_3genE0ELNS1_11target_archE4294967295ELNS1_3gpuE0ELNS1_3repE0EEENS1_30default_config_static_selectorELNS0_4arch9wavefront6targetE0EEEvT1_.kd
    .uniform_work_group_size: 1
    .uses_dynamic_stack: false
    .vgpr_count:     0
    .vgpr_spill_count: 0
    .wavefront_size: 32
  - .args:
      - .offset:         0
        .size:           128
        .value_kind:     by_value
    .group_segment_fixed_size: 0
    .kernarg_segment_align: 8
    .kernarg_segment_size: 128
    .language:       OpenCL C
    .language_version:
      - 2
      - 0
    .max_flat_workgroup_size: 512
    .name:           _ZN7rocprim17ROCPRIM_400000_NS6detail17trampoline_kernelINS0_14default_configENS1_25partition_config_selectorILNS1_17partition_subalgoE8EfNS0_10empty_typeEbEEZZNS1_14partition_implILS5_8ELb0ES3_jPKfPS6_PKS6_NS0_5tupleIJPfS6_EEENSE_IJSB_SB_EEENS0_18inequality_wrapperIN6hipcub16HIPCUB_304000_NS8EqualityEEEPlJS6_EEE10hipError_tPvRmT3_T4_T5_T6_T7_T9_mT8_P12ihipStream_tbDpT10_ENKUlT_T0_E_clISt17integral_constantIbLb1EES17_EEDaS12_S13_EUlS12_E_NS1_11comp_targetILNS1_3genE5ELNS1_11target_archE942ELNS1_3gpuE9ELNS1_3repE0EEENS1_30default_config_static_selectorELNS0_4arch9wavefront6targetE0EEEvT1_
    .private_segment_fixed_size: 0
    .sgpr_count:     0
    .sgpr_spill_count: 0
    .symbol:         _ZN7rocprim17ROCPRIM_400000_NS6detail17trampoline_kernelINS0_14default_configENS1_25partition_config_selectorILNS1_17partition_subalgoE8EfNS0_10empty_typeEbEEZZNS1_14partition_implILS5_8ELb0ES3_jPKfPS6_PKS6_NS0_5tupleIJPfS6_EEENSE_IJSB_SB_EEENS0_18inequality_wrapperIN6hipcub16HIPCUB_304000_NS8EqualityEEEPlJS6_EEE10hipError_tPvRmT3_T4_T5_T6_T7_T9_mT8_P12ihipStream_tbDpT10_ENKUlT_T0_E_clISt17integral_constantIbLb1EES17_EEDaS12_S13_EUlS12_E_NS1_11comp_targetILNS1_3genE5ELNS1_11target_archE942ELNS1_3gpuE9ELNS1_3repE0EEENS1_30default_config_static_selectorELNS0_4arch9wavefront6targetE0EEEvT1_.kd
    .uniform_work_group_size: 1
    .uses_dynamic_stack: false
    .vgpr_count:     0
    .vgpr_spill_count: 0
    .wavefront_size: 32
  - .args:
      - .offset:         0
        .size:           128
        .value_kind:     by_value
    .group_segment_fixed_size: 0
    .kernarg_segment_align: 8
    .kernarg_segment_size: 128
    .language:       OpenCL C
    .language_version:
      - 2
      - 0
    .max_flat_workgroup_size: 256
    .name:           _ZN7rocprim17ROCPRIM_400000_NS6detail17trampoline_kernelINS0_14default_configENS1_25partition_config_selectorILNS1_17partition_subalgoE8EfNS0_10empty_typeEbEEZZNS1_14partition_implILS5_8ELb0ES3_jPKfPS6_PKS6_NS0_5tupleIJPfS6_EEENSE_IJSB_SB_EEENS0_18inequality_wrapperIN6hipcub16HIPCUB_304000_NS8EqualityEEEPlJS6_EEE10hipError_tPvRmT3_T4_T5_T6_T7_T9_mT8_P12ihipStream_tbDpT10_ENKUlT_T0_E_clISt17integral_constantIbLb1EES17_EEDaS12_S13_EUlS12_E_NS1_11comp_targetILNS1_3genE4ELNS1_11target_archE910ELNS1_3gpuE8ELNS1_3repE0EEENS1_30default_config_static_selectorELNS0_4arch9wavefront6targetE0EEEvT1_
    .private_segment_fixed_size: 0
    .sgpr_count:     0
    .sgpr_spill_count: 0
    .symbol:         _ZN7rocprim17ROCPRIM_400000_NS6detail17trampoline_kernelINS0_14default_configENS1_25partition_config_selectorILNS1_17partition_subalgoE8EfNS0_10empty_typeEbEEZZNS1_14partition_implILS5_8ELb0ES3_jPKfPS6_PKS6_NS0_5tupleIJPfS6_EEENSE_IJSB_SB_EEENS0_18inequality_wrapperIN6hipcub16HIPCUB_304000_NS8EqualityEEEPlJS6_EEE10hipError_tPvRmT3_T4_T5_T6_T7_T9_mT8_P12ihipStream_tbDpT10_ENKUlT_T0_E_clISt17integral_constantIbLb1EES17_EEDaS12_S13_EUlS12_E_NS1_11comp_targetILNS1_3genE4ELNS1_11target_archE910ELNS1_3gpuE8ELNS1_3repE0EEENS1_30default_config_static_selectorELNS0_4arch9wavefront6targetE0EEEvT1_.kd
    .uniform_work_group_size: 1
    .uses_dynamic_stack: false
    .vgpr_count:     0
    .vgpr_spill_count: 0
    .wavefront_size: 32
  - .args:
      - .offset:         0
        .size:           128
        .value_kind:     by_value
    .group_segment_fixed_size: 0
    .kernarg_segment_align: 8
    .kernarg_segment_size: 128
    .language:       OpenCL C
    .language_version:
      - 2
      - 0
    .max_flat_workgroup_size: 512
    .name:           _ZN7rocprim17ROCPRIM_400000_NS6detail17trampoline_kernelINS0_14default_configENS1_25partition_config_selectorILNS1_17partition_subalgoE8EfNS0_10empty_typeEbEEZZNS1_14partition_implILS5_8ELb0ES3_jPKfPS6_PKS6_NS0_5tupleIJPfS6_EEENSE_IJSB_SB_EEENS0_18inequality_wrapperIN6hipcub16HIPCUB_304000_NS8EqualityEEEPlJS6_EEE10hipError_tPvRmT3_T4_T5_T6_T7_T9_mT8_P12ihipStream_tbDpT10_ENKUlT_T0_E_clISt17integral_constantIbLb1EES17_EEDaS12_S13_EUlS12_E_NS1_11comp_targetILNS1_3genE3ELNS1_11target_archE908ELNS1_3gpuE7ELNS1_3repE0EEENS1_30default_config_static_selectorELNS0_4arch9wavefront6targetE0EEEvT1_
    .private_segment_fixed_size: 0
    .sgpr_count:     0
    .sgpr_spill_count: 0
    .symbol:         _ZN7rocprim17ROCPRIM_400000_NS6detail17trampoline_kernelINS0_14default_configENS1_25partition_config_selectorILNS1_17partition_subalgoE8EfNS0_10empty_typeEbEEZZNS1_14partition_implILS5_8ELb0ES3_jPKfPS6_PKS6_NS0_5tupleIJPfS6_EEENSE_IJSB_SB_EEENS0_18inequality_wrapperIN6hipcub16HIPCUB_304000_NS8EqualityEEEPlJS6_EEE10hipError_tPvRmT3_T4_T5_T6_T7_T9_mT8_P12ihipStream_tbDpT10_ENKUlT_T0_E_clISt17integral_constantIbLb1EES17_EEDaS12_S13_EUlS12_E_NS1_11comp_targetILNS1_3genE3ELNS1_11target_archE908ELNS1_3gpuE7ELNS1_3repE0EEENS1_30default_config_static_selectorELNS0_4arch9wavefront6targetE0EEEvT1_.kd
    .uniform_work_group_size: 1
    .uses_dynamic_stack: false
    .vgpr_count:     0
    .vgpr_spill_count: 0
    .wavefront_size: 32
  - .args:
      - .offset:         0
        .size:           128
        .value_kind:     by_value
    .group_segment_fixed_size: 0
    .kernarg_segment_align: 8
    .kernarg_segment_size: 128
    .language:       OpenCL C
    .language_version:
      - 2
      - 0
    .max_flat_workgroup_size: 256
    .name:           _ZN7rocprim17ROCPRIM_400000_NS6detail17trampoline_kernelINS0_14default_configENS1_25partition_config_selectorILNS1_17partition_subalgoE8EfNS0_10empty_typeEbEEZZNS1_14partition_implILS5_8ELb0ES3_jPKfPS6_PKS6_NS0_5tupleIJPfS6_EEENSE_IJSB_SB_EEENS0_18inequality_wrapperIN6hipcub16HIPCUB_304000_NS8EqualityEEEPlJS6_EEE10hipError_tPvRmT3_T4_T5_T6_T7_T9_mT8_P12ihipStream_tbDpT10_ENKUlT_T0_E_clISt17integral_constantIbLb1EES17_EEDaS12_S13_EUlS12_E_NS1_11comp_targetILNS1_3genE2ELNS1_11target_archE906ELNS1_3gpuE6ELNS1_3repE0EEENS1_30default_config_static_selectorELNS0_4arch9wavefront6targetE0EEEvT1_
    .private_segment_fixed_size: 0
    .sgpr_count:     0
    .sgpr_spill_count: 0
    .symbol:         _ZN7rocprim17ROCPRIM_400000_NS6detail17trampoline_kernelINS0_14default_configENS1_25partition_config_selectorILNS1_17partition_subalgoE8EfNS0_10empty_typeEbEEZZNS1_14partition_implILS5_8ELb0ES3_jPKfPS6_PKS6_NS0_5tupleIJPfS6_EEENSE_IJSB_SB_EEENS0_18inequality_wrapperIN6hipcub16HIPCUB_304000_NS8EqualityEEEPlJS6_EEE10hipError_tPvRmT3_T4_T5_T6_T7_T9_mT8_P12ihipStream_tbDpT10_ENKUlT_T0_E_clISt17integral_constantIbLb1EES17_EEDaS12_S13_EUlS12_E_NS1_11comp_targetILNS1_3genE2ELNS1_11target_archE906ELNS1_3gpuE6ELNS1_3repE0EEENS1_30default_config_static_selectorELNS0_4arch9wavefront6targetE0EEEvT1_.kd
    .uniform_work_group_size: 1
    .uses_dynamic_stack: false
    .vgpr_count:     0
    .vgpr_spill_count: 0
    .wavefront_size: 32
  - .args:
      - .offset:         0
        .size:           128
        .value_kind:     by_value
    .group_segment_fixed_size: 0
    .kernarg_segment_align: 8
    .kernarg_segment_size: 128
    .language:       OpenCL C
    .language_version:
      - 2
      - 0
    .max_flat_workgroup_size: 384
    .name:           _ZN7rocprim17ROCPRIM_400000_NS6detail17trampoline_kernelINS0_14default_configENS1_25partition_config_selectorILNS1_17partition_subalgoE8EfNS0_10empty_typeEbEEZZNS1_14partition_implILS5_8ELb0ES3_jPKfPS6_PKS6_NS0_5tupleIJPfS6_EEENSE_IJSB_SB_EEENS0_18inequality_wrapperIN6hipcub16HIPCUB_304000_NS8EqualityEEEPlJS6_EEE10hipError_tPvRmT3_T4_T5_T6_T7_T9_mT8_P12ihipStream_tbDpT10_ENKUlT_T0_E_clISt17integral_constantIbLb1EES17_EEDaS12_S13_EUlS12_E_NS1_11comp_targetILNS1_3genE10ELNS1_11target_archE1200ELNS1_3gpuE4ELNS1_3repE0EEENS1_30default_config_static_selectorELNS0_4arch9wavefront6targetE0EEEvT1_
    .private_segment_fixed_size: 0
    .sgpr_count:     0
    .sgpr_spill_count: 0
    .symbol:         _ZN7rocprim17ROCPRIM_400000_NS6detail17trampoline_kernelINS0_14default_configENS1_25partition_config_selectorILNS1_17partition_subalgoE8EfNS0_10empty_typeEbEEZZNS1_14partition_implILS5_8ELb0ES3_jPKfPS6_PKS6_NS0_5tupleIJPfS6_EEENSE_IJSB_SB_EEENS0_18inequality_wrapperIN6hipcub16HIPCUB_304000_NS8EqualityEEEPlJS6_EEE10hipError_tPvRmT3_T4_T5_T6_T7_T9_mT8_P12ihipStream_tbDpT10_ENKUlT_T0_E_clISt17integral_constantIbLb1EES17_EEDaS12_S13_EUlS12_E_NS1_11comp_targetILNS1_3genE10ELNS1_11target_archE1200ELNS1_3gpuE4ELNS1_3repE0EEENS1_30default_config_static_selectorELNS0_4arch9wavefront6targetE0EEEvT1_.kd
    .uniform_work_group_size: 1
    .uses_dynamic_stack: false
    .vgpr_count:     0
    .vgpr_spill_count: 0
    .wavefront_size: 32
  - .args:
      - .offset:         0
        .size:           128
        .value_kind:     by_value
    .group_segment_fixed_size: 0
    .kernarg_segment_align: 8
    .kernarg_segment_size: 128
    .language:       OpenCL C
    .language_version:
      - 2
      - 0
    .max_flat_workgroup_size: 128
    .name:           _ZN7rocprim17ROCPRIM_400000_NS6detail17trampoline_kernelINS0_14default_configENS1_25partition_config_selectorILNS1_17partition_subalgoE8EfNS0_10empty_typeEbEEZZNS1_14partition_implILS5_8ELb0ES3_jPKfPS6_PKS6_NS0_5tupleIJPfS6_EEENSE_IJSB_SB_EEENS0_18inequality_wrapperIN6hipcub16HIPCUB_304000_NS8EqualityEEEPlJS6_EEE10hipError_tPvRmT3_T4_T5_T6_T7_T9_mT8_P12ihipStream_tbDpT10_ENKUlT_T0_E_clISt17integral_constantIbLb1EES17_EEDaS12_S13_EUlS12_E_NS1_11comp_targetILNS1_3genE9ELNS1_11target_archE1100ELNS1_3gpuE3ELNS1_3repE0EEENS1_30default_config_static_selectorELNS0_4arch9wavefront6targetE0EEEvT1_
    .private_segment_fixed_size: 0
    .sgpr_count:     0
    .sgpr_spill_count: 0
    .symbol:         _ZN7rocprim17ROCPRIM_400000_NS6detail17trampoline_kernelINS0_14default_configENS1_25partition_config_selectorILNS1_17partition_subalgoE8EfNS0_10empty_typeEbEEZZNS1_14partition_implILS5_8ELb0ES3_jPKfPS6_PKS6_NS0_5tupleIJPfS6_EEENSE_IJSB_SB_EEENS0_18inequality_wrapperIN6hipcub16HIPCUB_304000_NS8EqualityEEEPlJS6_EEE10hipError_tPvRmT3_T4_T5_T6_T7_T9_mT8_P12ihipStream_tbDpT10_ENKUlT_T0_E_clISt17integral_constantIbLb1EES17_EEDaS12_S13_EUlS12_E_NS1_11comp_targetILNS1_3genE9ELNS1_11target_archE1100ELNS1_3gpuE3ELNS1_3repE0EEENS1_30default_config_static_selectorELNS0_4arch9wavefront6targetE0EEEvT1_.kd
    .uniform_work_group_size: 1
    .uses_dynamic_stack: false
    .vgpr_count:     0
    .vgpr_spill_count: 0
    .wavefront_size: 32
  - .args:
      - .offset:         0
        .size:           128
        .value_kind:     by_value
    .group_segment_fixed_size: 0
    .kernarg_segment_align: 8
    .kernarg_segment_size: 128
    .language:       OpenCL C
    .language_version:
      - 2
      - 0
    .max_flat_workgroup_size: 512
    .name:           _ZN7rocprim17ROCPRIM_400000_NS6detail17trampoline_kernelINS0_14default_configENS1_25partition_config_selectorILNS1_17partition_subalgoE8EfNS0_10empty_typeEbEEZZNS1_14partition_implILS5_8ELb0ES3_jPKfPS6_PKS6_NS0_5tupleIJPfS6_EEENSE_IJSB_SB_EEENS0_18inequality_wrapperIN6hipcub16HIPCUB_304000_NS8EqualityEEEPlJS6_EEE10hipError_tPvRmT3_T4_T5_T6_T7_T9_mT8_P12ihipStream_tbDpT10_ENKUlT_T0_E_clISt17integral_constantIbLb1EES17_EEDaS12_S13_EUlS12_E_NS1_11comp_targetILNS1_3genE8ELNS1_11target_archE1030ELNS1_3gpuE2ELNS1_3repE0EEENS1_30default_config_static_selectorELNS0_4arch9wavefront6targetE0EEEvT1_
    .private_segment_fixed_size: 0
    .sgpr_count:     0
    .sgpr_spill_count: 0
    .symbol:         _ZN7rocprim17ROCPRIM_400000_NS6detail17trampoline_kernelINS0_14default_configENS1_25partition_config_selectorILNS1_17partition_subalgoE8EfNS0_10empty_typeEbEEZZNS1_14partition_implILS5_8ELb0ES3_jPKfPS6_PKS6_NS0_5tupleIJPfS6_EEENSE_IJSB_SB_EEENS0_18inequality_wrapperIN6hipcub16HIPCUB_304000_NS8EqualityEEEPlJS6_EEE10hipError_tPvRmT3_T4_T5_T6_T7_T9_mT8_P12ihipStream_tbDpT10_ENKUlT_T0_E_clISt17integral_constantIbLb1EES17_EEDaS12_S13_EUlS12_E_NS1_11comp_targetILNS1_3genE8ELNS1_11target_archE1030ELNS1_3gpuE2ELNS1_3repE0EEENS1_30default_config_static_selectorELNS0_4arch9wavefront6targetE0EEEvT1_.kd
    .uniform_work_group_size: 1
    .uses_dynamic_stack: false
    .vgpr_count:     0
    .vgpr_spill_count: 0
    .wavefront_size: 32
  - .args:
      - .offset:         0
        .size:           112
        .value_kind:     by_value
    .group_segment_fixed_size: 0
    .kernarg_segment_align: 8
    .kernarg_segment_size: 112
    .language:       OpenCL C
    .language_version:
      - 2
      - 0
    .max_flat_workgroup_size: 512
    .name:           _ZN7rocprim17ROCPRIM_400000_NS6detail17trampoline_kernelINS0_14default_configENS1_25partition_config_selectorILNS1_17partition_subalgoE8EfNS0_10empty_typeEbEEZZNS1_14partition_implILS5_8ELb0ES3_jPKfPS6_PKS6_NS0_5tupleIJPfS6_EEENSE_IJSB_SB_EEENS0_18inequality_wrapperIN6hipcub16HIPCUB_304000_NS8EqualityEEEPlJS6_EEE10hipError_tPvRmT3_T4_T5_T6_T7_T9_mT8_P12ihipStream_tbDpT10_ENKUlT_T0_E_clISt17integral_constantIbLb1EES16_IbLb0EEEEDaS12_S13_EUlS12_E_NS1_11comp_targetILNS1_3genE0ELNS1_11target_archE4294967295ELNS1_3gpuE0ELNS1_3repE0EEENS1_30default_config_static_selectorELNS0_4arch9wavefront6targetE0EEEvT1_
    .private_segment_fixed_size: 0
    .sgpr_count:     0
    .sgpr_spill_count: 0
    .symbol:         _ZN7rocprim17ROCPRIM_400000_NS6detail17trampoline_kernelINS0_14default_configENS1_25partition_config_selectorILNS1_17partition_subalgoE8EfNS0_10empty_typeEbEEZZNS1_14partition_implILS5_8ELb0ES3_jPKfPS6_PKS6_NS0_5tupleIJPfS6_EEENSE_IJSB_SB_EEENS0_18inequality_wrapperIN6hipcub16HIPCUB_304000_NS8EqualityEEEPlJS6_EEE10hipError_tPvRmT3_T4_T5_T6_T7_T9_mT8_P12ihipStream_tbDpT10_ENKUlT_T0_E_clISt17integral_constantIbLb1EES16_IbLb0EEEEDaS12_S13_EUlS12_E_NS1_11comp_targetILNS1_3genE0ELNS1_11target_archE4294967295ELNS1_3gpuE0ELNS1_3repE0EEENS1_30default_config_static_selectorELNS0_4arch9wavefront6targetE0EEEvT1_.kd
    .uniform_work_group_size: 1
    .uses_dynamic_stack: false
    .vgpr_count:     0
    .vgpr_spill_count: 0
    .wavefront_size: 32
  - .args:
      - .offset:         0
        .size:           112
        .value_kind:     by_value
    .group_segment_fixed_size: 0
    .kernarg_segment_align: 8
    .kernarg_segment_size: 112
    .language:       OpenCL C
    .language_version:
      - 2
      - 0
    .max_flat_workgroup_size: 512
    .name:           _ZN7rocprim17ROCPRIM_400000_NS6detail17trampoline_kernelINS0_14default_configENS1_25partition_config_selectorILNS1_17partition_subalgoE8EfNS0_10empty_typeEbEEZZNS1_14partition_implILS5_8ELb0ES3_jPKfPS6_PKS6_NS0_5tupleIJPfS6_EEENSE_IJSB_SB_EEENS0_18inequality_wrapperIN6hipcub16HIPCUB_304000_NS8EqualityEEEPlJS6_EEE10hipError_tPvRmT3_T4_T5_T6_T7_T9_mT8_P12ihipStream_tbDpT10_ENKUlT_T0_E_clISt17integral_constantIbLb1EES16_IbLb0EEEEDaS12_S13_EUlS12_E_NS1_11comp_targetILNS1_3genE5ELNS1_11target_archE942ELNS1_3gpuE9ELNS1_3repE0EEENS1_30default_config_static_selectorELNS0_4arch9wavefront6targetE0EEEvT1_
    .private_segment_fixed_size: 0
    .sgpr_count:     0
    .sgpr_spill_count: 0
    .symbol:         _ZN7rocprim17ROCPRIM_400000_NS6detail17trampoline_kernelINS0_14default_configENS1_25partition_config_selectorILNS1_17partition_subalgoE8EfNS0_10empty_typeEbEEZZNS1_14partition_implILS5_8ELb0ES3_jPKfPS6_PKS6_NS0_5tupleIJPfS6_EEENSE_IJSB_SB_EEENS0_18inequality_wrapperIN6hipcub16HIPCUB_304000_NS8EqualityEEEPlJS6_EEE10hipError_tPvRmT3_T4_T5_T6_T7_T9_mT8_P12ihipStream_tbDpT10_ENKUlT_T0_E_clISt17integral_constantIbLb1EES16_IbLb0EEEEDaS12_S13_EUlS12_E_NS1_11comp_targetILNS1_3genE5ELNS1_11target_archE942ELNS1_3gpuE9ELNS1_3repE0EEENS1_30default_config_static_selectorELNS0_4arch9wavefront6targetE0EEEvT1_.kd
    .uniform_work_group_size: 1
    .uses_dynamic_stack: false
    .vgpr_count:     0
    .vgpr_spill_count: 0
    .wavefront_size: 32
  - .args:
      - .offset:         0
        .size:           112
        .value_kind:     by_value
    .group_segment_fixed_size: 0
    .kernarg_segment_align: 8
    .kernarg_segment_size: 112
    .language:       OpenCL C
    .language_version:
      - 2
      - 0
    .max_flat_workgroup_size: 256
    .name:           _ZN7rocprim17ROCPRIM_400000_NS6detail17trampoline_kernelINS0_14default_configENS1_25partition_config_selectorILNS1_17partition_subalgoE8EfNS0_10empty_typeEbEEZZNS1_14partition_implILS5_8ELb0ES3_jPKfPS6_PKS6_NS0_5tupleIJPfS6_EEENSE_IJSB_SB_EEENS0_18inequality_wrapperIN6hipcub16HIPCUB_304000_NS8EqualityEEEPlJS6_EEE10hipError_tPvRmT3_T4_T5_T6_T7_T9_mT8_P12ihipStream_tbDpT10_ENKUlT_T0_E_clISt17integral_constantIbLb1EES16_IbLb0EEEEDaS12_S13_EUlS12_E_NS1_11comp_targetILNS1_3genE4ELNS1_11target_archE910ELNS1_3gpuE8ELNS1_3repE0EEENS1_30default_config_static_selectorELNS0_4arch9wavefront6targetE0EEEvT1_
    .private_segment_fixed_size: 0
    .sgpr_count:     0
    .sgpr_spill_count: 0
    .symbol:         _ZN7rocprim17ROCPRIM_400000_NS6detail17trampoline_kernelINS0_14default_configENS1_25partition_config_selectorILNS1_17partition_subalgoE8EfNS0_10empty_typeEbEEZZNS1_14partition_implILS5_8ELb0ES3_jPKfPS6_PKS6_NS0_5tupleIJPfS6_EEENSE_IJSB_SB_EEENS0_18inequality_wrapperIN6hipcub16HIPCUB_304000_NS8EqualityEEEPlJS6_EEE10hipError_tPvRmT3_T4_T5_T6_T7_T9_mT8_P12ihipStream_tbDpT10_ENKUlT_T0_E_clISt17integral_constantIbLb1EES16_IbLb0EEEEDaS12_S13_EUlS12_E_NS1_11comp_targetILNS1_3genE4ELNS1_11target_archE910ELNS1_3gpuE8ELNS1_3repE0EEENS1_30default_config_static_selectorELNS0_4arch9wavefront6targetE0EEEvT1_.kd
    .uniform_work_group_size: 1
    .uses_dynamic_stack: false
    .vgpr_count:     0
    .vgpr_spill_count: 0
    .wavefront_size: 32
  - .args:
      - .offset:         0
        .size:           112
        .value_kind:     by_value
    .group_segment_fixed_size: 0
    .kernarg_segment_align: 8
    .kernarg_segment_size: 112
    .language:       OpenCL C
    .language_version:
      - 2
      - 0
    .max_flat_workgroup_size: 512
    .name:           _ZN7rocprim17ROCPRIM_400000_NS6detail17trampoline_kernelINS0_14default_configENS1_25partition_config_selectorILNS1_17partition_subalgoE8EfNS0_10empty_typeEbEEZZNS1_14partition_implILS5_8ELb0ES3_jPKfPS6_PKS6_NS0_5tupleIJPfS6_EEENSE_IJSB_SB_EEENS0_18inequality_wrapperIN6hipcub16HIPCUB_304000_NS8EqualityEEEPlJS6_EEE10hipError_tPvRmT3_T4_T5_T6_T7_T9_mT8_P12ihipStream_tbDpT10_ENKUlT_T0_E_clISt17integral_constantIbLb1EES16_IbLb0EEEEDaS12_S13_EUlS12_E_NS1_11comp_targetILNS1_3genE3ELNS1_11target_archE908ELNS1_3gpuE7ELNS1_3repE0EEENS1_30default_config_static_selectorELNS0_4arch9wavefront6targetE0EEEvT1_
    .private_segment_fixed_size: 0
    .sgpr_count:     0
    .sgpr_spill_count: 0
    .symbol:         _ZN7rocprim17ROCPRIM_400000_NS6detail17trampoline_kernelINS0_14default_configENS1_25partition_config_selectorILNS1_17partition_subalgoE8EfNS0_10empty_typeEbEEZZNS1_14partition_implILS5_8ELb0ES3_jPKfPS6_PKS6_NS0_5tupleIJPfS6_EEENSE_IJSB_SB_EEENS0_18inequality_wrapperIN6hipcub16HIPCUB_304000_NS8EqualityEEEPlJS6_EEE10hipError_tPvRmT3_T4_T5_T6_T7_T9_mT8_P12ihipStream_tbDpT10_ENKUlT_T0_E_clISt17integral_constantIbLb1EES16_IbLb0EEEEDaS12_S13_EUlS12_E_NS1_11comp_targetILNS1_3genE3ELNS1_11target_archE908ELNS1_3gpuE7ELNS1_3repE0EEENS1_30default_config_static_selectorELNS0_4arch9wavefront6targetE0EEEvT1_.kd
    .uniform_work_group_size: 1
    .uses_dynamic_stack: false
    .vgpr_count:     0
    .vgpr_spill_count: 0
    .wavefront_size: 32
  - .args:
      - .offset:         0
        .size:           112
        .value_kind:     by_value
    .group_segment_fixed_size: 0
    .kernarg_segment_align: 8
    .kernarg_segment_size: 112
    .language:       OpenCL C
    .language_version:
      - 2
      - 0
    .max_flat_workgroup_size: 256
    .name:           _ZN7rocprim17ROCPRIM_400000_NS6detail17trampoline_kernelINS0_14default_configENS1_25partition_config_selectorILNS1_17partition_subalgoE8EfNS0_10empty_typeEbEEZZNS1_14partition_implILS5_8ELb0ES3_jPKfPS6_PKS6_NS0_5tupleIJPfS6_EEENSE_IJSB_SB_EEENS0_18inequality_wrapperIN6hipcub16HIPCUB_304000_NS8EqualityEEEPlJS6_EEE10hipError_tPvRmT3_T4_T5_T6_T7_T9_mT8_P12ihipStream_tbDpT10_ENKUlT_T0_E_clISt17integral_constantIbLb1EES16_IbLb0EEEEDaS12_S13_EUlS12_E_NS1_11comp_targetILNS1_3genE2ELNS1_11target_archE906ELNS1_3gpuE6ELNS1_3repE0EEENS1_30default_config_static_selectorELNS0_4arch9wavefront6targetE0EEEvT1_
    .private_segment_fixed_size: 0
    .sgpr_count:     0
    .sgpr_spill_count: 0
    .symbol:         _ZN7rocprim17ROCPRIM_400000_NS6detail17trampoline_kernelINS0_14default_configENS1_25partition_config_selectorILNS1_17partition_subalgoE8EfNS0_10empty_typeEbEEZZNS1_14partition_implILS5_8ELb0ES3_jPKfPS6_PKS6_NS0_5tupleIJPfS6_EEENSE_IJSB_SB_EEENS0_18inequality_wrapperIN6hipcub16HIPCUB_304000_NS8EqualityEEEPlJS6_EEE10hipError_tPvRmT3_T4_T5_T6_T7_T9_mT8_P12ihipStream_tbDpT10_ENKUlT_T0_E_clISt17integral_constantIbLb1EES16_IbLb0EEEEDaS12_S13_EUlS12_E_NS1_11comp_targetILNS1_3genE2ELNS1_11target_archE906ELNS1_3gpuE6ELNS1_3repE0EEENS1_30default_config_static_selectorELNS0_4arch9wavefront6targetE0EEEvT1_.kd
    .uniform_work_group_size: 1
    .uses_dynamic_stack: false
    .vgpr_count:     0
    .vgpr_spill_count: 0
    .wavefront_size: 32
  - .args:
      - .offset:         0
        .size:           112
        .value_kind:     by_value
    .group_segment_fixed_size: 0
    .kernarg_segment_align: 8
    .kernarg_segment_size: 112
    .language:       OpenCL C
    .language_version:
      - 2
      - 0
    .max_flat_workgroup_size: 384
    .name:           _ZN7rocprim17ROCPRIM_400000_NS6detail17trampoline_kernelINS0_14default_configENS1_25partition_config_selectorILNS1_17partition_subalgoE8EfNS0_10empty_typeEbEEZZNS1_14partition_implILS5_8ELb0ES3_jPKfPS6_PKS6_NS0_5tupleIJPfS6_EEENSE_IJSB_SB_EEENS0_18inequality_wrapperIN6hipcub16HIPCUB_304000_NS8EqualityEEEPlJS6_EEE10hipError_tPvRmT3_T4_T5_T6_T7_T9_mT8_P12ihipStream_tbDpT10_ENKUlT_T0_E_clISt17integral_constantIbLb1EES16_IbLb0EEEEDaS12_S13_EUlS12_E_NS1_11comp_targetILNS1_3genE10ELNS1_11target_archE1200ELNS1_3gpuE4ELNS1_3repE0EEENS1_30default_config_static_selectorELNS0_4arch9wavefront6targetE0EEEvT1_
    .private_segment_fixed_size: 0
    .sgpr_count:     0
    .sgpr_spill_count: 0
    .symbol:         _ZN7rocprim17ROCPRIM_400000_NS6detail17trampoline_kernelINS0_14default_configENS1_25partition_config_selectorILNS1_17partition_subalgoE8EfNS0_10empty_typeEbEEZZNS1_14partition_implILS5_8ELb0ES3_jPKfPS6_PKS6_NS0_5tupleIJPfS6_EEENSE_IJSB_SB_EEENS0_18inequality_wrapperIN6hipcub16HIPCUB_304000_NS8EqualityEEEPlJS6_EEE10hipError_tPvRmT3_T4_T5_T6_T7_T9_mT8_P12ihipStream_tbDpT10_ENKUlT_T0_E_clISt17integral_constantIbLb1EES16_IbLb0EEEEDaS12_S13_EUlS12_E_NS1_11comp_targetILNS1_3genE10ELNS1_11target_archE1200ELNS1_3gpuE4ELNS1_3repE0EEENS1_30default_config_static_selectorELNS0_4arch9wavefront6targetE0EEEvT1_.kd
    .uniform_work_group_size: 1
    .uses_dynamic_stack: false
    .vgpr_count:     0
    .vgpr_spill_count: 0
    .wavefront_size: 32
  - .args:
      - .offset:         0
        .size:           112
        .value_kind:     by_value
    .group_segment_fixed_size: 0
    .kernarg_segment_align: 8
    .kernarg_segment_size: 112
    .language:       OpenCL C
    .language_version:
      - 2
      - 0
    .max_flat_workgroup_size: 128
    .name:           _ZN7rocprim17ROCPRIM_400000_NS6detail17trampoline_kernelINS0_14default_configENS1_25partition_config_selectorILNS1_17partition_subalgoE8EfNS0_10empty_typeEbEEZZNS1_14partition_implILS5_8ELb0ES3_jPKfPS6_PKS6_NS0_5tupleIJPfS6_EEENSE_IJSB_SB_EEENS0_18inequality_wrapperIN6hipcub16HIPCUB_304000_NS8EqualityEEEPlJS6_EEE10hipError_tPvRmT3_T4_T5_T6_T7_T9_mT8_P12ihipStream_tbDpT10_ENKUlT_T0_E_clISt17integral_constantIbLb1EES16_IbLb0EEEEDaS12_S13_EUlS12_E_NS1_11comp_targetILNS1_3genE9ELNS1_11target_archE1100ELNS1_3gpuE3ELNS1_3repE0EEENS1_30default_config_static_selectorELNS0_4arch9wavefront6targetE0EEEvT1_
    .private_segment_fixed_size: 0
    .sgpr_count:     0
    .sgpr_spill_count: 0
    .symbol:         _ZN7rocprim17ROCPRIM_400000_NS6detail17trampoline_kernelINS0_14default_configENS1_25partition_config_selectorILNS1_17partition_subalgoE8EfNS0_10empty_typeEbEEZZNS1_14partition_implILS5_8ELb0ES3_jPKfPS6_PKS6_NS0_5tupleIJPfS6_EEENSE_IJSB_SB_EEENS0_18inequality_wrapperIN6hipcub16HIPCUB_304000_NS8EqualityEEEPlJS6_EEE10hipError_tPvRmT3_T4_T5_T6_T7_T9_mT8_P12ihipStream_tbDpT10_ENKUlT_T0_E_clISt17integral_constantIbLb1EES16_IbLb0EEEEDaS12_S13_EUlS12_E_NS1_11comp_targetILNS1_3genE9ELNS1_11target_archE1100ELNS1_3gpuE3ELNS1_3repE0EEENS1_30default_config_static_selectorELNS0_4arch9wavefront6targetE0EEEvT1_.kd
    .uniform_work_group_size: 1
    .uses_dynamic_stack: false
    .vgpr_count:     0
    .vgpr_spill_count: 0
    .wavefront_size: 32
  - .args:
      - .offset:         0
        .size:           112
        .value_kind:     by_value
    .group_segment_fixed_size: 0
    .kernarg_segment_align: 8
    .kernarg_segment_size: 112
    .language:       OpenCL C
    .language_version:
      - 2
      - 0
    .max_flat_workgroup_size: 512
    .name:           _ZN7rocprim17ROCPRIM_400000_NS6detail17trampoline_kernelINS0_14default_configENS1_25partition_config_selectorILNS1_17partition_subalgoE8EfNS0_10empty_typeEbEEZZNS1_14partition_implILS5_8ELb0ES3_jPKfPS6_PKS6_NS0_5tupleIJPfS6_EEENSE_IJSB_SB_EEENS0_18inequality_wrapperIN6hipcub16HIPCUB_304000_NS8EqualityEEEPlJS6_EEE10hipError_tPvRmT3_T4_T5_T6_T7_T9_mT8_P12ihipStream_tbDpT10_ENKUlT_T0_E_clISt17integral_constantIbLb1EES16_IbLb0EEEEDaS12_S13_EUlS12_E_NS1_11comp_targetILNS1_3genE8ELNS1_11target_archE1030ELNS1_3gpuE2ELNS1_3repE0EEENS1_30default_config_static_selectorELNS0_4arch9wavefront6targetE0EEEvT1_
    .private_segment_fixed_size: 0
    .sgpr_count:     0
    .sgpr_spill_count: 0
    .symbol:         _ZN7rocprim17ROCPRIM_400000_NS6detail17trampoline_kernelINS0_14default_configENS1_25partition_config_selectorILNS1_17partition_subalgoE8EfNS0_10empty_typeEbEEZZNS1_14partition_implILS5_8ELb0ES3_jPKfPS6_PKS6_NS0_5tupleIJPfS6_EEENSE_IJSB_SB_EEENS0_18inequality_wrapperIN6hipcub16HIPCUB_304000_NS8EqualityEEEPlJS6_EEE10hipError_tPvRmT3_T4_T5_T6_T7_T9_mT8_P12ihipStream_tbDpT10_ENKUlT_T0_E_clISt17integral_constantIbLb1EES16_IbLb0EEEEDaS12_S13_EUlS12_E_NS1_11comp_targetILNS1_3genE8ELNS1_11target_archE1030ELNS1_3gpuE2ELNS1_3repE0EEENS1_30default_config_static_selectorELNS0_4arch9wavefront6targetE0EEEvT1_.kd
    .uniform_work_group_size: 1
    .uses_dynamic_stack: false
    .vgpr_count:     0
    .vgpr_spill_count: 0
    .wavefront_size: 32
  - .args:
      - .offset:         0
        .size:           128
        .value_kind:     by_value
    .group_segment_fixed_size: 22536
    .kernarg_segment_align: 8
    .kernarg_segment_size: 128
    .language:       OpenCL C
    .language_version:
      - 2
      - 0
    .max_flat_workgroup_size: 512
    .name:           _ZN7rocprim17ROCPRIM_400000_NS6detail17trampoline_kernelINS0_14default_configENS1_25partition_config_selectorILNS1_17partition_subalgoE8EfNS0_10empty_typeEbEEZZNS1_14partition_implILS5_8ELb0ES3_jPKfPS6_PKS6_NS0_5tupleIJPfS6_EEENSE_IJSB_SB_EEENS0_18inequality_wrapperIN6hipcub16HIPCUB_304000_NS8EqualityEEEPlJS6_EEE10hipError_tPvRmT3_T4_T5_T6_T7_T9_mT8_P12ihipStream_tbDpT10_ENKUlT_T0_E_clISt17integral_constantIbLb0EES16_IbLb1EEEEDaS12_S13_EUlS12_E_NS1_11comp_targetILNS1_3genE0ELNS1_11target_archE4294967295ELNS1_3gpuE0ELNS1_3repE0EEENS1_30default_config_static_selectorELNS0_4arch9wavefront6targetE0EEEvT1_
    .private_segment_fixed_size: 0
    .sgpr_count:     34
    .sgpr_spill_count: 0
    .symbol:         _ZN7rocprim17ROCPRIM_400000_NS6detail17trampoline_kernelINS0_14default_configENS1_25partition_config_selectorILNS1_17partition_subalgoE8EfNS0_10empty_typeEbEEZZNS1_14partition_implILS5_8ELb0ES3_jPKfPS6_PKS6_NS0_5tupleIJPfS6_EEENSE_IJSB_SB_EEENS0_18inequality_wrapperIN6hipcub16HIPCUB_304000_NS8EqualityEEEPlJS6_EEE10hipError_tPvRmT3_T4_T5_T6_T7_T9_mT8_P12ihipStream_tbDpT10_ENKUlT_T0_E_clISt17integral_constantIbLb0EES16_IbLb1EEEEDaS12_S13_EUlS12_E_NS1_11comp_targetILNS1_3genE0ELNS1_11target_archE4294967295ELNS1_3gpuE0ELNS1_3repE0EEENS1_30default_config_static_selectorELNS0_4arch9wavefront6targetE0EEEvT1_.kd
    .uniform_work_group_size: 1
    .uses_dynamic_stack: false
    .vgpr_count:     62
    .vgpr_spill_count: 0
    .wavefront_size: 32
  - .args:
      - .offset:         0
        .size:           128
        .value_kind:     by_value
    .group_segment_fixed_size: 0
    .kernarg_segment_align: 8
    .kernarg_segment_size: 128
    .language:       OpenCL C
    .language_version:
      - 2
      - 0
    .max_flat_workgroup_size: 512
    .name:           _ZN7rocprim17ROCPRIM_400000_NS6detail17trampoline_kernelINS0_14default_configENS1_25partition_config_selectorILNS1_17partition_subalgoE8EfNS0_10empty_typeEbEEZZNS1_14partition_implILS5_8ELb0ES3_jPKfPS6_PKS6_NS0_5tupleIJPfS6_EEENSE_IJSB_SB_EEENS0_18inequality_wrapperIN6hipcub16HIPCUB_304000_NS8EqualityEEEPlJS6_EEE10hipError_tPvRmT3_T4_T5_T6_T7_T9_mT8_P12ihipStream_tbDpT10_ENKUlT_T0_E_clISt17integral_constantIbLb0EES16_IbLb1EEEEDaS12_S13_EUlS12_E_NS1_11comp_targetILNS1_3genE5ELNS1_11target_archE942ELNS1_3gpuE9ELNS1_3repE0EEENS1_30default_config_static_selectorELNS0_4arch9wavefront6targetE0EEEvT1_
    .private_segment_fixed_size: 0
    .sgpr_count:     0
    .sgpr_spill_count: 0
    .symbol:         _ZN7rocprim17ROCPRIM_400000_NS6detail17trampoline_kernelINS0_14default_configENS1_25partition_config_selectorILNS1_17partition_subalgoE8EfNS0_10empty_typeEbEEZZNS1_14partition_implILS5_8ELb0ES3_jPKfPS6_PKS6_NS0_5tupleIJPfS6_EEENSE_IJSB_SB_EEENS0_18inequality_wrapperIN6hipcub16HIPCUB_304000_NS8EqualityEEEPlJS6_EEE10hipError_tPvRmT3_T4_T5_T6_T7_T9_mT8_P12ihipStream_tbDpT10_ENKUlT_T0_E_clISt17integral_constantIbLb0EES16_IbLb1EEEEDaS12_S13_EUlS12_E_NS1_11comp_targetILNS1_3genE5ELNS1_11target_archE942ELNS1_3gpuE9ELNS1_3repE0EEENS1_30default_config_static_selectorELNS0_4arch9wavefront6targetE0EEEvT1_.kd
    .uniform_work_group_size: 1
    .uses_dynamic_stack: false
    .vgpr_count:     0
    .vgpr_spill_count: 0
    .wavefront_size: 32
  - .args:
      - .offset:         0
        .size:           128
        .value_kind:     by_value
    .group_segment_fixed_size: 0
    .kernarg_segment_align: 8
    .kernarg_segment_size: 128
    .language:       OpenCL C
    .language_version:
      - 2
      - 0
    .max_flat_workgroup_size: 256
    .name:           _ZN7rocprim17ROCPRIM_400000_NS6detail17trampoline_kernelINS0_14default_configENS1_25partition_config_selectorILNS1_17partition_subalgoE8EfNS0_10empty_typeEbEEZZNS1_14partition_implILS5_8ELb0ES3_jPKfPS6_PKS6_NS0_5tupleIJPfS6_EEENSE_IJSB_SB_EEENS0_18inequality_wrapperIN6hipcub16HIPCUB_304000_NS8EqualityEEEPlJS6_EEE10hipError_tPvRmT3_T4_T5_T6_T7_T9_mT8_P12ihipStream_tbDpT10_ENKUlT_T0_E_clISt17integral_constantIbLb0EES16_IbLb1EEEEDaS12_S13_EUlS12_E_NS1_11comp_targetILNS1_3genE4ELNS1_11target_archE910ELNS1_3gpuE8ELNS1_3repE0EEENS1_30default_config_static_selectorELNS0_4arch9wavefront6targetE0EEEvT1_
    .private_segment_fixed_size: 0
    .sgpr_count:     0
    .sgpr_spill_count: 0
    .symbol:         _ZN7rocprim17ROCPRIM_400000_NS6detail17trampoline_kernelINS0_14default_configENS1_25partition_config_selectorILNS1_17partition_subalgoE8EfNS0_10empty_typeEbEEZZNS1_14partition_implILS5_8ELb0ES3_jPKfPS6_PKS6_NS0_5tupleIJPfS6_EEENSE_IJSB_SB_EEENS0_18inequality_wrapperIN6hipcub16HIPCUB_304000_NS8EqualityEEEPlJS6_EEE10hipError_tPvRmT3_T4_T5_T6_T7_T9_mT8_P12ihipStream_tbDpT10_ENKUlT_T0_E_clISt17integral_constantIbLb0EES16_IbLb1EEEEDaS12_S13_EUlS12_E_NS1_11comp_targetILNS1_3genE4ELNS1_11target_archE910ELNS1_3gpuE8ELNS1_3repE0EEENS1_30default_config_static_selectorELNS0_4arch9wavefront6targetE0EEEvT1_.kd
    .uniform_work_group_size: 1
    .uses_dynamic_stack: false
    .vgpr_count:     0
    .vgpr_spill_count: 0
    .wavefront_size: 32
  - .args:
      - .offset:         0
        .size:           128
        .value_kind:     by_value
    .group_segment_fixed_size: 0
    .kernarg_segment_align: 8
    .kernarg_segment_size: 128
    .language:       OpenCL C
    .language_version:
      - 2
      - 0
    .max_flat_workgroup_size: 512
    .name:           _ZN7rocprim17ROCPRIM_400000_NS6detail17trampoline_kernelINS0_14default_configENS1_25partition_config_selectorILNS1_17partition_subalgoE8EfNS0_10empty_typeEbEEZZNS1_14partition_implILS5_8ELb0ES3_jPKfPS6_PKS6_NS0_5tupleIJPfS6_EEENSE_IJSB_SB_EEENS0_18inequality_wrapperIN6hipcub16HIPCUB_304000_NS8EqualityEEEPlJS6_EEE10hipError_tPvRmT3_T4_T5_T6_T7_T9_mT8_P12ihipStream_tbDpT10_ENKUlT_T0_E_clISt17integral_constantIbLb0EES16_IbLb1EEEEDaS12_S13_EUlS12_E_NS1_11comp_targetILNS1_3genE3ELNS1_11target_archE908ELNS1_3gpuE7ELNS1_3repE0EEENS1_30default_config_static_selectorELNS0_4arch9wavefront6targetE0EEEvT1_
    .private_segment_fixed_size: 0
    .sgpr_count:     0
    .sgpr_spill_count: 0
    .symbol:         _ZN7rocprim17ROCPRIM_400000_NS6detail17trampoline_kernelINS0_14default_configENS1_25partition_config_selectorILNS1_17partition_subalgoE8EfNS0_10empty_typeEbEEZZNS1_14partition_implILS5_8ELb0ES3_jPKfPS6_PKS6_NS0_5tupleIJPfS6_EEENSE_IJSB_SB_EEENS0_18inequality_wrapperIN6hipcub16HIPCUB_304000_NS8EqualityEEEPlJS6_EEE10hipError_tPvRmT3_T4_T5_T6_T7_T9_mT8_P12ihipStream_tbDpT10_ENKUlT_T0_E_clISt17integral_constantIbLb0EES16_IbLb1EEEEDaS12_S13_EUlS12_E_NS1_11comp_targetILNS1_3genE3ELNS1_11target_archE908ELNS1_3gpuE7ELNS1_3repE0EEENS1_30default_config_static_selectorELNS0_4arch9wavefront6targetE0EEEvT1_.kd
    .uniform_work_group_size: 1
    .uses_dynamic_stack: false
    .vgpr_count:     0
    .vgpr_spill_count: 0
    .wavefront_size: 32
  - .args:
      - .offset:         0
        .size:           128
        .value_kind:     by_value
    .group_segment_fixed_size: 0
    .kernarg_segment_align: 8
    .kernarg_segment_size: 128
    .language:       OpenCL C
    .language_version:
      - 2
      - 0
    .max_flat_workgroup_size: 256
    .name:           _ZN7rocprim17ROCPRIM_400000_NS6detail17trampoline_kernelINS0_14default_configENS1_25partition_config_selectorILNS1_17partition_subalgoE8EfNS0_10empty_typeEbEEZZNS1_14partition_implILS5_8ELb0ES3_jPKfPS6_PKS6_NS0_5tupleIJPfS6_EEENSE_IJSB_SB_EEENS0_18inequality_wrapperIN6hipcub16HIPCUB_304000_NS8EqualityEEEPlJS6_EEE10hipError_tPvRmT3_T4_T5_T6_T7_T9_mT8_P12ihipStream_tbDpT10_ENKUlT_T0_E_clISt17integral_constantIbLb0EES16_IbLb1EEEEDaS12_S13_EUlS12_E_NS1_11comp_targetILNS1_3genE2ELNS1_11target_archE906ELNS1_3gpuE6ELNS1_3repE0EEENS1_30default_config_static_selectorELNS0_4arch9wavefront6targetE0EEEvT1_
    .private_segment_fixed_size: 0
    .sgpr_count:     0
    .sgpr_spill_count: 0
    .symbol:         _ZN7rocprim17ROCPRIM_400000_NS6detail17trampoline_kernelINS0_14default_configENS1_25partition_config_selectorILNS1_17partition_subalgoE8EfNS0_10empty_typeEbEEZZNS1_14partition_implILS5_8ELb0ES3_jPKfPS6_PKS6_NS0_5tupleIJPfS6_EEENSE_IJSB_SB_EEENS0_18inequality_wrapperIN6hipcub16HIPCUB_304000_NS8EqualityEEEPlJS6_EEE10hipError_tPvRmT3_T4_T5_T6_T7_T9_mT8_P12ihipStream_tbDpT10_ENKUlT_T0_E_clISt17integral_constantIbLb0EES16_IbLb1EEEEDaS12_S13_EUlS12_E_NS1_11comp_targetILNS1_3genE2ELNS1_11target_archE906ELNS1_3gpuE6ELNS1_3repE0EEENS1_30default_config_static_selectorELNS0_4arch9wavefront6targetE0EEEvT1_.kd
    .uniform_work_group_size: 1
    .uses_dynamic_stack: false
    .vgpr_count:     0
    .vgpr_spill_count: 0
    .wavefront_size: 32
  - .args:
      - .offset:         0
        .size:           128
        .value_kind:     by_value
    .group_segment_fixed_size: 0
    .kernarg_segment_align: 8
    .kernarg_segment_size: 128
    .language:       OpenCL C
    .language_version:
      - 2
      - 0
    .max_flat_workgroup_size: 384
    .name:           _ZN7rocprim17ROCPRIM_400000_NS6detail17trampoline_kernelINS0_14default_configENS1_25partition_config_selectorILNS1_17partition_subalgoE8EfNS0_10empty_typeEbEEZZNS1_14partition_implILS5_8ELb0ES3_jPKfPS6_PKS6_NS0_5tupleIJPfS6_EEENSE_IJSB_SB_EEENS0_18inequality_wrapperIN6hipcub16HIPCUB_304000_NS8EqualityEEEPlJS6_EEE10hipError_tPvRmT3_T4_T5_T6_T7_T9_mT8_P12ihipStream_tbDpT10_ENKUlT_T0_E_clISt17integral_constantIbLb0EES16_IbLb1EEEEDaS12_S13_EUlS12_E_NS1_11comp_targetILNS1_3genE10ELNS1_11target_archE1200ELNS1_3gpuE4ELNS1_3repE0EEENS1_30default_config_static_selectorELNS0_4arch9wavefront6targetE0EEEvT1_
    .private_segment_fixed_size: 0
    .sgpr_count:     0
    .sgpr_spill_count: 0
    .symbol:         _ZN7rocprim17ROCPRIM_400000_NS6detail17trampoline_kernelINS0_14default_configENS1_25partition_config_selectorILNS1_17partition_subalgoE8EfNS0_10empty_typeEbEEZZNS1_14partition_implILS5_8ELb0ES3_jPKfPS6_PKS6_NS0_5tupleIJPfS6_EEENSE_IJSB_SB_EEENS0_18inequality_wrapperIN6hipcub16HIPCUB_304000_NS8EqualityEEEPlJS6_EEE10hipError_tPvRmT3_T4_T5_T6_T7_T9_mT8_P12ihipStream_tbDpT10_ENKUlT_T0_E_clISt17integral_constantIbLb0EES16_IbLb1EEEEDaS12_S13_EUlS12_E_NS1_11comp_targetILNS1_3genE10ELNS1_11target_archE1200ELNS1_3gpuE4ELNS1_3repE0EEENS1_30default_config_static_selectorELNS0_4arch9wavefront6targetE0EEEvT1_.kd
    .uniform_work_group_size: 1
    .uses_dynamic_stack: false
    .vgpr_count:     0
    .vgpr_spill_count: 0
    .wavefront_size: 32
  - .args:
      - .offset:         0
        .size:           128
        .value_kind:     by_value
    .group_segment_fixed_size: 0
    .kernarg_segment_align: 8
    .kernarg_segment_size: 128
    .language:       OpenCL C
    .language_version:
      - 2
      - 0
    .max_flat_workgroup_size: 128
    .name:           _ZN7rocprim17ROCPRIM_400000_NS6detail17trampoline_kernelINS0_14default_configENS1_25partition_config_selectorILNS1_17partition_subalgoE8EfNS0_10empty_typeEbEEZZNS1_14partition_implILS5_8ELb0ES3_jPKfPS6_PKS6_NS0_5tupleIJPfS6_EEENSE_IJSB_SB_EEENS0_18inequality_wrapperIN6hipcub16HIPCUB_304000_NS8EqualityEEEPlJS6_EEE10hipError_tPvRmT3_T4_T5_T6_T7_T9_mT8_P12ihipStream_tbDpT10_ENKUlT_T0_E_clISt17integral_constantIbLb0EES16_IbLb1EEEEDaS12_S13_EUlS12_E_NS1_11comp_targetILNS1_3genE9ELNS1_11target_archE1100ELNS1_3gpuE3ELNS1_3repE0EEENS1_30default_config_static_selectorELNS0_4arch9wavefront6targetE0EEEvT1_
    .private_segment_fixed_size: 0
    .sgpr_count:     0
    .sgpr_spill_count: 0
    .symbol:         _ZN7rocprim17ROCPRIM_400000_NS6detail17trampoline_kernelINS0_14default_configENS1_25partition_config_selectorILNS1_17partition_subalgoE8EfNS0_10empty_typeEbEEZZNS1_14partition_implILS5_8ELb0ES3_jPKfPS6_PKS6_NS0_5tupleIJPfS6_EEENSE_IJSB_SB_EEENS0_18inequality_wrapperIN6hipcub16HIPCUB_304000_NS8EqualityEEEPlJS6_EEE10hipError_tPvRmT3_T4_T5_T6_T7_T9_mT8_P12ihipStream_tbDpT10_ENKUlT_T0_E_clISt17integral_constantIbLb0EES16_IbLb1EEEEDaS12_S13_EUlS12_E_NS1_11comp_targetILNS1_3genE9ELNS1_11target_archE1100ELNS1_3gpuE3ELNS1_3repE0EEENS1_30default_config_static_selectorELNS0_4arch9wavefront6targetE0EEEvT1_.kd
    .uniform_work_group_size: 1
    .uses_dynamic_stack: false
    .vgpr_count:     0
    .vgpr_spill_count: 0
    .wavefront_size: 32
  - .args:
      - .offset:         0
        .size:           128
        .value_kind:     by_value
    .group_segment_fixed_size: 0
    .kernarg_segment_align: 8
    .kernarg_segment_size: 128
    .language:       OpenCL C
    .language_version:
      - 2
      - 0
    .max_flat_workgroup_size: 512
    .name:           _ZN7rocprim17ROCPRIM_400000_NS6detail17trampoline_kernelINS0_14default_configENS1_25partition_config_selectorILNS1_17partition_subalgoE8EfNS0_10empty_typeEbEEZZNS1_14partition_implILS5_8ELb0ES3_jPKfPS6_PKS6_NS0_5tupleIJPfS6_EEENSE_IJSB_SB_EEENS0_18inequality_wrapperIN6hipcub16HIPCUB_304000_NS8EqualityEEEPlJS6_EEE10hipError_tPvRmT3_T4_T5_T6_T7_T9_mT8_P12ihipStream_tbDpT10_ENKUlT_T0_E_clISt17integral_constantIbLb0EES16_IbLb1EEEEDaS12_S13_EUlS12_E_NS1_11comp_targetILNS1_3genE8ELNS1_11target_archE1030ELNS1_3gpuE2ELNS1_3repE0EEENS1_30default_config_static_selectorELNS0_4arch9wavefront6targetE0EEEvT1_
    .private_segment_fixed_size: 0
    .sgpr_count:     0
    .sgpr_spill_count: 0
    .symbol:         _ZN7rocprim17ROCPRIM_400000_NS6detail17trampoline_kernelINS0_14default_configENS1_25partition_config_selectorILNS1_17partition_subalgoE8EfNS0_10empty_typeEbEEZZNS1_14partition_implILS5_8ELb0ES3_jPKfPS6_PKS6_NS0_5tupleIJPfS6_EEENSE_IJSB_SB_EEENS0_18inequality_wrapperIN6hipcub16HIPCUB_304000_NS8EqualityEEEPlJS6_EEE10hipError_tPvRmT3_T4_T5_T6_T7_T9_mT8_P12ihipStream_tbDpT10_ENKUlT_T0_E_clISt17integral_constantIbLb0EES16_IbLb1EEEEDaS12_S13_EUlS12_E_NS1_11comp_targetILNS1_3genE8ELNS1_11target_archE1030ELNS1_3gpuE2ELNS1_3repE0EEENS1_30default_config_static_selectorELNS0_4arch9wavefront6targetE0EEEvT1_.kd
    .uniform_work_group_size: 1
    .uses_dynamic_stack: false
    .vgpr_count:     0
    .vgpr_spill_count: 0
    .wavefront_size: 32
  - .args:
      - .offset:         0
        .size:           128
        .value_kind:     by_value
    .group_segment_fixed_size: 14336
    .kernarg_segment_align: 8
    .kernarg_segment_size: 128
    .language:       OpenCL C
    .language_version:
      - 2
      - 0
    .max_flat_workgroup_size: 256
    .name:           _ZN7rocprim17ROCPRIM_400000_NS6detail17trampoline_kernelINS0_14default_configENS1_33run_length_encode_config_selectorIfjNS0_4plusIjEEEEZZNS1_33reduce_by_key_impl_wrapped_configILNS1_25lookback_scan_determinismE0ES3_S7_PKfNS0_17constant_iteratorIjlEEPfPlSF_S6_NS0_8equal_toIfEEEE10hipError_tPvRmT2_T3_mT4_T5_T6_T7_T8_P12ihipStream_tbENKUlT_T0_E_clISt17integral_constantIbLb0EESZ_EEDaSU_SV_EUlSU_E_NS1_11comp_targetILNS1_3genE0ELNS1_11target_archE4294967295ELNS1_3gpuE0ELNS1_3repE0EEENS1_30default_config_static_selectorELNS0_4arch9wavefront6targetE0EEEvT1_
    .private_segment_fixed_size: 0
    .sgpr_count:     41
    .sgpr_spill_count: 0
    .symbol:         _ZN7rocprim17ROCPRIM_400000_NS6detail17trampoline_kernelINS0_14default_configENS1_33run_length_encode_config_selectorIfjNS0_4plusIjEEEEZZNS1_33reduce_by_key_impl_wrapped_configILNS1_25lookback_scan_determinismE0ES3_S7_PKfNS0_17constant_iteratorIjlEEPfPlSF_S6_NS0_8equal_toIfEEEE10hipError_tPvRmT2_T3_mT4_T5_T6_T7_T8_P12ihipStream_tbENKUlT_T0_E_clISt17integral_constantIbLb0EESZ_EEDaSU_SV_EUlSU_E_NS1_11comp_targetILNS1_3genE0ELNS1_11target_archE4294967295ELNS1_3gpuE0ELNS1_3repE0EEENS1_30default_config_static_selectorELNS0_4arch9wavefront6targetE0EEEvT1_.kd
    .uniform_work_group_size: 1
    .uses_dynamic_stack: false
    .vgpr_count:     102
    .vgpr_spill_count: 0
    .wavefront_size: 32
  - .args:
      - .offset:         0
        .size:           128
        .value_kind:     by_value
    .group_segment_fixed_size: 0
    .kernarg_segment_align: 8
    .kernarg_segment_size: 128
    .language:       OpenCL C
    .language_version:
      - 2
      - 0
    .max_flat_workgroup_size: 512
    .name:           _ZN7rocprim17ROCPRIM_400000_NS6detail17trampoline_kernelINS0_14default_configENS1_33run_length_encode_config_selectorIfjNS0_4plusIjEEEEZZNS1_33reduce_by_key_impl_wrapped_configILNS1_25lookback_scan_determinismE0ES3_S7_PKfNS0_17constant_iteratorIjlEEPfPlSF_S6_NS0_8equal_toIfEEEE10hipError_tPvRmT2_T3_mT4_T5_T6_T7_T8_P12ihipStream_tbENKUlT_T0_E_clISt17integral_constantIbLb0EESZ_EEDaSU_SV_EUlSU_E_NS1_11comp_targetILNS1_3genE5ELNS1_11target_archE942ELNS1_3gpuE9ELNS1_3repE0EEENS1_30default_config_static_selectorELNS0_4arch9wavefront6targetE0EEEvT1_
    .private_segment_fixed_size: 0
    .sgpr_count:     0
    .sgpr_spill_count: 0
    .symbol:         _ZN7rocprim17ROCPRIM_400000_NS6detail17trampoline_kernelINS0_14default_configENS1_33run_length_encode_config_selectorIfjNS0_4plusIjEEEEZZNS1_33reduce_by_key_impl_wrapped_configILNS1_25lookback_scan_determinismE0ES3_S7_PKfNS0_17constant_iteratorIjlEEPfPlSF_S6_NS0_8equal_toIfEEEE10hipError_tPvRmT2_T3_mT4_T5_T6_T7_T8_P12ihipStream_tbENKUlT_T0_E_clISt17integral_constantIbLb0EESZ_EEDaSU_SV_EUlSU_E_NS1_11comp_targetILNS1_3genE5ELNS1_11target_archE942ELNS1_3gpuE9ELNS1_3repE0EEENS1_30default_config_static_selectorELNS0_4arch9wavefront6targetE0EEEvT1_.kd
    .uniform_work_group_size: 1
    .uses_dynamic_stack: false
    .vgpr_count:     0
    .vgpr_spill_count: 0
    .wavefront_size: 32
  - .args:
      - .offset:         0
        .size:           128
        .value_kind:     by_value
    .group_segment_fixed_size: 0
    .kernarg_segment_align: 8
    .kernarg_segment_size: 128
    .language:       OpenCL C
    .language_version:
      - 2
      - 0
    .max_flat_workgroup_size: 256
    .name:           _ZN7rocprim17ROCPRIM_400000_NS6detail17trampoline_kernelINS0_14default_configENS1_33run_length_encode_config_selectorIfjNS0_4plusIjEEEEZZNS1_33reduce_by_key_impl_wrapped_configILNS1_25lookback_scan_determinismE0ES3_S7_PKfNS0_17constant_iteratorIjlEEPfPlSF_S6_NS0_8equal_toIfEEEE10hipError_tPvRmT2_T3_mT4_T5_T6_T7_T8_P12ihipStream_tbENKUlT_T0_E_clISt17integral_constantIbLb0EESZ_EEDaSU_SV_EUlSU_E_NS1_11comp_targetILNS1_3genE4ELNS1_11target_archE910ELNS1_3gpuE8ELNS1_3repE0EEENS1_30default_config_static_selectorELNS0_4arch9wavefront6targetE0EEEvT1_
    .private_segment_fixed_size: 0
    .sgpr_count:     0
    .sgpr_spill_count: 0
    .symbol:         _ZN7rocprim17ROCPRIM_400000_NS6detail17trampoline_kernelINS0_14default_configENS1_33run_length_encode_config_selectorIfjNS0_4plusIjEEEEZZNS1_33reduce_by_key_impl_wrapped_configILNS1_25lookback_scan_determinismE0ES3_S7_PKfNS0_17constant_iteratorIjlEEPfPlSF_S6_NS0_8equal_toIfEEEE10hipError_tPvRmT2_T3_mT4_T5_T6_T7_T8_P12ihipStream_tbENKUlT_T0_E_clISt17integral_constantIbLb0EESZ_EEDaSU_SV_EUlSU_E_NS1_11comp_targetILNS1_3genE4ELNS1_11target_archE910ELNS1_3gpuE8ELNS1_3repE0EEENS1_30default_config_static_selectorELNS0_4arch9wavefront6targetE0EEEvT1_.kd
    .uniform_work_group_size: 1
    .uses_dynamic_stack: false
    .vgpr_count:     0
    .vgpr_spill_count: 0
    .wavefront_size: 32
  - .args:
      - .offset:         0
        .size:           128
        .value_kind:     by_value
    .group_segment_fixed_size: 0
    .kernarg_segment_align: 8
    .kernarg_segment_size: 128
    .language:       OpenCL C
    .language_version:
      - 2
      - 0
    .max_flat_workgroup_size: 256
    .name:           _ZN7rocprim17ROCPRIM_400000_NS6detail17trampoline_kernelINS0_14default_configENS1_33run_length_encode_config_selectorIfjNS0_4plusIjEEEEZZNS1_33reduce_by_key_impl_wrapped_configILNS1_25lookback_scan_determinismE0ES3_S7_PKfNS0_17constant_iteratorIjlEEPfPlSF_S6_NS0_8equal_toIfEEEE10hipError_tPvRmT2_T3_mT4_T5_T6_T7_T8_P12ihipStream_tbENKUlT_T0_E_clISt17integral_constantIbLb0EESZ_EEDaSU_SV_EUlSU_E_NS1_11comp_targetILNS1_3genE3ELNS1_11target_archE908ELNS1_3gpuE7ELNS1_3repE0EEENS1_30default_config_static_selectorELNS0_4arch9wavefront6targetE0EEEvT1_
    .private_segment_fixed_size: 0
    .sgpr_count:     0
    .sgpr_spill_count: 0
    .symbol:         _ZN7rocprim17ROCPRIM_400000_NS6detail17trampoline_kernelINS0_14default_configENS1_33run_length_encode_config_selectorIfjNS0_4plusIjEEEEZZNS1_33reduce_by_key_impl_wrapped_configILNS1_25lookback_scan_determinismE0ES3_S7_PKfNS0_17constant_iteratorIjlEEPfPlSF_S6_NS0_8equal_toIfEEEE10hipError_tPvRmT2_T3_mT4_T5_T6_T7_T8_P12ihipStream_tbENKUlT_T0_E_clISt17integral_constantIbLb0EESZ_EEDaSU_SV_EUlSU_E_NS1_11comp_targetILNS1_3genE3ELNS1_11target_archE908ELNS1_3gpuE7ELNS1_3repE0EEENS1_30default_config_static_selectorELNS0_4arch9wavefront6targetE0EEEvT1_.kd
    .uniform_work_group_size: 1
    .uses_dynamic_stack: false
    .vgpr_count:     0
    .vgpr_spill_count: 0
    .wavefront_size: 32
  - .args:
      - .offset:         0
        .size:           128
        .value_kind:     by_value
    .group_segment_fixed_size: 0
    .kernarg_segment_align: 8
    .kernarg_segment_size: 128
    .language:       OpenCL C
    .language_version:
      - 2
      - 0
    .max_flat_workgroup_size: 256
    .name:           _ZN7rocprim17ROCPRIM_400000_NS6detail17trampoline_kernelINS0_14default_configENS1_33run_length_encode_config_selectorIfjNS0_4plusIjEEEEZZNS1_33reduce_by_key_impl_wrapped_configILNS1_25lookback_scan_determinismE0ES3_S7_PKfNS0_17constant_iteratorIjlEEPfPlSF_S6_NS0_8equal_toIfEEEE10hipError_tPvRmT2_T3_mT4_T5_T6_T7_T8_P12ihipStream_tbENKUlT_T0_E_clISt17integral_constantIbLb0EESZ_EEDaSU_SV_EUlSU_E_NS1_11comp_targetILNS1_3genE2ELNS1_11target_archE906ELNS1_3gpuE6ELNS1_3repE0EEENS1_30default_config_static_selectorELNS0_4arch9wavefront6targetE0EEEvT1_
    .private_segment_fixed_size: 0
    .sgpr_count:     0
    .sgpr_spill_count: 0
    .symbol:         _ZN7rocprim17ROCPRIM_400000_NS6detail17trampoline_kernelINS0_14default_configENS1_33run_length_encode_config_selectorIfjNS0_4plusIjEEEEZZNS1_33reduce_by_key_impl_wrapped_configILNS1_25lookback_scan_determinismE0ES3_S7_PKfNS0_17constant_iteratorIjlEEPfPlSF_S6_NS0_8equal_toIfEEEE10hipError_tPvRmT2_T3_mT4_T5_T6_T7_T8_P12ihipStream_tbENKUlT_T0_E_clISt17integral_constantIbLb0EESZ_EEDaSU_SV_EUlSU_E_NS1_11comp_targetILNS1_3genE2ELNS1_11target_archE906ELNS1_3gpuE6ELNS1_3repE0EEENS1_30default_config_static_selectorELNS0_4arch9wavefront6targetE0EEEvT1_.kd
    .uniform_work_group_size: 1
    .uses_dynamic_stack: false
    .vgpr_count:     0
    .vgpr_spill_count: 0
    .wavefront_size: 32
  - .args:
      - .offset:         0
        .size:           128
        .value_kind:     by_value
    .group_segment_fixed_size: 0
    .kernarg_segment_align: 8
    .kernarg_segment_size: 128
    .language:       OpenCL C
    .language_version:
      - 2
      - 0
    .max_flat_workgroup_size: 384
    .name:           _ZN7rocprim17ROCPRIM_400000_NS6detail17trampoline_kernelINS0_14default_configENS1_33run_length_encode_config_selectorIfjNS0_4plusIjEEEEZZNS1_33reduce_by_key_impl_wrapped_configILNS1_25lookback_scan_determinismE0ES3_S7_PKfNS0_17constant_iteratorIjlEEPfPlSF_S6_NS0_8equal_toIfEEEE10hipError_tPvRmT2_T3_mT4_T5_T6_T7_T8_P12ihipStream_tbENKUlT_T0_E_clISt17integral_constantIbLb0EESZ_EEDaSU_SV_EUlSU_E_NS1_11comp_targetILNS1_3genE10ELNS1_11target_archE1201ELNS1_3gpuE5ELNS1_3repE0EEENS1_30default_config_static_selectorELNS0_4arch9wavefront6targetE0EEEvT1_
    .private_segment_fixed_size: 0
    .sgpr_count:     0
    .sgpr_spill_count: 0
    .symbol:         _ZN7rocprim17ROCPRIM_400000_NS6detail17trampoline_kernelINS0_14default_configENS1_33run_length_encode_config_selectorIfjNS0_4plusIjEEEEZZNS1_33reduce_by_key_impl_wrapped_configILNS1_25lookback_scan_determinismE0ES3_S7_PKfNS0_17constant_iteratorIjlEEPfPlSF_S6_NS0_8equal_toIfEEEE10hipError_tPvRmT2_T3_mT4_T5_T6_T7_T8_P12ihipStream_tbENKUlT_T0_E_clISt17integral_constantIbLb0EESZ_EEDaSU_SV_EUlSU_E_NS1_11comp_targetILNS1_3genE10ELNS1_11target_archE1201ELNS1_3gpuE5ELNS1_3repE0EEENS1_30default_config_static_selectorELNS0_4arch9wavefront6targetE0EEEvT1_.kd
    .uniform_work_group_size: 1
    .uses_dynamic_stack: false
    .vgpr_count:     0
    .vgpr_spill_count: 0
    .wavefront_size: 32
  - .args:
      - .offset:         0
        .size:           128
        .value_kind:     by_value
    .group_segment_fixed_size: 0
    .kernarg_segment_align: 8
    .kernarg_segment_size: 128
    .language:       OpenCL C
    .language_version:
      - 2
      - 0
    .max_flat_workgroup_size: 256
    .name:           _ZN7rocprim17ROCPRIM_400000_NS6detail17trampoline_kernelINS0_14default_configENS1_33run_length_encode_config_selectorIfjNS0_4plusIjEEEEZZNS1_33reduce_by_key_impl_wrapped_configILNS1_25lookback_scan_determinismE0ES3_S7_PKfNS0_17constant_iteratorIjlEEPfPlSF_S6_NS0_8equal_toIfEEEE10hipError_tPvRmT2_T3_mT4_T5_T6_T7_T8_P12ihipStream_tbENKUlT_T0_E_clISt17integral_constantIbLb0EESZ_EEDaSU_SV_EUlSU_E_NS1_11comp_targetILNS1_3genE10ELNS1_11target_archE1200ELNS1_3gpuE4ELNS1_3repE0EEENS1_30default_config_static_selectorELNS0_4arch9wavefront6targetE0EEEvT1_
    .private_segment_fixed_size: 0
    .sgpr_count:     0
    .sgpr_spill_count: 0
    .symbol:         _ZN7rocprim17ROCPRIM_400000_NS6detail17trampoline_kernelINS0_14default_configENS1_33run_length_encode_config_selectorIfjNS0_4plusIjEEEEZZNS1_33reduce_by_key_impl_wrapped_configILNS1_25lookback_scan_determinismE0ES3_S7_PKfNS0_17constant_iteratorIjlEEPfPlSF_S6_NS0_8equal_toIfEEEE10hipError_tPvRmT2_T3_mT4_T5_T6_T7_T8_P12ihipStream_tbENKUlT_T0_E_clISt17integral_constantIbLb0EESZ_EEDaSU_SV_EUlSU_E_NS1_11comp_targetILNS1_3genE10ELNS1_11target_archE1200ELNS1_3gpuE4ELNS1_3repE0EEENS1_30default_config_static_selectorELNS0_4arch9wavefront6targetE0EEEvT1_.kd
    .uniform_work_group_size: 1
    .uses_dynamic_stack: false
    .vgpr_count:     0
    .vgpr_spill_count: 0
    .wavefront_size: 32
  - .args:
      - .offset:         0
        .size:           128
        .value_kind:     by_value
    .group_segment_fixed_size: 0
    .kernarg_segment_align: 8
    .kernarg_segment_size: 128
    .language:       OpenCL C
    .language_version:
      - 2
      - 0
    .max_flat_workgroup_size: 512
    .name:           _ZN7rocprim17ROCPRIM_400000_NS6detail17trampoline_kernelINS0_14default_configENS1_33run_length_encode_config_selectorIfjNS0_4plusIjEEEEZZNS1_33reduce_by_key_impl_wrapped_configILNS1_25lookback_scan_determinismE0ES3_S7_PKfNS0_17constant_iteratorIjlEEPfPlSF_S6_NS0_8equal_toIfEEEE10hipError_tPvRmT2_T3_mT4_T5_T6_T7_T8_P12ihipStream_tbENKUlT_T0_E_clISt17integral_constantIbLb0EESZ_EEDaSU_SV_EUlSU_E_NS1_11comp_targetILNS1_3genE9ELNS1_11target_archE1100ELNS1_3gpuE3ELNS1_3repE0EEENS1_30default_config_static_selectorELNS0_4arch9wavefront6targetE0EEEvT1_
    .private_segment_fixed_size: 0
    .sgpr_count:     0
    .sgpr_spill_count: 0
    .symbol:         _ZN7rocprim17ROCPRIM_400000_NS6detail17trampoline_kernelINS0_14default_configENS1_33run_length_encode_config_selectorIfjNS0_4plusIjEEEEZZNS1_33reduce_by_key_impl_wrapped_configILNS1_25lookback_scan_determinismE0ES3_S7_PKfNS0_17constant_iteratorIjlEEPfPlSF_S6_NS0_8equal_toIfEEEE10hipError_tPvRmT2_T3_mT4_T5_T6_T7_T8_P12ihipStream_tbENKUlT_T0_E_clISt17integral_constantIbLb0EESZ_EEDaSU_SV_EUlSU_E_NS1_11comp_targetILNS1_3genE9ELNS1_11target_archE1100ELNS1_3gpuE3ELNS1_3repE0EEENS1_30default_config_static_selectorELNS0_4arch9wavefront6targetE0EEEvT1_.kd
    .uniform_work_group_size: 1
    .uses_dynamic_stack: false
    .vgpr_count:     0
    .vgpr_spill_count: 0
    .wavefront_size: 32
  - .args:
      - .offset:         0
        .size:           128
        .value_kind:     by_value
    .group_segment_fixed_size: 0
    .kernarg_segment_align: 8
    .kernarg_segment_size: 128
    .language:       OpenCL C
    .language_version:
      - 2
      - 0
    .max_flat_workgroup_size: 192
    .name:           _ZN7rocprim17ROCPRIM_400000_NS6detail17trampoline_kernelINS0_14default_configENS1_33run_length_encode_config_selectorIfjNS0_4plusIjEEEEZZNS1_33reduce_by_key_impl_wrapped_configILNS1_25lookback_scan_determinismE0ES3_S7_PKfNS0_17constant_iteratorIjlEEPfPlSF_S6_NS0_8equal_toIfEEEE10hipError_tPvRmT2_T3_mT4_T5_T6_T7_T8_P12ihipStream_tbENKUlT_T0_E_clISt17integral_constantIbLb0EESZ_EEDaSU_SV_EUlSU_E_NS1_11comp_targetILNS1_3genE8ELNS1_11target_archE1030ELNS1_3gpuE2ELNS1_3repE0EEENS1_30default_config_static_selectorELNS0_4arch9wavefront6targetE0EEEvT1_
    .private_segment_fixed_size: 0
    .sgpr_count:     0
    .sgpr_spill_count: 0
    .symbol:         _ZN7rocprim17ROCPRIM_400000_NS6detail17trampoline_kernelINS0_14default_configENS1_33run_length_encode_config_selectorIfjNS0_4plusIjEEEEZZNS1_33reduce_by_key_impl_wrapped_configILNS1_25lookback_scan_determinismE0ES3_S7_PKfNS0_17constant_iteratorIjlEEPfPlSF_S6_NS0_8equal_toIfEEEE10hipError_tPvRmT2_T3_mT4_T5_T6_T7_T8_P12ihipStream_tbENKUlT_T0_E_clISt17integral_constantIbLb0EESZ_EEDaSU_SV_EUlSU_E_NS1_11comp_targetILNS1_3genE8ELNS1_11target_archE1030ELNS1_3gpuE2ELNS1_3repE0EEENS1_30default_config_static_selectorELNS0_4arch9wavefront6targetE0EEEvT1_.kd
    .uniform_work_group_size: 1
    .uses_dynamic_stack: false
    .vgpr_count:     0
    .vgpr_spill_count: 0
    .wavefront_size: 32
  - .args:
      - .offset:         0
        .size:           128
        .value_kind:     by_value
    .group_segment_fixed_size: 0
    .kernarg_segment_align: 8
    .kernarg_segment_size: 128
    .language:       OpenCL C
    .language_version:
      - 2
      - 0
    .max_flat_workgroup_size: 256
    .name:           _ZN7rocprim17ROCPRIM_400000_NS6detail17trampoline_kernelINS0_14default_configENS1_33run_length_encode_config_selectorIfjNS0_4plusIjEEEEZZNS1_33reduce_by_key_impl_wrapped_configILNS1_25lookback_scan_determinismE0ES3_S7_PKfNS0_17constant_iteratorIjlEEPfPlSF_S6_NS0_8equal_toIfEEEE10hipError_tPvRmT2_T3_mT4_T5_T6_T7_T8_P12ihipStream_tbENKUlT_T0_E_clISt17integral_constantIbLb1EESZ_EEDaSU_SV_EUlSU_E_NS1_11comp_targetILNS1_3genE0ELNS1_11target_archE4294967295ELNS1_3gpuE0ELNS1_3repE0EEENS1_30default_config_static_selectorELNS0_4arch9wavefront6targetE0EEEvT1_
    .private_segment_fixed_size: 0
    .sgpr_count:     0
    .sgpr_spill_count: 0
    .symbol:         _ZN7rocprim17ROCPRIM_400000_NS6detail17trampoline_kernelINS0_14default_configENS1_33run_length_encode_config_selectorIfjNS0_4plusIjEEEEZZNS1_33reduce_by_key_impl_wrapped_configILNS1_25lookback_scan_determinismE0ES3_S7_PKfNS0_17constant_iteratorIjlEEPfPlSF_S6_NS0_8equal_toIfEEEE10hipError_tPvRmT2_T3_mT4_T5_T6_T7_T8_P12ihipStream_tbENKUlT_T0_E_clISt17integral_constantIbLb1EESZ_EEDaSU_SV_EUlSU_E_NS1_11comp_targetILNS1_3genE0ELNS1_11target_archE4294967295ELNS1_3gpuE0ELNS1_3repE0EEENS1_30default_config_static_selectorELNS0_4arch9wavefront6targetE0EEEvT1_.kd
    .uniform_work_group_size: 1
    .uses_dynamic_stack: false
    .vgpr_count:     0
    .vgpr_spill_count: 0
    .wavefront_size: 32
  - .args:
      - .offset:         0
        .size:           128
        .value_kind:     by_value
    .group_segment_fixed_size: 0
    .kernarg_segment_align: 8
    .kernarg_segment_size: 128
    .language:       OpenCL C
    .language_version:
      - 2
      - 0
    .max_flat_workgroup_size: 512
    .name:           _ZN7rocprim17ROCPRIM_400000_NS6detail17trampoline_kernelINS0_14default_configENS1_33run_length_encode_config_selectorIfjNS0_4plusIjEEEEZZNS1_33reduce_by_key_impl_wrapped_configILNS1_25lookback_scan_determinismE0ES3_S7_PKfNS0_17constant_iteratorIjlEEPfPlSF_S6_NS0_8equal_toIfEEEE10hipError_tPvRmT2_T3_mT4_T5_T6_T7_T8_P12ihipStream_tbENKUlT_T0_E_clISt17integral_constantIbLb1EESZ_EEDaSU_SV_EUlSU_E_NS1_11comp_targetILNS1_3genE5ELNS1_11target_archE942ELNS1_3gpuE9ELNS1_3repE0EEENS1_30default_config_static_selectorELNS0_4arch9wavefront6targetE0EEEvT1_
    .private_segment_fixed_size: 0
    .sgpr_count:     0
    .sgpr_spill_count: 0
    .symbol:         _ZN7rocprim17ROCPRIM_400000_NS6detail17trampoline_kernelINS0_14default_configENS1_33run_length_encode_config_selectorIfjNS0_4plusIjEEEEZZNS1_33reduce_by_key_impl_wrapped_configILNS1_25lookback_scan_determinismE0ES3_S7_PKfNS0_17constant_iteratorIjlEEPfPlSF_S6_NS0_8equal_toIfEEEE10hipError_tPvRmT2_T3_mT4_T5_T6_T7_T8_P12ihipStream_tbENKUlT_T0_E_clISt17integral_constantIbLb1EESZ_EEDaSU_SV_EUlSU_E_NS1_11comp_targetILNS1_3genE5ELNS1_11target_archE942ELNS1_3gpuE9ELNS1_3repE0EEENS1_30default_config_static_selectorELNS0_4arch9wavefront6targetE0EEEvT1_.kd
    .uniform_work_group_size: 1
    .uses_dynamic_stack: false
    .vgpr_count:     0
    .vgpr_spill_count: 0
    .wavefront_size: 32
  - .args:
      - .offset:         0
        .size:           128
        .value_kind:     by_value
    .group_segment_fixed_size: 0
    .kernarg_segment_align: 8
    .kernarg_segment_size: 128
    .language:       OpenCL C
    .language_version:
      - 2
      - 0
    .max_flat_workgroup_size: 256
    .name:           _ZN7rocprim17ROCPRIM_400000_NS6detail17trampoline_kernelINS0_14default_configENS1_33run_length_encode_config_selectorIfjNS0_4plusIjEEEEZZNS1_33reduce_by_key_impl_wrapped_configILNS1_25lookback_scan_determinismE0ES3_S7_PKfNS0_17constant_iteratorIjlEEPfPlSF_S6_NS0_8equal_toIfEEEE10hipError_tPvRmT2_T3_mT4_T5_T6_T7_T8_P12ihipStream_tbENKUlT_T0_E_clISt17integral_constantIbLb1EESZ_EEDaSU_SV_EUlSU_E_NS1_11comp_targetILNS1_3genE4ELNS1_11target_archE910ELNS1_3gpuE8ELNS1_3repE0EEENS1_30default_config_static_selectorELNS0_4arch9wavefront6targetE0EEEvT1_
    .private_segment_fixed_size: 0
    .sgpr_count:     0
    .sgpr_spill_count: 0
    .symbol:         _ZN7rocprim17ROCPRIM_400000_NS6detail17trampoline_kernelINS0_14default_configENS1_33run_length_encode_config_selectorIfjNS0_4plusIjEEEEZZNS1_33reduce_by_key_impl_wrapped_configILNS1_25lookback_scan_determinismE0ES3_S7_PKfNS0_17constant_iteratorIjlEEPfPlSF_S6_NS0_8equal_toIfEEEE10hipError_tPvRmT2_T3_mT4_T5_T6_T7_T8_P12ihipStream_tbENKUlT_T0_E_clISt17integral_constantIbLb1EESZ_EEDaSU_SV_EUlSU_E_NS1_11comp_targetILNS1_3genE4ELNS1_11target_archE910ELNS1_3gpuE8ELNS1_3repE0EEENS1_30default_config_static_selectorELNS0_4arch9wavefront6targetE0EEEvT1_.kd
    .uniform_work_group_size: 1
    .uses_dynamic_stack: false
    .vgpr_count:     0
    .vgpr_spill_count: 0
    .wavefront_size: 32
  - .args:
      - .offset:         0
        .size:           128
        .value_kind:     by_value
    .group_segment_fixed_size: 0
    .kernarg_segment_align: 8
    .kernarg_segment_size: 128
    .language:       OpenCL C
    .language_version:
      - 2
      - 0
    .max_flat_workgroup_size: 256
    .name:           _ZN7rocprim17ROCPRIM_400000_NS6detail17trampoline_kernelINS0_14default_configENS1_33run_length_encode_config_selectorIfjNS0_4plusIjEEEEZZNS1_33reduce_by_key_impl_wrapped_configILNS1_25lookback_scan_determinismE0ES3_S7_PKfNS0_17constant_iteratorIjlEEPfPlSF_S6_NS0_8equal_toIfEEEE10hipError_tPvRmT2_T3_mT4_T5_T6_T7_T8_P12ihipStream_tbENKUlT_T0_E_clISt17integral_constantIbLb1EESZ_EEDaSU_SV_EUlSU_E_NS1_11comp_targetILNS1_3genE3ELNS1_11target_archE908ELNS1_3gpuE7ELNS1_3repE0EEENS1_30default_config_static_selectorELNS0_4arch9wavefront6targetE0EEEvT1_
    .private_segment_fixed_size: 0
    .sgpr_count:     0
    .sgpr_spill_count: 0
    .symbol:         _ZN7rocprim17ROCPRIM_400000_NS6detail17trampoline_kernelINS0_14default_configENS1_33run_length_encode_config_selectorIfjNS0_4plusIjEEEEZZNS1_33reduce_by_key_impl_wrapped_configILNS1_25lookback_scan_determinismE0ES3_S7_PKfNS0_17constant_iteratorIjlEEPfPlSF_S6_NS0_8equal_toIfEEEE10hipError_tPvRmT2_T3_mT4_T5_T6_T7_T8_P12ihipStream_tbENKUlT_T0_E_clISt17integral_constantIbLb1EESZ_EEDaSU_SV_EUlSU_E_NS1_11comp_targetILNS1_3genE3ELNS1_11target_archE908ELNS1_3gpuE7ELNS1_3repE0EEENS1_30default_config_static_selectorELNS0_4arch9wavefront6targetE0EEEvT1_.kd
    .uniform_work_group_size: 1
    .uses_dynamic_stack: false
    .vgpr_count:     0
    .vgpr_spill_count: 0
    .wavefront_size: 32
  - .args:
      - .offset:         0
        .size:           128
        .value_kind:     by_value
    .group_segment_fixed_size: 0
    .kernarg_segment_align: 8
    .kernarg_segment_size: 128
    .language:       OpenCL C
    .language_version:
      - 2
      - 0
    .max_flat_workgroup_size: 256
    .name:           _ZN7rocprim17ROCPRIM_400000_NS6detail17trampoline_kernelINS0_14default_configENS1_33run_length_encode_config_selectorIfjNS0_4plusIjEEEEZZNS1_33reduce_by_key_impl_wrapped_configILNS1_25lookback_scan_determinismE0ES3_S7_PKfNS0_17constant_iteratorIjlEEPfPlSF_S6_NS0_8equal_toIfEEEE10hipError_tPvRmT2_T3_mT4_T5_T6_T7_T8_P12ihipStream_tbENKUlT_T0_E_clISt17integral_constantIbLb1EESZ_EEDaSU_SV_EUlSU_E_NS1_11comp_targetILNS1_3genE2ELNS1_11target_archE906ELNS1_3gpuE6ELNS1_3repE0EEENS1_30default_config_static_selectorELNS0_4arch9wavefront6targetE0EEEvT1_
    .private_segment_fixed_size: 0
    .sgpr_count:     0
    .sgpr_spill_count: 0
    .symbol:         _ZN7rocprim17ROCPRIM_400000_NS6detail17trampoline_kernelINS0_14default_configENS1_33run_length_encode_config_selectorIfjNS0_4plusIjEEEEZZNS1_33reduce_by_key_impl_wrapped_configILNS1_25lookback_scan_determinismE0ES3_S7_PKfNS0_17constant_iteratorIjlEEPfPlSF_S6_NS0_8equal_toIfEEEE10hipError_tPvRmT2_T3_mT4_T5_T6_T7_T8_P12ihipStream_tbENKUlT_T0_E_clISt17integral_constantIbLb1EESZ_EEDaSU_SV_EUlSU_E_NS1_11comp_targetILNS1_3genE2ELNS1_11target_archE906ELNS1_3gpuE6ELNS1_3repE0EEENS1_30default_config_static_selectorELNS0_4arch9wavefront6targetE0EEEvT1_.kd
    .uniform_work_group_size: 1
    .uses_dynamic_stack: false
    .vgpr_count:     0
    .vgpr_spill_count: 0
    .wavefront_size: 32
  - .args:
      - .offset:         0
        .size:           128
        .value_kind:     by_value
    .group_segment_fixed_size: 0
    .kernarg_segment_align: 8
    .kernarg_segment_size: 128
    .language:       OpenCL C
    .language_version:
      - 2
      - 0
    .max_flat_workgroup_size: 384
    .name:           _ZN7rocprim17ROCPRIM_400000_NS6detail17trampoline_kernelINS0_14default_configENS1_33run_length_encode_config_selectorIfjNS0_4plusIjEEEEZZNS1_33reduce_by_key_impl_wrapped_configILNS1_25lookback_scan_determinismE0ES3_S7_PKfNS0_17constant_iteratorIjlEEPfPlSF_S6_NS0_8equal_toIfEEEE10hipError_tPvRmT2_T3_mT4_T5_T6_T7_T8_P12ihipStream_tbENKUlT_T0_E_clISt17integral_constantIbLb1EESZ_EEDaSU_SV_EUlSU_E_NS1_11comp_targetILNS1_3genE10ELNS1_11target_archE1201ELNS1_3gpuE5ELNS1_3repE0EEENS1_30default_config_static_selectorELNS0_4arch9wavefront6targetE0EEEvT1_
    .private_segment_fixed_size: 0
    .sgpr_count:     0
    .sgpr_spill_count: 0
    .symbol:         _ZN7rocprim17ROCPRIM_400000_NS6detail17trampoline_kernelINS0_14default_configENS1_33run_length_encode_config_selectorIfjNS0_4plusIjEEEEZZNS1_33reduce_by_key_impl_wrapped_configILNS1_25lookback_scan_determinismE0ES3_S7_PKfNS0_17constant_iteratorIjlEEPfPlSF_S6_NS0_8equal_toIfEEEE10hipError_tPvRmT2_T3_mT4_T5_T6_T7_T8_P12ihipStream_tbENKUlT_T0_E_clISt17integral_constantIbLb1EESZ_EEDaSU_SV_EUlSU_E_NS1_11comp_targetILNS1_3genE10ELNS1_11target_archE1201ELNS1_3gpuE5ELNS1_3repE0EEENS1_30default_config_static_selectorELNS0_4arch9wavefront6targetE0EEEvT1_.kd
    .uniform_work_group_size: 1
    .uses_dynamic_stack: false
    .vgpr_count:     0
    .vgpr_spill_count: 0
    .wavefront_size: 32
  - .args:
      - .offset:         0
        .size:           128
        .value_kind:     by_value
    .group_segment_fixed_size: 0
    .kernarg_segment_align: 8
    .kernarg_segment_size: 128
    .language:       OpenCL C
    .language_version:
      - 2
      - 0
    .max_flat_workgroup_size: 256
    .name:           _ZN7rocprim17ROCPRIM_400000_NS6detail17trampoline_kernelINS0_14default_configENS1_33run_length_encode_config_selectorIfjNS0_4plusIjEEEEZZNS1_33reduce_by_key_impl_wrapped_configILNS1_25lookback_scan_determinismE0ES3_S7_PKfNS0_17constant_iteratorIjlEEPfPlSF_S6_NS0_8equal_toIfEEEE10hipError_tPvRmT2_T3_mT4_T5_T6_T7_T8_P12ihipStream_tbENKUlT_T0_E_clISt17integral_constantIbLb1EESZ_EEDaSU_SV_EUlSU_E_NS1_11comp_targetILNS1_3genE10ELNS1_11target_archE1200ELNS1_3gpuE4ELNS1_3repE0EEENS1_30default_config_static_selectorELNS0_4arch9wavefront6targetE0EEEvT1_
    .private_segment_fixed_size: 0
    .sgpr_count:     0
    .sgpr_spill_count: 0
    .symbol:         _ZN7rocprim17ROCPRIM_400000_NS6detail17trampoline_kernelINS0_14default_configENS1_33run_length_encode_config_selectorIfjNS0_4plusIjEEEEZZNS1_33reduce_by_key_impl_wrapped_configILNS1_25lookback_scan_determinismE0ES3_S7_PKfNS0_17constant_iteratorIjlEEPfPlSF_S6_NS0_8equal_toIfEEEE10hipError_tPvRmT2_T3_mT4_T5_T6_T7_T8_P12ihipStream_tbENKUlT_T0_E_clISt17integral_constantIbLb1EESZ_EEDaSU_SV_EUlSU_E_NS1_11comp_targetILNS1_3genE10ELNS1_11target_archE1200ELNS1_3gpuE4ELNS1_3repE0EEENS1_30default_config_static_selectorELNS0_4arch9wavefront6targetE0EEEvT1_.kd
    .uniform_work_group_size: 1
    .uses_dynamic_stack: false
    .vgpr_count:     0
    .vgpr_spill_count: 0
    .wavefront_size: 32
  - .args:
      - .offset:         0
        .size:           128
        .value_kind:     by_value
    .group_segment_fixed_size: 0
    .kernarg_segment_align: 8
    .kernarg_segment_size: 128
    .language:       OpenCL C
    .language_version:
      - 2
      - 0
    .max_flat_workgroup_size: 512
    .name:           _ZN7rocprim17ROCPRIM_400000_NS6detail17trampoline_kernelINS0_14default_configENS1_33run_length_encode_config_selectorIfjNS0_4plusIjEEEEZZNS1_33reduce_by_key_impl_wrapped_configILNS1_25lookback_scan_determinismE0ES3_S7_PKfNS0_17constant_iteratorIjlEEPfPlSF_S6_NS0_8equal_toIfEEEE10hipError_tPvRmT2_T3_mT4_T5_T6_T7_T8_P12ihipStream_tbENKUlT_T0_E_clISt17integral_constantIbLb1EESZ_EEDaSU_SV_EUlSU_E_NS1_11comp_targetILNS1_3genE9ELNS1_11target_archE1100ELNS1_3gpuE3ELNS1_3repE0EEENS1_30default_config_static_selectorELNS0_4arch9wavefront6targetE0EEEvT1_
    .private_segment_fixed_size: 0
    .sgpr_count:     0
    .sgpr_spill_count: 0
    .symbol:         _ZN7rocprim17ROCPRIM_400000_NS6detail17trampoline_kernelINS0_14default_configENS1_33run_length_encode_config_selectorIfjNS0_4plusIjEEEEZZNS1_33reduce_by_key_impl_wrapped_configILNS1_25lookback_scan_determinismE0ES3_S7_PKfNS0_17constant_iteratorIjlEEPfPlSF_S6_NS0_8equal_toIfEEEE10hipError_tPvRmT2_T3_mT4_T5_T6_T7_T8_P12ihipStream_tbENKUlT_T0_E_clISt17integral_constantIbLb1EESZ_EEDaSU_SV_EUlSU_E_NS1_11comp_targetILNS1_3genE9ELNS1_11target_archE1100ELNS1_3gpuE3ELNS1_3repE0EEENS1_30default_config_static_selectorELNS0_4arch9wavefront6targetE0EEEvT1_.kd
    .uniform_work_group_size: 1
    .uses_dynamic_stack: false
    .vgpr_count:     0
    .vgpr_spill_count: 0
    .wavefront_size: 32
  - .args:
      - .offset:         0
        .size:           128
        .value_kind:     by_value
    .group_segment_fixed_size: 0
    .kernarg_segment_align: 8
    .kernarg_segment_size: 128
    .language:       OpenCL C
    .language_version:
      - 2
      - 0
    .max_flat_workgroup_size: 192
    .name:           _ZN7rocprim17ROCPRIM_400000_NS6detail17trampoline_kernelINS0_14default_configENS1_33run_length_encode_config_selectorIfjNS0_4plusIjEEEEZZNS1_33reduce_by_key_impl_wrapped_configILNS1_25lookback_scan_determinismE0ES3_S7_PKfNS0_17constant_iteratorIjlEEPfPlSF_S6_NS0_8equal_toIfEEEE10hipError_tPvRmT2_T3_mT4_T5_T6_T7_T8_P12ihipStream_tbENKUlT_T0_E_clISt17integral_constantIbLb1EESZ_EEDaSU_SV_EUlSU_E_NS1_11comp_targetILNS1_3genE8ELNS1_11target_archE1030ELNS1_3gpuE2ELNS1_3repE0EEENS1_30default_config_static_selectorELNS0_4arch9wavefront6targetE0EEEvT1_
    .private_segment_fixed_size: 0
    .sgpr_count:     0
    .sgpr_spill_count: 0
    .symbol:         _ZN7rocprim17ROCPRIM_400000_NS6detail17trampoline_kernelINS0_14default_configENS1_33run_length_encode_config_selectorIfjNS0_4plusIjEEEEZZNS1_33reduce_by_key_impl_wrapped_configILNS1_25lookback_scan_determinismE0ES3_S7_PKfNS0_17constant_iteratorIjlEEPfPlSF_S6_NS0_8equal_toIfEEEE10hipError_tPvRmT2_T3_mT4_T5_T6_T7_T8_P12ihipStream_tbENKUlT_T0_E_clISt17integral_constantIbLb1EESZ_EEDaSU_SV_EUlSU_E_NS1_11comp_targetILNS1_3genE8ELNS1_11target_archE1030ELNS1_3gpuE2ELNS1_3repE0EEENS1_30default_config_static_selectorELNS0_4arch9wavefront6targetE0EEEvT1_.kd
    .uniform_work_group_size: 1
    .uses_dynamic_stack: false
    .vgpr_count:     0
    .vgpr_spill_count: 0
    .wavefront_size: 32
  - .args:
      - .offset:         0
        .size:           128
        .value_kind:     by_value
    .group_segment_fixed_size: 0
    .kernarg_segment_align: 8
    .kernarg_segment_size: 128
    .language:       OpenCL C
    .language_version:
      - 2
      - 0
    .max_flat_workgroup_size: 256
    .name:           _ZN7rocprim17ROCPRIM_400000_NS6detail17trampoline_kernelINS0_14default_configENS1_33run_length_encode_config_selectorIfjNS0_4plusIjEEEEZZNS1_33reduce_by_key_impl_wrapped_configILNS1_25lookback_scan_determinismE0ES3_S7_PKfNS0_17constant_iteratorIjlEEPfPlSF_S6_NS0_8equal_toIfEEEE10hipError_tPvRmT2_T3_mT4_T5_T6_T7_T8_P12ihipStream_tbENKUlT_T0_E_clISt17integral_constantIbLb1EESY_IbLb0EEEEDaSU_SV_EUlSU_E_NS1_11comp_targetILNS1_3genE0ELNS1_11target_archE4294967295ELNS1_3gpuE0ELNS1_3repE0EEENS1_30default_config_static_selectorELNS0_4arch9wavefront6targetE0EEEvT1_
    .private_segment_fixed_size: 0
    .sgpr_count:     0
    .sgpr_spill_count: 0
    .symbol:         _ZN7rocprim17ROCPRIM_400000_NS6detail17trampoline_kernelINS0_14default_configENS1_33run_length_encode_config_selectorIfjNS0_4plusIjEEEEZZNS1_33reduce_by_key_impl_wrapped_configILNS1_25lookback_scan_determinismE0ES3_S7_PKfNS0_17constant_iteratorIjlEEPfPlSF_S6_NS0_8equal_toIfEEEE10hipError_tPvRmT2_T3_mT4_T5_T6_T7_T8_P12ihipStream_tbENKUlT_T0_E_clISt17integral_constantIbLb1EESY_IbLb0EEEEDaSU_SV_EUlSU_E_NS1_11comp_targetILNS1_3genE0ELNS1_11target_archE4294967295ELNS1_3gpuE0ELNS1_3repE0EEENS1_30default_config_static_selectorELNS0_4arch9wavefront6targetE0EEEvT1_.kd
    .uniform_work_group_size: 1
    .uses_dynamic_stack: false
    .vgpr_count:     0
    .vgpr_spill_count: 0
    .wavefront_size: 32
  - .args:
      - .offset:         0
        .size:           128
        .value_kind:     by_value
    .group_segment_fixed_size: 0
    .kernarg_segment_align: 8
    .kernarg_segment_size: 128
    .language:       OpenCL C
    .language_version:
      - 2
      - 0
    .max_flat_workgroup_size: 512
    .name:           _ZN7rocprim17ROCPRIM_400000_NS6detail17trampoline_kernelINS0_14default_configENS1_33run_length_encode_config_selectorIfjNS0_4plusIjEEEEZZNS1_33reduce_by_key_impl_wrapped_configILNS1_25lookback_scan_determinismE0ES3_S7_PKfNS0_17constant_iteratorIjlEEPfPlSF_S6_NS0_8equal_toIfEEEE10hipError_tPvRmT2_T3_mT4_T5_T6_T7_T8_P12ihipStream_tbENKUlT_T0_E_clISt17integral_constantIbLb1EESY_IbLb0EEEEDaSU_SV_EUlSU_E_NS1_11comp_targetILNS1_3genE5ELNS1_11target_archE942ELNS1_3gpuE9ELNS1_3repE0EEENS1_30default_config_static_selectorELNS0_4arch9wavefront6targetE0EEEvT1_
    .private_segment_fixed_size: 0
    .sgpr_count:     0
    .sgpr_spill_count: 0
    .symbol:         _ZN7rocprim17ROCPRIM_400000_NS6detail17trampoline_kernelINS0_14default_configENS1_33run_length_encode_config_selectorIfjNS0_4plusIjEEEEZZNS1_33reduce_by_key_impl_wrapped_configILNS1_25lookback_scan_determinismE0ES3_S7_PKfNS0_17constant_iteratorIjlEEPfPlSF_S6_NS0_8equal_toIfEEEE10hipError_tPvRmT2_T3_mT4_T5_T6_T7_T8_P12ihipStream_tbENKUlT_T0_E_clISt17integral_constantIbLb1EESY_IbLb0EEEEDaSU_SV_EUlSU_E_NS1_11comp_targetILNS1_3genE5ELNS1_11target_archE942ELNS1_3gpuE9ELNS1_3repE0EEENS1_30default_config_static_selectorELNS0_4arch9wavefront6targetE0EEEvT1_.kd
    .uniform_work_group_size: 1
    .uses_dynamic_stack: false
    .vgpr_count:     0
    .vgpr_spill_count: 0
    .wavefront_size: 32
  - .args:
      - .offset:         0
        .size:           128
        .value_kind:     by_value
    .group_segment_fixed_size: 0
    .kernarg_segment_align: 8
    .kernarg_segment_size: 128
    .language:       OpenCL C
    .language_version:
      - 2
      - 0
    .max_flat_workgroup_size: 256
    .name:           _ZN7rocprim17ROCPRIM_400000_NS6detail17trampoline_kernelINS0_14default_configENS1_33run_length_encode_config_selectorIfjNS0_4plusIjEEEEZZNS1_33reduce_by_key_impl_wrapped_configILNS1_25lookback_scan_determinismE0ES3_S7_PKfNS0_17constant_iteratorIjlEEPfPlSF_S6_NS0_8equal_toIfEEEE10hipError_tPvRmT2_T3_mT4_T5_T6_T7_T8_P12ihipStream_tbENKUlT_T0_E_clISt17integral_constantIbLb1EESY_IbLb0EEEEDaSU_SV_EUlSU_E_NS1_11comp_targetILNS1_3genE4ELNS1_11target_archE910ELNS1_3gpuE8ELNS1_3repE0EEENS1_30default_config_static_selectorELNS0_4arch9wavefront6targetE0EEEvT1_
    .private_segment_fixed_size: 0
    .sgpr_count:     0
    .sgpr_spill_count: 0
    .symbol:         _ZN7rocprim17ROCPRIM_400000_NS6detail17trampoline_kernelINS0_14default_configENS1_33run_length_encode_config_selectorIfjNS0_4plusIjEEEEZZNS1_33reduce_by_key_impl_wrapped_configILNS1_25lookback_scan_determinismE0ES3_S7_PKfNS0_17constant_iteratorIjlEEPfPlSF_S6_NS0_8equal_toIfEEEE10hipError_tPvRmT2_T3_mT4_T5_T6_T7_T8_P12ihipStream_tbENKUlT_T0_E_clISt17integral_constantIbLb1EESY_IbLb0EEEEDaSU_SV_EUlSU_E_NS1_11comp_targetILNS1_3genE4ELNS1_11target_archE910ELNS1_3gpuE8ELNS1_3repE0EEENS1_30default_config_static_selectorELNS0_4arch9wavefront6targetE0EEEvT1_.kd
    .uniform_work_group_size: 1
    .uses_dynamic_stack: false
    .vgpr_count:     0
    .vgpr_spill_count: 0
    .wavefront_size: 32
  - .args:
      - .offset:         0
        .size:           128
        .value_kind:     by_value
    .group_segment_fixed_size: 0
    .kernarg_segment_align: 8
    .kernarg_segment_size: 128
    .language:       OpenCL C
    .language_version:
      - 2
      - 0
    .max_flat_workgroup_size: 256
    .name:           _ZN7rocprim17ROCPRIM_400000_NS6detail17trampoline_kernelINS0_14default_configENS1_33run_length_encode_config_selectorIfjNS0_4plusIjEEEEZZNS1_33reduce_by_key_impl_wrapped_configILNS1_25lookback_scan_determinismE0ES3_S7_PKfNS0_17constant_iteratorIjlEEPfPlSF_S6_NS0_8equal_toIfEEEE10hipError_tPvRmT2_T3_mT4_T5_T6_T7_T8_P12ihipStream_tbENKUlT_T0_E_clISt17integral_constantIbLb1EESY_IbLb0EEEEDaSU_SV_EUlSU_E_NS1_11comp_targetILNS1_3genE3ELNS1_11target_archE908ELNS1_3gpuE7ELNS1_3repE0EEENS1_30default_config_static_selectorELNS0_4arch9wavefront6targetE0EEEvT1_
    .private_segment_fixed_size: 0
    .sgpr_count:     0
    .sgpr_spill_count: 0
    .symbol:         _ZN7rocprim17ROCPRIM_400000_NS6detail17trampoline_kernelINS0_14default_configENS1_33run_length_encode_config_selectorIfjNS0_4plusIjEEEEZZNS1_33reduce_by_key_impl_wrapped_configILNS1_25lookback_scan_determinismE0ES3_S7_PKfNS0_17constant_iteratorIjlEEPfPlSF_S6_NS0_8equal_toIfEEEE10hipError_tPvRmT2_T3_mT4_T5_T6_T7_T8_P12ihipStream_tbENKUlT_T0_E_clISt17integral_constantIbLb1EESY_IbLb0EEEEDaSU_SV_EUlSU_E_NS1_11comp_targetILNS1_3genE3ELNS1_11target_archE908ELNS1_3gpuE7ELNS1_3repE0EEENS1_30default_config_static_selectorELNS0_4arch9wavefront6targetE0EEEvT1_.kd
    .uniform_work_group_size: 1
    .uses_dynamic_stack: false
    .vgpr_count:     0
    .vgpr_spill_count: 0
    .wavefront_size: 32
  - .args:
      - .offset:         0
        .size:           128
        .value_kind:     by_value
    .group_segment_fixed_size: 0
    .kernarg_segment_align: 8
    .kernarg_segment_size: 128
    .language:       OpenCL C
    .language_version:
      - 2
      - 0
    .max_flat_workgroup_size: 256
    .name:           _ZN7rocprim17ROCPRIM_400000_NS6detail17trampoline_kernelINS0_14default_configENS1_33run_length_encode_config_selectorIfjNS0_4plusIjEEEEZZNS1_33reduce_by_key_impl_wrapped_configILNS1_25lookback_scan_determinismE0ES3_S7_PKfNS0_17constant_iteratorIjlEEPfPlSF_S6_NS0_8equal_toIfEEEE10hipError_tPvRmT2_T3_mT4_T5_T6_T7_T8_P12ihipStream_tbENKUlT_T0_E_clISt17integral_constantIbLb1EESY_IbLb0EEEEDaSU_SV_EUlSU_E_NS1_11comp_targetILNS1_3genE2ELNS1_11target_archE906ELNS1_3gpuE6ELNS1_3repE0EEENS1_30default_config_static_selectorELNS0_4arch9wavefront6targetE0EEEvT1_
    .private_segment_fixed_size: 0
    .sgpr_count:     0
    .sgpr_spill_count: 0
    .symbol:         _ZN7rocprim17ROCPRIM_400000_NS6detail17trampoline_kernelINS0_14default_configENS1_33run_length_encode_config_selectorIfjNS0_4plusIjEEEEZZNS1_33reduce_by_key_impl_wrapped_configILNS1_25lookback_scan_determinismE0ES3_S7_PKfNS0_17constant_iteratorIjlEEPfPlSF_S6_NS0_8equal_toIfEEEE10hipError_tPvRmT2_T3_mT4_T5_T6_T7_T8_P12ihipStream_tbENKUlT_T0_E_clISt17integral_constantIbLb1EESY_IbLb0EEEEDaSU_SV_EUlSU_E_NS1_11comp_targetILNS1_3genE2ELNS1_11target_archE906ELNS1_3gpuE6ELNS1_3repE0EEENS1_30default_config_static_selectorELNS0_4arch9wavefront6targetE0EEEvT1_.kd
    .uniform_work_group_size: 1
    .uses_dynamic_stack: false
    .vgpr_count:     0
    .vgpr_spill_count: 0
    .wavefront_size: 32
  - .args:
      - .offset:         0
        .size:           128
        .value_kind:     by_value
    .group_segment_fixed_size: 0
    .kernarg_segment_align: 8
    .kernarg_segment_size: 128
    .language:       OpenCL C
    .language_version:
      - 2
      - 0
    .max_flat_workgroup_size: 384
    .name:           _ZN7rocprim17ROCPRIM_400000_NS6detail17trampoline_kernelINS0_14default_configENS1_33run_length_encode_config_selectorIfjNS0_4plusIjEEEEZZNS1_33reduce_by_key_impl_wrapped_configILNS1_25lookback_scan_determinismE0ES3_S7_PKfNS0_17constant_iteratorIjlEEPfPlSF_S6_NS0_8equal_toIfEEEE10hipError_tPvRmT2_T3_mT4_T5_T6_T7_T8_P12ihipStream_tbENKUlT_T0_E_clISt17integral_constantIbLb1EESY_IbLb0EEEEDaSU_SV_EUlSU_E_NS1_11comp_targetILNS1_3genE10ELNS1_11target_archE1201ELNS1_3gpuE5ELNS1_3repE0EEENS1_30default_config_static_selectorELNS0_4arch9wavefront6targetE0EEEvT1_
    .private_segment_fixed_size: 0
    .sgpr_count:     0
    .sgpr_spill_count: 0
    .symbol:         _ZN7rocprim17ROCPRIM_400000_NS6detail17trampoline_kernelINS0_14default_configENS1_33run_length_encode_config_selectorIfjNS0_4plusIjEEEEZZNS1_33reduce_by_key_impl_wrapped_configILNS1_25lookback_scan_determinismE0ES3_S7_PKfNS0_17constant_iteratorIjlEEPfPlSF_S6_NS0_8equal_toIfEEEE10hipError_tPvRmT2_T3_mT4_T5_T6_T7_T8_P12ihipStream_tbENKUlT_T0_E_clISt17integral_constantIbLb1EESY_IbLb0EEEEDaSU_SV_EUlSU_E_NS1_11comp_targetILNS1_3genE10ELNS1_11target_archE1201ELNS1_3gpuE5ELNS1_3repE0EEENS1_30default_config_static_selectorELNS0_4arch9wavefront6targetE0EEEvT1_.kd
    .uniform_work_group_size: 1
    .uses_dynamic_stack: false
    .vgpr_count:     0
    .vgpr_spill_count: 0
    .wavefront_size: 32
  - .args:
      - .offset:         0
        .size:           128
        .value_kind:     by_value
    .group_segment_fixed_size: 0
    .kernarg_segment_align: 8
    .kernarg_segment_size: 128
    .language:       OpenCL C
    .language_version:
      - 2
      - 0
    .max_flat_workgroup_size: 256
    .name:           _ZN7rocprim17ROCPRIM_400000_NS6detail17trampoline_kernelINS0_14default_configENS1_33run_length_encode_config_selectorIfjNS0_4plusIjEEEEZZNS1_33reduce_by_key_impl_wrapped_configILNS1_25lookback_scan_determinismE0ES3_S7_PKfNS0_17constant_iteratorIjlEEPfPlSF_S6_NS0_8equal_toIfEEEE10hipError_tPvRmT2_T3_mT4_T5_T6_T7_T8_P12ihipStream_tbENKUlT_T0_E_clISt17integral_constantIbLb1EESY_IbLb0EEEEDaSU_SV_EUlSU_E_NS1_11comp_targetILNS1_3genE10ELNS1_11target_archE1200ELNS1_3gpuE4ELNS1_3repE0EEENS1_30default_config_static_selectorELNS0_4arch9wavefront6targetE0EEEvT1_
    .private_segment_fixed_size: 0
    .sgpr_count:     0
    .sgpr_spill_count: 0
    .symbol:         _ZN7rocprim17ROCPRIM_400000_NS6detail17trampoline_kernelINS0_14default_configENS1_33run_length_encode_config_selectorIfjNS0_4plusIjEEEEZZNS1_33reduce_by_key_impl_wrapped_configILNS1_25lookback_scan_determinismE0ES3_S7_PKfNS0_17constant_iteratorIjlEEPfPlSF_S6_NS0_8equal_toIfEEEE10hipError_tPvRmT2_T3_mT4_T5_T6_T7_T8_P12ihipStream_tbENKUlT_T0_E_clISt17integral_constantIbLb1EESY_IbLb0EEEEDaSU_SV_EUlSU_E_NS1_11comp_targetILNS1_3genE10ELNS1_11target_archE1200ELNS1_3gpuE4ELNS1_3repE0EEENS1_30default_config_static_selectorELNS0_4arch9wavefront6targetE0EEEvT1_.kd
    .uniform_work_group_size: 1
    .uses_dynamic_stack: false
    .vgpr_count:     0
    .vgpr_spill_count: 0
    .wavefront_size: 32
  - .args:
      - .offset:         0
        .size:           128
        .value_kind:     by_value
    .group_segment_fixed_size: 0
    .kernarg_segment_align: 8
    .kernarg_segment_size: 128
    .language:       OpenCL C
    .language_version:
      - 2
      - 0
    .max_flat_workgroup_size: 512
    .name:           _ZN7rocprim17ROCPRIM_400000_NS6detail17trampoline_kernelINS0_14default_configENS1_33run_length_encode_config_selectorIfjNS0_4plusIjEEEEZZNS1_33reduce_by_key_impl_wrapped_configILNS1_25lookback_scan_determinismE0ES3_S7_PKfNS0_17constant_iteratorIjlEEPfPlSF_S6_NS0_8equal_toIfEEEE10hipError_tPvRmT2_T3_mT4_T5_T6_T7_T8_P12ihipStream_tbENKUlT_T0_E_clISt17integral_constantIbLb1EESY_IbLb0EEEEDaSU_SV_EUlSU_E_NS1_11comp_targetILNS1_3genE9ELNS1_11target_archE1100ELNS1_3gpuE3ELNS1_3repE0EEENS1_30default_config_static_selectorELNS0_4arch9wavefront6targetE0EEEvT1_
    .private_segment_fixed_size: 0
    .sgpr_count:     0
    .sgpr_spill_count: 0
    .symbol:         _ZN7rocprim17ROCPRIM_400000_NS6detail17trampoline_kernelINS0_14default_configENS1_33run_length_encode_config_selectorIfjNS0_4plusIjEEEEZZNS1_33reduce_by_key_impl_wrapped_configILNS1_25lookback_scan_determinismE0ES3_S7_PKfNS0_17constant_iteratorIjlEEPfPlSF_S6_NS0_8equal_toIfEEEE10hipError_tPvRmT2_T3_mT4_T5_T6_T7_T8_P12ihipStream_tbENKUlT_T0_E_clISt17integral_constantIbLb1EESY_IbLb0EEEEDaSU_SV_EUlSU_E_NS1_11comp_targetILNS1_3genE9ELNS1_11target_archE1100ELNS1_3gpuE3ELNS1_3repE0EEENS1_30default_config_static_selectorELNS0_4arch9wavefront6targetE0EEEvT1_.kd
    .uniform_work_group_size: 1
    .uses_dynamic_stack: false
    .vgpr_count:     0
    .vgpr_spill_count: 0
    .wavefront_size: 32
  - .args:
      - .offset:         0
        .size:           128
        .value_kind:     by_value
    .group_segment_fixed_size: 0
    .kernarg_segment_align: 8
    .kernarg_segment_size: 128
    .language:       OpenCL C
    .language_version:
      - 2
      - 0
    .max_flat_workgroup_size: 192
    .name:           _ZN7rocprim17ROCPRIM_400000_NS6detail17trampoline_kernelINS0_14default_configENS1_33run_length_encode_config_selectorIfjNS0_4plusIjEEEEZZNS1_33reduce_by_key_impl_wrapped_configILNS1_25lookback_scan_determinismE0ES3_S7_PKfNS0_17constant_iteratorIjlEEPfPlSF_S6_NS0_8equal_toIfEEEE10hipError_tPvRmT2_T3_mT4_T5_T6_T7_T8_P12ihipStream_tbENKUlT_T0_E_clISt17integral_constantIbLb1EESY_IbLb0EEEEDaSU_SV_EUlSU_E_NS1_11comp_targetILNS1_3genE8ELNS1_11target_archE1030ELNS1_3gpuE2ELNS1_3repE0EEENS1_30default_config_static_selectorELNS0_4arch9wavefront6targetE0EEEvT1_
    .private_segment_fixed_size: 0
    .sgpr_count:     0
    .sgpr_spill_count: 0
    .symbol:         _ZN7rocprim17ROCPRIM_400000_NS6detail17trampoline_kernelINS0_14default_configENS1_33run_length_encode_config_selectorIfjNS0_4plusIjEEEEZZNS1_33reduce_by_key_impl_wrapped_configILNS1_25lookback_scan_determinismE0ES3_S7_PKfNS0_17constant_iteratorIjlEEPfPlSF_S6_NS0_8equal_toIfEEEE10hipError_tPvRmT2_T3_mT4_T5_T6_T7_T8_P12ihipStream_tbENKUlT_T0_E_clISt17integral_constantIbLb1EESY_IbLb0EEEEDaSU_SV_EUlSU_E_NS1_11comp_targetILNS1_3genE8ELNS1_11target_archE1030ELNS1_3gpuE2ELNS1_3repE0EEENS1_30default_config_static_selectorELNS0_4arch9wavefront6targetE0EEEvT1_.kd
    .uniform_work_group_size: 1
    .uses_dynamic_stack: false
    .vgpr_count:     0
    .vgpr_spill_count: 0
    .wavefront_size: 32
  - .args:
      - .offset:         0
        .size:           128
        .value_kind:     by_value
    .group_segment_fixed_size: 14336
    .kernarg_segment_align: 8
    .kernarg_segment_size: 128
    .language:       OpenCL C
    .language_version:
      - 2
      - 0
    .max_flat_workgroup_size: 256
    .name:           _ZN7rocprim17ROCPRIM_400000_NS6detail17trampoline_kernelINS0_14default_configENS1_33run_length_encode_config_selectorIfjNS0_4plusIjEEEEZZNS1_33reduce_by_key_impl_wrapped_configILNS1_25lookback_scan_determinismE0ES3_S7_PKfNS0_17constant_iteratorIjlEEPfPlSF_S6_NS0_8equal_toIfEEEE10hipError_tPvRmT2_T3_mT4_T5_T6_T7_T8_P12ihipStream_tbENKUlT_T0_E_clISt17integral_constantIbLb0EESY_IbLb1EEEEDaSU_SV_EUlSU_E_NS1_11comp_targetILNS1_3genE0ELNS1_11target_archE4294967295ELNS1_3gpuE0ELNS1_3repE0EEENS1_30default_config_static_selectorELNS0_4arch9wavefront6targetE0EEEvT1_
    .private_segment_fixed_size: 0
    .sgpr_count:     45
    .sgpr_spill_count: 0
    .symbol:         _ZN7rocprim17ROCPRIM_400000_NS6detail17trampoline_kernelINS0_14default_configENS1_33run_length_encode_config_selectorIfjNS0_4plusIjEEEEZZNS1_33reduce_by_key_impl_wrapped_configILNS1_25lookback_scan_determinismE0ES3_S7_PKfNS0_17constant_iteratorIjlEEPfPlSF_S6_NS0_8equal_toIfEEEE10hipError_tPvRmT2_T3_mT4_T5_T6_T7_T8_P12ihipStream_tbENKUlT_T0_E_clISt17integral_constantIbLb0EESY_IbLb1EEEEDaSU_SV_EUlSU_E_NS1_11comp_targetILNS1_3genE0ELNS1_11target_archE4294967295ELNS1_3gpuE0ELNS1_3repE0EEENS1_30default_config_static_selectorELNS0_4arch9wavefront6targetE0EEEvT1_.kd
    .uniform_work_group_size: 1
    .uses_dynamic_stack: false
    .vgpr_count:     102
    .vgpr_spill_count: 0
    .wavefront_size: 32
  - .args:
      - .offset:         0
        .size:           128
        .value_kind:     by_value
    .group_segment_fixed_size: 0
    .kernarg_segment_align: 8
    .kernarg_segment_size: 128
    .language:       OpenCL C
    .language_version:
      - 2
      - 0
    .max_flat_workgroup_size: 512
    .name:           _ZN7rocprim17ROCPRIM_400000_NS6detail17trampoline_kernelINS0_14default_configENS1_33run_length_encode_config_selectorIfjNS0_4plusIjEEEEZZNS1_33reduce_by_key_impl_wrapped_configILNS1_25lookback_scan_determinismE0ES3_S7_PKfNS0_17constant_iteratorIjlEEPfPlSF_S6_NS0_8equal_toIfEEEE10hipError_tPvRmT2_T3_mT4_T5_T6_T7_T8_P12ihipStream_tbENKUlT_T0_E_clISt17integral_constantIbLb0EESY_IbLb1EEEEDaSU_SV_EUlSU_E_NS1_11comp_targetILNS1_3genE5ELNS1_11target_archE942ELNS1_3gpuE9ELNS1_3repE0EEENS1_30default_config_static_selectorELNS0_4arch9wavefront6targetE0EEEvT1_
    .private_segment_fixed_size: 0
    .sgpr_count:     0
    .sgpr_spill_count: 0
    .symbol:         _ZN7rocprim17ROCPRIM_400000_NS6detail17trampoline_kernelINS0_14default_configENS1_33run_length_encode_config_selectorIfjNS0_4plusIjEEEEZZNS1_33reduce_by_key_impl_wrapped_configILNS1_25lookback_scan_determinismE0ES3_S7_PKfNS0_17constant_iteratorIjlEEPfPlSF_S6_NS0_8equal_toIfEEEE10hipError_tPvRmT2_T3_mT4_T5_T6_T7_T8_P12ihipStream_tbENKUlT_T0_E_clISt17integral_constantIbLb0EESY_IbLb1EEEEDaSU_SV_EUlSU_E_NS1_11comp_targetILNS1_3genE5ELNS1_11target_archE942ELNS1_3gpuE9ELNS1_3repE0EEENS1_30default_config_static_selectorELNS0_4arch9wavefront6targetE0EEEvT1_.kd
    .uniform_work_group_size: 1
    .uses_dynamic_stack: false
    .vgpr_count:     0
    .vgpr_spill_count: 0
    .wavefront_size: 32
  - .args:
      - .offset:         0
        .size:           128
        .value_kind:     by_value
    .group_segment_fixed_size: 0
    .kernarg_segment_align: 8
    .kernarg_segment_size: 128
    .language:       OpenCL C
    .language_version:
      - 2
      - 0
    .max_flat_workgroup_size: 256
    .name:           _ZN7rocprim17ROCPRIM_400000_NS6detail17trampoline_kernelINS0_14default_configENS1_33run_length_encode_config_selectorIfjNS0_4plusIjEEEEZZNS1_33reduce_by_key_impl_wrapped_configILNS1_25lookback_scan_determinismE0ES3_S7_PKfNS0_17constant_iteratorIjlEEPfPlSF_S6_NS0_8equal_toIfEEEE10hipError_tPvRmT2_T3_mT4_T5_T6_T7_T8_P12ihipStream_tbENKUlT_T0_E_clISt17integral_constantIbLb0EESY_IbLb1EEEEDaSU_SV_EUlSU_E_NS1_11comp_targetILNS1_3genE4ELNS1_11target_archE910ELNS1_3gpuE8ELNS1_3repE0EEENS1_30default_config_static_selectorELNS0_4arch9wavefront6targetE0EEEvT1_
    .private_segment_fixed_size: 0
    .sgpr_count:     0
    .sgpr_spill_count: 0
    .symbol:         _ZN7rocprim17ROCPRIM_400000_NS6detail17trampoline_kernelINS0_14default_configENS1_33run_length_encode_config_selectorIfjNS0_4plusIjEEEEZZNS1_33reduce_by_key_impl_wrapped_configILNS1_25lookback_scan_determinismE0ES3_S7_PKfNS0_17constant_iteratorIjlEEPfPlSF_S6_NS0_8equal_toIfEEEE10hipError_tPvRmT2_T3_mT4_T5_T6_T7_T8_P12ihipStream_tbENKUlT_T0_E_clISt17integral_constantIbLb0EESY_IbLb1EEEEDaSU_SV_EUlSU_E_NS1_11comp_targetILNS1_3genE4ELNS1_11target_archE910ELNS1_3gpuE8ELNS1_3repE0EEENS1_30default_config_static_selectorELNS0_4arch9wavefront6targetE0EEEvT1_.kd
    .uniform_work_group_size: 1
    .uses_dynamic_stack: false
    .vgpr_count:     0
    .vgpr_spill_count: 0
    .wavefront_size: 32
  - .args:
      - .offset:         0
        .size:           128
        .value_kind:     by_value
    .group_segment_fixed_size: 0
    .kernarg_segment_align: 8
    .kernarg_segment_size: 128
    .language:       OpenCL C
    .language_version:
      - 2
      - 0
    .max_flat_workgroup_size: 256
    .name:           _ZN7rocprim17ROCPRIM_400000_NS6detail17trampoline_kernelINS0_14default_configENS1_33run_length_encode_config_selectorIfjNS0_4plusIjEEEEZZNS1_33reduce_by_key_impl_wrapped_configILNS1_25lookback_scan_determinismE0ES3_S7_PKfNS0_17constant_iteratorIjlEEPfPlSF_S6_NS0_8equal_toIfEEEE10hipError_tPvRmT2_T3_mT4_T5_T6_T7_T8_P12ihipStream_tbENKUlT_T0_E_clISt17integral_constantIbLb0EESY_IbLb1EEEEDaSU_SV_EUlSU_E_NS1_11comp_targetILNS1_3genE3ELNS1_11target_archE908ELNS1_3gpuE7ELNS1_3repE0EEENS1_30default_config_static_selectorELNS0_4arch9wavefront6targetE0EEEvT1_
    .private_segment_fixed_size: 0
    .sgpr_count:     0
    .sgpr_spill_count: 0
    .symbol:         _ZN7rocprim17ROCPRIM_400000_NS6detail17trampoline_kernelINS0_14default_configENS1_33run_length_encode_config_selectorIfjNS0_4plusIjEEEEZZNS1_33reduce_by_key_impl_wrapped_configILNS1_25lookback_scan_determinismE0ES3_S7_PKfNS0_17constant_iteratorIjlEEPfPlSF_S6_NS0_8equal_toIfEEEE10hipError_tPvRmT2_T3_mT4_T5_T6_T7_T8_P12ihipStream_tbENKUlT_T0_E_clISt17integral_constantIbLb0EESY_IbLb1EEEEDaSU_SV_EUlSU_E_NS1_11comp_targetILNS1_3genE3ELNS1_11target_archE908ELNS1_3gpuE7ELNS1_3repE0EEENS1_30default_config_static_selectorELNS0_4arch9wavefront6targetE0EEEvT1_.kd
    .uniform_work_group_size: 1
    .uses_dynamic_stack: false
    .vgpr_count:     0
    .vgpr_spill_count: 0
    .wavefront_size: 32
  - .args:
      - .offset:         0
        .size:           128
        .value_kind:     by_value
    .group_segment_fixed_size: 0
    .kernarg_segment_align: 8
    .kernarg_segment_size: 128
    .language:       OpenCL C
    .language_version:
      - 2
      - 0
    .max_flat_workgroup_size: 256
    .name:           _ZN7rocprim17ROCPRIM_400000_NS6detail17trampoline_kernelINS0_14default_configENS1_33run_length_encode_config_selectorIfjNS0_4plusIjEEEEZZNS1_33reduce_by_key_impl_wrapped_configILNS1_25lookback_scan_determinismE0ES3_S7_PKfNS0_17constant_iteratorIjlEEPfPlSF_S6_NS0_8equal_toIfEEEE10hipError_tPvRmT2_T3_mT4_T5_T6_T7_T8_P12ihipStream_tbENKUlT_T0_E_clISt17integral_constantIbLb0EESY_IbLb1EEEEDaSU_SV_EUlSU_E_NS1_11comp_targetILNS1_3genE2ELNS1_11target_archE906ELNS1_3gpuE6ELNS1_3repE0EEENS1_30default_config_static_selectorELNS0_4arch9wavefront6targetE0EEEvT1_
    .private_segment_fixed_size: 0
    .sgpr_count:     0
    .sgpr_spill_count: 0
    .symbol:         _ZN7rocprim17ROCPRIM_400000_NS6detail17trampoline_kernelINS0_14default_configENS1_33run_length_encode_config_selectorIfjNS0_4plusIjEEEEZZNS1_33reduce_by_key_impl_wrapped_configILNS1_25lookback_scan_determinismE0ES3_S7_PKfNS0_17constant_iteratorIjlEEPfPlSF_S6_NS0_8equal_toIfEEEE10hipError_tPvRmT2_T3_mT4_T5_T6_T7_T8_P12ihipStream_tbENKUlT_T0_E_clISt17integral_constantIbLb0EESY_IbLb1EEEEDaSU_SV_EUlSU_E_NS1_11comp_targetILNS1_3genE2ELNS1_11target_archE906ELNS1_3gpuE6ELNS1_3repE0EEENS1_30default_config_static_selectorELNS0_4arch9wavefront6targetE0EEEvT1_.kd
    .uniform_work_group_size: 1
    .uses_dynamic_stack: false
    .vgpr_count:     0
    .vgpr_spill_count: 0
    .wavefront_size: 32
  - .args:
      - .offset:         0
        .size:           128
        .value_kind:     by_value
    .group_segment_fixed_size: 0
    .kernarg_segment_align: 8
    .kernarg_segment_size: 128
    .language:       OpenCL C
    .language_version:
      - 2
      - 0
    .max_flat_workgroup_size: 384
    .name:           _ZN7rocprim17ROCPRIM_400000_NS6detail17trampoline_kernelINS0_14default_configENS1_33run_length_encode_config_selectorIfjNS0_4plusIjEEEEZZNS1_33reduce_by_key_impl_wrapped_configILNS1_25lookback_scan_determinismE0ES3_S7_PKfNS0_17constant_iteratorIjlEEPfPlSF_S6_NS0_8equal_toIfEEEE10hipError_tPvRmT2_T3_mT4_T5_T6_T7_T8_P12ihipStream_tbENKUlT_T0_E_clISt17integral_constantIbLb0EESY_IbLb1EEEEDaSU_SV_EUlSU_E_NS1_11comp_targetILNS1_3genE10ELNS1_11target_archE1201ELNS1_3gpuE5ELNS1_3repE0EEENS1_30default_config_static_selectorELNS0_4arch9wavefront6targetE0EEEvT1_
    .private_segment_fixed_size: 0
    .sgpr_count:     0
    .sgpr_spill_count: 0
    .symbol:         _ZN7rocprim17ROCPRIM_400000_NS6detail17trampoline_kernelINS0_14default_configENS1_33run_length_encode_config_selectorIfjNS0_4plusIjEEEEZZNS1_33reduce_by_key_impl_wrapped_configILNS1_25lookback_scan_determinismE0ES3_S7_PKfNS0_17constant_iteratorIjlEEPfPlSF_S6_NS0_8equal_toIfEEEE10hipError_tPvRmT2_T3_mT4_T5_T6_T7_T8_P12ihipStream_tbENKUlT_T0_E_clISt17integral_constantIbLb0EESY_IbLb1EEEEDaSU_SV_EUlSU_E_NS1_11comp_targetILNS1_3genE10ELNS1_11target_archE1201ELNS1_3gpuE5ELNS1_3repE0EEENS1_30default_config_static_selectorELNS0_4arch9wavefront6targetE0EEEvT1_.kd
    .uniform_work_group_size: 1
    .uses_dynamic_stack: false
    .vgpr_count:     0
    .vgpr_spill_count: 0
    .wavefront_size: 32
  - .args:
      - .offset:         0
        .size:           128
        .value_kind:     by_value
    .group_segment_fixed_size: 0
    .kernarg_segment_align: 8
    .kernarg_segment_size: 128
    .language:       OpenCL C
    .language_version:
      - 2
      - 0
    .max_flat_workgroup_size: 256
    .name:           _ZN7rocprim17ROCPRIM_400000_NS6detail17trampoline_kernelINS0_14default_configENS1_33run_length_encode_config_selectorIfjNS0_4plusIjEEEEZZNS1_33reduce_by_key_impl_wrapped_configILNS1_25lookback_scan_determinismE0ES3_S7_PKfNS0_17constant_iteratorIjlEEPfPlSF_S6_NS0_8equal_toIfEEEE10hipError_tPvRmT2_T3_mT4_T5_T6_T7_T8_P12ihipStream_tbENKUlT_T0_E_clISt17integral_constantIbLb0EESY_IbLb1EEEEDaSU_SV_EUlSU_E_NS1_11comp_targetILNS1_3genE10ELNS1_11target_archE1200ELNS1_3gpuE4ELNS1_3repE0EEENS1_30default_config_static_selectorELNS0_4arch9wavefront6targetE0EEEvT1_
    .private_segment_fixed_size: 0
    .sgpr_count:     0
    .sgpr_spill_count: 0
    .symbol:         _ZN7rocprim17ROCPRIM_400000_NS6detail17trampoline_kernelINS0_14default_configENS1_33run_length_encode_config_selectorIfjNS0_4plusIjEEEEZZNS1_33reduce_by_key_impl_wrapped_configILNS1_25lookback_scan_determinismE0ES3_S7_PKfNS0_17constant_iteratorIjlEEPfPlSF_S6_NS0_8equal_toIfEEEE10hipError_tPvRmT2_T3_mT4_T5_T6_T7_T8_P12ihipStream_tbENKUlT_T0_E_clISt17integral_constantIbLb0EESY_IbLb1EEEEDaSU_SV_EUlSU_E_NS1_11comp_targetILNS1_3genE10ELNS1_11target_archE1200ELNS1_3gpuE4ELNS1_3repE0EEENS1_30default_config_static_selectorELNS0_4arch9wavefront6targetE0EEEvT1_.kd
    .uniform_work_group_size: 1
    .uses_dynamic_stack: false
    .vgpr_count:     0
    .vgpr_spill_count: 0
    .wavefront_size: 32
  - .args:
      - .offset:         0
        .size:           128
        .value_kind:     by_value
    .group_segment_fixed_size: 0
    .kernarg_segment_align: 8
    .kernarg_segment_size: 128
    .language:       OpenCL C
    .language_version:
      - 2
      - 0
    .max_flat_workgroup_size: 512
    .name:           _ZN7rocprim17ROCPRIM_400000_NS6detail17trampoline_kernelINS0_14default_configENS1_33run_length_encode_config_selectorIfjNS0_4plusIjEEEEZZNS1_33reduce_by_key_impl_wrapped_configILNS1_25lookback_scan_determinismE0ES3_S7_PKfNS0_17constant_iteratorIjlEEPfPlSF_S6_NS0_8equal_toIfEEEE10hipError_tPvRmT2_T3_mT4_T5_T6_T7_T8_P12ihipStream_tbENKUlT_T0_E_clISt17integral_constantIbLb0EESY_IbLb1EEEEDaSU_SV_EUlSU_E_NS1_11comp_targetILNS1_3genE9ELNS1_11target_archE1100ELNS1_3gpuE3ELNS1_3repE0EEENS1_30default_config_static_selectorELNS0_4arch9wavefront6targetE0EEEvT1_
    .private_segment_fixed_size: 0
    .sgpr_count:     0
    .sgpr_spill_count: 0
    .symbol:         _ZN7rocprim17ROCPRIM_400000_NS6detail17trampoline_kernelINS0_14default_configENS1_33run_length_encode_config_selectorIfjNS0_4plusIjEEEEZZNS1_33reduce_by_key_impl_wrapped_configILNS1_25lookback_scan_determinismE0ES3_S7_PKfNS0_17constant_iteratorIjlEEPfPlSF_S6_NS0_8equal_toIfEEEE10hipError_tPvRmT2_T3_mT4_T5_T6_T7_T8_P12ihipStream_tbENKUlT_T0_E_clISt17integral_constantIbLb0EESY_IbLb1EEEEDaSU_SV_EUlSU_E_NS1_11comp_targetILNS1_3genE9ELNS1_11target_archE1100ELNS1_3gpuE3ELNS1_3repE0EEENS1_30default_config_static_selectorELNS0_4arch9wavefront6targetE0EEEvT1_.kd
    .uniform_work_group_size: 1
    .uses_dynamic_stack: false
    .vgpr_count:     0
    .vgpr_spill_count: 0
    .wavefront_size: 32
  - .args:
      - .offset:         0
        .size:           128
        .value_kind:     by_value
    .group_segment_fixed_size: 0
    .kernarg_segment_align: 8
    .kernarg_segment_size: 128
    .language:       OpenCL C
    .language_version:
      - 2
      - 0
    .max_flat_workgroup_size: 192
    .name:           _ZN7rocprim17ROCPRIM_400000_NS6detail17trampoline_kernelINS0_14default_configENS1_33run_length_encode_config_selectorIfjNS0_4plusIjEEEEZZNS1_33reduce_by_key_impl_wrapped_configILNS1_25lookback_scan_determinismE0ES3_S7_PKfNS0_17constant_iteratorIjlEEPfPlSF_S6_NS0_8equal_toIfEEEE10hipError_tPvRmT2_T3_mT4_T5_T6_T7_T8_P12ihipStream_tbENKUlT_T0_E_clISt17integral_constantIbLb0EESY_IbLb1EEEEDaSU_SV_EUlSU_E_NS1_11comp_targetILNS1_3genE8ELNS1_11target_archE1030ELNS1_3gpuE2ELNS1_3repE0EEENS1_30default_config_static_selectorELNS0_4arch9wavefront6targetE0EEEvT1_
    .private_segment_fixed_size: 0
    .sgpr_count:     0
    .sgpr_spill_count: 0
    .symbol:         _ZN7rocprim17ROCPRIM_400000_NS6detail17trampoline_kernelINS0_14default_configENS1_33run_length_encode_config_selectorIfjNS0_4plusIjEEEEZZNS1_33reduce_by_key_impl_wrapped_configILNS1_25lookback_scan_determinismE0ES3_S7_PKfNS0_17constant_iteratorIjlEEPfPlSF_S6_NS0_8equal_toIfEEEE10hipError_tPvRmT2_T3_mT4_T5_T6_T7_T8_P12ihipStream_tbENKUlT_T0_E_clISt17integral_constantIbLb0EESY_IbLb1EEEEDaSU_SV_EUlSU_E_NS1_11comp_targetILNS1_3genE8ELNS1_11target_archE1030ELNS1_3gpuE2ELNS1_3repE0EEENS1_30default_config_static_selectorELNS0_4arch9wavefront6targetE0EEEvT1_.kd
    .uniform_work_group_size: 1
    .uses_dynamic_stack: false
    .vgpr_count:     0
    .vgpr_spill_count: 0
    .wavefront_size: 32
  - .args:
      - .offset:         0
        .size:           8
        .value_kind:     by_value
      - .address_space:  global
        .offset:         8
        .size:           8
        .value_kind:     global_buffer
      - .address_space:  global
        .offset:         16
        .size:           8
        .value_kind:     global_buffer
      - .offset:         24
        .size:           4
        .value_kind:     hidden_block_count_x
      - .offset:         28
        .size:           4
        .value_kind:     hidden_block_count_y
      - .offset:         32
        .size:           4
        .value_kind:     hidden_block_count_z
      - .offset:         36
        .size:           2
        .value_kind:     hidden_group_size_x
      - .offset:         38
        .size:           2
        .value_kind:     hidden_group_size_y
      - .offset:         40
        .size:           2
        .value_kind:     hidden_group_size_z
      - .offset:         42
        .size:           2
        .value_kind:     hidden_remainder_x
      - .offset:         44
        .size:           2
        .value_kind:     hidden_remainder_y
      - .offset:         46
        .size:           2
        .value_kind:     hidden_remainder_z
      - .offset:         64
        .size:           8
        .value_kind:     hidden_global_offset_x
      - .offset:         72
        .size:           8
        .value_kind:     hidden_global_offset_y
      - .offset:         80
        .size:           8
        .value_kind:     hidden_global_offset_z
      - .offset:         88
        .size:           2
        .value_kind:     hidden_grid_dims
    .group_segment_fixed_size: 0
    .kernarg_segment_align: 8
    .kernarg_segment_size: 280
    .language:       OpenCL C
    .language_version:
      - 2
      - 0
    .max_flat_workgroup_size: 1024
    .name:           _ZN2at6native8internal12_GLOBAL__N_126adjacent_difference_kernelIPKiEEvlT_Pi
    .private_segment_fixed_size: 0
    .sgpr_count:     20
    .sgpr_spill_count: 0
    .symbol:         _ZN2at6native8internal12_GLOBAL__N_126adjacent_difference_kernelIPKiEEvlT_Pi.kd
    .uniform_work_group_size: 1
    .uses_dynamic_stack: false
    .vgpr_count:     10
    .vgpr_spill_count: 0
    .wavefront_size: 32
  - .args:
      - .offset:         0
        .size:           112
        .value_kind:     by_value
    .group_segment_fixed_size: 22536
    .kernarg_segment_align: 8
    .kernarg_segment_size: 112
    .language:       OpenCL C
    .language_version:
      - 2
      - 0
    .max_flat_workgroup_size: 512
    .name:           _ZN7rocprim17ROCPRIM_400000_NS6detail17trampoline_kernelINS0_14default_configENS1_25partition_config_selectorILNS1_17partition_subalgoE8EiNS0_10empty_typeEbEEZZNS1_14partition_implILS5_8ELb0ES3_jPKiPS6_PKS6_NS0_5tupleIJPiS6_EEENSE_IJSB_SB_EEENS0_18inequality_wrapperIN6hipcub16HIPCUB_304000_NS8EqualityEEEPlJS6_EEE10hipError_tPvRmT3_T4_T5_T6_T7_T9_mT8_P12ihipStream_tbDpT10_ENKUlT_T0_E_clISt17integral_constantIbLb0EES17_EEDaS12_S13_EUlS12_E_NS1_11comp_targetILNS1_3genE0ELNS1_11target_archE4294967295ELNS1_3gpuE0ELNS1_3repE0EEENS1_30default_config_static_selectorELNS0_4arch9wavefront6targetE0EEEvT1_
    .private_segment_fixed_size: 0
    .sgpr_count:     32
    .sgpr_spill_count: 0
    .symbol:         _ZN7rocprim17ROCPRIM_400000_NS6detail17trampoline_kernelINS0_14default_configENS1_25partition_config_selectorILNS1_17partition_subalgoE8EiNS0_10empty_typeEbEEZZNS1_14partition_implILS5_8ELb0ES3_jPKiPS6_PKS6_NS0_5tupleIJPiS6_EEENSE_IJSB_SB_EEENS0_18inequality_wrapperIN6hipcub16HIPCUB_304000_NS8EqualityEEEPlJS6_EEE10hipError_tPvRmT3_T4_T5_T6_T7_T9_mT8_P12ihipStream_tbDpT10_ENKUlT_T0_E_clISt17integral_constantIbLb0EES17_EEDaS12_S13_EUlS12_E_NS1_11comp_targetILNS1_3genE0ELNS1_11target_archE4294967295ELNS1_3gpuE0ELNS1_3repE0EEENS1_30default_config_static_selectorELNS0_4arch9wavefront6targetE0EEEvT1_.kd
    .uniform_work_group_size: 1
    .uses_dynamic_stack: false
    .vgpr_count:     58
    .vgpr_spill_count: 0
    .wavefront_size: 32
  - .args:
      - .offset:         0
        .size:           112
        .value_kind:     by_value
    .group_segment_fixed_size: 0
    .kernarg_segment_align: 8
    .kernarg_segment_size: 112
    .language:       OpenCL C
    .language_version:
      - 2
      - 0
    .max_flat_workgroup_size: 512
    .name:           _ZN7rocprim17ROCPRIM_400000_NS6detail17trampoline_kernelINS0_14default_configENS1_25partition_config_selectorILNS1_17partition_subalgoE8EiNS0_10empty_typeEbEEZZNS1_14partition_implILS5_8ELb0ES3_jPKiPS6_PKS6_NS0_5tupleIJPiS6_EEENSE_IJSB_SB_EEENS0_18inequality_wrapperIN6hipcub16HIPCUB_304000_NS8EqualityEEEPlJS6_EEE10hipError_tPvRmT3_T4_T5_T6_T7_T9_mT8_P12ihipStream_tbDpT10_ENKUlT_T0_E_clISt17integral_constantIbLb0EES17_EEDaS12_S13_EUlS12_E_NS1_11comp_targetILNS1_3genE5ELNS1_11target_archE942ELNS1_3gpuE9ELNS1_3repE0EEENS1_30default_config_static_selectorELNS0_4arch9wavefront6targetE0EEEvT1_
    .private_segment_fixed_size: 0
    .sgpr_count:     0
    .sgpr_spill_count: 0
    .symbol:         _ZN7rocprim17ROCPRIM_400000_NS6detail17trampoline_kernelINS0_14default_configENS1_25partition_config_selectorILNS1_17partition_subalgoE8EiNS0_10empty_typeEbEEZZNS1_14partition_implILS5_8ELb0ES3_jPKiPS6_PKS6_NS0_5tupleIJPiS6_EEENSE_IJSB_SB_EEENS0_18inequality_wrapperIN6hipcub16HIPCUB_304000_NS8EqualityEEEPlJS6_EEE10hipError_tPvRmT3_T4_T5_T6_T7_T9_mT8_P12ihipStream_tbDpT10_ENKUlT_T0_E_clISt17integral_constantIbLb0EES17_EEDaS12_S13_EUlS12_E_NS1_11comp_targetILNS1_3genE5ELNS1_11target_archE942ELNS1_3gpuE9ELNS1_3repE0EEENS1_30default_config_static_selectorELNS0_4arch9wavefront6targetE0EEEvT1_.kd
    .uniform_work_group_size: 1
    .uses_dynamic_stack: false
    .vgpr_count:     0
    .vgpr_spill_count: 0
    .wavefront_size: 32
  - .args:
      - .offset:         0
        .size:           112
        .value_kind:     by_value
    .group_segment_fixed_size: 0
    .kernarg_segment_align: 8
    .kernarg_segment_size: 112
    .language:       OpenCL C
    .language_version:
      - 2
      - 0
    .max_flat_workgroup_size: 256
    .name:           _ZN7rocprim17ROCPRIM_400000_NS6detail17trampoline_kernelINS0_14default_configENS1_25partition_config_selectorILNS1_17partition_subalgoE8EiNS0_10empty_typeEbEEZZNS1_14partition_implILS5_8ELb0ES3_jPKiPS6_PKS6_NS0_5tupleIJPiS6_EEENSE_IJSB_SB_EEENS0_18inequality_wrapperIN6hipcub16HIPCUB_304000_NS8EqualityEEEPlJS6_EEE10hipError_tPvRmT3_T4_T5_T6_T7_T9_mT8_P12ihipStream_tbDpT10_ENKUlT_T0_E_clISt17integral_constantIbLb0EES17_EEDaS12_S13_EUlS12_E_NS1_11comp_targetILNS1_3genE4ELNS1_11target_archE910ELNS1_3gpuE8ELNS1_3repE0EEENS1_30default_config_static_selectorELNS0_4arch9wavefront6targetE0EEEvT1_
    .private_segment_fixed_size: 0
    .sgpr_count:     0
    .sgpr_spill_count: 0
    .symbol:         _ZN7rocprim17ROCPRIM_400000_NS6detail17trampoline_kernelINS0_14default_configENS1_25partition_config_selectorILNS1_17partition_subalgoE8EiNS0_10empty_typeEbEEZZNS1_14partition_implILS5_8ELb0ES3_jPKiPS6_PKS6_NS0_5tupleIJPiS6_EEENSE_IJSB_SB_EEENS0_18inequality_wrapperIN6hipcub16HIPCUB_304000_NS8EqualityEEEPlJS6_EEE10hipError_tPvRmT3_T4_T5_T6_T7_T9_mT8_P12ihipStream_tbDpT10_ENKUlT_T0_E_clISt17integral_constantIbLb0EES17_EEDaS12_S13_EUlS12_E_NS1_11comp_targetILNS1_3genE4ELNS1_11target_archE910ELNS1_3gpuE8ELNS1_3repE0EEENS1_30default_config_static_selectorELNS0_4arch9wavefront6targetE0EEEvT1_.kd
    .uniform_work_group_size: 1
    .uses_dynamic_stack: false
    .vgpr_count:     0
    .vgpr_spill_count: 0
    .wavefront_size: 32
  - .args:
      - .offset:         0
        .size:           112
        .value_kind:     by_value
    .group_segment_fixed_size: 0
    .kernarg_segment_align: 8
    .kernarg_segment_size: 112
    .language:       OpenCL C
    .language_version:
      - 2
      - 0
    .max_flat_workgroup_size: 512
    .name:           _ZN7rocprim17ROCPRIM_400000_NS6detail17trampoline_kernelINS0_14default_configENS1_25partition_config_selectorILNS1_17partition_subalgoE8EiNS0_10empty_typeEbEEZZNS1_14partition_implILS5_8ELb0ES3_jPKiPS6_PKS6_NS0_5tupleIJPiS6_EEENSE_IJSB_SB_EEENS0_18inequality_wrapperIN6hipcub16HIPCUB_304000_NS8EqualityEEEPlJS6_EEE10hipError_tPvRmT3_T4_T5_T6_T7_T9_mT8_P12ihipStream_tbDpT10_ENKUlT_T0_E_clISt17integral_constantIbLb0EES17_EEDaS12_S13_EUlS12_E_NS1_11comp_targetILNS1_3genE3ELNS1_11target_archE908ELNS1_3gpuE7ELNS1_3repE0EEENS1_30default_config_static_selectorELNS0_4arch9wavefront6targetE0EEEvT1_
    .private_segment_fixed_size: 0
    .sgpr_count:     0
    .sgpr_spill_count: 0
    .symbol:         _ZN7rocprim17ROCPRIM_400000_NS6detail17trampoline_kernelINS0_14default_configENS1_25partition_config_selectorILNS1_17partition_subalgoE8EiNS0_10empty_typeEbEEZZNS1_14partition_implILS5_8ELb0ES3_jPKiPS6_PKS6_NS0_5tupleIJPiS6_EEENSE_IJSB_SB_EEENS0_18inequality_wrapperIN6hipcub16HIPCUB_304000_NS8EqualityEEEPlJS6_EEE10hipError_tPvRmT3_T4_T5_T6_T7_T9_mT8_P12ihipStream_tbDpT10_ENKUlT_T0_E_clISt17integral_constantIbLb0EES17_EEDaS12_S13_EUlS12_E_NS1_11comp_targetILNS1_3genE3ELNS1_11target_archE908ELNS1_3gpuE7ELNS1_3repE0EEENS1_30default_config_static_selectorELNS0_4arch9wavefront6targetE0EEEvT1_.kd
    .uniform_work_group_size: 1
    .uses_dynamic_stack: false
    .vgpr_count:     0
    .vgpr_spill_count: 0
    .wavefront_size: 32
  - .args:
      - .offset:         0
        .size:           112
        .value_kind:     by_value
    .group_segment_fixed_size: 0
    .kernarg_segment_align: 8
    .kernarg_segment_size: 112
    .language:       OpenCL C
    .language_version:
      - 2
      - 0
    .max_flat_workgroup_size: 256
    .name:           _ZN7rocprim17ROCPRIM_400000_NS6detail17trampoline_kernelINS0_14default_configENS1_25partition_config_selectorILNS1_17partition_subalgoE8EiNS0_10empty_typeEbEEZZNS1_14partition_implILS5_8ELb0ES3_jPKiPS6_PKS6_NS0_5tupleIJPiS6_EEENSE_IJSB_SB_EEENS0_18inequality_wrapperIN6hipcub16HIPCUB_304000_NS8EqualityEEEPlJS6_EEE10hipError_tPvRmT3_T4_T5_T6_T7_T9_mT8_P12ihipStream_tbDpT10_ENKUlT_T0_E_clISt17integral_constantIbLb0EES17_EEDaS12_S13_EUlS12_E_NS1_11comp_targetILNS1_3genE2ELNS1_11target_archE906ELNS1_3gpuE6ELNS1_3repE0EEENS1_30default_config_static_selectorELNS0_4arch9wavefront6targetE0EEEvT1_
    .private_segment_fixed_size: 0
    .sgpr_count:     0
    .sgpr_spill_count: 0
    .symbol:         _ZN7rocprim17ROCPRIM_400000_NS6detail17trampoline_kernelINS0_14default_configENS1_25partition_config_selectorILNS1_17partition_subalgoE8EiNS0_10empty_typeEbEEZZNS1_14partition_implILS5_8ELb0ES3_jPKiPS6_PKS6_NS0_5tupleIJPiS6_EEENSE_IJSB_SB_EEENS0_18inequality_wrapperIN6hipcub16HIPCUB_304000_NS8EqualityEEEPlJS6_EEE10hipError_tPvRmT3_T4_T5_T6_T7_T9_mT8_P12ihipStream_tbDpT10_ENKUlT_T0_E_clISt17integral_constantIbLb0EES17_EEDaS12_S13_EUlS12_E_NS1_11comp_targetILNS1_3genE2ELNS1_11target_archE906ELNS1_3gpuE6ELNS1_3repE0EEENS1_30default_config_static_selectorELNS0_4arch9wavefront6targetE0EEEvT1_.kd
    .uniform_work_group_size: 1
    .uses_dynamic_stack: false
    .vgpr_count:     0
    .vgpr_spill_count: 0
    .wavefront_size: 32
  - .args:
      - .offset:         0
        .size:           112
        .value_kind:     by_value
    .group_segment_fixed_size: 0
    .kernarg_segment_align: 8
    .kernarg_segment_size: 112
    .language:       OpenCL C
    .language_version:
      - 2
      - 0
    .max_flat_workgroup_size: 384
    .name:           _ZN7rocprim17ROCPRIM_400000_NS6detail17trampoline_kernelINS0_14default_configENS1_25partition_config_selectorILNS1_17partition_subalgoE8EiNS0_10empty_typeEbEEZZNS1_14partition_implILS5_8ELb0ES3_jPKiPS6_PKS6_NS0_5tupleIJPiS6_EEENSE_IJSB_SB_EEENS0_18inequality_wrapperIN6hipcub16HIPCUB_304000_NS8EqualityEEEPlJS6_EEE10hipError_tPvRmT3_T4_T5_T6_T7_T9_mT8_P12ihipStream_tbDpT10_ENKUlT_T0_E_clISt17integral_constantIbLb0EES17_EEDaS12_S13_EUlS12_E_NS1_11comp_targetILNS1_3genE10ELNS1_11target_archE1200ELNS1_3gpuE4ELNS1_3repE0EEENS1_30default_config_static_selectorELNS0_4arch9wavefront6targetE0EEEvT1_
    .private_segment_fixed_size: 0
    .sgpr_count:     0
    .sgpr_spill_count: 0
    .symbol:         _ZN7rocprim17ROCPRIM_400000_NS6detail17trampoline_kernelINS0_14default_configENS1_25partition_config_selectorILNS1_17partition_subalgoE8EiNS0_10empty_typeEbEEZZNS1_14partition_implILS5_8ELb0ES3_jPKiPS6_PKS6_NS0_5tupleIJPiS6_EEENSE_IJSB_SB_EEENS0_18inequality_wrapperIN6hipcub16HIPCUB_304000_NS8EqualityEEEPlJS6_EEE10hipError_tPvRmT3_T4_T5_T6_T7_T9_mT8_P12ihipStream_tbDpT10_ENKUlT_T0_E_clISt17integral_constantIbLb0EES17_EEDaS12_S13_EUlS12_E_NS1_11comp_targetILNS1_3genE10ELNS1_11target_archE1200ELNS1_3gpuE4ELNS1_3repE0EEENS1_30default_config_static_selectorELNS0_4arch9wavefront6targetE0EEEvT1_.kd
    .uniform_work_group_size: 1
    .uses_dynamic_stack: false
    .vgpr_count:     0
    .vgpr_spill_count: 0
    .wavefront_size: 32
  - .args:
      - .offset:         0
        .size:           112
        .value_kind:     by_value
    .group_segment_fixed_size: 0
    .kernarg_segment_align: 8
    .kernarg_segment_size: 112
    .language:       OpenCL C
    .language_version:
      - 2
      - 0
    .max_flat_workgroup_size: 384
    .name:           _ZN7rocprim17ROCPRIM_400000_NS6detail17trampoline_kernelINS0_14default_configENS1_25partition_config_selectorILNS1_17partition_subalgoE8EiNS0_10empty_typeEbEEZZNS1_14partition_implILS5_8ELb0ES3_jPKiPS6_PKS6_NS0_5tupleIJPiS6_EEENSE_IJSB_SB_EEENS0_18inequality_wrapperIN6hipcub16HIPCUB_304000_NS8EqualityEEEPlJS6_EEE10hipError_tPvRmT3_T4_T5_T6_T7_T9_mT8_P12ihipStream_tbDpT10_ENKUlT_T0_E_clISt17integral_constantIbLb0EES17_EEDaS12_S13_EUlS12_E_NS1_11comp_targetILNS1_3genE9ELNS1_11target_archE1100ELNS1_3gpuE3ELNS1_3repE0EEENS1_30default_config_static_selectorELNS0_4arch9wavefront6targetE0EEEvT1_
    .private_segment_fixed_size: 0
    .sgpr_count:     0
    .sgpr_spill_count: 0
    .symbol:         _ZN7rocprim17ROCPRIM_400000_NS6detail17trampoline_kernelINS0_14default_configENS1_25partition_config_selectorILNS1_17partition_subalgoE8EiNS0_10empty_typeEbEEZZNS1_14partition_implILS5_8ELb0ES3_jPKiPS6_PKS6_NS0_5tupleIJPiS6_EEENSE_IJSB_SB_EEENS0_18inequality_wrapperIN6hipcub16HIPCUB_304000_NS8EqualityEEEPlJS6_EEE10hipError_tPvRmT3_T4_T5_T6_T7_T9_mT8_P12ihipStream_tbDpT10_ENKUlT_T0_E_clISt17integral_constantIbLb0EES17_EEDaS12_S13_EUlS12_E_NS1_11comp_targetILNS1_3genE9ELNS1_11target_archE1100ELNS1_3gpuE3ELNS1_3repE0EEENS1_30default_config_static_selectorELNS0_4arch9wavefront6targetE0EEEvT1_.kd
    .uniform_work_group_size: 1
    .uses_dynamic_stack: false
    .vgpr_count:     0
    .vgpr_spill_count: 0
    .wavefront_size: 32
  - .args:
      - .offset:         0
        .size:           112
        .value_kind:     by_value
    .group_segment_fixed_size: 0
    .kernarg_segment_align: 8
    .kernarg_segment_size: 112
    .language:       OpenCL C
    .language_version:
      - 2
      - 0
    .max_flat_workgroup_size: 512
    .name:           _ZN7rocprim17ROCPRIM_400000_NS6detail17trampoline_kernelINS0_14default_configENS1_25partition_config_selectorILNS1_17partition_subalgoE8EiNS0_10empty_typeEbEEZZNS1_14partition_implILS5_8ELb0ES3_jPKiPS6_PKS6_NS0_5tupleIJPiS6_EEENSE_IJSB_SB_EEENS0_18inequality_wrapperIN6hipcub16HIPCUB_304000_NS8EqualityEEEPlJS6_EEE10hipError_tPvRmT3_T4_T5_T6_T7_T9_mT8_P12ihipStream_tbDpT10_ENKUlT_T0_E_clISt17integral_constantIbLb0EES17_EEDaS12_S13_EUlS12_E_NS1_11comp_targetILNS1_3genE8ELNS1_11target_archE1030ELNS1_3gpuE2ELNS1_3repE0EEENS1_30default_config_static_selectorELNS0_4arch9wavefront6targetE0EEEvT1_
    .private_segment_fixed_size: 0
    .sgpr_count:     0
    .sgpr_spill_count: 0
    .symbol:         _ZN7rocprim17ROCPRIM_400000_NS6detail17trampoline_kernelINS0_14default_configENS1_25partition_config_selectorILNS1_17partition_subalgoE8EiNS0_10empty_typeEbEEZZNS1_14partition_implILS5_8ELb0ES3_jPKiPS6_PKS6_NS0_5tupleIJPiS6_EEENSE_IJSB_SB_EEENS0_18inequality_wrapperIN6hipcub16HIPCUB_304000_NS8EqualityEEEPlJS6_EEE10hipError_tPvRmT3_T4_T5_T6_T7_T9_mT8_P12ihipStream_tbDpT10_ENKUlT_T0_E_clISt17integral_constantIbLb0EES17_EEDaS12_S13_EUlS12_E_NS1_11comp_targetILNS1_3genE8ELNS1_11target_archE1030ELNS1_3gpuE2ELNS1_3repE0EEENS1_30default_config_static_selectorELNS0_4arch9wavefront6targetE0EEEvT1_.kd
    .uniform_work_group_size: 1
    .uses_dynamic_stack: false
    .vgpr_count:     0
    .vgpr_spill_count: 0
    .wavefront_size: 32
  - .args:
      - .offset:         0
        .size:           128
        .value_kind:     by_value
    .group_segment_fixed_size: 0
    .kernarg_segment_align: 8
    .kernarg_segment_size: 128
    .language:       OpenCL C
    .language_version:
      - 2
      - 0
    .max_flat_workgroup_size: 512
    .name:           _ZN7rocprim17ROCPRIM_400000_NS6detail17trampoline_kernelINS0_14default_configENS1_25partition_config_selectorILNS1_17partition_subalgoE8EiNS0_10empty_typeEbEEZZNS1_14partition_implILS5_8ELb0ES3_jPKiPS6_PKS6_NS0_5tupleIJPiS6_EEENSE_IJSB_SB_EEENS0_18inequality_wrapperIN6hipcub16HIPCUB_304000_NS8EqualityEEEPlJS6_EEE10hipError_tPvRmT3_T4_T5_T6_T7_T9_mT8_P12ihipStream_tbDpT10_ENKUlT_T0_E_clISt17integral_constantIbLb1EES17_EEDaS12_S13_EUlS12_E_NS1_11comp_targetILNS1_3genE0ELNS1_11target_archE4294967295ELNS1_3gpuE0ELNS1_3repE0EEENS1_30default_config_static_selectorELNS0_4arch9wavefront6targetE0EEEvT1_
    .private_segment_fixed_size: 0
    .sgpr_count:     0
    .sgpr_spill_count: 0
    .symbol:         _ZN7rocprim17ROCPRIM_400000_NS6detail17trampoline_kernelINS0_14default_configENS1_25partition_config_selectorILNS1_17partition_subalgoE8EiNS0_10empty_typeEbEEZZNS1_14partition_implILS5_8ELb0ES3_jPKiPS6_PKS6_NS0_5tupleIJPiS6_EEENSE_IJSB_SB_EEENS0_18inequality_wrapperIN6hipcub16HIPCUB_304000_NS8EqualityEEEPlJS6_EEE10hipError_tPvRmT3_T4_T5_T6_T7_T9_mT8_P12ihipStream_tbDpT10_ENKUlT_T0_E_clISt17integral_constantIbLb1EES17_EEDaS12_S13_EUlS12_E_NS1_11comp_targetILNS1_3genE0ELNS1_11target_archE4294967295ELNS1_3gpuE0ELNS1_3repE0EEENS1_30default_config_static_selectorELNS0_4arch9wavefront6targetE0EEEvT1_.kd
    .uniform_work_group_size: 1
    .uses_dynamic_stack: false
    .vgpr_count:     0
    .vgpr_spill_count: 0
    .wavefront_size: 32
  - .args:
      - .offset:         0
        .size:           128
        .value_kind:     by_value
    .group_segment_fixed_size: 0
    .kernarg_segment_align: 8
    .kernarg_segment_size: 128
    .language:       OpenCL C
    .language_version:
      - 2
      - 0
    .max_flat_workgroup_size: 512
    .name:           _ZN7rocprim17ROCPRIM_400000_NS6detail17trampoline_kernelINS0_14default_configENS1_25partition_config_selectorILNS1_17partition_subalgoE8EiNS0_10empty_typeEbEEZZNS1_14partition_implILS5_8ELb0ES3_jPKiPS6_PKS6_NS0_5tupleIJPiS6_EEENSE_IJSB_SB_EEENS0_18inequality_wrapperIN6hipcub16HIPCUB_304000_NS8EqualityEEEPlJS6_EEE10hipError_tPvRmT3_T4_T5_T6_T7_T9_mT8_P12ihipStream_tbDpT10_ENKUlT_T0_E_clISt17integral_constantIbLb1EES17_EEDaS12_S13_EUlS12_E_NS1_11comp_targetILNS1_3genE5ELNS1_11target_archE942ELNS1_3gpuE9ELNS1_3repE0EEENS1_30default_config_static_selectorELNS0_4arch9wavefront6targetE0EEEvT1_
    .private_segment_fixed_size: 0
    .sgpr_count:     0
    .sgpr_spill_count: 0
    .symbol:         _ZN7rocprim17ROCPRIM_400000_NS6detail17trampoline_kernelINS0_14default_configENS1_25partition_config_selectorILNS1_17partition_subalgoE8EiNS0_10empty_typeEbEEZZNS1_14partition_implILS5_8ELb0ES3_jPKiPS6_PKS6_NS0_5tupleIJPiS6_EEENSE_IJSB_SB_EEENS0_18inequality_wrapperIN6hipcub16HIPCUB_304000_NS8EqualityEEEPlJS6_EEE10hipError_tPvRmT3_T4_T5_T6_T7_T9_mT8_P12ihipStream_tbDpT10_ENKUlT_T0_E_clISt17integral_constantIbLb1EES17_EEDaS12_S13_EUlS12_E_NS1_11comp_targetILNS1_3genE5ELNS1_11target_archE942ELNS1_3gpuE9ELNS1_3repE0EEENS1_30default_config_static_selectorELNS0_4arch9wavefront6targetE0EEEvT1_.kd
    .uniform_work_group_size: 1
    .uses_dynamic_stack: false
    .vgpr_count:     0
    .vgpr_spill_count: 0
    .wavefront_size: 32
  - .args:
      - .offset:         0
        .size:           128
        .value_kind:     by_value
    .group_segment_fixed_size: 0
    .kernarg_segment_align: 8
    .kernarg_segment_size: 128
    .language:       OpenCL C
    .language_version:
      - 2
      - 0
    .max_flat_workgroup_size: 256
    .name:           _ZN7rocprim17ROCPRIM_400000_NS6detail17trampoline_kernelINS0_14default_configENS1_25partition_config_selectorILNS1_17partition_subalgoE8EiNS0_10empty_typeEbEEZZNS1_14partition_implILS5_8ELb0ES3_jPKiPS6_PKS6_NS0_5tupleIJPiS6_EEENSE_IJSB_SB_EEENS0_18inequality_wrapperIN6hipcub16HIPCUB_304000_NS8EqualityEEEPlJS6_EEE10hipError_tPvRmT3_T4_T5_T6_T7_T9_mT8_P12ihipStream_tbDpT10_ENKUlT_T0_E_clISt17integral_constantIbLb1EES17_EEDaS12_S13_EUlS12_E_NS1_11comp_targetILNS1_3genE4ELNS1_11target_archE910ELNS1_3gpuE8ELNS1_3repE0EEENS1_30default_config_static_selectorELNS0_4arch9wavefront6targetE0EEEvT1_
    .private_segment_fixed_size: 0
    .sgpr_count:     0
    .sgpr_spill_count: 0
    .symbol:         _ZN7rocprim17ROCPRIM_400000_NS6detail17trampoline_kernelINS0_14default_configENS1_25partition_config_selectorILNS1_17partition_subalgoE8EiNS0_10empty_typeEbEEZZNS1_14partition_implILS5_8ELb0ES3_jPKiPS6_PKS6_NS0_5tupleIJPiS6_EEENSE_IJSB_SB_EEENS0_18inequality_wrapperIN6hipcub16HIPCUB_304000_NS8EqualityEEEPlJS6_EEE10hipError_tPvRmT3_T4_T5_T6_T7_T9_mT8_P12ihipStream_tbDpT10_ENKUlT_T0_E_clISt17integral_constantIbLb1EES17_EEDaS12_S13_EUlS12_E_NS1_11comp_targetILNS1_3genE4ELNS1_11target_archE910ELNS1_3gpuE8ELNS1_3repE0EEENS1_30default_config_static_selectorELNS0_4arch9wavefront6targetE0EEEvT1_.kd
    .uniform_work_group_size: 1
    .uses_dynamic_stack: false
    .vgpr_count:     0
    .vgpr_spill_count: 0
    .wavefront_size: 32
  - .args:
      - .offset:         0
        .size:           128
        .value_kind:     by_value
    .group_segment_fixed_size: 0
    .kernarg_segment_align: 8
    .kernarg_segment_size: 128
    .language:       OpenCL C
    .language_version:
      - 2
      - 0
    .max_flat_workgroup_size: 512
    .name:           _ZN7rocprim17ROCPRIM_400000_NS6detail17trampoline_kernelINS0_14default_configENS1_25partition_config_selectorILNS1_17partition_subalgoE8EiNS0_10empty_typeEbEEZZNS1_14partition_implILS5_8ELb0ES3_jPKiPS6_PKS6_NS0_5tupleIJPiS6_EEENSE_IJSB_SB_EEENS0_18inequality_wrapperIN6hipcub16HIPCUB_304000_NS8EqualityEEEPlJS6_EEE10hipError_tPvRmT3_T4_T5_T6_T7_T9_mT8_P12ihipStream_tbDpT10_ENKUlT_T0_E_clISt17integral_constantIbLb1EES17_EEDaS12_S13_EUlS12_E_NS1_11comp_targetILNS1_3genE3ELNS1_11target_archE908ELNS1_3gpuE7ELNS1_3repE0EEENS1_30default_config_static_selectorELNS0_4arch9wavefront6targetE0EEEvT1_
    .private_segment_fixed_size: 0
    .sgpr_count:     0
    .sgpr_spill_count: 0
    .symbol:         _ZN7rocprim17ROCPRIM_400000_NS6detail17trampoline_kernelINS0_14default_configENS1_25partition_config_selectorILNS1_17partition_subalgoE8EiNS0_10empty_typeEbEEZZNS1_14partition_implILS5_8ELb0ES3_jPKiPS6_PKS6_NS0_5tupleIJPiS6_EEENSE_IJSB_SB_EEENS0_18inequality_wrapperIN6hipcub16HIPCUB_304000_NS8EqualityEEEPlJS6_EEE10hipError_tPvRmT3_T4_T5_T6_T7_T9_mT8_P12ihipStream_tbDpT10_ENKUlT_T0_E_clISt17integral_constantIbLb1EES17_EEDaS12_S13_EUlS12_E_NS1_11comp_targetILNS1_3genE3ELNS1_11target_archE908ELNS1_3gpuE7ELNS1_3repE0EEENS1_30default_config_static_selectorELNS0_4arch9wavefront6targetE0EEEvT1_.kd
    .uniform_work_group_size: 1
    .uses_dynamic_stack: false
    .vgpr_count:     0
    .vgpr_spill_count: 0
    .wavefront_size: 32
  - .args:
      - .offset:         0
        .size:           128
        .value_kind:     by_value
    .group_segment_fixed_size: 0
    .kernarg_segment_align: 8
    .kernarg_segment_size: 128
    .language:       OpenCL C
    .language_version:
      - 2
      - 0
    .max_flat_workgroup_size: 256
    .name:           _ZN7rocprim17ROCPRIM_400000_NS6detail17trampoline_kernelINS0_14default_configENS1_25partition_config_selectorILNS1_17partition_subalgoE8EiNS0_10empty_typeEbEEZZNS1_14partition_implILS5_8ELb0ES3_jPKiPS6_PKS6_NS0_5tupleIJPiS6_EEENSE_IJSB_SB_EEENS0_18inequality_wrapperIN6hipcub16HIPCUB_304000_NS8EqualityEEEPlJS6_EEE10hipError_tPvRmT3_T4_T5_T6_T7_T9_mT8_P12ihipStream_tbDpT10_ENKUlT_T0_E_clISt17integral_constantIbLb1EES17_EEDaS12_S13_EUlS12_E_NS1_11comp_targetILNS1_3genE2ELNS1_11target_archE906ELNS1_3gpuE6ELNS1_3repE0EEENS1_30default_config_static_selectorELNS0_4arch9wavefront6targetE0EEEvT1_
    .private_segment_fixed_size: 0
    .sgpr_count:     0
    .sgpr_spill_count: 0
    .symbol:         _ZN7rocprim17ROCPRIM_400000_NS6detail17trampoline_kernelINS0_14default_configENS1_25partition_config_selectorILNS1_17partition_subalgoE8EiNS0_10empty_typeEbEEZZNS1_14partition_implILS5_8ELb0ES3_jPKiPS6_PKS6_NS0_5tupleIJPiS6_EEENSE_IJSB_SB_EEENS0_18inequality_wrapperIN6hipcub16HIPCUB_304000_NS8EqualityEEEPlJS6_EEE10hipError_tPvRmT3_T4_T5_T6_T7_T9_mT8_P12ihipStream_tbDpT10_ENKUlT_T0_E_clISt17integral_constantIbLb1EES17_EEDaS12_S13_EUlS12_E_NS1_11comp_targetILNS1_3genE2ELNS1_11target_archE906ELNS1_3gpuE6ELNS1_3repE0EEENS1_30default_config_static_selectorELNS0_4arch9wavefront6targetE0EEEvT1_.kd
    .uniform_work_group_size: 1
    .uses_dynamic_stack: false
    .vgpr_count:     0
    .vgpr_spill_count: 0
    .wavefront_size: 32
  - .args:
      - .offset:         0
        .size:           128
        .value_kind:     by_value
    .group_segment_fixed_size: 0
    .kernarg_segment_align: 8
    .kernarg_segment_size: 128
    .language:       OpenCL C
    .language_version:
      - 2
      - 0
    .max_flat_workgroup_size: 384
    .name:           _ZN7rocprim17ROCPRIM_400000_NS6detail17trampoline_kernelINS0_14default_configENS1_25partition_config_selectorILNS1_17partition_subalgoE8EiNS0_10empty_typeEbEEZZNS1_14partition_implILS5_8ELb0ES3_jPKiPS6_PKS6_NS0_5tupleIJPiS6_EEENSE_IJSB_SB_EEENS0_18inequality_wrapperIN6hipcub16HIPCUB_304000_NS8EqualityEEEPlJS6_EEE10hipError_tPvRmT3_T4_T5_T6_T7_T9_mT8_P12ihipStream_tbDpT10_ENKUlT_T0_E_clISt17integral_constantIbLb1EES17_EEDaS12_S13_EUlS12_E_NS1_11comp_targetILNS1_3genE10ELNS1_11target_archE1200ELNS1_3gpuE4ELNS1_3repE0EEENS1_30default_config_static_selectorELNS0_4arch9wavefront6targetE0EEEvT1_
    .private_segment_fixed_size: 0
    .sgpr_count:     0
    .sgpr_spill_count: 0
    .symbol:         _ZN7rocprim17ROCPRIM_400000_NS6detail17trampoline_kernelINS0_14default_configENS1_25partition_config_selectorILNS1_17partition_subalgoE8EiNS0_10empty_typeEbEEZZNS1_14partition_implILS5_8ELb0ES3_jPKiPS6_PKS6_NS0_5tupleIJPiS6_EEENSE_IJSB_SB_EEENS0_18inequality_wrapperIN6hipcub16HIPCUB_304000_NS8EqualityEEEPlJS6_EEE10hipError_tPvRmT3_T4_T5_T6_T7_T9_mT8_P12ihipStream_tbDpT10_ENKUlT_T0_E_clISt17integral_constantIbLb1EES17_EEDaS12_S13_EUlS12_E_NS1_11comp_targetILNS1_3genE10ELNS1_11target_archE1200ELNS1_3gpuE4ELNS1_3repE0EEENS1_30default_config_static_selectorELNS0_4arch9wavefront6targetE0EEEvT1_.kd
    .uniform_work_group_size: 1
    .uses_dynamic_stack: false
    .vgpr_count:     0
    .vgpr_spill_count: 0
    .wavefront_size: 32
  - .args:
      - .offset:         0
        .size:           128
        .value_kind:     by_value
    .group_segment_fixed_size: 0
    .kernarg_segment_align: 8
    .kernarg_segment_size: 128
    .language:       OpenCL C
    .language_version:
      - 2
      - 0
    .max_flat_workgroup_size: 384
    .name:           _ZN7rocprim17ROCPRIM_400000_NS6detail17trampoline_kernelINS0_14default_configENS1_25partition_config_selectorILNS1_17partition_subalgoE8EiNS0_10empty_typeEbEEZZNS1_14partition_implILS5_8ELb0ES3_jPKiPS6_PKS6_NS0_5tupleIJPiS6_EEENSE_IJSB_SB_EEENS0_18inequality_wrapperIN6hipcub16HIPCUB_304000_NS8EqualityEEEPlJS6_EEE10hipError_tPvRmT3_T4_T5_T6_T7_T9_mT8_P12ihipStream_tbDpT10_ENKUlT_T0_E_clISt17integral_constantIbLb1EES17_EEDaS12_S13_EUlS12_E_NS1_11comp_targetILNS1_3genE9ELNS1_11target_archE1100ELNS1_3gpuE3ELNS1_3repE0EEENS1_30default_config_static_selectorELNS0_4arch9wavefront6targetE0EEEvT1_
    .private_segment_fixed_size: 0
    .sgpr_count:     0
    .sgpr_spill_count: 0
    .symbol:         _ZN7rocprim17ROCPRIM_400000_NS6detail17trampoline_kernelINS0_14default_configENS1_25partition_config_selectorILNS1_17partition_subalgoE8EiNS0_10empty_typeEbEEZZNS1_14partition_implILS5_8ELb0ES3_jPKiPS6_PKS6_NS0_5tupleIJPiS6_EEENSE_IJSB_SB_EEENS0_18inequality_wrapperIN6hipcub16HIPCUB_304000_NS8EqualityEEEPlJS6_EEE10hipError_tPvRmT3_T4_T5_T6_T7_T9_mT8_P12ihipStream_tbDpT10_ENKUlT_T0_E_clISt17integral_constantIbLb1EES17_EEDaS12_S13_EUlS12_E_NS1_11comp_targetILNS1_3genE9ELNS1_11target_archE1100ELNS1_3gpuE3ELNS1_3repE0EEENS1_30default_config_static_selectorELNS0_4arch9wavefront6targetE0EEEvT1_.kd
    .uniform_work_group_size: 1
    .uses_dynamic_stack: false
    .vgpr_count:     0
    .vgpr_spill_count: 0
    .wavefront_size: 32
  - .args:
      - .offset:         0
        .size:           128
        .value_kind:     by_value
    .group_segment_fixed_size: 0
    .kernarg_segment_align: 8
    .kernarg_segment_size: 128
    .language:       OpenCL C
    .language_version:
      - 2
      - 0
    .max_flat_workgroup_size: 512
    .name:           _ZN7rocprim17ROCPRIM_400000_NS6detail17trampoline_kernelINS0_14default_configENS1_25partition_config_selectorILNS1_17partition_subalgoE8EiNS0_10empty_typeEbEEZZNS1_14partition_implILS5_8ELb0ES3_jPKiPS6_PKS6_NS0_5tupleIJPiS6_EEENSE_IJSB_SB_EEENS0_18inequality_wrapperIN6hipcub16HIPCUB_304000_NS8EqualityEEEPlJS6_EEE10hipError_tPvRmT3_T4_T5_T6_T7_T9_mT8_P12ihipStream_tbDpT10_ENKUlT_T0_E_clISt17integral_constantIbLb1EES17_EEDaS12_S13_EUlS12_E_NS1_11comp_targetILNS1_3genE8ELNS1_11target_archE1030ELNS1_3gpuE2ELNS1_3repE0EEENS1_30default_config_static_selectorELNS0_4arch9wavefront6targetE0EEEvT1_
    .private_segment_fixed_size: 0
    .sgpr_count:     0
    .sgpr_spill_count: 0
    .symbol:         _ZN7rocprim17ROCPRIM_400000_NS6detail17trampoline_kernelINS0_14default_configENS1_25partition_config_selectorILNS1_17partition_subalgoE8EiNS0_10empty_typeEbEEZZNS1_14partition_implILS5_8ELb0ES3_jPKiPS6_PKS6_NS0_5tupleIJPiS6_EEENSE_IJSB_SB_EEENS0_18inequality_wrapperIN6hipcub16HIPCUB_304000_NS8EqualityEEEPlJS6_EEE10hipError_tPvRmT3_T4_T5_T6_T7_T9_mT8_P12ihipStream_tbDpT10_ENKUlT_T0_E_clISt17integral_constantIbLb1EES17_EEDaS12_S13_EUlS12_E_NS1_11comp_targetILNS1_3genE8ELNS1_11target_archE1030ELNS1_3gpuE2ELNS1_3repE0EEENS1_30default_config_static_selectorELNS0_4arch9wavefront6targetE0EEEvT1_.kd
    .uniform_work_group_size: 1
    .uses_dynamic_stack: false
    .vgpr_count:     0
    .vgpr_spill_count: 0
    .wavefront_size: 32
  - .args:
      - .offset:         0
        .size:           112
        .value_kind:     by_value
    .group_segment_fixed_size: 0
    .kernarg_segment_align: 8
    .kernarg_segment_size: 112
    .language:       OpenCL C
    .language_version:
      - 2
      - 0
    .max_flat_workgroup_size: 512
    .name:           _ZN7rocprim17ROCPRIM_400000_NS6detail17trampoline_kernelINS0_14default_configENS1_25partition_config_selectorILNS1_17partition_subalgoE8EiNS0_10empty_typeEbEEZZNS1_14partition_implILS5_8ELb0ES3_jPKiPS6_PKS6_NS0_5tupleIJPiS6_EEENSE_IJSB_SB_EEENS0_18inequality_wrapperIN6hipcub16HIPCUB_304000_NS8EqualityEEEPlJS6_EEE10hipError_tPvRmT3_T4_T5_T6_T7_T9_mT8_P12ihipStream_tbDpT10_ENKUlT_T0_E_clISt17integral_constantIbLb1EES16_IbLb0EEEEDaS12_S13_EUlS12_E_NS1_11comp_targetILNS1_3genE0ELNS1_11target_archE4294967295ELNS1_3gpuE0ELNS1_3repE0EEENS1_30default_config_static_selectorELNS0_4arch9wavefront6targetE0EEEvT1_
    .private_segment_fixed_size: 0
    .sgpr_count:     0
    .sgpr_spill_count: 0
    .symbol:         _ZN7rocprim17ROCPRIM_400000_NS6detail17trampoline_kernelINS0_14default_configENS1_25partition_config_selectorILNS1_17partition_subalgoE8EiNS0_10empty_typeEbEEZZNS1_14partition_implILS5_8ELb0ES3_jPKiPS6_PKS6_NS0_5tupleIJPiS6_EEENSE_IJSB_SB_EEENS0_18inequality_wrapperIN6hipcub16HIPCUB_304000_NS8EqualityEEEPlJS6_EEE10hipError_tPvRmT3_T4_T5_T6_T7_T9_mT8_P12ihipStream_tbDpT10_ENKUlT_T0_E_clISt17integral_constantIbLb1EES16_IbLb0EEEEDaS12_S13_EUlS12_E_NS1_11comp_targetILNS1_3genE0ELNS1_11target_archE4294967295ELNS1_3gpuE0ELNS1_3repE0EEENS1_30default_config_static_selectorELNS0_4arch9wavefront6targetE0EEEvT1_.kd
    .uniform_work_group_size: 1
    .uses_dynamic_stack: false
    .vgpr_count:     0
    .vgpr_spill_count: 0
    .wavefront_size: 32
  - .args:
      - .offset:         0
        .size:           112
        .value_kind:     by_value
    .group_segment_fixed_size: 0
    .kernarg_segment_align: 8
    .kernarg_segment_size: 112
    .language:       OpenCL C
    .language_version:
      - 2
      - 0
    .max_flat_workgroup_size: 512
    .name:           _ZN7rocprim17ROCPRIM_400000_NS6detail17trampoline_kernelINS0_14default_configENS1_25partition_config_selectorILNS1_17partition_subalgoE8EiNS0_10empty_typeEbEEZZNS1_14partition_implILS5_8ELb0ES3_jPKiPS6_PKS6_NS0_5tupleIJPiS6_EEENSE_IJSB_SB_EEENS0_18inequality_wrapperIN6hipcub16HIPCUB_304000_NS8EqualityEEEPlJS6_EEE10hipError_tPvRmT3_T4_T5_T6_T7_T9_mT8_P12ihipStream_tbDpT10_ENKUlT_T0_E_clISt17integral_constantIbLb1EES16_IbLb0EEEEDaS12_S13_EUlS12_E_NS1_11comp_targetILNS1_3genE5ELNS1_11target_archE942ELNS1_3gpuE9ELNS1_3repE0EEENS1_30default_config_static_selectorELNS0_4arch9wavefront6targetE0EEEvT1_
    .private_segment_fixed_size: 0
    .sgpr_count:     0
    .sgpr_spill_count: 0
    .symbol:         _ZN7rocprim17ROCPRIM_400000_NS6detail17trampoline_kernelINS0_14default_configENS1_25partition_config_selectorILNS1_17partition_subalgoE8EiNS0_10empty_typeEbEEZZNS1_14partition_implILS5_8ELb0ES3_jPKiPS6_PKS6_NS0_5tupleIJPiS6_EEENSE_IJSB_SB_EEENS0_18inequality_wrapperIN6hipcub16HIPCUB_304000_NS8EqualityEEEPlJS6_EEE10hipError_tPvRmT3_T4_T5_T6_T7_T9_mT8_P12ihipStream_tbDpT10_ENKUlT_T0_E_clISt17integral_constantIbLb1EES16_IbLb0EEEEDaS12_S13_EUlS12_E_NS1_11comp_targetILNS1_3genE5ELNS1_11target_archE942ELNS1_3gpuE9ELNS1_3repE0EEENS1_30default_config_static_selectorELNS0_4arch9wavefront6targetE0EEEvT1_.kd
    .uniform_work_group_size: 1
    .uses_dynamic_stack: false
    .vgpr_count:     0
    .vgpr_spill_count: 0
    .wavefront_size: 32
  - .args:
      - .offset:         0
        .size:           112
        .value_kind:     by_value
    .group_segment_fixed_size: 0
    .kernarg_segment_align: 8
    .kernarg_segment_size: 112
    .language:       OpenCL C
    .language_version:
      - 2
      - 0
    .max_flat_workgroup_size: 256
    .name:           _ZN7rocprim17ROCPRIM_400000_NS6detail17trampoline_kernelINS0_14default_configENS1_25partition_config_selectorILNS1_17partition_subalgoE8EiNS0_10empty_typeEbEEZZNS1_14partition_implILS5_8ELb0ES3_jPKiPS6_PKS6_NS0_5tupleIJPiS6_EEENSE_IJSB_SB_EEENS0_18inequality_wrapperIN6hipcub16HIPCUB_304000_NS8EqualityEEEPlJS6_EEE10hipError_tPvRmT3_T4_T5_T6_T7_T9_mT8_P12ihipStream_tbDpT10_ENKUlT_T0_E_clISt17integral_constantIbLb1EES16_IbLb0EEEEDaS12_S13_EUlS12_E_NS1_11comp_targetILNS1_3genE4ELNS1_11target_archE910ELNS1_3gpuE8ELNS1_3repE0EEENS1_30default_config_static_selectorELNS0_4arch9wavefront6targetE0EEEvT1_
    .private_segment_fixed_size: 0
    .sgpr_count:     0
    .sgpr_spill_count: 0
    .symbol:         _ZN7rocprim17ROCPRIM_400000_NS6detail17trampoline_kernelINS0_14default_configENS1_25partition_config_selectorILNS1_17partition_subalgoE8EiNS0_10empty_typeEbEEZZNS1_14partition_implILS5_8ELb0ES3_jPKiPS6_PKS6_NS0_5tupleIJPiS6_EEENSE_IJSB_SB_EEENS0_18inequality_wrapperIN6hipcub16HIPCUB_304000_NS8EqualityEEEPlJS6_EEE10hipError_tPvRmT3_T4_T5_T6_T7_T9_mT8_P12ihipStream_tbDpT10_ENKUlT_T0_E_clISt17integral_constantIbLb1EES16_IbLb0EEEEDaS12_S13_EUlS12_E_NS1_11comp_targetILNS1_3genE4ELNS1_11target_archE910ELNS1_3gpuE8ELNS1_3repE0EEENS1_30default_config_static_selectorELNS0_4arch9wavefront6targetE0EEEvT1_.kd
    .uniform_work_group_size: 1
    .uses_dynamic_stack: false
    .vgpr_count:     0
    .vgpr_spill_count: 0
    .wavefront_size: 32
  - .args:
      - .offset:         0
        .size:           112
        .value_kind:     by_value
    .group_segment_fixed_size: 0
    .kernarg_segment_align: 8
    .kernarg_segment_size: 112
    .language:       OpenCL C
    .language_version:
      - 2
      - 0
    .max_flat_workgroup_size: 512
    .name:           _ZN7rocprim17ROCPRIM_400000_NS6detail17trampoline_kernelINS0_14default_configENS1_25partition_config_selectorILNS1_17partition_subalgoE8EiNS0_10empty_typeEbEEZZNS1_14partition_implILS5_8ELb0ES3_jPKiPS6_PKS6_NS0_5tupleIJPiS6_EEENSE_IJSB_SB_EEENS0_18inequality_wrapperIN6hipcub16HIPCUB_304000_NS8EqualityEEEPlJS6_EEE10hipError_tPvRmT3_T4_T5_T6_T7_T9_mT8_P12ihipStream_tbDpT10_ENKUlT_T0_E_clISt17integral_constantIbLb1EES16_IbLb0EEEEDaS12_S13_EUlS12_E_NS1_11comp_targetILNS1_3genE3ELNS1_11target_archE908ELNS1_3gpuE7ELNS1_3repE0EEENS1_30default_config_static_selectorELNS0_4arch9wavefront6targetE0EEEvT1_
    .private_segment_fixed_size: 0
    .sgpr_count:     0
    .sgpr_spill_count: 0
    .symbol:         _ZN7rocprim17ROCPRIM_400000_NS6detail17trampoline_kernelINS0_14default_configENS1_25partition_config_selectorILNS1_17partition_subalgoE8EiNS0_10empty_typeEbEEZZNS1_14partition_implILS5_8ELb0ES3_jPKiPS6_PKS6_NS0_5tupleIJPiS6_EEENSE_IJSB_SB_EEENS0_18inequality_wrapperIN6hipcub16HIPCUB_304000_NS8EqualityEEEPlJS6_EEE10hipError_tPvRmT3_T4_T5_T6_T7_T9_mT8_P12ihipStream_tbDpT10_ENKUlT_T0_E_clISt17integral_constantIbLb1EES16_IbLb0EEEEDaS12_S13_EUlS12_E_NS1_11comp_targetILNS1_3genE3ELNS1_11target_archE908ELNS1_3gpuE7ELNS1_3repE0EEENS1_30default_config_static_selectorELNS0_4arch9wavefront6targetE0EEEvT1_.kd
    .uniform_work_group_size: 1
    .uses_dynamic_stack: false
    .vgpr_count:     0
    .vgpr_spill_count: 0
    .wavefront_size: 32
  - .args:
      - .offset:         0
        .size:           112
        .value_kind:     by_value
    .group_segment_fixed_size: 0
    .kernarg_segment_align: 8
    .kernarg_segment_size: 112
    .language:       OpenCL C
    .language_version:
      - 2
      - 0
    .max_flat_workgroup_size: 256
    .name:           _ZN7rocprim17ROCPRIM_400000_NS6detail17trampoline_kernelINS0_14default_configENS1_25partition_config_selectorILNS1_17partition_subalgoE8EiNS0_10empty_typeEbEEZZNS1_14partition_implILS5_8ELb0ES3_jPKiPS6_PKS6_NS0_5tupleIJPiS6_EEENSE_IJSB_SB_EEENS0_18inequality_wrapperIN6hipcub16HIPCUB_304000_NS8EqualityEEEPlJS6_EEE10hipError_tPvRmT3_T4_T5_T6_T7_T9_mT8_P12ihipStream_tbDpT10_ENKUlT_T0_E_clISt17integral_constantIbLb1EES16_IbLb0EEEEDaS12_S13_EUlS12_E_NS1_11comp_targetILNS1_3genE2ELNS1_11target_archE906ELNS1_3gpuE6ELNS1_3repE0EEENS1_30default_config_static_selectorELNS0_4arch9wavefront6targetE0EEEvT1_
    .private_segment_fixed_size: 0
    .sgpr_count:     0
    .sgpr_spill_count: 0
    .symbol:         _ZN7rocprim17ROCPRIM_400000_NS6detail17trampoline_kernelINS0_14default_configENS1_25partition_config_selectorILNS1_17partition_subalgoE8EiNS0_10empty_typeEbEEZZNS1_14partition_implILS5_8ELb0ES3_jPKiPS6_PKS6_NS0_5tupleIJPiS6_EEENSE_IJSB_SB_EEENS0_18inequality_wrapperIN6hipcub16HIPCUB_304000_NS8EqualityEEEPlJS6_EEE10hipError_tPvRmT3_T4_T5_T6_T7_T9_mT8_P12ihipStream_tbDpT10_ENKUlT_T0_E_clISt17integral_constantIbLb1EES16_IbLb0EEEEDaS12_S13_EUlS12_E_NS1_11comp_targetILNS1_3genE2ELNS1_11target_archE906ELNS1_3gpuE6ELNS1_3repE0EEENS1_30default_config_static_selectorELNS0_4arch9wavefront6targetE0EEEvT1_.kd
    .uniform_work_group_size: 1
    .uses_dynamic_stack: false
    .vgpr_count:     0
    .vgpr_spill_count: 0
    .wavefront_size: 32
  - .args:
      - .offset:         0
        .size:           112
        .value_kind:     by_value
    .group_segment_fixed_size: 0
    .kernarg_segment_align: 8
    .kernarg_segment_size: 112
    .language:       OpenCL C
    .language_version:
      - 2
      - 0
    .max_flat_workgroup_size: 384
    .name:           _ZN7rocprim17ROCPRIM_400000_NS6detail17trampoline_kernelINS0_14default_configENS1_25partition_config_selectorILNS1_17partition_subalgoE8EiNS0_10empty_typeEbEEZZNS1_14partition_implILS5_8ELb0ES3_jPKiPS6_PKS6_NS0_5tupleIJPiS6_EEENSE_IJSB_SB_EEENS0_18inequality_wrapperIN6hipcub16HIPCUB_304000_NS8EqualityEEEPlJS6_EEE10hipError_tPvRmT3_T4_T5_T6_T7_T9_mT8_P12ihipStream_tbDpT10_ENKUlT_T0_E_clISt17integral_constantIbLb1EES16_IbLb0EEEEDaS12_S13_EUlS12_E_NS1_11comp_targetILNS1_3genE10ELNS1_11target_archE1200ELNS1_3gpuE4ELNS1_3repE0EEENS1_30default_config_static_selectorELNS0_4arch9wavefront6targetE0EEEvT1_
    .private_segment_fixed_size: 0
    .sgpr_count:     0
    .sgpr_spill_count: 0
    .symbol:         _ZN7rocprim17ROCPRIM_400000_NS6detail17trampoline_kernelINS0_14default_configENS1_25partition_config_selectorILNS1_17partition_subalgoE8EiNS0_10empty_typeEbEEZZNS1_14partition_implILS5_8ELb0ES3_jPKiPS6_PKS6_NS0_5tupleIJPiS6_EEENSE_IJSB_SB_EEENS0_18inequality_wrapperIN6hipcub16HIPCUB_304000_NS8EqualityEEEPlJS6_EEE10hipError_tPvRmT3_T4_T5_T6_T7_T9_mT8_P12ihipStream_tbDpT10_ENKUlT_T0_E_clISt17integral_constantIbLb1EES16_IbLb0EEEEDaS12_S13_EUlS12_E_NS1_11comp_targetILNS1_3genE10ELNS1_11target_archE1200ELNS1_3gpuE4ELNS1_3repE0EEENS1_30default_config_static_selectorELNS0_4arch9wavefront6targetE0EEEvT1_.kd
    .uniform_work_group_size: 1
    .uses_dynamic_stack: false
    .vgpr_count:     0
    .vgpr_spill_count: 0
    .wavefront_size: 32
  - .args:
      - .offset:         0
        .size:           112
        .value_kind:     by_value
    .group_segment_fixed_size: 0
    .kernarg_segment_align: 8
    .kernarg_segment_size: 112
    .language:       OpenCL C
    .language_version:
      - 2
      - 0
    .max_flat_workgroup_size: 384
    .name:           _ZN7rocprim17ROCPRIM_400000_NS6detail17trampoline_kernelINS0_14default_configENS1_25partition_config_selectorILNS1_17partition_subalgoE8EiNS0_10empty_typeEbEEZZNS1_14partition_implILS5_8ELb0ES3_jPKiPS6_PKS6_NS0_5tupleIJPiS6_EEENSE_IJSB_SB_EEENS0_18inequality_wrapperIN6hipcub16HIPCUB_304000_NS8EqualityEEEPlJS6_EEE10hipError_tPvRmT3_T4_T5_T6_T7_T9_mT8_P12ihipStream_tbDpT10_ENKUlT_T0_E_clISt17integral_constantIbLb1EES16_IbLb0EEEEDaS12_S13_EUlS12_E_NS1_11comp_targetILNS1_3genE9ELNS1_11target_archE1100ELNS1_3gpuE3ELNS1_3repE0EEENS1_30default_config_static_selectorELNS0_4arch9wavefront6targetE0EEEvT1_
    .private_segment_fixed_size: 0
    .sgpr_count:     0
    .sgpr_spill_count: 0
    .symbol:         _ZN7rocprim17ROCPRIM_400000_NS6detail17trampoline_kernelINS0_14default_configENS1_25partition_config_selectorILNS1_17partition_subalgoE8EiNS0_10empty_typeEbEEZZNS1_14partition_implILS5_8ELb0ES3_jPKiPS6_PKS6_NS0_5tupleIJPiS6_EEENSE_IJSB_SB_EEENS0_18inequality_wrapperIN6hipcub16HIPCUB_304000_NS8EqualityEEEPlJS6_EEE10hipError_tPvRmT3_T4_T5_T6_T7_T9_mT8_P12ihipStream_tbDpT10_ENKUlT_T0_E_clISt17integral_constantIbLb1EES16_IbLb0EEEEDaS12_S13_EUlS12_E_NS1_11comp_targetILNS1_3genE9ELNS1_11target_archE1100ELNS1_3gpuE3ELNS1_3repE0EEENS1_30default_config_static_selectorELNS0_4arch9wavefront6targetE0EEEvT1_.kd
    .uniform_work_group_size: 1
    .uses_dynamic_stack: false
    .vgpr_count:     0
    .vgpr_spill_count: 0
    .wavefront_size: 32
  - .args:
      - .offset:         0
        .size:           112
        .value_kind:     by_value
    .group_segment_fixed_size: 0
    .kernarg_segment_align: 8
    .kernarg_segment_size: 112
    .language:       OpenCL C
    .language_version:
      - 2
      - 0
    .max_flat_workgroup_size: 512
    .name:           _ZN7rocprim17ROCPRIM_400000_NS6detail17trampoline_kernelINS0_14default_configENS1_25partition_config_selectorILNS1_17partition_subalgoE8EiNS0_10empty_typeEbEEZZNS1_14partition_implILS5_8ELb0ES3_jPKiPS6_PKS6_NS0_5tupleIJPiS6_EEENSE_IJSB_SB_EEENS0_18inequality_wrapperIN6hipcub16HIPCUB_304000_NS8EqualityEEEPlJS6_EEE10hipError_tPvRmT3_T4_T5_T6_T7_T9_mT8_P12ihipStream_tbDpT10_ENKUlT_T0_E_clISt17integral_constantIbLb1EES16_IbLb0EEEEDaS12_S13_EUlS12_E_NS1_11comp_targetILNS1_3genE8ELNS1_11target_archE1030ELNS1_3gpuE2ELNS1_3repE0EEENS1_30default_config_static_selectorELNS0_4arch9wavefront6targetE0EEEvT1_
    .private_segment_fixed_size: 0
    .sgpr_count:     0
    .sgpr_spill_count: 0
    .symbol:         _ZN7rocprim17ROCPRIM_400000_NS6detail17trampoline_kernelINS0_14default_configENS1_25partition_config_selectorILNS1_17partition_subalgoE8EiNS0_10empty_typeEbEEZZNS1_14partition_implILS5_8ELb0ES3_jPKiPS6_PKS6_NS0_5tupleIJPiS6_EEENSE_IJSB_SB_EEENS0_18inequality_wrapperIN6hipcub16HIPCUB_304000_NS8EqualityEEEPlJS6_EEE10hipError_tPvRmT3_T4_T5_T6_T7_T9_mT8_P12ihipStream_tbDpT10_ENKUlT_T0_E_clISt17integral_constantIbLb1EES16_IbLb0EEEEDaS12_S13_EUlS12_E_NS1_11comp_targetILNS1_3genE8ELNS1_11target_archE1030ELNS1_3gpuE2ELNS1_3repE0EEENS1_30default_config_static_selectorELNS0_4arch9wavefront6targetE0EEEvT1_.kd
    .uniform_work_group_size: 1
    .uses_dynamic_stack: false
    .vgpr_count:     0
    .vgpr_spill_count: 0
    .wavefront_size: 32
  - .args:
      - .offset:         0
        .size:           128
        .value_kind:     by_value
    .group_segment_fixed_size: 22536
    .kernarg_segment_align: 8
    .kernarg_segment_size: 128
    .language:       OpenCL C
    .language_version:
      - 2
      - 0
    .max_flat_workgroup_size: 512
    .name:           _ZN7rocprim17ROCPRIM_400000_NS6detail17trampoline_kernelINS0_14default_configENS1_25partition_config_selectorILNS1_17partition_subalgoE8EiNS0_10empty_typeEbEEZZNS1_14partition_implILS5_8ELb0ES3_jPKiPS6_PKS6_NS0_5tupleIJPiS6_EEENSE_IJSB_SB_EEENS0_18inequality_wrapperIN6hipcub16HIPCUB_304000_NS8EqualityEEEPlJS6_EEE10hipError_tPvRmT3_T4_T5_T6_T7_T9_mT8_P12ihipStream_tbDpT10_ENKUlT_T0_E_clISt17integral_constantIbLb0EES16_IbLb1EEEEDaS12_S13_EUlS12_E_NS1_11comp_targetILNS1_3genE0ELNS1_11target_archE4294967295ELNS1_3gpuE0ELNS1_3repE0EEENS1_30default_config_static_selectorELNS0_4arch9wavefront6targetE0EEEvT1_
    .private_segment_fixed_size: 0
    .sgpr_count:     34
    .sgpr_spill_count: 0
    .symbol:         _ZN7rocprim17ROCPRIM_400000_NS6detail17trampoline_kernelINS0_14default_configENS1_25partition_config_selectorILNS1_17partition_subalgoE8EiNS0_10empty_typeEbEEZZNS1_14partition_implILS5_8ELb0ES3_jPKiPS6_PKS6_NS0_5tupleIJPiS6_EEENSE_IJSB_SB_EEENS0_18inequality_wrapperIN6hipcub16HIPCUB_304000_NS8EqualityEEEPlJS6_EEE10hipError_tPvRmT3_T4_T5_T6_T7_T9_mT8_P12ihipStream_tbDpT10_ENKUlT_T0_E_clISt17integral_constantIbLb0EES16_IbLb1EEEEDaS12_S13_EUlS12_E_NS1_11comp_targetILNS1_3genE0ELNS1_11target_archE4294967295ELNS1_3gpuE0ELNS1_3repE0EEENS1_30default_config_static_selectorELNS0_4arch9wavefront6targetE0EEEvT1_.kd
    .uniform_work_group_size: 1
    .uses_dynamic_stack: false
    .vgpr_count:     62
    .vgpr_spill_count: 0
    .wavefront_size: 32
  - .args:
      - .offset:         0
        .size:           128
        .value_kind:     by_value
    .group_segment_fixed_size: 0
    .kernarg_segment_align: 8
    .kernarg_segment_size: 128
    .language:       OpenCL C
    .language_version:
      - 2
      - 0
    .max_flat_workgroup_size: 512
    .name:           _ZN7rocprim17ROCPRIM_400000_NS6detail17trampoline_kernelINS0_14default_configENS1_25partition_config_selectorILNS1_17partition_subalgoE8EiNS0_10empty_typeEbEEZZNS1_14partition_implILS5_8ELb0ES3_jPKiPS6_PKS6_NS0_5tupleIJPiS6_EEENSE_IJSB_SB_EEENS0_18inequality_wrapperIN6hipcub16HIPCUB_304000_NS8EqualityEEEPlJS6_EEE10hipError_tPvRmT3_T4_T5_T6_T7_T9_mT8_P12ihipStream_tbDpT10_ENKUlT_T0_E_clISt17integral_constantIbLb0EES16_IbLb1EEEEDaS12_S13_EUlS12_E_NS1_11comp_targetILNS1_3genE5ELNS1_11target_archE942ELNS1_3gpuE9ELNS1_3repE0EEENS1_30default_config_static_selectorELNS0_4arch9wavefront6targetE0EEEvT1_
    .private_segment_fixed_size: 0
    .sgpr_count:     0
    .sgpr_spill_count: 0
    .symbol:         _ZN7rocprim17ROCPRIM_400000_NS6detail17trampoline_kernelINS0_14default_configENS1_25partition_config_selectorILNS1_17partition_subalgoE8EiNS0_10empty_typeEbEEZZNS1_14partition_implILS5_8ELb0ES3_jPKiPS6_PKS6_NS0_5tupleIJPiS6_EEENSE_IJSB_SB_EEENS0_18inequality_wrapperIN6hipcub16HIPCUB_304000_NS8EqualityEEEPlJS6_EEE10hipError_tPvRmT3_T4_T5_T6_T7_T9_mT8_P12ihipStream_tbDpT10_ENKUlT_T0_E_clISt17integral_constantIbLb0EES16_IbLb1EEEEDaS12_S13_EUlS12_E_NS1_11comp_targetILNS1_3genE5ELNS1_11target_archE942ELNS1_3gpuE9ELNS1_3repE0EEENS1_30default_config_static_selectorELNS0_4arch9wavefront6targetE0EEEvT1_.kd
    .uniform_work_group_size: 1
    .uses_dynamic_stack: false
    .vgpr_count:     0
    .vgpr_spill_count: 0
    .wavefront_size: 32
  - .args:
      - .offset:         0
        .size:           128
        .value_kind:     by_value
    .group_segment_fixed_size: 0
    .kernarg_segment_align: 8
    .kernarg_segment_size: 128
    .language:       OpenCL C
    .language_version:
      - 2
      - 0
    .max_flat_workgroup_size: 256
    .name:           _ZN7rocprim17ROCPRIM_400000_NS6detail17trampoline_kernelINS0_14default_configENS1_25partition_config_selectorILNS1_17partition_subalgoE8EiNS0_10empty_typeEbEEZZNS1_14partition_implILS5_8ELb0ES3_jPKiPS6_PKS6_NS0_5tupleIJPiS6_EEENSE_IJSB_SB_EEENS0_18inequality_wrapperIN6hipcub16HIPCUB_304000_NS8EqualityEEEPlJS6_EEE10hipError_tPvRmT3_T4_T5_T6_T7_T9_mT8_P12ihipStream_tbDpT10_ENKUlT_T0_E_clISt17integral_constantIbLb0EES16_IbLb1EEEEDaS12_S13_EUlS12_E_NS1_11comp_targetILNS1_3genE4ELNS1_11target_archE910ELNS1_3gpuE8ELNS1_3repE0EEENS1_30default_config_static_selectorELNS0_4arch9wavefront6targetE0EEEvT1_
    .private_segment_fixed_size: 0
    .sgpr_count:     0
    .sgpr_spill_count: 0
    .symbol:         _ZN7rocprim17ROCPRIM_400000_NS6detail17trampoline_kernelINS0_14default_configENS1_25partition_config_selectorILNS1_17partition_subalgoE8EiNS0_10empty_typeEbEEZZNS1_14partition_implILS5_8ELb0ES3_jPKiPS6_PKS6_NS0_5tupleIJPiS6_EEENSE_IJSB_SB_EEENS0_18inequality_wrapperIN6hipcub16HIPCUB_304000_NS8EqualityEEEPlJS6_EEE10hipError_tPvRmT3_T4_T5_T6_T7_T9_mT8_P12ihipStream_tbDpT10_ENKUlT_T0_E_clISt17integral_constantIbLb0EES16_IbLb1EEEEDaS12_S13_EUlS12_E_NS1_11comp_targetILNS1_3genE4ELNS1_11target_archE910ELNS1_3gpuE8ELNS1_3repE0EEENS1_30default_config_static_selectorELNS0_4arch9wavefront6targetE0EEEvT1_.kd
    .uniform_work_group_size: 1
    .uses_dynamic_stack: false
    .vgpr_count:     0
    .vgpr_spill_count: 0
    .wavefront_size: 32
  - .args:
      - .offset:         0
        .size:           128
        .value_kind:     by_value
    .group_segment_fixed_size: 0
    .kernarg_segment_align: 8
    .kernarg_segment_size: 128
    .language:       OpenCL C
    .language_version:
      - 2
      - 0
    .max_flat_workgroup_size: 512
    .name:           _ZN7rocprim17ROCPRIM_400000_NS6detail17trampoline_kernelINS0_14default_configENS1_25partition_config_selectorILNS1_17partition_subalgoE8EiNS0_10empty_typeEbEEZZNS1_14partition_implILS5_8ELb0ES3_jPKiPS6_PKS6_NS0_5tupleIJPiS6_EEENSE_IJSB_SB_EEENS0_18inequality_wrapperIN6hipcub16HIPCUB_304000_NS8EqualityEEEPlJS6_EEE10hipError_tPvRmT3_T4_T5_T6_T7_T9_mT8_P12ihipStream_tbDpT10_ENKUlT_T0_E_clISt17integral_constantIbLb0EES16_IbLb1EEEEDaS12_S13_EUlS12_E_NS1_11comp_targetILNS1_3genE3ELNS1_11target_archE908ELNS1_3gpuE7ELNS1_3repE0EEENS1_30default_config_static_selectorELNS0_4arch9wavefront6targetE0EEEvT1_
    .private_segment_fixed_size: 0
    .sgpr_count:     0
    .sgpr_spill_count: 0
    .symbol:         _ZN7rocprim17ROCPRIM_400000_NS6detail17trampoline_kernelINS0_14default_configENS1_25partition_config_selectorILNS1_17partition_subalgoE8EiNS0_10empty_typeEbEEZZNS1_14partition_implILS5_8ELb0ES3_jPKiPS6_PKS6_NS0_5tupleIJPiS6_EEENSE_IJSB_SB_EEENS0_18inequality_wrapperIN6hipcub16HIPCUB_304000_NS8EqualityEEEPlJS6_EEE10hipError_tPvRmT3_T4_T5_T6_T7_T9_mT8_P12ihipStream_tbDpT10_ENKUlT_T0_E_clISt17integral_constantIbLb0EES16_IbLb1EEEEDaS12_S13_EUlS12_E_NS1_11comp_targetILNS1_3genE3ELNS1_11target_archE908ELNS1_3gpuE7ELNS1_3repE0EEENS1_30default_config_static_selectorELNS0_4arch9wavefront6targetE0EEEvT1_.kd
    .uniform_work_group_size: 1
    .uses_dynamic_stack: false
    .vgpr_count:     0
    .vgpr_spill_count: 0
    .wavefront_size: 32
  - .args:
      - .offset:         0
        .size:           128
        .value_kind:     by_value
    .group_segment_fixed_size: 0
    .kernarg_segment_align: 8
    .kernarg_segment_size: 128
    .language:       OpenCL C
    .language_version:
      - 2
      - 0
    .max_flat_workgroup_size: 256
    .name:           _ZN7rocprim17ROCPRIM_400000_NS6detail17trampoline_kernelINS0_14default_configENS1_25partition_config_selectorILNS1_17partition_subalgoE8EiNS0_10empty_typeEbEEZZNS1_14partition_implILS5_8ELb0ES3_jPKiPS6_PKS6_NS0_5tupleIJPiS6_EEENSE_IJSB_SB_EEENS0_18inequality_wrapperIN6hipcub16HIPCUB_304000_NS8EqualityEEEPlJS6_EEE10hipError_tPvRmT3_T4_T5_T6_T7_T9_mT8_P12ihipStream_tbDpT10_ENKUlT_T0_E_clISt17integral_constantIbLb0EES16_IbLb1EEEEDaS12_S13_EUlS12_E_NS1_11comp_targetILNS1_3genE2ELNS1_11target_archE906ELNS1_3gpuE6ELNS1_3repE0EEENS1_30default_config_static_selectorELNS0_4arch9wavefront6targetE0EEEvT1_
    .private_segment_fixed_size: 0
    .sgpr_count:     0
    .sgpr_spill_count: 0
    .symbol:         _ZN7rocprim17ROCPRIM_400000_NS6detail17trampoline_kernelINS0_14default_configENS1_25partition_config_selectorILNS1_17partition_subalgoE8EiNS0_10empty_typeEbEEZZNS1_14partition_implILS5_8ELb0ES3_jPKiPS6_PKS6_NS0_5tupleIJPiS6_EEENSE_IJSB_SB_EEENS0_18inequality_wrapperIN6hipcub16HIPCUB_304000_NS8EqualityEEEPlJS6_EEE10hipError_tPvRmT3_T4_T5_T6_T7_T9_mT8_P12ihipStream_tbDpT10_ENKUlT_T0_E_clISt17integral_constantIbLb0EES16_IbLb1EEEEDaS12_S13_EUlS12_E_NS1_11comp_targetILNS1_3genE2ELNS1_11target_archE906ELNS1_3gpuE6ELNS1_3repE0EEENS1_30default_config_static_selectorELNS0_4arch9wavefront6targetE0EEEvT1_.kd
    .uniform_work_group_size: 1
    .uses_dynamic_stack: false
    .vgpr_count:     0
    .vgpr_spill_count: 0
    .wavefront_size: 32
  - .args:
      - .offset:         0
        .size:           128
        .value_kind:     by_value
    .group_segment_fixed_size: 0
    .kernarg_segment_align: 8
    .kernarg_segment_size: 128
    .language:       OpenCL C
    .language_version:
      - 2
      - 0
    .max_flat_workgroup_size: 384
    .name:           _ZN7rocprim17ROCPRIM_400000_NS6detail17trampoline_kernelINS0_14default_configENS1_25partition_config_selectorILNS1_17partition_subalgoE8EiNS0_10empty_typeEbEEZZNS1_14partition_implILS5_8ELb0ES3_jPKiPS6_PKS6_NS0_5tupleIJPiS6_EEENSE_IJSB_SB_EEENS0_18inequality_wrapperIN6hipcub16HIPCUB_304000_NS8EqualityEEEPlJS6_EEE10hipError_tPvRmT3_T4_T5_T6_T7_T9_mT8_P12ihipStream_tbDpT10_ENKUlT_T0_E_clISt17integral_constantIbLb0EES16_IbLb1EEEEDaS12_S13_EUlS12_E_NS1_11comp_targetILNS1_3genE10ELNS1_11target_archE1200ELNS1_3gpuE4ELNS1_3repE0EEENS1_30default_config_static_selectorELNS0_4arch9wavefront6targetE0EEEvT1_
    .private_segment_fixed_size: 0
    .sgpr_count:     0
    .sgpr_spill_count: 0
    .symbol:         _ZN7rocprim17ROCPRIM_400000_NS6detail17trampoline_kernelINS0_14default_configENS1_25partition_config_selectorILNS1_17partition_subalgoE8EiNS0_10empty_typeEbEEZZNS1_14partition_implILS5_8ELb0ES3_jPKiPS6_PKS6_NS0_5tupleIJPiS6_EEENSE_IJSB_SB_EEENS0_18inequality_wrapperIN6hipcub16HIPCUB_304000_NS8EqualityEEEPlJS6_EEE10hipError_tPvRmT3_T4_T5_T6_T7_T9_mT8_P12ihipStream_tbDpT10_ENKUlT_T0_E_clISt17integral_constantIbLb0EES16_IbLb1EEEEDaS12_S13_EUlS12_E_NS1_11comp_targetILNS1_3genE10ELNS1_11target_archE1200ELNS1_3gpuE4ELNS1_3repE0EEENS1_30default_config_static_selectorELNS0_4arch9wavefront6targetE0EEEvT1_.kd
    .uniform_work_group_size: 1
    .uses_dynamic_stack: false
    .vgpr_count:     0
    .vgpr_spill_count: 0
    .wavefront_size: 32
  - .args:
      - .offset:         0
        .size:           128
        .value_kind:     by_value
    .group_segment_fixed_size: 0
    .kernarg_segment_align: 8
    .kernarg_segment_size: 128
    .language:       OpenCL C
    .language_version:
      - 2
      - 0
    .max_flat_workgroup_size: 384
    .name:           _ZN7rocprim17ROCPRIM_400000_NS6detail17trampoline_kernelINS0_14default_configENS1_25partition_config_selectorILNS1_17partition_subalgoE8EiNS0_10empty_typeEbEEZZNS1_14partition_implILS5_8ELb0ES3_jPKiPS6_PKS6_NS0_5tupleIJPiS6_EEENSE_IJSB_SB_EEENS0_18inequality_wrapperIN6hipcub16HIPCUB_304000_NS8EqualityEEEPlJS6_EEE10hipError_tPvRmT3_T4_T5_T6_T7_T9_mT8_P12ihipStream_tbDpT10_ENKUlT_T0_E_clISt17integral_constantIbLb0EES16_IbLb1EEEEDaS12_S13_EUlS12_E_NS1_11comp_targetILNS1_3genE9ELNS1_11target_archE1100ELNS1_3gpuE3ELNS1_3repE0EEENS1_30default_config_static_selectorELNS0_4arch9wavefront6targetE0EEEvT1_
    .private_segment_fixed_size: 0
    .sgpr_count:     0
    .sgpr_spill_count: 0
    .symbol:         _ZN7rocprim17ROCPRIM_400000_NS6detail17trampoline_kernelINS0_14default_configENS1_25partition_config_selectorILNS1_17partition_subalgoE8EiNS0_10empty_typeEbEEZZNS1_14partition_implILS5_8ELb0ES3_jPKiPS6_PKS6_NS0_5tupleIJPiS6_EEENSE_IJSB_SB_EEENS0_18inequality_wrapperIN6hipcub16HIPCUB_304000_NS8EqualityEEEPlJS6_EEE10hipError_tPvRmT3_T4_T5_T6_T7_T9_mT8_P12ihipStream_tbDpT10_ENKUlT_T0_E_clISt17integral_constantIbLb0EES16_IbLb1EEEEDaS12_S13_EUlS12_E_NS1_11comp_targetILNS1_3genE9ELNS1_11target_archE1100ELNS1_3gpuE3ELNS1_3repE0EEENS1_30default_config_static_selectorELNS0_4arch9wavefront6targetE0EEEvT1_.kd
    .uniform_work_group_size: 1
    .uses_dynamic_stack: false
    .vgpr_count:     0
    .vgpr_spill_count: 0
    .wavefront_size: 32
  - .args:
      - .offset:         0
        .size:           128
        .value_kind:     by_value
    .group_segment_fixed_size: 0
    .kernarg_segment_align: 8
    .kernarg_segment_size: 128
    .language:       OpenCL C
    .language_version:
      - 2
      - 0
    .max_flat_workgroup_size: 512
    .name:           _ZN7rocprim17ROCPRIM_400000_NS6detail17trampoline_kernelINS0_14default_configENS1_25partition_config_selectorILNS1_17partition_subalgoE8EiNS0_10empty_typeEbEEZZNS1_14partition_implILS5_8ELb0ES3_jPKiPS6_PKS6_NS0_5tupleIJPiS6_EEENSE_IJSB_SB_EEENS0_18inequality_wrapperIN6hipcub16HIPCUB_304000_NS8EqualityEEEPlJS6_EEE10hipError_tPvRmT3_T4_T5_T6_T7_T9_mT8_P12ihipStream_tbDpT10_ENKUlT_T0_E_clISt17integral_constantIbLb0EES16_IbLb1EEEEDaS12_S13_EUlS12_E_NS1_11comp_targetILNS1_3genE8ELNS1_11target_archE1030ELNS1_3gpuE2ELNS1_3repE0EEENS1_30default_config_static_selectorELNS0_4arch9wavefront6targetE0EEEvT1_
    .private_segment_fixed_size: 0
    .sgpr_count:     0
    .sgpr_spill_count: 0
    .symbol:         _ZN7rocprim17ROCPRIM_400000_NS6detail17trampoline_kernelINS0_14default_configENS1_25partition_config_selectorILNS1_17partition_subalgoE8EiNS0_10empty_typeEbEEZZNS1_14partition_implILS5_8ELb0ES3_jPKiPS6_PKS6_NS0_5tupleIJPiS6_EEENSE_IJSB_SB_EEENS0_18inequality_wrapperIN6hipcub16HIPCUB_304000_NS8EqualityEEEPlJS6_EEE10hipError_tPvRmT3_T4_T5_T6_T7_T9_mT8_P12ihipStream_tbDpT10_ENKUlT_T0_E_clISt17integral_constantIbLb0EES16_IbLb1EEEEDaS12_S13_EUlS12_E_NS1_11comp_targetILNS1_3genE8ELNS1_11target_archE1030ELNS1_3gpuE2ELNS1_3repE0EEENS1_30default_config_static_selectorELNS0_4arch9wavefront6targetE0EEEvT1_.kd
    .uniform_work_group_size: 1
    .uses_dynamic_stack: false
    .vgpr_count:     0
    .vgpr_spill_count: 0
    .wavefront_size: 32
  - .args:
      - .offset:         0
        .size:           128
        .value_kind:     by_value
    .group_segment_fixed_size: 14336
    .kernarg_segment_align: 8
    .kernarg_segment_size: 128
    .language:       OpenCL C
    .language_version:
      - 2
      - 0
    .max_flat_workgroup_size: 256
    .name:           _ZN7rocprim17ROCPRIM_400000_NS6detail17trampoline_kernelINS0_14default_configENS1_33run_length_encode_config_selectorIijNS0_4plusIjEEEEZZNS1_33reduce_by_key_impl_wrapped_configILNS1_25lookback_scan_determinismE0ES3_S7_PKiNS0_17constant_iteratorIjlEEPiPlSF_S6_NS0_8equal_toIiEEEE10hipError_tPvRmT2_T3_mT4_T5_T6_T7_T8_P12ihipStream_tbENKUlT_T0_E_clISt17integral_constantIbLb0EESZ_EEDaSU_SV_EUlSU_E_NS1_11comp_targetILNS1_3genE0ELNS1_11target_archE4294967295ELNS1_3gpuE0ELNS1_3repE0EEENS1_30default_config_static_selectorELNS0_4arch9wavefront6targetE0EEEvT1_
    .private_segment_fixed_size: 0
    .sgpr_count:     41
    .sgpr_spill_count: 0
    .symbol:         _ZN7rocprim17ROCPRIM_400000_NS6detail17trampoline_kernelINS0_14default_configENS1_33run_length_encode_config_selectorIijNS0_4plusIjEEEEZZNS1_33reduce_by_key_impl_wrapped_configILNS1_25lookback_scan_determinismE0ES3_S7_PKiNS0_17constant_iteratorIjlEEPiPlSF_S6_NS0_8equal_toIiEEEE10hipError_tPvRmT2_T3_mT4_T5_T6_T7_T8_P12ihipStream_tbENKUlT_T0_E_clISt17integral_constantIbLb0EESZ_EEDaSU_SV_EUlSU_E_NS1_11comp_targetILNS1_3genE0ELNS1_11target_archE4294967295ELNS1_3gpuE0ELNS1_3repE0EEENS1_30default_config_static_selectorELNS0_4arch9wavefront6targetE0EEEvT1_.kd
    .uniform_work_group_size: 1
    .uses_dynamic_stack: false
    .vgpr_count:     102
    .vgpr_spill_count: 0
    .wavefront_size: 32
  - .args:
      - .offset:         0
        .size:           128
        .value_kind:     by_value
    .group_segment_fixed_size: 0
    .kernarg_segment_align: 8
    .kernarg_segment_size: 128
    .language:       OpenCL C
    .language_version:
      - 2
      - 0
    .max_flat_workgroup_size: 512
    .name:           _ZN7rocprim17ROCPRIM_400000_NS6detail17trampoline_kernelINS0_14default_configENS1_33run_length_encode_config_selectorIijNS0_4plusIjEEEEZZNS1_33reduce_by_key_impl_wrapped_configILNS1_25lookback_scan_determinismE0ES3_S7_PKiNS0_17constant_iteratorIjlEEPiPlSF_S6_NS0_8equal_toIiEEEE10hipError_tPvRmT2_T3_mT4_T5_T6_T7_T8_P12ihipStream_tbENKUlT_T0_E_clISt17integral_constantIbLb0EESZ_EEDaSU_SV_EUlSU_E_NS1_11comp_targetILNS1_3genE5ELNS1_11target_archE942ELNS1_3gpuE9ELNS1_3repE0EEENS1_30default_config_static_selectorELNS0_4arch9wavefront6targetE0EEEvT1_
    .private_segment_fixed_size: 0
    .sgpr_count:     0
    .sgpr_spill_count: 0
    .symbol:         _ZN7rocprim17ROCPRIM_400000_NS6detail17trampoline_kernelINS0_14default_configENS1_33run_length_encode_config_selectorIijNS0_4plusIjEEEEZZNS1_33reduce_by_key_impl_wrapped_configILNS1_25lookback_scan_determinismE0ES3_S7_PKiNS0_17constant_iteratorIjlEEPiPlSF_S6_NS0_8equal_toIiEEEE10hipError_tPvRmT2_T3_mT4_T5_T6_T7_T8_P12ihipStream_tbENKUlT_T0_E_clISt17integral_constantIbLb0EESZ_EEDaSU_SV_EUlSU_E_NS1_11comp_targetILNS1_3genE5ELNS1_11target_archE942ELNS1_3gpuE9ELNS1_3repE0EEENS1_30default_config_static_selectorELNS0_4arch9wavefront6targetE0EEEvT1_.kd
    .uniform_work_group_size: 1
    .uses_dynamic_stack: false
    .vgpr_count:     0
    .vgpr_spill_count: 0
    .wavefront_size: 32
  - .args:
      - .offset:         0
        .size:           128
        .value_kind:     by_value
    .group_segment_fixed_size: 0
    .kernarg_segment_align: 8
    .kernarg_segment_size: 128
    .language:       OpenCL C
    .language_version:
      - 2
      - 0
    .max_flat_workgroup_size: 256
    .name:           _ZN7rocprim17ROCPRIM_400000_NS6detail17trampoline_kernelINS0_14default_configENS1_33run_length_encode_config_selectorIijNS0_4plusIjEEEEZZNS1_33reduce_by_key_impl_wrapped_configILNS1_25lookback_scan_determinismE0ES3_S7_PKiNS0_17constant_iteratorIjlEEPiPlSF_S6_NS0_8equal_toIiEEEE10hipError_tPvRmT2_T3_mT4_T5_T6_T7_T8_P12ihipStream_tbENKUlT_T0_E_clISt17integral_constantIbLb0EESZ_EEDaSU_SV_EUlSU_E_NS1_11comp_targetILNS1_3genE4ELNS1_11target_archE910ELNS1_3gpuE8ELNS1_3repE0EEENS1_30default_config_static_selectorELNS0_4arch9wavefront6targetE0EEEvT1_
    .private_segment_fixed_size: 0
    .sgpr_count:     0
    .sgpr_spill_count: 0
    .symbol:         _ZN7rocprim17ROCPRIM_400000_NS6detail17trampoline_kernelINS0_14default_configENS1_33run_length_encode_config_selectorIijNS0_4plusIjEEEEZZNS1_33reduce_by_key_impl_wrapped_configILNS1_25lookback_scan_determinismE0ES3_S7_PKiNS0_17constant_iteratorIjlEEPiPlSF_S6_NS0_8equal_toIiEEEE10hipError_tPvRmT2_T3_mT4_T5_T6_T7_T8_P12ihipStream_tbENKUlT_T0_E_clISt17integral_constantIbLb0EESZ_EEDaSU_SV_EUlSU_E_NS1_11comp_targetILNS1_3genE4ELNS1_11target_archE910ELNS1_3gpuE8ELNS1_3repE0EEENS1_30default_config_static_selectorELNS0_4arch9wavefront6targetE0EEEvT1_.kd
    .uniform_work_group_size: 1
    .uses_dynamic_stack: false
    .vgpr_count:     0
    .vgpr_spill_count: 0
    .wavefront_size: 32
  - .args:
      - .offset:         0
        .size:           128
        .value_kind:     by_value
    .group_segment_fixed_size: 0
    .kernarg_segment_align: 8
    .kernarg_segment_size: 128
    .language:       OpenCL C
    .language_version:
      - 2
      - 0
    .max_flat_workgroup_size: 256
    .name:           _ZN7rocprim17ROCPRIM_400000_NS6detail17trampoline_kernelINS0_14default_configENS1_33run_length_encode_config_selectorIijNS0_4plusIjEEEEZZNS1_33reduce_by_key_impl_wrapped_configILNS1_25lookback_scan_determinismE0ES3_S7_PKiNS0_17constant_iteratorIjlEEPiPlSF_S6_NS0_8equal_toIiEEEE10hipError_tPvRmT2_T3_mT4_T5_T6_T7_T8_P12ihipStream_tbENKUlT_T0_E_clISt17integral_constantIbLb0EESZ_EEDaSU_SV_EUlSU_E_NS1_11comp_targetILNS1_3genE3ELNS1_11target_archE908ELNS1_3gpuE7ELNS1_3repE0EEENS1_30default_config_static_selectorELNS0_4arch9wavefront6targetE0EEEvT1_
    .private_segment_fixed_size: 0
    .sgpr_count:     0
    .sgpr_spill_count: 0
    .symbol:         _ZN7rocprim17ROCPRIM_400000_NS6detail17trampoline_kernelINS0_14default_configENS1_33run_length_encode_config_selectorIijNS0_4plusIjEEEEZZNS1_33reduce_by_key_impl_wrapped_configILNS1_25lookback_scan_determinismE0ES3_S7_PKiNS0_17constant_iteratorIjlEEPiPlSF_S6_NS0_8equal_toIiEEEE10hipError_tPvRmT2_T3_mT4_T5_T6_T7_T8_P12ihipStream_tbENKUlT_T0_E_clISt17integral_constantIbLb0EESZ_EEDaSU_SV_EUlSU_E_NS1_11comp_targetILNS1_3genE3ELNS1_11target_archE908ELNS1_3gpuE7ELNS1_3repE0EEENS1_30default_config_static_selectorELNS0_4arch9wavefront6targetE0EEEvT1_.kd
    .uniform_work_group_size: 1
    .uses_dynamic_stack: false
    .vgpr_count:     0
    .vgpr_spill_count: 0
    .wavefront_size: 32
  - .args:
      - .offset:         0
        .size:           128
        .value_kind:     by_value
    .group_segment_fixed_size: 0
    .kernarg_segment_align: 8
    .kernarg_segment_size: 128
    .language:       OpenCL C
    .language_version:
      - 2
      - 0
    .max_flat_workgroup_size: 256
    .name:           _ZN7rocprim17ROCPRIM_400000_NS6detail17trampoline_kernelINS0_14default_configENS1_33run_length_encode_config_selectorIijNS0_4plusIjEEEEZZNS1_33reduce_by_key_impl_wrapped_configILNS1_25lookback_scan_determinismE0ES3_S7_PKiNS0_17constant_iteratorIjlEEPiPlSF_S6_NS0_8equal_toIiEEEE10hipError_tPvRmT2_T3_mT4_T5_T6_T7_T8_P12ihipStream_tbENKUlT_T0_E_clISt17integral_constantIbLb0EESZ_EEDaSU_SV_EUlSU_E_NS1_11comp_targetILNS1_3genE2ELNS1_11target_archE906ELNS1_3gpuE6ELNS1_3repE0EEENS1_30default_config_static_selectorELNS0_4arch9wavefront6targetE0EEEvT1_
    .private_segment_fixed_size: 0
    .sgpr_count:     0
    .sgpr_spill_count: 0
    .symbol:         _ZN7rocprim17ROCPRIM_400000_NS6detail17trampoline_kernelINS0_14default_configENS1_33run_length_encode_config_selectorIijNS0_4plusIjEEEEZZNS1_33reduce_by_key_impl_wrapped_configILNS1_25lookback_scan_determinismE0ES3_S7_PKiNS0_17constant_iteratorIjlEEPiPlSF_S6_NS0_8equal_toIiEEEE10hipError_tPvRmT2_T3_mT4_T5_T6_T7_T8_P12ihipStream_tbENKUlT_T0_E_clISt17integral_constantIbLb0EESZ_EEDaSU_SV_EUlSU_E_NS1_11comp_targetILNS1_3genE2ELNS1_11target_archE906ELNS1_3gpuE6ELNS1_3repE0EEENS1_30default_config_static_selectorELNS0_4arch9wavefront6targetE0EEEvT1_.kd
    .uniform_work_group_size: 1
    .uses_dynamic_stack: false
    .vgpr_count:     0
    .vgpr_spill_count: 0
    .wavefront_size: 32
  - .args:
      - .offset:         0
        .size:           128
        .value_kind:     by_value
    .group_segment_fixed_size: 0
    .kernarg_segment_align: 8
    .kernarg_segment_size: 128
    .language:       OpenCL C
    .language_version:
      - 2
      - 0
    .max_flat_workgroup_size: 384
    .name:           _ZN7rocprim17ROCPRIM_400000_NS6detail17trampoline_kernelINS0_14default_configENS1_33run_length_encode_config_selectorIijNS0_4plusIjEEEEZZNS1_33reduce_by_key_impl_wrapped_configILNS1_25lookback_scan_determinismE0ES3_S7_PKiNS0_17constant_iteratorIjlEEPiPlSF_S6_NS0_8equal_toIiEEEE10hipError_tPvRmT2_T3_mT4_T5_T6_T7_T8_P12ihipStream_tbENKUlT_T0_E_clISt17integral_constantIbLb0EESZ_EEDaSU_SV_EUlSU_E_NS1_11comp_targetILNS1_3genE10ELNS1_11target_archE1201ELNS1_3gpuE5ELNS1_3repE0EEENS1_30default_config_static_selectorELNS0_4arch9wavefront6targetE0EEEvT1_
    .private_segment_fixed_size: 0
    .sgpr_count:     0
    .sgpr_spill_count: 0
    .symbol:         _ZN7rocprim17ROCPRIM_400000_NS6detail17trampoline_kernelINS0_14default_configENS1_33run_length_encode_config_selectorIijNS0_4plusIjEEEEZZNS1_33reduce_by_key_impl_wrapped_configILNS1_25lookback_scan_determinismE0ES3_S7_PKiNS0_17constant_iteratorIjlEEPiPlSF_S6_NS0_8equal_toIiEEEE10hipError_tPvRmT2_T3_mT4_T5_T6_T7_T8_P12ihipStream_tbENKUlT_T0_E_clISt17integral_constantIbLb0EESZ_EEDaSU_SV_EUlSU_E_NS1_11comp_targetILNS1_3genE10ELNS1_11target_archE1201ELNS1_3gpuE5ELNS1_3repE0EEENS1_30default_config_static_selectorELNS0_4arch9wavefront6targetE0EEEvT1_.kd
    .uniform_work_group_size: 1
    .uses_dynamic_stack: false
    .vgpr_count:     0
    .vgpr_spill_count: 0
    .wavefront_size: 32
  - .args:
      - .offset:         0
        .size:           128
        .value_kind:     by_value
    .group_segment_fixed_size: 0
    .kernarg_segment_align: 8
    .kernarg_segment_size: 128
    .language:       OpenCL C
    .language_version:
      - 2
      - 0
    .max_flat_workgroup_size: 256
    .name:           _ZN7rocprim17ROCPRIM_400000_NS6detail17trampoline_kernelINS0_14default_configENS1_33run_length_encode_config_selectorIijNS0_4plusIjEEEEZZNS1_33reduce_by_key_impl_wrapped_configILNS1_25lookback_scan_determinismE0ES3_S7_PKiNS0_17constant_iteratorIjlEEPiPlSF_S6_NS0_8equal_toIiEEEE10hipError_tPvRmT2_T3_mT4_T5_T6_T7_T8_P12ihipStream_tbENKUlT_T0_E_clISt17integral_constantIbLb0EESZ_EEDaSU_SV_EUlSU_E_NS1_11comp_targetILNS1_3genE10ELNS1_11target_archE1200ELNS1_3gpuE4ELNS1_3repE0EEENS1_30default_config_static_selectorELNS0_4arch9wavefront6targetE0EEEvT1_
    .private_segment_fixed_size: 0
    .sgpr_count:     0
    .sgpr_spill_count: 0
    .symbol:         _ZN7rocprim17ROCPRIM_400000_NS6detail17trampoline_kernelINS0_14default_configENS1_33run_length_encode_config_selectorIijNS0_4plusIjEEEEZZNS1_33reduce_by_key_impl_wrapped_configILNS1_25lookback_scan_determinismE0ES3_S7_PKiNS0_17constant_iteratorIjlEEPiPlSF_S6_NS0_8equal_toIiEEEE10hipError_tPvRmT2_T3_mT4_T5_T6_T7_T8_P12ihipStream_tbENKUlT_T0_E_clISt17integral_constantIbLb0EESZ_EEDaSU_SV_EUlSU_E_NS1_11comp_targetILNS1_3genE10ELNS1_11target_archE1200ELNS1_3gpuE4ELNS1_3repE0EEENS1_30default_config_static_selectorELNS0_4arch9wavefront6targetE0EEEvT1_.kd
    .uniform_work_group_size: 1
    .uses_dynamic_stack: false
    .vgpr_count:     0
    .vgpr_spill_count: 0
    .wavefront_size: 32
  - .args:
      - .offset:         0
        .size:           128
        .value_kind:     by_value
    .group_segment_fixed_size: 0
    .kernarg_segment_align: 8
    .kernarg_segment_size: 128
    .language:       OpenCL C
    .language_version:
      - 2
      - 0
    .max_flat_workgroup_size: 512
    .name:           _ZN7rocprim17ROCPRIM_400000_NS6detail17trampoline_kernelINS0_14default_configENS1_33run_length_encode_config_selectorIijNS0_4plusIjEEEEZZNS1_33reduce_by_key_impl_wrapped_configILNS1_25lookback_scan_determinismE0ES3_S7_PKiNS0_17constant_iteratorIjlEEPiPlSF_S6_NS0_8equal_toIiEEEE10hipError_tPvRmT2_T3_mT4_T5_T6_T7_T8_P12ihipStream_tbENKUlT_T0_E_clISt17integral_constantIbLb0EESZ_EEDaSU_SV_EUlSU_E_NS1_11comp_targetILNS1_3genE9ELNS1_11target_archE1100ELNS1_3gpuE3ELNS1_3repE0EEENS1_30default_config_static_selectorELNS0_4arch9wavefront6targetE0EEEvT1_
    .private_segment_fixed_size: 0
    .sgpr_count:     0
    .sgpr_spill_count: 0
    .symbol:         _ZN7rocprim17ROCPRIM_400000_NS6detail17trampoline_kernelINS0_14default_configENS1_33run_length_encode_config_selectorIijNS0_4plusIjEEEEZZNS1_33reduce_by_key_impl_wrapped_configILNS1_25lookback_scan_determinismE0ES3_S7_PKiNS0_17constant_iteratorIjlEEPiPlSF_S6_NS0_8equal_toIiEEEE10hipError_tPvRmT2_T3_mT4_T5_T6_T7_T8_P12ihipStream_tbENKUlT_T0_E_clISt17integral_constantIbLb0EESZ_EEDaSU_SV_EUlSU_E_NS1_11comp_targetILNS1_3genE9ELNS1_11target_archE1100ELNS1_3gpuE3ELNS1_3repE0EEENS1_30default_config_static_selectorELNS0_4arch9wavefront6targetE0EEEvT1_.kd
    .uniform_work_group_size: 1
    .uses_dynamic_stack: false
    .vgpr_count:     0
    .vgpr_spill_count: 0
    .wavefront_size: 32
  - .args:
      - .offset:         0
        .size:           128
        .value_kind:     by_value
    .group_segment_fixed_size: 0
    .kernarg_segment_align: 8
    .kernarg_segment_size: 128
    .language:       OpenCL C
    .language_version:
      - 2
      - 0
    .max_flat_workgroup_size: 192
    .name:           _ZN7rocprim17ROCPRIM_400000_NS6detail17trampoline_kernelINS0_14default_configENS1_33run_length_encode_config_selectorIijNS0_4plusIjEEEEZZNS1_33reduce_by_key_impl_wrapped_configILNS1_25lookback_scan_determinismE0ES3_S7_PKiNS0_17constant_iteratorIjlEEPiPlSF_S6_NS0_8equal_toIiEEEE10hipError_tPvRmT2_T3_mT4_T5_T6_T7_T8_P12ihipStream_tbENKUlT_T0_E_clISt17integral_constantIbLb0EESZ_EEDaSU_SV_EUlSU_E_NS1_11comp_targetILNS1_3genE8ELNS1_11target_archE1030ELNS1_3gpuE2ELNS1_3repE0EEENS1_30default_config_static_selectorELNS0_4arch9wavefront6targetE0EEEvT1_
    .private_segment_fixed_size: 0
    .sgpr_count:     0
    .sgpr_spill_count: 0
    .symbol:         _ZN7rocprim17ROCPRIM_400000_NS6detail17trampoline_kernelINS0_14default_configENS1_33run_length_encode_config_selectorIijNS0_4plusIjEEEEZZNS1_33reduce_by_key_impl_wrapped_configILNS1_25lookback_scan_determinismE0ES3_S7_PKiNS0_17constant_iteratorIjlEEPiPlSF_S6_NS0_8equal_toIiEEEE10hipError_tPvRmT2_T3_mT4_T5_T6_T7_T8_P12ihipStream_tbENKUlT_T0_E_clISt17integral_constantIbLb0EESZ_EEDaSU_SV_EUlSU_E_NS1_11comp_targetILNS1_3genE8ELNS1_11target_archE1030ELNS1_3gpuE2ELNS1_3repE0EEENS1_30default_config_static_selectorELNS0_4arch9wavefront6targetE0EEEvT1_.kd
    .uniform_work_group_size: 1
    .uses_dynamic_stack: false
    .vgpr_count:     0
    .vgpr_spill_count: 0
    .wavefront_size: 32
  - .args:
      - .offset:         0
        .size:           128
        .value_kind:     by_value
    .group_segment_fixed_size: 0
    .kernarg_segment_align: 8
    .kernarg_segment_size: 128
    .language:       OpenCL C
    .language_version:
      - 2
      - 0
    .max_flat_workgroup_size: 256
    .name:           _ZN7rocprim17ROCPRIM_400000_NS6detail17trampoline_kernelINS0_14default_configENS1_33run_length_encode_config_selectorIijNS0_4plusIjEEEEZZNS1_33reduce_by_key_impl_wrapped_configILNS1_25lookback_scan_determinismE0ES3_S7_PKiNS0_17constant_iteratorIjlEEPiPlSF_S6_NS0_8equal_toIiEEEE10hipError_tPvRmT2_T3_mT4_T5_T6_T7_T8_P12ihipStream_tbENKUlT_T0_E_clISt17integral_constantIbLb1EESZ_EEDaSU_SV_EUlSU_E_NS1_11comp_targetILNS1_3genE0ELNS1_11target_archE4294967295ELNS1_3gpuE0ELNS1_3repE0EEENS1_30default_config_static_selectorELNS0_4arch9wavefront6targetE0EEEvT1_
    .private_segment_fixed_size: 0
    .sgpr_count:     0
    .sgpr_spill_count: 0
    .symbol:         _ZN7rocprim17ROCPRIM_400000_NS6detail17trampoline_kernelINS0_14default_configENS1_33run_length_encode_config_selectorIijNS0_4plusIjEEEEZZNS1_33reduce_by_key_impl_wrapped_configILNS1_25lookback_scan_determinismE0ES3_S7_PKiNS0_17constant_iteratorIjlEEPiPlSF_S6_NS0_8equal_toIiEEEE10hipError_tPvRmT2_T3_mT4_T5_T6_T7_T8_P12ihipStream_tbENKUlT_T0_E_clISt17integral_constantIbLb1EESZ_EEDaSU_SV_EUlSU_E_NS1_11comp_targetILNS1_3genE0ELNS1_11target_archE4294967295ELNS1_3gpuE0ELNS1_3repE0EEENS1_30default_config_static_selectorELNS0_4arch9wavefront6targetE0EEEvT1_.kd
    .uniform_work_group_size: 1
    .uses_dynamic_stack: false
    .vgpr_count:     0
    .vgpr_spill_count: 0
    .wavefront_size: 32
  - .args:
      - .offset:         0
        .size:           128
        .value_kind:     by_value
    .group_segment_fixed_size: 0
    .kernarg_segment_align: 8
    .kernarg_segment_size: 128
    .language:       OpenCL C
    .language_version:
      - 2
      - 0
    .max_flat_workgroup_size: 512
    .name:           _ZN7rocprim17ROCPRIM_400000_NS6detail17trampoline_kernelINS0_14default_configENS1_33run_length_encode_config_selectorIijNS0_4plusIjEEEEZZNS1_33reduce_by_key_impl_wrapped_configILNS1_25lookback_scan_determinismE0ES3_S7_PKiNS0_17constant_iteratorIjlEEPiPlSF_S6_NS0_8equal_toIiEEEE10hipError_tPvRmT2_T3_mT4_T5_T6_T7_T8_P12ihipStream_tbENKUlT_T0_E_clISt17integral_constantIbLb1EESZ_EEDaSU_SV_EUlSU_E_NS1_11comp_targetILNS1_3genE5ELNS1_11target_archE942ELNS1_3gpuE9ELNS1_3repE0EEENS1_30default_config_static_selectorELNS0_4arch9wavefront6targetE0EEEvT1_
    .private_segment_fixed_size: 0
    .sgpr_count:     0
    .sgpr_spill_count: 0
    .symbol:         _ZN7rocprim17ROCPRIM_400000_NS6detail17trampoline_kernelINS0_14default_configENS1_33run_length_encode_config_selectorIijNS0_4plusIjEEEEZZNS1_33reduce_by_key_impl_wrapped_configILNS1_25lookback_scan_determinismE0ES3_S7_PKiNS0_17constant_iteratorIjlEEPiPlSF_S6_NS0_8equal_toIiEEEE10hipError_tPvRmT2_T3_mT4_T5_T6_T7_T8_P12ihipStream_tbENKUlT_T0_E_clISt17integral_constantIbLb1EESZ_EEDaSU_SV_EUlSU_E_NS1_11comp_targetILNS1_3genE5ELNS1_11target_archE942ELNS1_3gpuE9ELNS1_3repE0EEENS1_30default_config_static_selectorELNS0_4arch9wavefront6targetE0EEEvT1_.kd
    .uniform_work_group_size: 1
    .uses_dynamic_stack: false
    .vgpr_count:     0
    .vgpr_spill_count: 0
    .wavefront_size: 32
  - .args:
      - .offset:         0
        .size:           128
        .value_kind:     by_value
    .group_segment_fixed_size: 0
    .kernarg_segment_align: 8
    .kernarg_segment_size: 128
    .language:       OpenCL C
    .language_version:
      - 2
      - 0
    .max_flat_workgroup_size: 256
    .name:           _ZN7rocprim17ROCPRIM_400000_NS6detail17trampoline_kernelINS0_14default_configENS1_33run_length_encode_config_selectorIijNS0_4plusIjEEEEZZNS1_33reduce_by_key_impl_wrapped_configILNS1_25lookback_scan_determinismE0ES3_S7_PKiNS0_17constant_iteratorIjlEEPiPlSF_S6_NS0_8equal_toIiEEEE10hipError_tPvRmT2_T3_mT4_T5_T6_T7_T8_P12ihipStream_tbENKUlT_T0_E_clISt17integral_constantIbLb1EESZ_EEDaSU_SV_EUlSU_E_NS1_11comp_targetILNS1_3genE4ELNS1_11target_archE910ELNS1_3gpuE8ELNS1_3repE0EEENS1_30default_config_static_selectorELNS0_4arch9wavefront6targetE0EEEvT1_
    .private_segment_fixed_size: 0
    .sgpr_count:     0
    .sgpr_spill_count: 0
    .symbol:         _ZN7rocprim17ROCPRIM_400000_NS6detail17trampoline_kernelINS0_14default_configENS1_33run_length_encode_config_selectorIijNS0_4plusIjEEEEZZNS1_33reduce_by_key_impl_wrapped_configILNS1_25lookback_scan_determinismE0ES3_S7_PKiNS0_17constant_iteratorIjlEEPiPlSF_S6_NS0_8equal_toIiEEEE10hipError_tPvRmT2_T3_mT4_T5_T6_T7_T8_P12ihipStream_tbENKUlT_T0_E_clISt17integral_constantIbLb1EESZ_EEDaSU_SV_EUlSU_E_NS1_11comp_targetILNS1_3genE4ELNS1_11target_archE910ELNS1_3gpuE8ELNS1_3repE0EEENS1_30default_config_static_selectorELNS0_4arch9wavefront6targetE0EEEvT1_.kd
    .uniform_work_group_size: 1
    .uses_dynamic_stack: false
    .vgpr_count:     0
    .vgpr_spill_count: 0
    .wavefront_size: 32
  - .args:
      - .offset:         0
        .size:           128
        .value_kind:     by_value
    .group_segment_fixed_size: 0
    .kernarg_segment_align: 8
    .kernarg_segment_size: 128
    .language:       OpenCL C
    .language_version:
      - 2
      - 0
    .max_flat_workgroup_size: 256
    .name:           _ZN7rocprim17ROCPRIM_400000_NS6detail17trampoline_kernelINS0_14default_configENS1_33run_length_encode_config_selectorIijNS0_4plusIjEEEEZZNS1_33reduce_by_key_impl_wrapped_configILNS1_25lookback_scan_determinismE0ES3_S7_PKiNS0_17constant_iteratorIjlEEPiPlSF_S6_NS0_8equal_toIiEEEE10hipError_tPvRmT2_T3_mT4_T5_T6_T7_T8_P12ihipStream_tbENKUlT_T0_E_clISt17integral_constantIbLb1EESZ_EEDaSU_SV_EUlSU_E_NS1_11comp_targetILNS1_3genE3ELNS1_11target_archE908ELNS1_3gpuE7ELNS1_3repE0EEENS1_30default_config_static_selectorELNS0_4arch9wavefront6targetE0EEEvT1_
    .private_segment_fixed_size: 0
    .sgpr_count:     0
    .sgpr_spill_count: 0
    .symbol:         _ZN7rocprim17ROCPRIM_400000_NS6detail17trampoline_kernelINS0_14default_configENS1_33run_length_encode_config_selectorIijNS0_4plusIjEEEEZZNS1_33reduce_by_key_impl_wrapped_configILNS1_25lookback_scan_determinismE0ES3_S7_PKiNS0_17constant_iteratorIjlEEPiPlSF_S6_NS0_8equal_toIiEEEE10hipError_tPvRmT2_T3_mT4_T5_T6_T7_T8_P12ihipStream_tbENKUlT_T0_E_clISt17integral_constantIbLb1EESZ_EEDaSU_SV_EUlSU_E_NS1_11comp_targetILNS1_3genE3ELNS1_11target_archE908ELNS1_3gpuE7ELNS1_3repE0EEENS1_30default_config_static_selectorELNS0_4arch9wavefront6targetE0EEEvT1_.kd
    .uniform_work_group_size: 1
    .uses_dynamic_stack: false
    .vgpr_count:     0
    .vgpr_spill_count: 0
    .wavefront_size: 32
  - .args:
      - .offset:         0
        .size:           128
        .value_kind:     by_value
    .group_segment_fixed_size: 0
    .kernarg_segment_align: 8
    .kernarg_segment_size: 128
    .language:       OpenCL C
    .language_version:
      - 2
      - 0
    .max_flat_workgroup_size: 256
    .name:           _ZN7rocprim17ROCPRIM_400000_NS6detail17trampoline_kernelINS0_14default_configENS1_33run_length_encode_config_selectorIijNS0_4plusIjEEEEZZNS1_33reduce_by_key_impl_wrapped_configILNS1_25lookback_scan_determinismE0ES3_S7_PKiNS0_17constant_iteratorIjlEEPiPlSF_S6_NS0_8equal_toIiEEEE10hipError_tPvRmT2_T3_mT4_T5_T6_T7_T8_P12ihipStream_tbENKUlT_T0_E_clISt17integral_constantIbLb1EESZ_EEDaSU_SV_EUlSU_E_NS1_11comp_targetILNS1_3genE2ELNS1_11target_archE906ELNS1_3gpuE6ELNS1_3repE0EEENS1_30default_config_static_selectorELNS0_4arch9wavefront6targetE0EEEvT1_
    .private_segment_fixed_size: 0
    .sgpr_count:     0
    .sgpr_spill_count: 0
    .symbol:         _ZN7rocprim17ROCPRIM_400000_NS6detail17trampoline_kernelINS0_14default_configENS1_33run_length_encode_config_selectorIijNS0_4plusIjEEEEZZNS1_33reduce_by_key_impl_wrapped_configILNS1_25lookback_scan_determinismE0ES3_S7_PKiNS0_17constant_iteratorIjlEEPiPlSF_S6_NS0_8equal_toIiEEEE10hipError_tPvRmT2_T3_mT4_T5_T6_T7_T8_P12ihipStream_tbENKUlT_T0_E_clISt17integral_constantIbLb1EESZ_EEDaSU_SV_EUlSU_E_NS1_11comp_targetILNS1_3genE2ELNS1_11target_archE906ELNS1_3gpuE6ELNS1_3repE0EEENS1_30default_config_static_selectorELNS0_4arch9wavefront6targetE0EEEvT1_.kd
    .uniform_work_group_size: 1
    .uses_dynamic_stack: false
    .vgpr_count:     0
    .vgpr_spill_count: 0
    .wavefront_size: 32
  - .args:
      - .offset:         0
        .size:           128
        .value_kind:     by_value
    .group_segment_fixed_size: 0
    .kernarg_segment_align: 8
    .kernarg_segment_size: 128
    .language:       OpenCL C
    .language_version:
      - 2
      - 0
    .max_flat_workgroup_size: 384
    .name:           _ZN7rocprim17ROCPRIM_400000_NS6detail17trampoline_kernelINS0_14default_configENS1_33run_length_encode_config_selectorIijNS0_4plusIjEEEEZZNS1_33reduce_by_key_impl_wrapped_configILNS1_25lookback_scan_determinismE0ES3_S7_PKiNS0_17constant_iteratorIjlEEPiPlSF_S6_NS0_8equal_toIiEEEE10hipError_tPvRmT2_T3_mT4_T5_T6_T7_T8_P12ihipStream_tbENKUlT_T0_E_clISt17integral_constantIbLb1EESZ_EEDaSU_SV_EUlSU_E_NS1_11comp_targetILNS1_3genE10ELNS1_11target_archE1201ELNS1_3gpuE5ELNS1_3repE0EEENS1_30default_config_static_selectorELNS0_4arch9wavefront6targetE0EEEvT1_
    .private_segment_fixed_size: 0
    .sgpr_count:     0
    .sgpr_spill_count: 0
    .symbol:         _ZN7rocprim17ROCPRIM_400000_NS6detail17trampoline_kernelINS0_14default_configENS1_33run_length_encode_config_selectorIijNS0_4plusIjEEEEZZNS1_33reduce_by_key_impl_wrapped_configILNS1_25lookback_scan_determinismE0ES3_S7_PKiNS0_17constant_iteratorIjlEEPiPlSF_S6_NS0_8equal_toIiEEEE10hipError_tPvRmT2_T3_mT4_T5_T6_T7_T8_P12ihipStream_tbENKUlT_T0_E_clISt17integral_constantIbLb1EESZ_EEDaSU_SV_EUlSU_E_NS1_11comp_targetILNS1_3genE10ELNS1_11target_archE1201ELNS1_3gpuE5ELNS1_3repE0EEENS1_30default_config_static_selectorELNS0_4arch9wavefront6targetE0EEEvT1_.kd
    .uniform_work_group_size: 1
    .uses_dynamic_stack: false
    .vgpr_count:     0
    .vgpr_spill_count: 0
    .wavefront_size: 32
  - .args:
      - .offset:         0
        .size:           128
        .value_kind:     by_value
    .group_segment_fixed_size: 0
    .kernarg_segment_align: 8
    .kernarg_segment_size: 128
    .language:       OpenCL C
    .language_version:
      - 2
      - 0
    .max_flat_workgroup_size: 256
    .name:           _ZN7rocprim17ROCPRIM_400000_NS6detail17trampoline_kernelINS0_14default_configENS1_33run_length_encode_config_selectorIijNS0_4plusIjEEEEZZNS1_33reduce_by_key_impl_wrapped_configILNS1_25lookback_scan_determinismE0ES3_S7_PKiNS0_17constant_iteratorIjlEEPiPlSF_S6_NS0_8equal_toIiEEEE10hipError_tPvRmT2_T3_mT4_T5_T6_T7_T8_P12ihipStream_tbENKUlT_T0_E_clISt17integral_constantIbLb1EESZ_EEDaSU_SV_EUlSU_E_NS1_11comp_targetILNS1_3genE10ELNS1_11target_archE1200ELNS1_3gpuE4ELNS1_3repE0EEENS1_30default_config_static_selectorELNS0_4arch9wavefront6targetE0EEEvT1_
    .private_segment_fixed_size: 0
    .sgpr_count:     0
    .sgpr_spill_count: 0
    .symbol:         _ZN7rocprim17ROCPRIM_400000_NS6detail17trampoline_kernelINS0_14default_configENS1_33run_length_encode_config_selectorIijNS0_4plusIjEEEEZZNS1_33reduce_by_key_impl_wrapped_configILNS1_25lookback_scan_determinismE0ES3_S7_PKiNS0_17constant_iteratorIjlEEPiPlSF_S6_NS0_8equal_toIiEEEE10hipError_tPvRmT2_T3_mT4_T5_T6_T7_T8_P12ihipStream_tbENKUlT_T0_E_clISt17integral_constantIbLb1EESZ_EEDaSU_SV_EUlSU_E_NS1_11comp_targetILNS1_3genE10ELNS1_11target_archE1200ELNS1_3gpuE4ELNS1_3repE0EEENS1_30default_config_static_selectorELNS0_4arch9wavefront6targetE0EEEvT1_.kd
    .uniform_work_group_size: 1
    .uses_dynamic_stack: false
    .vgpr_count:     0
    .vgpr_spill_count: 0
    .wavefront_size: 32
  - .args:
      - .offset:         0
        .size:           128
        .value_kind:     by_value
    .group_segment_fixed_size: 0
    .kernarg_segment_align: 8
    .kernarg_segment_size: 128
    .language:       OpenCL C
    .language_version:
      - 2
      - 0
    .max_flat_workgroup_size: 512
    .name:           _ZN7rocprim17ROCPRIM_400000_NS6detail17trampoline_kernelINS0_14default_configENS1_33run_length_encode_config_selectorIijNS0_4plusIjEEEEZZNS1_33reduce_by_key_impl_wrapped_configILNS1_25lookback_scan_determinismE0ES3_S7_PKiNS0_17constant_iteratorIjlEEPiPlSF_S6_NS0_8equal_toIiEEEE10hipError_tPvRmT2_T3_mT4_T5_T6_T7_T8_P12ihipStream_tbENKUlT_T0_E_clISt17integral_constantIbLb1EESZ_EEDaSU_SV_EUlSU_E_NS1_11comp_targetILNS1_3genE9ELNS1_11target_archE1100ELNS1_3gpuE3ELNS1_3repE0EEENS1_30default_config_static_selectorELNS0_4arch9wavefront6targetE0EEEvT1_
    .private_segment_fixed_size: 0
    .sgpr_count:     0
    .sgpr_spill_count: 0
    .symbol:         _ZN7rocprim17ROCPRIM_400000_NS6detail17trampoline_kernelINS0_14default_configENS1_33run_length_encode_config_selectorIijNS0_4plusIjEEEEZZNS1_33reduce_by_key_impl_wrapped_configILNS1_25lookback_scan_determinismE0ES3_S7_PKiNS0_17constant_iteratorIjlEEPiPlSF_S6_NS0_8equal_toIiEEEE10hipError_tPvRmT2_T3_mT4_T5_T6_T7_T8_P12ihipStream_tbENKUlT_T0_E_clISt17integral_constantIbLb1EESZ_EEDaSU_SV_EUlSU_E_NS1_11comp_targetILNS1_3genE9ELNS1_11target_archE1100ELNS1_3gpuE3ELNS1_3repE0EEENS1_30default_config_static_selectorELNS0_4arch9wavefront6targetE0EEEvT1_.kd
    .uniform_work_group_size: 1
    .uses_dynamic_stack: false
    .vgpr_count:     0
    .vgpr_spill_count: 0
    .wavefront_size: 32
  - .args:
      - .offset:         0
        .size:           128
        .value_kind:     by_value
    .group_segment_fixed_size: 0
    .kernarg_segment_align: 8
    .kernarg_segment_size: 128
    .language:       OpenCL C
    .language_version:
      - 2
      - 0
    .max_flat_workgroup_size: 192
    .name:           _ZN7rocprim17ROCPRIM_400000_NS6detail17trampoline_kernelINS0_14default_configENS1_33run_length_encode_config_selectorIijNS0_4plusIjEEEEZZNS1_33reduce_by_key_impl_wrapped_configILNS1_25lookback_scan_determinismE0ES3_S7_PKiNS0_17constant_iteratorIjlEEPiPlSF_S6_NS0_8equal_toIiEEEE10hipError_tPvRmT2_T3_mT4_T5_T6_T7_T8_P12ihipStream_tbENKUlT_T0_E_clISt17integral_constantIbLb1EESZ_EEDaSU_SV_EUlSU_E_NS1_11comp_targetILNS1_3genE8ELNS1_11target_archE1030ELNS1_3gpuE2ELNS1_3repE0EEENS1_30default_config_static_selectorELNS0_4arch9wavefront6targetE0EEEvT1_
    .private_segment_fixed_size: 0
    .sgpr_count:     0
    .sgpr_spill_count: 0
    .symbol:         _ZN7rocprim17ROCPRIM_400000_NS6detail17trampoline_kernelINS0_14default_configENS1_33run_length_encode_config_selectorIijNS0_4plusIjEEEEZZNS1_33reduce_by_key_impl_wrapped_configILNS1_25lookback_scan_determinismE0ES3_S7_PKiNS0_17constant_iteratorIjlEEPiPlSF_S6_NS0_8equal_toIiEEEE10hipError_tPvRmT2_T3_mT4_T5_T6_T7_T8_P12ihipStream_tbENKUlT_T0_E_clISt17integral_constantIbLb1EESZ_EEDaSU_SV_EUlSU_E_NS1_11comp_targetILNS1_3genE8ELNS1_11target_archE1030ELNS1_3gpuE2ELNS1_3repE0EEENS1_30default_config_static_selectorELNS0_4arch9wavefront6targetE0EEEvT1_.kd
    .uniform_work_group_size: 1
    .uses_dynamic_stack: false
    .vgpr_count:     0
    .vgpr_spill_count: 0
    .wavefront_size: 32
  - .args:
      - .offset:         0
        .size:           128
        .value_kind:     by_value
    .group_segment_fixed_size: 0
    .kernarg_segment_align: 8
    .kernarg_segment_size: 128
    .language:       OpenCL C
    .language_version:
      - 2
      - 0
    .max_flat_workgroup_size: 256
    .name:           _ZN7rocprim17ROCPRIM_400000_NS6detail17trampoline_kernelINS0_14default_configENS1_33run_length_encode_config_selectorIijNS0_4plusIjEEEEZZNS1_33reduce_by_key_impl_wrapped_configILNS1_25lookback_scan_determinismE0ES3_S7_PKiNS0_17constant_iteratorIjlEEPiPlSF_S6_NS0_8equal_toIiEEEE10hipError_tPvRmT2_T3_mT4_T5_T6_T7_T8_P12ihipStream_tbENKUlT_T0_E_clISt17integral_constantIbLb1EESY_IbLb0EEEEDaSU_SV_EUlSU_E_NS1_11comp_targetILNS1_3genE0ELNS1_11target_archE4294967295ELNS1_3gpuE0ELNS1_3repE0EEENS1_30default_config_static_selectorELNS0_4arch9wavefront6targetE0EEEvT1_
    .private_segment_fixed_size: 0
    .sgpr_count:     0
    .sgpr_spill_count: 0
    .symbol:         _ZN7rocprim17ROCPRIM_400000_NS6detail17trampoline_kernelINS0_14default_configENS1_33run_length_encode_config_selectorIijNS0_4plusIjEEEEZZNS1_33reduce_by_key_impl_wrapped_configILNS1_25lookback_scan_determinismE0ES3_S7_PKiNS0_17constant_iteratorIjlEEPiPlSF_S6_NS0_8equal_toIiEEEE10hipError_tPvRmT2_T3_mT4_T5_T6_T7_T8_P12ihipStream_tbENKUlT_T0_E_clISt17integral_constantIbLb1EESY_IbLb0EEEEDaSU_SV_EUlSU_E_NS1_11comp_targetILNS1_3genE0ELNS1_11target_archE4294967295ELNS1_3gpuE0ELNS1_3repE0EEENS1_30default_config_static_selectorELNS0_4arch9wavefront6targetE0EEEvT1_.kd
    .uniform_work_group_size: 1
    .uses_dynamic_stack: false
    .vgpr_count:     0
    .vgpr_spill_count: 0
    .wavefront_size: 32
  - .args:
      - .offset:         0
        .size:           128
        .value_kind:     by_value
    .group_segment_fixed_size: 0
    .kernarg_segment_align: 8
    .kernarg_segment_size: 128
    .language:       OpenCL C
    .language_version:
      - 2
      - 0
    .max_flat_workgroup_size: 512
    .name:           _ZN7rocprim17ROCPRIM_400000_NS6detail17trampoline_kernelINS0_14default_configENS1_33run_length_encode_config_selectorIijNS0_4plusIjEEEEZZNS1_33reduce_by_key_impl_wrapped_configILNS1_25lookback_scan_determinismE0ES3_S7_PKiNS0_17constant_iteratorIjlEEPiPlSF_S6_NS0_8equal_toIiEEEE10hipError_tPvRmT2_T3_mT4_T5_T6_T7_T8_P12ihipStream_tbENKUlT_T0_E_clISt17integral_constantIbLb1EESY_IbLb0EEEEDaSU_SV_EUlSU_E_NS1_11comp_targetILNS1_3genE5ELNS1_11target_archE942ELNS1_3gpuE9ELNS1_3repE0EEENS1_30default_config_static_selectorELNS0_4arch9wavefront6targetE0EEEvT1_
    .private_segment_fixed_size: 0
    .sgpr_count:     0
    .sgpr_spill_count: 0
    .symbol:         _ZN7rocprim17ROCPRIM_400000_NS6detail17trampoline_kernelINS0_14default_configENS1_33run_length_encode_config_selectorIijNS0_4plusIjEEEEZZNS1_33reduce_by_key_impl_wrapped_configILNS1_25lookback_scan_determinismE0ES3_S7_PKiNS0_17constant_iteratorIjlEEPiPlSF_S6_NS0_8equal_toIiEEEE10hipError_tPvRmT2_T3_mT4_T5_T6_T7_T8_P12ihipStream_tbENKUlT_T0_E_clISt17integral_constantIbLb1EESY_IbLb0EEEEDaSU_SV_EUlSU_E_NS1_11comp_targetILNS1_3genE5ELNS1_11target_archE942ELNS1_3gpuE9ELNS1_3repE0EEENS1_30default_config_static_selectorELNS0_4arch9wavefront6targetE0EEEvT1_.kd
    .uniform_work_group_size: 1
    .uses_dynamic_stack: false
    .vgpr_count:     0
    .vgpr_spill_count: 0
    .wavefront_size: 32
  - .args:
      - .offset:         0
        .size:           128
        .value_kind:     by_value
    .group_segment_fixed_size: 0
    .kernarg_segment_align: 8
    .kernarg_segment_size: 128
    .language:       OpenCL C
    .language_version:
      - 2
      - 0
    .max_flat_workgroup_size: 256
    .name:           _ZN7rocprim17ROCPRIM_400000_NS6detail17trampoline_kernelINS0_14default_configENS1_33run_length_encode_config_selectorIijNS0_4plusIjEEEEZZNS1_33reduce_by_key_impl_wrapped_configILNS1_25lookback_scan_determinismE0ES3_S7_PKiNS0_17constant_iteratorIjlEEPiPlSF_S6_NS0_8equal_toIiEEEE10hipError_tPvRmT2_T3_mT4_T5_T6_T7_T8_P12ihipStream_tbENKUlT_T0_E_clISt17integral_constantIbLb1EESY_IbLb0EEEEDaSU_SV_EUlSU_E_NS1_11comp_targetILNS1_3genE4ELNS1_11target_archE910ELNS1_3gpuE8ELNS1_3repE0EEENS1_30default_config_static_selectorELNS0_4arch9wavefront6targetE0EEEvT1_
    .private_segment_fixed_size: 0
    .sgpr_count:     0
    .sgpr_spill_count: 0
    .symbol:         _ZN7rocprim17ROCPRIM_400000_NS6detail17trampoline_kernelINS0_14default_configENS1_33run_length_encode_config_selectorIijNS0_4plusIjEEEEZZNS1_33reduce_by_key_impl_wrapped_configILNS1_25lookback_scan_determinismE0ES3_S7_PKiNS0_17constant_iteratorIjlEEPiPlSF_S6_NS0_8equal_toIiEEEE10hipError_tPvRmT2_T3_mT4_T5_T6_T7_T8_P12ihipStream_tbENKUlT_T0_E_clISt17integral_constantIbLb1EESY_IbLb0EEEEDaSU_SV_EUlSU_E_NS1_11comp_targetILNS1_3genE4ELNS1_11target_archE910ELNS1_3gpuE8ELNS1_3repE0EEENS1_30default_config_static_selectorELNS0_4arch9wavefront6targetE0EEEvT1_.kd
    .uniform_work_group_size: 1
    .uses_dynamic_stack: false
    .vgpr_count:     0
    .vgpr_spill_count: 0
    .wavefront_size: 32
  - .args:
      - .offset:         0
        .size:           128
        .value_kind:     by_value
    .group_segment_fixed_size: 0
    .kernarg_segment_align: 8
    .kernarg_segment_size: 128
    .language:       OpenCL C
    .language_version:
      - 2
      - 0
    .max_flat_workgroup_size: 256
    .name:           _ZN7rocprim17ROCPRIM_400000_NS6detail17trampoline_kernelINS0_14default_configENS1_33run_length_encode_config_selectorIijNS0_4plusIjEEEEZZNS1_33reduce_by_key_impl_wrapped_configILNS1_25lookback_scan_determinismE0ES3_S7_PKiNS0_17constant_iteratorIjlEEPiPlSF_S6_NS0_8equal_toIiEEEE10hipError_tPvRmT2_T3_mT4_T5_T6_T7_T8_P12ihipStream_tbENKUlT_T0_E_clISt17integral_constantIbLb1EESY_IbLb0EEEEDaSU_SV_EUlSU_E_NS1_11comp_targetILNS1_3genE3ELNS1_11target_archE908ELNS1_3gpuE7ELNS1_3repE0EEENS1_30default_config_static_selectorELNS0_4arch9wavefront6targetE0EEEvT1_
    .private_segment_fixed_size: 0
    .sgpr_count:     0
    .sgpr_spill_count: 0
    .symbol:         _ZN7rocprim17ROCPRIM_400000_NS6detail17trampoline_kernelINS0_14default_configENS1_33run_length_encode_config_selectorIijNS0_4plusIjEEEEZZNS1_33reduce_by_key_impl_wrapped_configILNS1_25lookback_scan_determinismE0ES3_S7_PKiNS0_17constant_iteratorIjlEEPiPlSF_S6_NS0_8equal_toIiEEEE10hipError_tPvRmT2_T3_mT4_T5_T6_T7_T8_P12ihipStream_tbENKUlT_T0_E_clISt17integral_constantIbLb1EESY_IbLb0EEEEDaSU_SV_EUlSU_E_NS1_11comp_targetILNS1_3genE3ELNS1_11target_archE908ELNS1_3gpuE7ELNS1_3repE0EEENS1_30default_config_static_selectorELNS0_4arch9wavefront6targetE0EEEvT1_.kd
    .uniform_work_group_size: 1
    .uses_dynamic_stack: false
    .vgpr_count:     0
    .vgpr_spill_count: 0
    .wavefront_size: 32
  - .args:
      - .offset:         0
        .size:           128
        .value_kind:     by_value
    .group_segment_fixed_size: 0
    .kernarg_segment_align: 8
    .kernarg_segment_size: 128
    .language:       OpenCL C
    .language_version:
      - 2
      - 0
    .max_flat_workgroup_size: 256
    .name:           _ZN7rocprim17ROCPRIM_400000_NS6detail17trampoline_kernelINS0_14default_configENS1_33run_length_encode_config_selectorIijNS0_4plusIjEEEEZZNS1_33reduce_by_key_impl_wrapped_configILNS1_25lookback_scan_determinismE0ES3_S7_PKiNS0_17constant_iteratorIjlEEPiPlSF_S6_NS0_8equal_toIiEEEE10hipError_tPvRmT2_T3_mT4_T5_T6_T7_T8_P12ihipStream_tbENKUlT_T0_E_clISt17integral_constantIbLb1EESY_IbLb0EEEEDaSU_SV_EUlSU_E_NS1_11comp_targetILNS1_3genE2ELNS1_11target_archE906ELNS1_3gpuE6ELNS1_3repE0EEENS1_30default_config_static_selectorELNS0_4arch9wavefront6targetE0EEEvT1_
    .private_segment_fixed_size: 0
    .sgpr_count:     0
    .sgpr_spill_count: 0
    .symbol:         _ZN7rocprim17ROCPRIM_400000_NS6detail17trampoline_kernelINS0_14default_configENS1_33run_length_encode_config_selectorIijNS0_4plusIjEEEEZZNS1_33reduce_by_key_impl_wrapped_configILNS1_25lookback_scan_determinismE0ES3_S7_PKiNS0_17constant_iteratorIjlEEPiPlSF_S6_NS0_8equal_toIiEEEE10hipError_tPvRmT2_T3_mT4_T5_T6_T7_T8_P12ihipStream_tbENKUlT_T0_E_clISt17integral_constantIbLb1EESY_IbLb0EEEEDaSU_SV_EUlSU_E_NS1_11comp_targetILNS1_3genE2ELNS1_11target_archE906ELNS1_3gpuE6ELNS1_3repE0EEENS1_30default_config_static_selectorELNS0_4arch9wavefront6targetE0EEEvT1_.kd
    .uniform_work_group_size: 1
    .uses_dynamic_stack: false
    .vgpr_count:     0
    .vgpr_spill_count: 0
    .wavefront_size: 32
  - .args:
      - .offset:         0
        .size:           128
        .value_kind:     by_value
    .group_segment_fixed_size: 0
    .kernarg_segment_align: 8
    .kernarg_segment_size: 128
    .language:       OpenCL C
    .language_version:
      - 2
      - 0
    .max_flat_workgroup_size: 384
    .name:           _ZN7rocprim17ROCPRIM_400000_NS6detail17trampoline_kernelINS0_14default_configENS1_33run_length_encode_config_selectorIijNS0_4plusIjEEEEZZNS1_33reduce_by_key_impl_wrapped_configILNS1_25lookback_scan_determinismE0ES3_S7_PKiNS0_17constant_iteratorIjlEEPiPlSF_S6_NS0_8equal_toIiEEEE10hipError_tPvRmT2_T3_mT4_T5_T6_T7_T8_P12ihipStream_tbENKUlT_T0_E_clISt17integral_constantIbLb1EESY_IbLb0EEEEDaSU_SV_EUlSU_E_NS1_11comp_targetILNS1_3genE10ELNS1_11target_archE1201ELNS1_3gpuE5ELNS1_3repE0EEENS1_30default_config_static_selectorELNS0_4arch9wavefront6targetE0EEEvT1_
    .private_segment_fixed_size: 0
    .sgpr_count:     0
    .sgpr_spill_count: 0
    .symbol:         _ZN7rocprim17ROCPRIM_400000_NS6detail17trampoline_kernelINS0_14default_configENS1_33run_length_encode_config_selectorIijNS0_4plusIjEEEEZZNS1_33reduce_by_key_impl_wrapped_configILNS1_25lookback_scan_determinismE0ES3_S7_PKiNS0_17constant_iteratorIjlEEPiPlSF_S6_NS0_8equal_toIiEEEE10hipError_tPvRmT2_T3_mT4_T5_T6_T7_T8_P12ihipStream_tbENKUlT_T0_E_clISt17integral_constantIbLb1EESY_IbLb0EEEEDaSU_SV_EUlSU_E_NS1_11comp_targetILNS1_3genE10ELNS1_11target_archE1201ELNS1_3gpuE5ELNS1_3repE0EEENS1_30default_config_static_selectorELNS0_4arch9wavefront6targetE0EEEvT1_.kd
    .uniform_work_group_size: 1
    .uses_dynamic_stack: false
    .vgpr_count:     0
    .vgpr_spill_count: 0
    .wavefront_size: 32
  - .args:
      - .offset:         0
        .size:           128
        .value_kind:     by_value
    .group_segment_fixed_size: 0
    .kernarg_segment_align: 8
    .kernarg_segment_size: 128
    .language:       OpenCL C
    .language_version:
      - 2
      - 0
    .max_flat_workgroup_size: 256
    .name:           _ZN7rocprim17ROCPRIM_400000_NS6detail17trampoline_kernelINS0_14default_configENS1_33run_length_encode_config_selectorIijNS0_4plusIjEEEEZZNS1_33reduce_by_key_impl_wrapped_configILNS1_25lookback_scan_determinismE0ES3_S7_PKiNS0_17constant_iteratorIjlEEPiPlSF_S6_NS0_8equal_toIiEEEE10hipError_tPvRmT2_T3_mT4_T5_T6_T7_T8_P12ihipStream_tbENKUlT_T0_E_clISt17integral_constantIbLb1EESY_IbLb0EEEEDaSU_SV_EUlSU_E_NS1_11comp_targetILNS1_3genE10ELNS1_11target_archE1200ELNS1_3gpuE4ELNS1_3repE0EEENS1_30default_config_static_selectorELNS0_4arch9wavefront6targetE0EEEvT1_
    .private_segment_fixed_size: 0
    .sgpr_count:     0
    .sgpr_spill_count: 0
    .symbol:         _ZN7rocprim17ROCPRIM_400000_NS6detail17trampoline_kernelINS0_14default_configENS1_33run_length_encode_config_selectorIijNS0_4plusIjEEEEZZNS1_33reduce_by_key_impl_wrapped_configILNS1_25lookback_scan_determinismE0ES3_S7_PKiNS0_17constant_iteratorIjlEEPiPlSF_S6_NS0_8equal_toIiEEEE10hipError_tPvRmT2_T3_mT4_T5_T6_T7_T8_P12ihipStream_tbENKUlT_T0_E_clISt17integral_constantIbLb1EESY_IbLb0EEEEDaSU_SV_EUlSU_E_NS1_11comp_targetILNS1_3genE10ELNS1_11target_archE1200ELNS1_3gpuE4ELNS1_3repE0EEENS1_30default_config_static_selectorELNS0_4arch9wavefront6targetE0EEEvT1_.kd
    .uniform_work_group_size: 1
    .uses_dynamic_stack: false
    .vgpr_count:     0
    .vgpr_spill_count: 0
    .wavefront_size: 32
  - .args:
      - .offset:         0
        .size:           128
        .value_kind:     by_value
    .group_segment_fixed_size: 0
    .kernarg_segment_align: 8
    .kernarg_segment_size: 128
    .language:       OpenCL C
    .language_version:
      - 2
      - 0
    .max_flat_workgroup_size: 512
    .name:           _ZN7rocprim17ROCPRIM_400000_NS6detail17trampoline_kernelINS0_14default_configENS1_33run_length_encode_config_selectorIijNS0_4plusIjEEEEZZNS1_33reduce_by_key_impl_wrapped_configILNS1_25lookback_scan_determinismE0ES3_S7_PKiNS0_17constant_iteratorIjlEEPiPlSF_S6_NS0_8equal_toIiEEEE10hipError_tPvRmT2_T3_mT4_T5_T6_T7_T8_P12ihipStream_tbENKUlT_T0_E_clISt17integral_constantIbLb1EESY_IbLb0EEEEDaSU_SV_EUlSU_E_NS1_11comp_targetILNS1_3genE9ELNS1_11target_archE1100ELNS1_3gpuE3ELNS1_3repE0EEENS1_30default_config_static_selectorELNS0_4arch9wavefront6targetE0EEEvT1_
    .private_segment_fixed_size: 0
    .sgpr_count:     0
    .sgpr_spill_count: 0
    .symbol:         _ZN7rocprim17ROCPRIM_400000_NS6detail17trampoline_kernelINS0_14default_configENS1_33run_length_encode_config_selectorIijNS0_4plusIjEEEEZZNS1_33reduce_by_key_impl_wrapped_configILNS1_25lookback_scan_determinismE0ES3_S7_PKiNS0_17constant_iteratorIjlEEPiPlSF_S6_NS0_8equal_toIiEEEE10hipError_tPvRmT2_T3_mT4_T5_T6_T7_T8_P12ihipStream_tbENKUlT_T0_E_clISt17integral_constantIbLb1EESY_IbLb0EEEEDaSU_SV_EUlSU_E_NS1_11comp_targetILNS1_3genE9ELNS1_11target_archE1100ELNS1_3gpuE3ELNS1_3repE0EEENS1_30default_config_static_selectorELNS0_4arch9wavefront6targetE0EEEvT1_.kd
    .uniform_work_group_size: 1
    .uses_dynamic_stack: false
    .vgpr_count:     0
    .vgpr_spill_count: 0
    .wavefront_size: 32
  - .args:
      - .offset:         0
        .size:           128
        .value_kind:     by_value
    .group_segment_fixed_size: 0
    .kernarg_segment_align: 8
    .kernarg_segment_size: 128
    .language:       OpenCL C
    .language_version:
      - 2
      - 0
    .max_flat_workgroup_size: 192
    .name:           _ZN7rocprim17ROCPRIM_400000_NS6detail17trampoline_kernelINS0_14default_configENS1_33run_length_encode_config_selectorIijNS0_4plusIjEEEEZZNS1_33reduce_by_key_impl_wrapped_configILNS1_25lookback_scan_determinismE0ES3_S7_PKiNS0_17constant_iteratorIjlEEPiPlSF_S6_NS0_8equal_toIiEEEE10hipError_tPvRmT2_T3_mT4_T5_T6_T7_T8_P12ihipStream_tbENKUlT_T0_E_clISt17integral_constantIbLb1EESY_IbLb0EEEEDaSU_SV_EUlSU_E_NS1_11comp_targetILNS1_3genE8ELNS1_11target_archE1030ELNS1_3gpuE2ELNS1_3repE0EEENS1_30default_config_static_selectorELNS0_4arch9wavefront6targetE0EEEvT1_
    .private_segment_fixed_size: 0
    .sgpr_count:     0
    .sgpr_spill_count: 0
    .symbol:         _ZN7rocprim17ROCPRIM_400000_NS6detail17trampoline_kernelINS0_14default_configENS1_33run_length_encode_config_selectorIijNS0_4plusIjEEEEZZNS1_33reduce_by_key_impl_wrapped_configILNS1_25lookback_scan_determinismE0ES3_S7_PKiNS0_17constant_iteratorIjlEEPiPlSF_S6_NS0_8equal_toIiEEEE10hipError_tPvRmT2_T3_mT4_T5_T6_T7_T8_P12ihipStream_tbENKUlT_T0_E_clISt17integral_constantIbLb1EESY_IbLb0EEEEDaSU_SV_EUlSU_E_NS1_11comp_targetILNS1_3genE8ELNS1_11target_archE1030ELNS1_3gpuE2ELNS1_3repE0EEENS1_30default_config_static_selectorELNS0_4arch9wavefront6targetE0EEEvT1_.kd
    .uniform_work_group_size: 1
    .uses_dynamic_stack: false
    .vgpr_count:     0
    .vgpr_spill_count: 0
    .wavefront_size: 32
  - .args:
      - .offset:         0
        .size:           128
        .value_kind:     by_value
    .group_segment_fixed_size: 14336
    .kernarg_segment_align: 8
    .kernarg_segment_size: 128
    .language:       OpenCL C
    .language_version:
      - 2
      - 0
    .max_flat_workgroup_size: 256
    .name:           _ZN7rocprim17ROCPRIM_400000_NS6detail17trampoline_kernelINS0_14default_configENS1_33run_length_encode_config_selectorIijNS0_4plusIjEEEEZZNS1_33reduce_by_key_impl_wrapped_configILNS1_25lookback_scan_determinismE0ES3_S7_PKiNS0_17constant_iteratorIjlEEPiPlSF_S6_NS0_8equal_toIiEEEE10hipError_tPvRmT2_T3_mT4_T5_T6_T7_T8_P12ihipStream_tbENKUlT_T0_E_clISt17integral_constantIbLb0EESY_IbLb1EEEEDaSU_SV_EUlSU_E_NS1_11comp_targetILNS1_3genE0ELNS1_11target_archE4294967295ELNS1_3gpuE0ELNS1_3repE0EEENS1_30default_config_static_selectorELNS0_4arch9wavefront6targetE0EEEvT1_
    .private_segment_fixed_size: 0
    .sgpr_count:     45
    .sgpr_spill_count: 0
    .symbol:         _ZN7rocprim17ROCPRIM_400000_NS6detail17trampoline_kernelINS0_14default_configENS1_33run_length_encode_config_selectorIijNS0_4plusIjEEEEZZNS1_33reduce_by_key_impl_wrapped_configILNS1_25lookback_scan_determinismE0ES3_S7_PKiNS0_17constant_iteratorIjlEEPiPlSF_S6_NS0_8equal_toIiEEEE10hipError_tPvRmT2_T3_mT4_T5_T6_T7_T8_P12ihipStream_tbENKUlT_T0_E_clISt17integral_constantIbLb0EESY_IbLb1EEEEDaSU_SV_EUlSU_E_NS1_11comp_targetILNS1_3genE0ELNS1_11target_archE4294967295ELNS1_3gpuE0ELNS1_3repE0EEENS1_30default_config_static_selectorELNS0_4arch9wavefront6targetE0EEEvT1_.kd
    .uniform_work_group_size: 1
    .uses_dynamic_stack: false
    .vgpr_count:     102
    .vgpr_spill_count: 0
    .wavefront_size: 32
  - .args:
      - .offset:         0
        .size:           128
        .value_kind:     by_value
    .group_segment_fixed_size: 0
    .kernarg_segment_align: 8
    .kernarg_segment_size: 128
    .language:       OpenCL C
    .language_version:
      - 2
      - 0
    .max_flat_workgroup_size: 512
    .name:           _ZN7rocprim17ROCPRIM_400000_NS6detail17trampoline_kernelINS0_14default_configENS1_33run_length_encode_config_selectorIijNS0_4plusIjEEEEZZNS1_33reduce_by_key_impl_wrapped_configILNS1_25lookback_scan_determinismE0ES3_S7_PKiNS0_17constant_iteratorIjlEEPiPlSF_S6_NS0_8equal_toIiEEEE10hipError_tPvRmT2_T3_mT4_T5_T6_T7_T8_P12ihipStream_tbENKUlT_T0_E_clISt17integral_constantIbLb0EESY_IbLb1EEEEDaSU_SV_EUlSU_E_NS1_11comp_targetILNS1_3genE5ELNS1_11target_archE942ELNS1_3gpuE9ELNS1_3repE0EEENS1_30default_config_static_selectorELNS0_4arch9wavefront6targetE0EEEvT1_
    .private_segment_fixed_size: 0
    .sgpr_count:     0
    .sgpr_spill_count: 0
    .symbol:         _ZN7rocprim17ROCPRIM_400000_NS6detail17trampoline_kernelINS0_14default_configENS1_33run_length_encode_config_selectorIijNS0_4plusIjEEEEZZNS1_33reduce_by_key_impl_wrapped_configILNS1_25lookback_scan_determinismE0ES3_S7_PKiNS0_17constant_iteratorIjlEEPiPlSF_S6_NS0_8equal_toIiEEEE10hipError_tPvRmT2_T3_mT4_T5_T6_T7_T8_P12ihipStream_tbENKUlT_T0_E_clISt17integral_constantIbLb0EESY_IbLb1EEEEDaSU_SV_EUlSU_E_NS1_11comp_targetILNS1_3genE5ELNS1_11target_archE942ELNS1_3gpuE9ELNS1_3repE0EEENS1_30default_config_static_selectorELNS0_4arch9wavefront6targetE0EEEvT1_.kd
    .uniform_work_group_size: 1
    .uses_dynamic_stack: false
    .vgpr_count:     0
    .vgpr_spill_count: 0
    .wavefront_size: 32
  - .args:
      - .offset:         0
        .size:           128
        .value_kind:     by_value
    .group_segment_fixed_size: 0
    .kernarg_segment_align: 8
    .kernarg_segment_size: 128
    .language:       OpenCL C
    .language_version:
      - 2
      - 0
    .max_flat_workgroup_size: 256
    .name:           _ZN7rocprim17ROCPRIM_400000_NS6detail17trampoline_kernelINS0_14default_configENS1_33run_length_encode_config_selectorIijNS0_4plusIjEEEEZZNS1_33reduce_by_key_impl_wrapped_configILNS1_25lookback_scan_determinismE0ES3_S7_PKiNS0_17constant_iteratorIjlEEPiPlSF_S6_NS0_8equal_toIiEEEE10hipError_tPvRmT2_T3_mT4_T5_T6_T7_T8_P12ihipStream_tbENKUlT_T0_E_clISt17integral_constantIbLb0EESY_IbLb1EEEEDaSU_SV_EUlSU_E_NS1_11comp_targetILNS1_3genE4ELNS1_11target_archE910ELNS1_3gpuE8ELNS1_3repE0EEENS1_30default_config_static_selectorELNS0_4arch9wavefront6targetE0EEEvT1_
    .private_segment_fixed_size: 0
    .sgpr_count:     0
    .sgpr_spill_count: 0
    .symbol:         _ZN7rocprim17ROCPRIM_400000_NS6detail17trampoline_kernelINS0_14default_configENS1_33run_length_encode_config_selectorIijNS0_4plusIjEEEEZZNS1_33reduce_by_key_impl_wrapped_configILNS1_25lookback_scan_determinismE0ES3_S7_PKiNS0_17constant_iteratorIjlEEPiPlSF_S6_NS0_8equal_toIiEEEE10hipError_tPvRmT2_T3_mT4_T5_T6_T7_T8_P12ihipStream_tbENKUlT_T0_E_clISt17integral_constantIbLb0EESY_IbLb1EEEEDaSU_SV_EUlSU_E_NS1_11comp_targetILNS1_3genE4ELNS1_11target_archE910ELNS1_3gpuE8ELNS1_3repE0EEENS1_30default_config_static_selectorELNS0_4arch9wavefront6targetE0EEEvT1_.kd
    .uniform_work_group_size: 1
    .uses_dynamic_stack: false
    .vgpr_count:     0
    .vgpr_spill_count: 0
    .wavefront_size: 32
  - .args:
      - .offset:         0
        .size:           128
        .value_kind:     by_value
    .group_segment_fixed_size: 0
    .kernarg_segment_align: 8
    .kernarg_segment_size: 128
    .language:       OpenCL C
    .language_version:
      - 2
      - 0
    .max_flat_workgroup_size: 256
    .name:           _ZN7rocprim17ROCPRIM_400000_NS6detail17trampoline_kernelINS0_14default_configENS1_33run_length_encode_config_selectorIijNS0_4plusIjEEEEZZNS1_33reduce_by_key_impl_wrapped_configILNS1_25lookback_scan_determinismE0ES3_S7_PKiNS0_17constant_iteratorIjlEEPiPlSF_S6_NS0_8equal_toIiEEEE10hipError_tPvRmT2_T3_mT4_T5_T6_T7_T8_P12ihipStream_tbENKUlT_T0_E_clISt17integral_constantIbLb0EESY_IbLb1EEEEDaSU_SV_EUlSU_E_NS1_11comp_targetILNS1_3genE3ELNS1_11target_archE908ELNS1_3gpuE7ELNS1_3repE0EEENS1_30default_config_static_selectorELNS0_4arch9wavefront6targetE0EEEvT1_
    .private_segment_fixed_size: 0
    .sgpr_count:     0
    .sgpr_spill_count: 0
    .symbol:         _ZN7rocprim17ROCPRIM_400000_NS6detail17trampoline_kernelINS0_14default_configENS1_33run_length_encode_config_selectorIijNS0_4plusIjEEEEZZNS1_33reduce_by_key_impl_wrapped_configILNS1_25lookback_scan_determinismE0ES3_S7_PKiNS0_17constant_iteratorIjlEEPiPlSF_S6_NS0_8equal_toIiEEEE10hipError_tPvRmT2_T3_mT4_T5_T6_T7_T8_P12ihipStream_tbENKUlT_T0_E_clISt17integral_constantIbLb0EESY_IbLb1EEEEDaSU_SV_EUlSU_E_NS1_11comp_targetILNS1_3genE3ELNS1_11target_archE908ELNS1_3gpuE7ELNS1_3repE0EEENS1_30default_config_static_selectorELNS0_4arch9wavefront6targetE0EEEvT1_.kd
    .uniform_work_group_size: 1
    .uses_dynamic_stack: false
    .vgpr_count:     0
    .vgpr_spill_count: 0
    .wavefront_size: 32
  - .args:
      - .offset:         0
        .size:           128
        .value_kind:     by_value
    .group_segment_fixed_size: 0
    .kernarg_segment_align: 8
    .kernarg_segment_size: 128
    .language:       OpenCL C
    .language_version:
      - 2
      - 0
    .max_flat_workgroup_size: 256
    .name:           _ZN7rocprim17ROCPRIM_400000_NS6detail17trampoline_kernelINS0_14default_configENS1_33run_length_encode_config_selectorIijNS0_4plusIjEEEEZZNS1_33reduce_by_key_impl_wrapped_configILNS1_25lookback_scan_determinismE0ES3_S7_PKiNS0_17constant_iteratorIjlEEPiPlSF_S6_NS0_8equal_toIiEEEE10hipError_tPvRmT2_T3_mT4_T5_T6_T7_T8_P12ihipStream_tbENKUlT_T0_E_clISt17integral_constantIbLb0EESY_IbLb1EEEEDaSU_SV_EUlSU_E_NS1_11comp_targetILNS1_3genE2ELNS1_11target_archE906ELNS1_3gpuE6ELNS1_3repE0EEENS1_30default_config_static_selectorELNS0_4arch9wavefront6targetE0EEEvT1_
    .private_segment_fixed_size: 0
    .sgpr_count:     0
    .sgpr_spill_count: 0
    .symbol:         _ZN7rocprim17ROCPRIM_400000_NS6detail17trampoline_kernelINS0_14default_configENS1_33run_length_encode_config_selectorIijNS0_4plusIjEEEEZZNS1_33reduce_by_key_impl_wrapped_configILNS1_25lookback_scan_determinismE0ES3_S7_PKiNS0_17constant_iteratorIjlEEPiPlSF_S6_NS0_8equal_toIiEEEE10hipError_tPvRmT2_T3_mT4_T5_T6_T7_T8_P12ihipStream_tbENKUlT_T0_E_clISt17integral_constantIbLb0EESY_IbLb1EEEEDaSU_SV_EUlSU_E_NS1_11comp_targetILNS1_3genE2ELNS1_11target_archE906ELNS1_3gpuE6ELNS1_3repE0EEENS1_30default_config_static_selectorELNS0_4arch9wavefront6targetE0EEEvT1_.kd
    .uniform_work_group_size: 1
    .uses_dynamic_stack: false
    .vgpr_count:     0
    .vgpr_spill_count: 0
    .wavefront_size: 32
  - .args:
      - .offset:         0
        .size:           128
        .value_kind:     by_value
    .group_segment_fixed_size: 0
    .kernarg_segment_align: 8
    .kernarg_segment_size: 128
    .language:       OpenCL C
    .language_version:
      - 2
      - 0
    .max_flat_workgroup_size: 384
    .name:           _ZN7rocprim17ROCPRIM_400000_NS6detail17trampoline_kernelINS0_14default_configENS1_33run_length_encode_config_selectorIijNS0_4plusIjEEEEZZNS1_33reduce_by_key_impl_wrapped_configILNS1_25lookback_scan_determinismE0ES3_S7_PKiNS0_17constant_iteratorIjlEEPiPlSF_S6_NS0_8equal_toIiEEEE10hipError_tPvRmT2_T3_mT4_T5_T6_T7_T8_P12ihipStream_tbENKUlT_T0_E_clISt17integral_constantIbLb0EESY_IbLb1EEEEDaSU_SV_EUlSU_E_NS1_11comp_targetILNS1_3genE10ELNS1_11target_archE1201ELNS1_3gpuE5ELNS1_3repE0EEENS1_30default_config_static_selectorELNS0_4arch9wavefront6targetE0EEEvT1_
    .private_segment_fixed_size: 0
    .sgpr_count:     0
    .sgpr_spill_count: 0
    .symbol:         _ZN7rocprim17ROCPRIM_400000_NS6detail17trampoline_kernelINS0_14default_configENS1_33run_length_encode_config_selectorIijNS0_4plusIjEEEEZZNS1_33reduce_by_key_impl_wrapped_configILNS1_25lookback_scan_determinismE0ES3_S7_PKiNS0_17constant_iteratorIjlEEPiPlSF_S6_NS0_8equal_toIiEEEE10hipError_tPvRmT2_T3_mT4_T5_T6_T7_T8_P12ihipStream_tbENKUlT_T0_E_clISt17integral_constantIbLb0EESY_IbLb1EEEEDaSU_SV_EUlSU_E_NS1_11comp_targetILNS1_3genE10ELNS1_11target_archE1201ELNS1_3gpuE5ELNS1_3repE0EEENS1_30default_config_static_selectorELNS0_4arch9wavefront6targetE0EEEvT1_.kd
    .uniform_work_group_size: 1
    .uses_dynamic_stack: false
    .vgpr_count:     0
    .vgpr_spill_count: 0
    .wavefront_size: 32
  - .args:
      - .offset:         0
        .size:           128
        .value_kind:     by_value
    .group_segment_fixed_size: 0
    .kernarg_segment_align: 8
    .kernarg_segment_size: 128
    .language:       OpenCL C
    .language_version:
      - 2
      - 0
    .max_flat_workgroup_size: 256
    .name:           _ZN7rocprim17ROCPRIM_400000_NS6detail17trampoline_kernelINS0_14default_configENS1_33run_length_encode_config_selectorIijNS0_4plusIjEEEEZZNS1_33reduce_by_key_impl_wrapped_configILNS1_25lookback_scan_determinismE0ES3_S7_PKiNS0_17constant_iteratorIjlEEPiPlSF_S6_NS0_8equal_toIiEEEE10hipError_tPvRmT2_T3_mT4_T5_T6_T7_T8_P12ihipStream_tbENKUlT_T0_E_clISt17integral_constantIbLb0EESY_IbLb1EEEEDaSU_SV_EUlSU_E_NS1_11comp_targetILNS1_3genE10ELNS1_11target_archE1200ELNS1_3gpuE4ELNS1_3repE0EEENS1_30default_config_static_selectorELNS0_4arch9wavefront6targetE0EEEvT1_
    .private_segment_fixed_size: 0
    .sgpr_count:     0
    .sgpr_spill_count: 0
    .symbol:         _ZN7rocprim17ROCPRIM_400000_NS6detail17trampoline_kernelINS0_14default_configENS1_33run_length_encode_config_selectorIijNS0_4plusIjEEEEZZNS1_33reduce_by_key_impl_wrapped_configILNS1_25lookback_scan_determinismE0ES3_S7_PKiNS0_17constant_iteratorIjlEEPiPlSF_S6_NS0_8equal_toIiEEEE10hipError_tPvRmT2_T3_mT4_T5_T6_T7_T8_P12ihipStream_tbENKUlT_T0_E_clISt17integral_constantIbLb0EESY_IbLb1EEEEDaSU_SV_EUlSU_E_NS1_11comp_targetILNS1_3genE10ELNS1_11target_archE1200ELNS1_3gpuE4ELNS1_3repE0EEENS1_30default_config_static_selectorELNS0_4arch9wavefront6targetE0EEEvT1_.kd
    .uniform_work_group_size: 1
    .uses_dynamic_stack: false
    .vgpr_count:     0
    .vgpr_spill_count: 0
    .wavefront_size: 32
  - .args:
      - .offset:         0
        .size:           128
        .value_kind:     by_value
    .group_segment_fixed_size: 0
    .kernarg_segment_align: 8
    .kernarg_segment_size: 128
    .language:       OpenCL C
    .language_version:
      - 2
      - 0
    .max_flat_workgroup_size: 512
    .name:           _ZN7rocprim17ROCPRIM_400000_NS6detail17trampoline_kernelINS0_14default_configENS1_33run_length_encode_config_selectorIijNS0_4plusIjEEEEZZNS1_33reduce_by_key_impl_wrapped_configILNS1_25lookback_scan_determinismE0ES3_S7_PKiNS0_17constant_iteratorIjlEEPiPlSF_S6_NS0_8equal_toIiEEEE10hipError_tPvRmT2_T3_mT4_T5_T6_T7_T8_P12ihipStream_tbENKUlT_T0_E_clISt17integral_constantIbLb0EESY_IbLb1EEEEDaSU_SV_EUlSU_E_NS1_11comp_targetILNS1_3genE9ELNS1_11target_archE1100ELNS1_3gpuE3ELNS1_3repE0EEENS1_30default_config_static_selectorELNS0_4arch9wavefront6targetE0EEEvT1_
    .private_segment_fixed_size: 0
    .sgpr_count:     0
    .sgpr_spill_count: 0
    .symbol:         _ZN7rocprim17ROCPRIM_400000_NS6detail17trampoline_kernelINS0_14default_configENS1_33run_length_encode_config_selectorIijNS0_4plusIjEEEEZZNS1_33reduce_by_key_impl_wrapped_configILNS1_25lookback_scan_determinismE0ES3_S7_PKiNS0_17constant_iteratorIjlEEPiPlSF_S6_NS0_8equal_toIiEEEE10hipError_tPvRmT2_T3_mT4_T5_T6_T7_T8_P12ihipStream_tbENKUlT_T0_E_clISt17integral_constantIbLb0EESY_IbLb1EEEEDaSU_SV_EUlSU_E_NS1_11comp_targetILNS1_3genE9ELNS1_11target_archE1100ELNS1_3gpuE3ELNS1_3repE0EEENS1_30default_config_static_selectorELNS0_4arch9wavefront6targetE0EEEvT1_.kd
    .uniform_work_group_size: 1
    .uses_dynamic_stack: false
    .vgpr_count:     0
    .vgpr_spill_count: 0
    .wavefront_size: 32
  - .args:
      - .offset:         0
        .size:           128
        .value_kind:     by_value
    .group_segment_fixed_size: 0
    .kernarg_segment_align: 8
    .kernarg_segment_size: 128
    .language:       OpenCL C
    .language_version:
      - 2
      - 0
    .max_flat_workgroup_size: 192
    .name:           _ZN7rocprim17ROCPRIM_400000_NS6detail17trampoline_kernelINS0_14default_configENS1_33run_length_encode_config_selectorIijNS0_4plusIjEEEEZZNS1_33reduce_by_key_impl_wrapped_configILNS1_25lookback_scan_determinismE0ES3_S7_PKiNS0_17constant_iteratorIjlEEPiPlSF_S6_NS0_8equal_toIiEEEE10hipError_tPvRmT2_T3_mT4_T5_T6_T7_T8_P12ihipStream_tbENKUlT_T0_E_clISt17integral_constantIbLb0EESY_IbLb1EEEEDaSU_SV_EUlSU_E_NS1_11comp_targetILNS1_3genE8ELNS1_11target_archE1030ELNS1_3gpuE2ELNS1_3repE0EEENS1_30default_config_static_selectorELNS0_4arch9wavefront6targetE0EEEvT1_
    .private_segment_fixed_size: 0
    .sgpr_count:     0
    .sgpr_spill_count: 0
    .symbol:         _ZN7rocprim17ROCPRIM_400000_NS6detail17trampoline_kernelINS0_14default_configENS1_33run_length_encode_config_selectorIijNS0_4plusIjEEEEZZNS1_33reduce_by_key_impl_wrapped_configILNS1_25lookback_scan_determinismE0ES3_S7_PKiNS0_17constant_iteratorIjlEEPiPlSF_S6_NS0_8equal_toIiEEEE10hipError_tPvRmT2_T3_mT4_T5_T6_T7_T8_P12ihipStream_tbENKUlT_T0_E_clISt17integral_constantIbLb0EESY_IbLb1EEEEDaSU_SV_EUlSU_E_NS1_11comp_targetILNS1_3genE8ELNS1_11target_archE1030ELNS1_3gpuE2ELNS1_3repE0EEENS1_30default_config_static_selectorELNS0_4arch9wavefront6targetE0EEEvT1_.kd
    .uniform_work_group_size: 1
    .uses_dynamic_stack: false
    .vgpr_count:     0
    .vgpr_spill_count: 0
    .wavefront_size: 32
  - .args:
      - .offset:         0
        .size:           8
        .value_kind:     by_value
      - .address_space:  global
        .offset:         8
        .size:           8
        .value_kind:     global_buffer
      - .address_space:  global
        .offset:         16
        .size:           8
        .value_kind:     global_buffer
      - .offset:         24
        .size:           4
        .value_kind:     hidden_block_count_x
      - .offset:         28
        .size:           4
        .value_kind:     hidden_block_count_y
      - .offset:         32
        .size:           4
        .value_kind:     hidden_block_count_z
      - .offset:         36
        .size:           2
        .value_kind:     hidden_group_size_x
      - .offset:         38
        .size:           2
        .value_kind:     hidden_group_size_y
      - .offset:         40
        .size:           2
        .value_kind:     hidden_group_size_z
      - .offset:         42
        .size:           2
        .value_kind:     hidden_remainder_x
      - .offset:         44
        .size:           2
        .value_kind:     hidden_remainder_y
      - .offset:         46
        .size:           2
        .value_kind:     hidden_remainder_z
      - .offset:         64
        .size:           8
        .value_kind:     hidden_global_offset_x
      - .offset:         72
        .size:           8
        .value_kind:     hidden_global_offset_y
      - .offset:         80
        .size:           8
        .value_kind:     hidden_global_offset_z
      - .offset:         88
        .size:           2
        .value_kind:     hidden_grid_dims
    .group_segment_fixed_size: 0
    .kernarg_segment_align: 8
    .kernarg_segment_size: 280
    .language:       OpenCL C
    .language_version:
      - 2
      - 0
    .max_flat_workgroup_size: 1024
    .name:           _ZN2at6native8internal12_GLOBAL__N_126adjacent_difference_kernelIPKlEEvlT_Pi
    .private_segment_fixed_size: 0
    .sgpr_count:     20
    .sgpr_spill_count: 0
    .symbol:         _ZN2at6native8internal12_GLOBAL__N_126adjacent_difference_kernelIPKlEEvlT_Pi.kd
    .uniform_work_group_size: 1
    .uses_dynamic_stack: false
    .vgpr_count:     12
    .vgpr_spill_count: 0
    .wavefront_size: 32
  - .args:
      - .offset:         0
        .size:           112
        .value_kind:     by_value
    .group_segment_fixed_size: 28680
    .kernarg_segment_align: 8
    .kernarg_segment_size: 112
    .language:       OpenCL C
    .language_version:
      - 2
      - 0
    .max_flat_workgroup_size: 512
    .name:           _ZN7rocprim17ROCPRIM_400000_NS6detail17trampoline_kernelINS0_14default_configENS1_25partition_config_selectorILNS1_17partition_subalgoE8ElNS0_10empty_typeEbEEZZNS1_14partition_implILS5_8ELb0ES3_jPKlPS6_PKS6_NS0_5tupleIJPlS6_EEENSE_IJSB_SB_EEENS0_18inequality_wrapperIN6hipcub16HIPCUB_304000_NS8EqualityEEESF_JS6_EEE10hipError_tPvRmT3_T4_T5_T6_T7_T9_mT8_P12ihipStream_tbDpT10_ENKUlT_T0_E_clISt17integral_constantIbLb0EES16_EEDaS11_S12_EUlS11_E_NS1_11comp_targetILNS1_3genE0ELNS1_11target_archE4294967295ELNS1_3gpuE0ELNS1_3repE0EEENS1_30default_config_static_selectorELNS0_4arch9wavefront6targetE0EEEvT1_
    .private_segment_fixed_size: 0
    .sgpr_count:     26
    .sgpr_spill_count: 0
    .symbol:         _ZN7rocprim17ROCPRIM_400000_NS6detail17trampoline_kernelINS0_14default_configENS1_25partition_config_selectorILNS1_17partition_subalgoE8ElNS0_10empty_typeEbEEZZNS1_14partition_implILS5_8ELb0ES3_jPKlPS6_PKS6_NS0_5tupleIJPlS6_EEENSE_IJSB_SB_EEENS0_18inequality_wrapperIN6hipcub16HIPCUB_304000_NS8EqualityEEESF_JS6_EEE10hipError_tPvRmT3_T4_T5_T6_T7_T9_mT8_P12ihipStream_tbDpT10_ENKUlT_T0_E_clISt17integral_constantIbLb0EES16_EEDaS11_S12_EUlS11_E_NS1_11comp_targetILNS1_3genE0ELNS1_11target_archE4294967295ELNS1_3gpuE0ELNS1_3repE0EEENS1_30default_config_static_selectorELNS0_4arch9wavefront6targetE0EEEvT1_.kd
    .uniform_work_group_size: 1
    .uses_dynamic_stack: false
    .vgpr_count:     55
    .vgpr_spill_count: 0
    .wavefront_size: 32
  - .args:
      - .offset:         0
        .size:           112
        .value_kind:     by_value
    .group_segment_fixed_size: 0
    .kernarg_segment_align: 8
    .kernarg_segment_size: 112
    .language:       OpenCL C
    .language_version:
      - 2
      - 0
    .max_flat_workgroup_size: 512
    .name:           _ZN7rocprim17ROCPRIM_400000_NS6detail17trampoline_kernelINS0_14default_configENS1_25partition_config_selectorILNS1_17partition_subalgoE8ElNS0_10empty_typeEbEEZZNS1_14partition_implILS5_8ELb0ES3_jPKlPS6_PKS6_NS0_5tupleIJPlS6_EEENSE_IJSB_SB_EEENS0_18inequality_wrapperIN6hipcub16HIPCUB_304000_NS8EqualityEEESF_JS6_EEE10hipError_tPvRmT3_T4_T5_T6_T7_T9_mT8_P12ihipStream_tbDpT10_ENKUlT_T0_E_clISt17integral_constantIbLb0EES16_EEDaS11_S12_EUlS11_E_NS1_11comp_targetILNS1_3genE5ELNS1_11target_archE942ELNS1_3gpuE9ELNS1_3repE0EEENS1_30default_config_static_selectorELNS0_4arch9wavefront6targetE0EEEvT1_
    .private_segment_fixed_size: 0
    .sgpr_count:     0
    .sgpr_spill_count: 0
    .symbol:         _ZN7rocprim17ROCPRIM_400000_NS6detail17trampoline_kernelINS0_14default_configENS1_25partition_config_selectorILNS1_17partition_subalgoE8ElNS0_10empty_typeEbEEZZNS1_14partition_implILS5_8ELb0ES3_jPKlPS6_PKS6_NS0_5tupleIJPlS6_EEENSE_IJSB_SB_EEENS0_18inequality_wrapperIN6hipcub16HIPCUB_304000_NS8EqualityEEESF_JS6_EEE10hipError_tPvRmT3_T4_T5_T6_T7_T9_mT8_P12ihipStream_tbDpT10_ENKUlT_T0_E_clISt17integral_constantIbLb0EES16_EEDaS11_S12_EUlS11_E_NS1_11comp_targetILNS1_3genE5ELNS1_11target_archE942ELNS1_3gpuE9ELNS1_3repE0EEENS1_30default_config_static_selectorELNS0_4arch9wavefront6targetE0EEEvT1_.kd
    .uniform_work_group_size: 1
    .uses_dynamic_stack: false
    .vgpr_count:     0
    .vgpr_spill_count: 0
    .wavefront_size: 32
  - .args:
      - .offset:         0
        .size:           112
        .value_kind:     by_value
    .group_segment_fixed_size: 0
    .kernarg_segment_align: 8
    .kernarg_segment_size: 112
    .language:       OpenCL C
    .language_version:
      - 2
      - 0
    .max_flat_workgroup_size: 256
    .name:           _ZN7rocprim17ROCPRIM_400000_NS6detail17trampoline_kernelINS0_14default_configENS1_25partition_config_selectorILNS1_17partition_subalgoE8ElNS0_10empty_typeEbEEZZNS1_14partition_implILS5_8ELb0ES3_jPKlPS6_PKS6_NS0_5tupleIJPlS6_EEENSE_IJSB_SB_EEENS0_18inequality_wrapperIN6hipcub16HIPCUB_304000_NS8EqualityEEESF_JS6_EEE10hipError_tPvRmT3_T4_T5_T6_T7_T9_mT8_P12ihipStream_tbDpT10_ENKUlT_T0_E_clISt17integral_constantIbLb0EES16_EEDaS11_S12_EUlS11_E_NS1_11comp_targetILNS1_3genE4ELNS1_11target_archE910ELNS1_3gpuE8ELNS1_3repE0EEENS1_30default_config_static_selectorELNS0_4arch9wavefront6targetE0EEEvT1_
    .private_segment_fixed_size: 0
    .sgpr_count:     0
    .sgpr_spill_count: 0
    .symbol:         _ZN7rocprim17ROCPRIM_400000_NS6detail17trampoline_kernelINS0_14default_configENS1_25partition_config_selectorILNS1_17partition_subalgoE8ElNS0_10empty_typeEbEEZZNS1_14partition_implILS5_8ELb0ES3_jPKlPS6_PKS6_NS0_5tupleIJPlS6_EEENSE_IJSB_SB_EEENS0_18inequality_wrapperIN6hipcub16HIPCUB_304000_NS8EqualityEEESF_JS6_EEE10hipError_tPvRmT3_T4_T5_T6_T7_T9_mT8_P12ihipStream_tbDpT10_ENKUlT_T0_E_clISt17integral_constantIbLb0EES16_EEDaS11_S12_EUlS11_E_NS1_11comp_targetILNS1_3genE4ELNS1_11target_archE910ELNS1_3gpuE8ELNS1_3repE0EEENS1_30default_config_static_selectorELNS0_4arch9wavefront6targetE0EEEvT1_.kd
    .uniform_work_group_size: 1
    .uses_dynamic_stack: false
    .vgpr_count:     0
    .vgpr_spill_count: 0
    .wavefront_size: 32
  - .args:
      - .offset:         0
        .size:           112
        .value_kind:     by_value
    .group_segment_fixed_size: 0
    .kernarg_segment_align: 8
    .kernarg_segment_size: 112
    .language:       OpenCL C
    .language_version:
      - 2
      - 0
    .max_flat_workgroup_size: 512
    .name:           _ZN7rocprim17ROCPRIM_400000_NS6detail17trampoline_kernelINS0_14default_configENS1_25partition_config_selectorILNS1_17partition_subalgoE8ElNS0_10empty_typeEbEEZZNS1_14partition_implILS5_8ELb0ES3_jPKlPS6_PKS6_NS0_5tupleIJPlS6_EEENSE_IJSB_SB_EEENS0_18inequality_wrapperIN6hipcub16HIPCUB_304000_NS8EqualityEEESF_JS6_EEE10hipError_tPvRmT3_T4_T5_T6_T7_T9_mT8_P12ihipStream_tbDpT10_ENKUlT_T0_E_clISt17integral_constantIbLb0EES16_EEDaS11_S12_EUlS11_E_NS1_11comp_targetILNS1_3genE3ELNS1_11target_archE908ELNS1_3gpuE7ELNS1_3repE0EEENS1_30default_config_static_selectorELNS0_4arch9wavefront6targetE0EEEvT1_
    .private_segment_fixed_size: 0
    .sgpr_count:     0
    .sgpr_spill_count: 0
    .symbol:         _ZN7rocprim17ROCPRIM_400000_NS6detail17trampoline_kernelINS0_14default_configENS1_25partition_config_selectorILNS1_17partition_subalgoE8ElNS0_10empty_typeEbEEZZNS1_14partition_implILS5_8ELb0ES3_jPKlPS6_PKS6_NS0_5tupleIJPlS6_EEENSE_IJSB_SB_EEENS0_18inequality_wrapperIN6hipcub16HIPCUB_304000_NS8EqualityEEESF_JS6_EEE10hipError_tPvRmT3_T4_T5_T6_T7_T9_mT8_P12ihipStream_tbDpT10_ENKUlT_T0_E_clISt17integral_constantIbLb0EES16_EEDaS11_S12_EUlS11_E_NS1_11comp_targetILNS1_3genE3ELNS1_11target_archE908ELNS1_3gpuE7ELNS1_3repE0EEENS1_30default_config_static_selectorELNS0_4arch9wavefront6targetE0EEEvT1_.kd
    .uniform_work_group_size: 1
    .uses_dynamic_stack: false
    .vgpr_count:     0
    .vgpr_spill_count: 0
    .wavefront_size: 32
  - .args:
      - .offset:         0
        .size:           112
        .value_kind:     by_value
    .group_segment_fixed_size: 0
    .kernarg_segment_align: 8
    .kernarg_segment_size: 112
    .language:       OpenCL C
    .language_version:
      - 2
      - 0
    .max_flat_workgroup_size: 256
    .name:           _ZN7rocprim17ROCPRIM_400000_NS6detail17trampoline_kernelINS0_14default_configENS1_25partition_config_selectorILNS1_17partition_subalgoE8ElNS0_10empty_typeEbEEZZNS1_14partition_implILS5_8ELb0ES3_jPKlPS6_PKS6_NS0_5tupleIJPlS6_EEENSE_IJSB_SB_EEENS0_18inequality_wrapperIN6hipcub16HIPCUB_304000_NS8EqualityEEESF_JS6_EEE10hipError_tPvRmT3_T4_T5_T6_T7_T9_mT8_P12ihipStream_tbDpT10_ENKUlT_T0_E_clISt17integral_constantIbLb0EES16_EEDaS11_S12_EUlS11_E_NS1_11comp_targetILNS1_3genE2ELNS1_11target_archE906ELNS1_3gpuE6ELNS1_3repE0EEENS1_30default_config_static_selectorELNS0_4arch9wavefront6targetE0EEEvT1_
    .private_segment_fixed_size: 0
    .sgpr_count:     0
    .sgpr_spill_count: 0
    .symbol:         _ZN7rocprim17ROCPRIM_400000_NS6detail17trampoline_kernelINS0_14default_configENS1_25partition_config_selectorILNS1_17partition_subalgoE8ElNS0_10empty_typeEbEEZZNS1_14partition_implILS5_8ELb0ES3_jPKlPS6_PKS6_NS0_5tupleIJPlS6_EEENSE_IJSB_SB_EEENS0_18inequality_wrapperIN6hipcub16HIPCUB_304000_NS8EqualityEEESF_JS6_EEE10hipError_tPvRmT3_T4_T5_T6_T7_T9_mT8_P12ihipStream_tbDpT10_ENKUlT_T0_E_clISt17integral_constantIbLb0EES16_EEDaS11_S12_EUlS11_E_NS1_11comp_targetILNS1_3genE2ELNS1_11target_archE906ELNS1_3gpuE6ELNS1_3repE0EEENS1_30default_config_static_selectorELNS0_4arch9wavefront6targetE0EEEvT1_.kd
    .uniform_work_group_size: 1
    .uses_dynamic_stack: false
    .vgpr_count:     0
    .vgpr_spill_count: 0
    .wavefront_size: 32
  - .args:
      - .offset:         0
        .size:           112
        .value_kind:     by_value
    .group_segment_fixed_size: 0
    .kernarg_segment_align: 8
    .kernarg_segment_size: 112
    .language:       OpenCL C
    .language_version:
      - 2
      - 0
    .max_flat_workgroup_size: 384
    .name:           _ZN7rocprim17ROCPRIM_400000_NS6detail17trampoline_kernelINS0_14default_configENS1_25partition_config_selectorILNS1_17partition_subalgoE8ElNS0_10empty_typeEbEEZZNS1_14partition_implILS5_8ELb0ES3_jPKlPS6_PKS6_NS0_5tupleIJPlS6_EEENSE_IJSB_SB_EEENS0_18inequality_wrapperIN6hipcub16HIPCUB_304000_NS8EqualityEEESF_JS6_EEE10hipError_tPvRmT3_T4_T5_T6_T7_T9_mT8_P12ihipStream_tbDpT10_ENKUlT_T0_E_clISt17integral_constantIbLb0EES16_EEDaS11_S12_EUlS11_E_NS1_11comp_targetILNS1_3genE10ELNS1_11target_archE1200ELNS1_3gpuE4ELNS1_3repE0EEENS1_30default_config_static_selectorELNS0_4arch9wavefront6targetE0EEEvT1_
    .private_segment_fixed_size: 0
    .sgpr_count:     0
    .sgpr_spill_count: 0
    .symbol:         _ZN7rocprim17ROCPRIM_400000_NS6detail17trampoline_kernelINS0_14default_configENS1_25partition_config_selectorILNS1_17partition_subalgoE8ElNS0_10empty_typeEbEEZZNS1_14partition_implILS5_8ELb0ES3_jPKlPS6_PKS6_NS0_5tupleIJPlS6_EEENSE_IJSB_SB_EEENS0_18inequality_wrapperIN6hipcub16HIPCUB_304000_NS8EqualityEEESF_JS6_EEE10hipError_tPvRmT3_T4_T5_T6_T7_T9_mT8_P12ihipStream_tbDpT10_ENKUlT_T0_E_clISt17integral_constantIbLb0EES16_EEDaS11_S12_EUlS11_E_NS1_11comp_targetILNS1_3genE10ELNS1_11target_archE1200ELNS1_3gpuE4ELNS1_3repE0EEENS1_30default_config_static_selectorELNS0_4arch9wavefront6targetE0EEEvT1_.kd
    .uniform_work_group_size: 1
    .uses_dynamic_stack: false
    .vgpr_count:     0
    .vgpr_spill_count: 0
    .wavefront_size: 32
  - .args:
      - .offset:         0
        .size:           112
        .value_kind:     by_value
    .group_segment_fixed_size: 0
    .kernarg_segment_align: 8
    .kernarg_segment_size: 112
    .language:       OpenCL C
    .language_version:
      - 2
      - 0
    .max_flat_workgroup_size: 512
    .name:           _ZN7rocprim17ROCPRIM_400000_NS6detail17trampoline_kernelINS0_14default_configENS1_25partition_config_selectorILNS1_17partition_subalgoE8ElNS0_10empty_typeEbEEZZNS1_14partition_implILS5_8ELb0ES3_jPKlPS6_PKS6_NS0_5tupleIJPlS6_EEENSE_IJSB_SB_EEENS0_18inequality_wrapperIN6hipcub16HIPCUB_304000_NS8EqualityEEESF_JS6_EEE10hipError_tPvRmT3_T4_T5_T6_T7_T9_mT8_P12ihipStream_tbDpT10_ENKUlT_T0_E_clISt17integral_constantIbLb0EES16_EEDaS11_S12_EUlS11_E_NS1_11comp_targetILNS1_3genE9ELNS1_11target_archE1100ELNS1_3gpuE3ELNS1_3repE0EEENS1_30default_config_static_selectorELNS0_4arch9wavefront6targetE0EEEvT1_
    .private_segment_fixed_size: 0
    .sgpr_count:     0
    .sgpr_spill_count: 0
    .symbol:         _ZN7rocprim17ROCPRIM_400000_NS6detail17trampoline_kernelINS0_14default_configENS1_25partition_config_selectorILNS1_17partition_subalgoE8ElNS0_10empty_typeEbEEZZNS1_14partition_implILS5_8ELb0ES3_jPKlPS6_PKS6_NS0_5tupleIJPlS6_EEENSE_IJSB_SB_EEENS0_18inequality_wrapperIN6hipcub16HIPCUB_304000_NS8EqualityEEESF_JS6_EEE10hipError_tPvRmT3_T4_T5_T6_T7_T9_mT8_P12ihipStream_tbDpT10_ENKUlT_T0_E_clISt17integral_constantIbLb0EES16_EEDaS11_S12_EUlS11_E_NS1_11comp_targetILNS1_3genE9ELNS1_11target_archE1100ELNS1_3gpuE3ELNS1_3repE0EEENS1_30default_config_static_selectorELNS0_4arch9wavefront6targetE0EEEvT1_.kd
    .uniform_work_group_size: 1
    .uses_dynamic_stack: false
    .vgpr_count:     0
    .vgpr_spill_count: 0
    .wavefront_size: 32
  - .args:
      - .offset:         0
        .size:           112
        .value_kind:     by_value
    .group_segment_fixed_size: 0
    .kernarg_segment_align: 8
    .kernarg_segment_size: 112
    .language:       OpenCL C
    .language_version:
      - 2
      - 0
    .max_flat_workgroup_size: 512
    .name:           _ZN7rocprim17ROCPRIM_400000_NS6detail17trampoline_kernelINS0_14default_configENS1_25partition_config_selectorILNS1_17partition_subalgoE8ElNS0_10empty_typeEbEEZZNS1_14partition_implILS5_8ELb0ES3_jPKlPS6_PKS6_NS0_5tupleIJPlS6_EEENSE_IJSB_SB_EEENS0_18inequality_wrapperIN6hipcub16HIPCUB_304000_NS8EqualityEEESF_JS6_EEE10hipError_tPvRmT3_T4_T5_T6_T7_T9_mT8_P12ihipStream_tbDpT10_ENKUlT_T0_E_clISt17integral_constantIbLb0EES16_EEDaS11_S12_EUlS11_E_NS1_11comp_targetILNS1_3genE8ELNS1_11target_archE1030ELNS1_3gpuE2ELNS1_3repE0EEENS1_30default_config_static_selectorELNS0_4arch9wavefront6targetE0EEEvT1_
    .private_segment_fixed_size: 0
    .sgpr_count:     0
    .sgpr_spill_count: 0
    .symbol:         _ZN7rocprim17ROCPRIM_400000_NS6detail17trampoline_kernelINS0_14default_configENS1_25partition_config_selectorILNS1_17partition_subalgoE8ElNS0_10empty_typeEbEEZZNS1_14partition_implILS5_8ELb0ES3_jPKlPS6_PKS6_NS0_5tupleIJPlS6_EEENSE_IJSB_SB_EEENS0_18inequality_wrapperIN6hipcub16HIPCUB_304000_NS8EqualityEEESF_JS6_EEE10hipError_tPvRmT3_T4_T5_T6_T7_T9_mT8_P12ihipStream_tbDpT10_ENKUlT_T0_E_clISt17integral_constantIbLb0EES16_EEDaS11_S12_EUlS11_E_NS1_11comp_targetILNS1_3genE8ELNS1_11target_archE1030ELNS1_3gpuE2ELNS1_3repE0EEENS1_30default_config_static_selectorELNS0_4arch9wavefront6targetE0EEEvT1_.kd
    .uniform_work_group_size: 1
    .uses_dynamic_stack: false
    .vgpr_count:     0
    .vgpr_spill_count: 0
    .wavefront_size: 32
  - .args:
      - .offset:         0
        .size:           128
        .value_kind:     by_value
    .group_segment_fixed_size: 0
    .kernarg_segment_align: 8
    .kernarg_segment_size: 128
    .language:       OpenCL C
    .language_version:
      - 2
      - 0
    .max_flat_workgroup_size: 512
    .name:           _ZN7rocprim17ROCPRIM_400000_NS6detail17trampoline_kernelINS0_14default_configENS1_25partition_config_selectorILNS1_17partition_subalgoE8ElNS0_10empty_typeEbEEZZNS1_14partition_implILS5_8ELb0ES3_jPKlPS6_PKS6_NS0_5tupleIJPlS6_EEENSE_IJSB_SB_EEENS0_18inequality_wrapperIN6hipcub16HIPCUB_304000_NS8EqualityEEESF_JS6_EEE10hipError_tPvRmT3_T4_T5_T6_T7_T9_mT8_P12ihipStream_tbDpT10_ENKUlT_T0_E_clISt17integral_constantIbLb1EES16_EEDaS11_S12_EUlS11_E_NS1_11comp_targetILNS1_3genE0ELNS1_11target_archE4294967295ELNS1_3gpuE0ELNS1_3repE0EEENS1_30default_config_static_selectorELNS0_4arch9wavefront6targetE0EEEvT1_
    .private_segment_fixed_size: 0
    .sgpr_count:     0
    .sgpr_spill_count: 0
    .symbol:         _ZN7rocprim17ROCPRIM_400000_NS6detail17trampoline_kernelINS0_14default_configENS1_25partition_config_selectorILNS1_17partition_subalgoE8ElNS0_10empty_typeEbEEZZNS1_14partition_implILS5_8ELb0ES3_jPKlPS6_PKS6_NS0_5tupleIJPlS6_EEENSE_IJSB_SB_EEENS0_18inequality_wrapperIN6hipcub16HIPCUB_304000_NS8EqualityEEESF_JS6_EEE10hipError_tPvRmT3_T4_T5_T6_T7_T9_mT8_P12ihipStream_tbDpT10_ENKUlT_T0_E_clISt17integral_constantIbLb1EES16_EEDaS11_S12_EUlS11_E_NS1_11comp_targetILNS1_3genE0ELNS1_11target_archE4294967295ELNS1_3gpuE0ELNS1_3repE0EEENS1_30default_config_static_selectorELNS0_4arch9wavefront6targetE0EEEvT1_.kd
    .uniform_work_group_size: 1
    .uses_dynamic_stack: false
    .vgpr_count:     0
    .vgpr_spill_count: 0
    .wavefront_size: 32
  - .args:
      - .offset:         0
        .size:           128
        .value_kind:     by_value
    .group_segment_fixed_size: 0
    .kernarg_segment_align: 8
    .kernarg_segment_size: 128
    .language:       OpenCL C
    .language_version:
      - 2
      - 0
    .max_flat_workgroup_size: 512
    .name:           _ZN7rocprim17ROCPRIM_400000_NS6detail17trampoline_kernelINS0_14default_configENS1_25partition_config_selectorILNS1_17partition_subalgoE8ElNS0_10empty_typeEbEEZZNS1_14partition_implILS5_8ELb0ES3_jPKlPS6_PKS6_NS0_5tupleIJPlS6_EEENSE_IJSB_SB_EEENS0_18inequality_wrapperIN6hipcub16HIPCUB_304000_NS8EqualityEEESF_JS6_EEE10hipError_tPvRmT3_T4_T5_T6_T7_T9_mT8_P12ihipStream_tbDpT10_ENKUlT_T0_E_clISt17integral_constantIbLb1EES16_EEDaS11_S12_EUlS11_E_NS1_11comp_targetILNS1_3genE5ELNS1_11target_archE942ELNS1_3gpuE9ELNS1_3repE0EEENS1_30default_config_static_selectorELNS0_4arch9wavefront6targetE0EEEvT1_
    .private_segment_fixed_size: 0
    .sgpr_count:     0
    .sgpr_spill_count: 0
    .symbol:         _ZN7rocprim17ROCPRIM_400000_NS6detail17trampoline_kernelINS0_14default_configENS1_25partition_config_selectorILNS1_17partition_subalgoE8ElNS0_10empty_typeEbEEZZNS1_14partition_implILS5_8ELb0ES3_jPKlPS6_PKS6_NS0_5tupleIJPlS6_EEENSE_IJSB_SB_EEENS0_18inequality_wrapperIN6hipcub16HIPCUB_304000_NS8EqualityEEESF_JS6_EEE10hipError_tPvRmT3_T4_T5_T6_T7_T9_mT8_P12ihipStream_tbDpT10_ENKUlT_T0_E_clISt17integral_constantIbLb1EES16_EEDaS11_S12_EUlS11_E_NS1_11comp_targetILNS1_3genE5ELNS1_11target_archE942ELNS1_3gpuE9ELNS1_3repE0EEENS1_30default_config_static_selectorELNS0_4arch9wavefront6targetE0EEEvT1_.kd
    .uniform_work_group_size: 1
    .uses_dynamic_stack: false
    .vgpr_count:     0
    .vgpr_spill_count: 0
    .wavefront_size: 32
  - .args:
      - .offset:         0
        .size:           128
        .value_kind:     by_value
    .group_segment_fixed_size: 0
    .kernarg_segment_align: 8
    .kernarg_segment_size: 128
    .language:       OpenCL C
    .language_version:
      - 2
      - 0
    .max_flat_workgroup_size: 256
    .name:           _ZN7rocprim17ROCPRIM_400000_NS6detail17trampoline_kernelINS0_14default_configENS1_25partition_config_selectorILNS1_17partition_subalgoE8ElNS0_10empty_typeEbEEZZNS1_14partition_implILS5_8ELb0ES3_jPKlPS6_PKS6_NS0_5tupleIJPlS6_EEENSE_IJSB_SB_EEENS0_18inequality_wrapperIN6hipcub16HIPCUB_304000_NS8EqualityEEESF_JS6_EEE10hipError_tPvRmT3_T4_T5_T6_T7_T9_mT8_P12ihipStream_tbDpT10_ENKUlT_T0_E_clISt17integral_constantIbLb1EES16_EEDaS11_S12_EUlS11_E_NS1_11comp_targetILNS1_3genE4ELNS1_11target_archE910ELNS1_3gpuE8ELNS1_3repE0EEENS1_30default_config_static_selectorELNS0_4arch9wavefront6targetE0EEEvT1_
    .private_segment_fixed_size: 0
    .sgpr_count:     0
    .sgpr_spill_count: 0
    .symbol:         _ZN7rocprim17ROCPRIM_400000_NS6detail17trampoline_kernelINS0_14default_configENS1_25partition_config_selectorILNS1_17partition_subalgoE8ElNS0_10empty_typeEbEEZZNS1_14partition_implILS5_8ELb0ES3_jPKlPS6_PKS6_NS0_5tupleIJPlS6_EEENSE_IJSB_SB_EEENS0_18inequality_wrapperIN6hipcub16HIPCUB_304000_NS8EqualityEEESF_JS6_EEE10hipError_tPvRmT3_T4_T5_T6_T7_T9_mT8_P12ihipStream_tbDpT10_ENKUlT_T0_E_clISt17integral_constantIbLb1EES16_EEDaS11_S12_EUlS11_E_NS1_11comp_targetILNS1_3genE4ELNS1_11target_archE910ELNS1_3gpuE8ELNS1_3repE0EEENS1_30default_config_static_selectorELNS0_4arch9wavefront6targetE0EEEvT1_.kd
    .uniform_work_group_size: 1
    .uses_dynamic_stack: false
    .vgpr_count:     0
    .vgpr_spill_count: 0
    .wavefront_size: 32
  - .args:
      - .offset:         0
        .size:           128
        .value_kind:     by_value
    .group_segment_fixed_size: 0
    .kernarg_segment_align: 8
    .kernarg_segment_size: 128
    .language:       OpenCL C
    .language_version:
      - 2
      - 0
    .max_flat_workgroup_size: 512
    .name:           _ZN7rocprim17ROCPRIM_400000_NS6detail17trampoline_kernelINS0_14default_configENS1_25partition_config_selectorILNS1_17partition_subalgoE8ElNS0_10empty_typeEbEEZZNS1_14partition_implILS5_8ELb0ES3_jPKlPS6_PKS6_NS0_5tupleIJPlS6_EEENSE_IJSB_SB_EEENS0_18inequality_wrapperIN6hipcub16HIPCUB_304000_NS8EqualityEEESF_JS6_EEE10hipError_tPvRmT3_T4_T5_T6_T7_T9_mT8_P12ihipStream_tbDpT10_ENKUlT_T0_E_clISt17integral_constantIbLb1EES16_EEDaS11_S12_EUlS11_E_NS1_11comp_targetILNS1_3genE3ELNS1_11target_archE908ELNS1_3gpuE7ELNS1_3repE0EEENS1_30default_config_static_selectorELNS0_4arch9wavefront6targetE0EEEvT1_
    .private_segment_fixed_size: 0
    .sgpr_count:     0
    .sgpr_spill_count: 0
    .symbol:         _ZN7rocprim17ROCPRIM_400000_NS6detail17trampoline_kernelINS0_14default_configENS1_25partition_config_selectorILNS1_17partition_subalgoE8ElNS0_10empty_typeEbEEZZNS1_14partition_implILS5_8ELb0ES3_jPKlPS6_PKS6_NS0_5tupleIJPlS6_EEENSE_IJSB_SB_EEENS0_18inequality_wrapperIN6hipcub16HIPCUB_304000_NS8EqualityEEESF_JS6_EEE10hipError_tPvRmT3_T4_T5_T6_T7_T9_mT8_P12ihipStream_tbDpT10_ENKUlT_T0_E_clISt17integral_constantIbLb1EES16_EEDaS11_S12_EUlS11_E_NS1_11comp_targetILNS1_3genE3ELNS1_11target_archE908ELNS1_3gpuE7ELNS1_3repE0EEENS1_30default_config_static_selectorELNS0_4arch9wavefront6targetE0EEEvT1_.kd
    .uniform_work_group_size: 1
    .uses_dynamic_stack: false
    .vgpr_count:     0
    .vgpr_spill_count: 0
    .wavefront_size: 32
  - .args:
      - .offset:         0
        .size:           128
        .value_kind:     by_value
    .group_segment_fixed_size: 0
    .kernarg_segment_align: 8
    .kernarg_segment_size: 128
    .language:       OpenCL C
    .language_version:
      - 2
      - 0
    .max_flat_workgroup_size: 256
    .name:           _ZN7rocprim17ROCPRIM_400000_NS6detail17trampoline_kernelINS0_14default_configENS1_25partition_config_selectorILNS1_17partition_subalgoE8ElNS0_10empty_typeEbEEZZNS1_14partition_implILS5_8ELb0ES3_jPKlPS6_PKS6_NS0_5tupleIJPlS6_EEENSE_IJSB_SB_EEENS0_18inequality_wrapperIN6hipcub16HIPCUB_304000_NS8EqualityEEESF_JS6_EEE10hipError_tPvRmT3_T4_T5_T6_T7_T9_mT8_P12ihipStream_tbDpT10_ENKUlT_T0_E_clISt17integral_constantIbLb1EES16_EEDaS11_S12_EUlS11_E_NS1_11comp_targetILNS1_3genE2ELNS1_11target_archE906ELNS1_3gpuE6ELNS1_3repE0EEENS1_30default_config_static_selectorELNS0_4arch9wavefront6targetE0EEEvT1_
    .private_segment_fixed_size: 0
    .sgpr_count:     0
    .sgpr_spill_count: 0
    .symbol:         _ZN7rocprim17ROCPRIM_400000_NS6detail17trampoline_kernelINS0_14default_configENS1_25partition_config_selectorILNS1_17partition_subalgoE8ElNS0_10empty_typeEbEEZZNS1_14partition_implILS5_8ELb0ES3_jPKlPS6_PKS6_NS0_5tupleIJPlS6_EEENSE_IJSB_SB_EEENS0_18inequality_wrapperIN6hipcub16HIPCUB_304000_NS8EqualityEEESF_JS6_EEE10hipError_tPvRmT3_T4_T5_T6_T7_T9_mT8_P12ihipStream_tbDpT10_ENKUlT_T0_E_clISt17integral_constantIbLb1EES16_EEDaS11_S12_EUlS11_E_NS1_11comp_targetILNS1_3genE2ELNS1_11target_archE906ELNS1_3gpuE6ELNS1_3repE0EEENS1_30default_config_static_selectorELNS0_4arch9wavefront6targetE0EEEvT1_.kd
    .uniform_work_group_size: 1
    .uses_dynamic_stack: false
    .vgpr_count:     0
    .vgpr_spill_count: 0
    .wavefront_size: 32
  - .args:
      - .offset:         0
        .size:           128
        .value_kind:     by_value
    .group_segment_fixed_size: 0
    .kernarg_segment_align: 8
    .kernarg_segment_size: 128
    .language:       OpenCL C
    .language_version:
      - 2
      - 0
    .max_flat_workgroup_size: 384
    .name:           _ZN7rocprim17ROCPRIM_400000_NS6detail17trampoline_kernelINS0_14default_configENS1_25partition_config_selectorILNS1_17partition_subalgoE8ElNS0_10empty_typeEbEEZZNS1_14partition_implILS5_8ELb0ES3_jPKlPS6_PKS6_NS0_5tupleIJPlS6_EEENSE_IJSB_SB_EEENS0_18inequality_wrapperIN6hipcub16HIPCUB_304000_NS8EqualityEEESF_JS6_EEE10hipError_tPvRmT3_T4_T5_T6_T7_T9_mT8_P12ihipStream_tbDpT10_ENKUlT_T0_E_clISt17integral_constantIbLb1EES16_EEDaS11_S12_EUlS11_E_NS1_11comp_targetILNS1_3genE10ELNS1_11target_archE1200ELNS1_3gpuE4ELNS1_3repE0EEENS1_30default_config_static_selectorELNS0_4arch9wavefront6targetE0EEEvT1_
    .private_segment_fixed_size: 0
    .sgpr_count:     0
    .sgpr_spill_count: 0
    .symbol:         _ZN7rocprim17ROCPRIM_400000_NS6detail17trampoline_kernelINS0_14default_configENS1_25partition_config_selectorILNS1_17partition_subalgoE8ElNS0_10empty_typeEbEEZZNS1_14partition_implILS5_8ELb0ES3_jPKlPS6_PKS6_NS0_5tupleIJPlS6_EEENSE_IJSB_SB_EEENS0_18inequality_wrapperIN6hipcub16HIPCUB_304000_NS8EqualityEEESF_JS6_EEE10hipError_tPvRmT3_T4_T5_T6_T7_T9_mT8_P12ihipStream_tbDpT10_ENKUlT_T0_E_clISt17integral_constantIbLb1EES16_EEDaS11_S12_EUlS11_E_NS1_11comp_targetILNS1_3genE10ELNS1_11target_archE1200ELNS1_3gpuE4ELNS1_3repE0EEENS1_30default_config_static_selectorELNS0_4arch9wavefront6targetE0EEEvT1_.kd
    .uniform_work_group_size: 1
    .uses_dynamic_stack: false
    .vgpr_count:     0
    .vgpr_spill_count: 0
    .wavefront_size: 32
  - .args:
      - .offset:         0
        .size:           128
        .value_kind:     by_value
    .group_segment_fixed_size: 0
    .kernarg_segment_align: 8
    .kernarg_segment_size: 128
    .language:       OpenCL C
    .language_version:
      - 2
      - 0
    .max_flat_workgroup_size: 512
    .name:           _ZN7rocprim17ROCPRIM_400000_NS6detail17trampoline_kernelINS0_14default_configENS1_25partition_config_selectorILNS1_17partition_subalgoE8ElNS0_10empty_typeEbEEZZNS1_14partition_implILS5_8ELb0ES3_jPKlPS6_PKS6_NS0_5tupleIJPlS6_EEENSE_IJSB_SB_EEENS0_18inequality_wrapperIN6hipcub16HIPCUB_304000_NS8EqualityEEESF_JS6_EEE10hipError_tPvRmT3_T4_T5_T6_T7_T9_mT8_P12ihipStream_tbDpT10_ENKUlT_T0_E_clISt17integral_constantIbLb1EES16_EEDaS11_S12_EUlS11_E_NS1_11comp_targetILNS1_3genE9ELNS1_11target_archE1100ELNS1_3gpuE3ELNS1_3repE0EEENS1_30default_config_static_selectorELNS0_4arch9wavefront6targetE0EEEvT1_
    .private_segment_fixed_size: 0
    .sgpr_count:     0
    .sgpr_spill_count: 0
    .symbol:         _ZN7rocprim17ROCPRIM_400000_NS6detail17trampoline_kernelINS0_14default_configENS1_25partition_config_selectorILNS1_17partition_subalgoE8ElNS0_10empty_typeEbEEZZNS1_14partition_implILS5_8ELb0ES3_jPKlPS6_PKS6_NS0_5tupleIJPlS6_EEENSE_IJSB_SB_EEENS0_18inequality_wrapperIN6hipcub16HIPCUB_304000_NS8EqualityEEESF_JS6_EEE10hipError_tPvRmT3_T4_T5_T6_T7_T9_mT8_P12ihipStream_tbDpT10_ENKUlT_T0_E_clISt17integral_constantIbLb1EES16_EEDaS11_S12_EUlS11_E_NS1_11comp_targetILNS1_3genE9ELNS1_11target_archE1100ELNS1_3gpuE3ELNS1_3repE0EEENS1_30default_config_static_selectorELNS0_4arch9wavefront6targetE0EEEvT1_.kd
    .uniform_work_group_size: 1
    .uses_dynamic_stack: false
    .vgpr_count:     0
    .vgpr_spill_count: 0
    .wavefront_size: 32
  - .args:
      - .offset:         0
        .size:           128
        .value_kind:     by_value
    .group_segment_fixed_size: 0
    .kernarg_segment_align: 8
    .kernarg_segment_size: 128
    .language:       OpenCL C
    .language_version:
      - 2
      - 0
    .max_flat_workgroup_size: 512
    .name:           _ZN7rocprim17ROCPRIM_400000_NS6detail17trampoline_kernelINS0_14default_configENS1_25partition_config_selectorILNS1_17partition_subalgoE8ElNS0_10empty_typeEbEEZZNS1_14partition_implILS5_8ELb0ES3_jPKlPS6_PKS6_NS0_5tupleIJPlS6_EEENSE_IJSB_SB_EEENS0_18inequality_wrapperIN6hipcub16HIPCUB_304000_NS8EqualityEEESF_JS6_EEE10hipError_tPvRmT3_T4_T5_T6_T7_T9_mT8_P12ihipStream_tbDpT10_ENKUlT_T0_E_clISt17integral_constantIbLb1EES16_EEDaS11_S12_EUlS11_E_NS1_11comp_targetILNS1_3genE8ELNS1_11target_archE1030ELNS1_3gpuE2ELNS1_3repE0EEENS1_30default_config_static_selectorELNS0_4arch9wavefront6targetE0EEEvT1_
    .private_segment_fixed_size: 0
    .sgpr_count:     0
    .sgpr_spill_count: 0
    .symbol:         _ZN7rocprim17ROCPRIM_400000_NS6detail17trampoline_kernelINS0_14default_configENS1_25partition_config_selectorILNS1_17partition_subalgoE8ElNS0_10empty_typeEbEEZZNS1_14partition_implILS5_8ELb0ES3_jPKlPS6_PKS6_NS0_5tupleIJPlS6_EEENSE_IJSB_SB_EEENS0_18inequality_wrapperIN6hipcub16HIPCUB_304000_NS8EqualityEEESF_JS6_EEE10hipError_tPvRmT3_T4_T5_T6_T7_T9_mT8_P12ihipStream_tbDpT10_ENKUlT_T0_E_clISt17integral_constantIbLb1EES16_EEDaS11_S12_EUlS11_E_NS1_11comp_targetILNS1_3genE8ELNS1_11target_archE1030ELNS1_3gpuE2ELNS1_3repE0EEENS1_30default_config_static_selectorELNS0_4arch9wavefront6targetE0EEEvT1_.kd
    .uniform_work_group_size: 1
    .uses_dynamic_stack: false
    .vgpr_count:     0
    .vgpr_spill_count: 0
    .wavefront_size: 32
  - .args:
      - .offset:         0
        .size:           112
        .value_kind:     by_value
    .group_segment_fixed_size: 0
    .kernarg_segment_align: 8
    .kernarg_segment_size: 112
    .language:       OpenCL C
    .language_version:
      - 2
      - 0
    .max_flat_workgroup_size: 512
    .name:           _ZN7rocprim17ROCPRIM_400000_NS6detail17trampoline_kernelINS0_14default_configENS1_25partition_config_selectorILNS1_17partition_subalgoE8ElNS0_10empty_typeEbEEZZNS1_14partition_implILS5_8ELb0ES3_jPKlPS6_PKS6_NS0_5tupleIJPlS6_EEENSE_IJSB_SB_EEENS0_18inequality_wrapperIN6hipcub16HIPCUB_304000_NS8EqualityEEESF_JS6_EEE10hipError_tPvRmT3_T4_T5_T6_T7_T9_mT8_P12ihipStream_tbDpT10_ENKUlT_T0_E_clISt17integral_constantIbLb1EES15_IbLb0EEEEDaS11_S12_EUlS11_E_NS1_11comp_targetILNS1_3genE0ELNS1_11target_archE4294967295ELNS1_3gpuE0ELNS1_3repE0EEENS1_30default_config_static_selectorELNS0_4arch9wavefront6targetE0EEEvT1_
    .private_segment_fixed_size: 0
    .sgpr_count:     0
    .sgpr_spill_count: 0
    .symbol:         _ZN7rocprim17ROCPRIM_400000_NS6detail17trampoline_kernelINS0_14default_configENS1_25partition_config_selectorILNS1_17partition_subalgoE8ElNS0_10empty_typeEbEEZZNS1_14partition_implILS5_8ELb0ES3_jPKlPS6_PKS6_NS0_5tupleIJPlS6_EEENSE_IJSB_SB_EEENS0_18inequality_wrapperIN6hipcub16HIPCUB_304000_NS8EqualityEEESF_JS6_EEE10hipError_tPvRmT3_T4_T5_T6_T7_T9_mT8_P12ihipStream_tbDpT10_ENKUlT_T0_E_clISt17integral_constantIbLb1EES15_IbLb0EEEEDaS11_S12_EUlS11_E_NS1_11comp_targetILNS1_3genE0ELNS1_11target_archE4294967295ELNS1_3gpuE0ELNS1_3repE0EEENS1_30default_config_static_selectorELNS0_4arch9wavefront6targetE0EEEvT1_.kd
    .uniform_work_group_size: 1
    .uses_dynamic_stack: false
    .vgpr_count:     0
    .vgpr_spill_count: 0
    .wavefront_size: 32
  - .args:
      - .offset:         0
        .size:           112
        .value_kind:     by_value
    .group_segment_fixed_size: 0
    .kernarg_segment_align: 8
    .kernarg_segment_size: 112
    .language:       OpenCL C
    .language_version:
      - 2
      - 0
    .max_flat_workgroup_size: 512
    .name:           _ZN7rocprim17ROCPRIM_400000_NS6detail17trampoline_kernelINS0_14default_configENS1_25partition_config_selectorILNS1_17partition_subalgoE8ElNS0_10empty_typeEbEEZZNS1_14partition_implILS5_8ELb0ES3_jPKlPS6_PKS6_NS0_5tupleIJPlS6_EEENSE_IJSB_SB_EEENS0_18inequality_wrapperIN6hipcub16HIPCUB_304000_NS8EqualityEEESF_JS6_EEE10hipError_tPvRmT3_T4_T5_T6_T7_T9_mT8_P12ihipStream_tbDpT10_ENKUlT_T0_E_clISt17integral_constantIbLb1EES15_IbLb0EEEEDaS11_S12_EUlS11_E_NS1_11comp_targetILNS1_3genE5ELNS1_11target_archE942ELNS1_3gpuE9ELNS1_3repE0EEENS1_30default_config_static_selectorELNS0_4arch9wavefront6targetE0EEEvT1_
    .private_segment_fixed_size: 0
    .sgpr_count:     0
    .sgpr_spill_count: 0
    .symbol:         _ZN7rocprim17ROCPRIM_400000_NS6detail17trampoline_kernelINS0_14default_configENS1_25partition_config_selectorILNS1_17partition_subalgoE8ElNS0_10empty_typeEbEEZZNS1_14partition_implILS5_8ELb0ES3_jPKlPS6_PKS6_NS0_5tupleIJPlS6_EEENSE_IJSB_SB_EEENS0_18inequality_wrapperIN6hipcub16HIPCUB_304000_NS8EqualityEEESF_JS6_EEE10hipError_tPvRmT3_T4_T5_T6_T7_T9_mT8_P12ihipStream_tbDpT10_ENKUlT_T0_E_clISt17integral_constantIbLb1EES15_IbLb0EEEEDaS11_S12_EUlS11_E_NS1_11comp_targetILNS1_3genE5ELNS1_11target_archE942ELNS1_3gpuE9ELNS1_3repE0EEENS1_30default_config_static_selectorELNS0_4arch9wavefront6targetE0EEEvT1_.kd
    .uniform_work_group_size: 1
    .uses_dynamic_stack: false
    .vgpr_count:     0
    .vgpr_spill_count: 0
    .wavefront_size: 32
  - .args:
      - .offset:         0
        .size:           112
        .value_kind:     by_value
    .group_segment_fixed_size: 0
    .kernarg_segment_align: 8
    .kernarg_segment_size: 112
    .language:       OpenCL C
    .language_version:
      - 2
      - 0
    .max_flat_workgroup_size: 256
    .name:           _ZN7rocprim17ROCPRIM_400000_NS6detail17trampoline_kernelINS0_14default_configENS1_25partition_config_selectorILNS1_17partition_subalgoE8ElNS0_10empty_typeEbEEZZNS1_14partition_implILS5_8ELb0ES3_jPKlPS6_PKS6_NS0_5tupleIJPlS6_EEENSE_IJSB_SB_EEENS0_18inequality_wrapperIN6hipcub16HIPCUB_304000_NS8EqualityEEESF_JS6_EEE10hipError_tPvRmT3_T4_T5_T6_T7_T9_mT8_P12ihipStream_tbDpT10_ENKUlT_T0_E_clISt17integral_constantIbLb1EES15_IbLb0EEEEDaS11_S12_EUlS11_E_NS1_11comp_targetILNS1_3genE4ELNS1_11target_archE910ELNS1_3gpuE8ELNS1_3repE0EEENS1_30default_config_static_selectorELNS0_4arch9wavefront6targetE0EEEvT1_
    .private_segment_fixed_size: 0
    .sgpr_count:     0
    .sgpr_spill_count: 0
    .symbol:         _ZN7rocprim17ROCPRIM_400000_NS6detail17trampoline_kernelINS0_14default_configENS1_25partition_config_selectorILNS1_17partition_subalgoE8ElNS0_10empty_typeEbEEZZNS1_14partition_implILS5_8ELb0ES3_jPKlPS6_PKS6_NS0_5tupleIJPlS6_EEENSE_IJSB_SB_EEENS0_18inequality_wrapperIN6hipcub16HIPCUB_304000_NS8EqualityEEESF_JS6_EEE10hipError_tPvRmT3_T4_T5_T6_T7_T9_mT8_P12ihipStream_tbDpT10_ENKUlT_T0_E_clISt17integral_constantIbLb1EES15_IbLb0EEEEDaS11_S12_EUlS11_E_NS1_11comp_targetILNS1_3genE4ELNS1_11target_archE910ELNS1_3gpuE8ELNS1_3repE0EEENS1_30default_config_static_selectorELNS0_4arch9wavefront6targetE0EEEvT1_.kd
    .uniform_work_group_size: 1
    .uses_dynamic_stack: false
    .vgpr_count:     0
    .vgpr_spill_count: 0
    .wavefront_size: 32
  - .args:
      - .offset:         0
        .size:           112
        .value_kind:     by_value
    .group_segment_fixed_size: 0
    .kernarg_segment_align: 8
    .kernarg_segment_size: 112
    .language:       OpenCL C
    .language_version:
      - 2
      - 0
    .max_flat_workgroup_size: 512
    .name:           _ZN7rocprim17ROCPRIM_400000_NS6detail17trampoline_kernelINS0_14default_configENS1_25partition_config_selectorILNS1_17partition_subalgoE8ElNS0_10empty_typeEbEEZZNS1_14partition_implILS5_8ELb0ES3_jPKlPS6_PKS6_NS0_5tupleIJPlS6_EEENSE_IJSB_SB_EEENS0_18inequality_wrapperIN6hipcub16HIPCUB_304000_NS8EqualityEEESF_JS6_EEE10hipError_tPvRmT3_T4_T5_T6_T7_T9_mT8_P12ihipStream_tbDpT10_ENKUlT_T0_E_clISt17integral_constantIbLb1EES15_IbLb0EEEEDaS11_S12_EUlS11_E_NS1_11comp_targetILNS1_3genE3ELNS1_11target_archE908ELNS1_3gpuE7ELNS1_3repE0EEENS1_30default_config_static_selectorELNS0_4arch9wavefront6targetE0EEEvT1_
    .private_segment_fixed_size: 0
    .sgpr_count:     0
    .sgpr_spill_count: 0
    .symbol:         _ZN7rocprim17ROCPRIM_400000_NS6detail17trampoline_kernelINS0_14default_configENS1_25partition_config_selectorILNS1_17partition_subalgoE8ElNS0_10empty_typeEbEEZZNS1_14partition_implILS5_8ELb0ES3_jPKlPS6_PKS6_NS0_5tupleIJPlS6_EEENSE_IJSB_SB_EEENS0_18inequality_wrapperIN6hipcub16HIPCUB_304000_NS8EqualityEEESF_JS6_EEE10hipError_tPvRmT3_T4_T5_T6_T7_T9_mT8_P12ihipStream_tbDpT10_ENKUlT_T0_E_clISt17integral_constantIbLb1EES15_IbLb0EEEEDaS11_S12_EUlS11_E_NS1_11comp_targetILNS1_3genE3ELNS1_11target_archE908ELNS1_3gpuE7ELNS1_3repE0EEENS1_30default_config_static_selectorELNS0_4arch9wavefront6targetE0EEEvT1_.kd
    .uniform_work_group_size: 1
    .uses_dynamic_stack: false
    .vgpr_count:     0
    .vgpr_spill_count: 0
    .wavefront_size: 32
  - .args:
      - .offset:         0
        .size:           112
        .value_kind:     by_value
    .group_segment_fixed_size: 0
    .kernarg_segment_align: 8
    .kernarg_segment_size: 112
    .language:       OpenCL C
    .language_version:
      - 2
      - 0
    .max_flat_workgroup_size: 256
    .name:           _ZN7rocprim17ROCPRIM_400000_NS6detail17trampoline_kernelINS0_14default_configENS1_25partition_config_selectorILNS1_17partition_subalgoE8ElNS0_10empty_typeEbEEZZNS1_14partition_implILS5_8ELb0ES3_jPKlPS6_PKS6_NS0_5tupleIJPlS6_EEENSE_IJSB_SB_EEENS0_18inequality_wrapperIN6hipcub16HIPCUB_304000_NS8EqualityEEESF_JS6_EEE10hipError_tPvRmT3_T4_T5_T6_T7_T9_mT8_P12ihipStream_tbDpT10_ENKUlT_T0_E_clISt17integral_constantIbLb1EES15_IbLb0EEEEDaS11_S12_EUlS11_E_NS1_11comp_targetILNS1_3genE2ELNS1_11target_archE906ELNS1_3gpuE6ELNS1_3repE0EEENS1_30default_config_static_selectorELNS0_4arch9wavefront6targetE0EEEvT1_
    .private_segment_fixed_size: 0
    .sgpr_count:     0
    .sgpr_spill_count: 0
    .symbol:         _ZN7rocprim17ROCPRIM_400000_NS6detail17trampoline_kernelINS0_14default_configENS1_25partition_config_selectorILNS1_17partition_subalgoE8ElNS0_10empty_typeEbEEZZNS1_14partition_implILS5_8ELb0ES3_jPKlPS6_PKS6_NS0_5tupleIJPlS6_EEENSE_IJSB_SB_EEENS0_18inequality_wrapperIN6hipcub16HIPCUB_304000_NS8EqualityEEESF_JS6_EEE10hipError_tPvRmT3_T4_T5_T6_T7_T9_mT8_P12ihipStream_tbDpT10_ENKUlT_T0_E_clISt17integral_constantIbLb1EES15_IbLb0EEEEDaS11_S12_EUlS11_E_NS1_11comp_targetILNS1_3genE2ELNS1_11target_archE906ELNS1_3gpuE6ELNS1_3repE0EEENS1_30default_config_static_selectorELNS0_4arch9wavefront6targetE0EEEvT1_.kd
    .uniform_work_group_size: 1
    .uses_dynamic_stack: false
    .vgpr_count:     0
    .vgpr_spill_count: 0
    .wavefront_size: 32
  - .args:
      - .offset:         0
        .size:           112
        .value_kind:     by_value
    .group_segment_fixed_size: 0
    .kernarg_segment_align: 8
    .kernarg_segment_size: 112
    .language:       OpenCL C
    .language_version:
      - 2
      - 0
    .max_flat_workgroup_size: 384
    .name:           _ZN7rocprim17ROCPRIM_400000_NS6detail17trampoline_kernelINS0_14default_configENS1_25partition_config_selectorILNS1_17partition_subalgoE8ElNS0_10empty_typeEbEEZZNS1_14partition_implILS5_8ELb0ES3_jPKlPS6_PKS6_NS0_5tupleIJPlS6_EEENSE_IJSB_SB_EEENS0_18inequality_wrapperIN6hipcub16HIPCUB_304000_NS8EqualityEEESF_JS6_EEE10hipError_tPvRmT3_T4_T5_T6_T7_T9_mT8_P12ihipStream_tbDpT10_ENKUlT_T0_E_clISt17integral_constantIbLb1EES15_IbLb0EEEEDaS11_S12_EUlS11_E_NS1_11comp_targetILNS1_3genE10ELNS1_11target_archE1200ELNS1_3gpuE4ELNS1_3repE0EEENS1_30default_config_static_selectorELNS0_4arch9wavefront6targetE0EEEvT1_
    .private_segment_fixed_size: 0
    .sgpr_count:     0
    .sgpr_spill_count: 0
    .symbol:         _ZN7rocprim17ROCPRIM_400000_NS6detail17trampoline_kernelINS0_14default_configENS1_25partition_config_selectorILNS1_17partition_subalgoE8ElNS0_10empty_typeEbEEZZNS1_14partition_implILS5_8ELb0ES3_jPKlPS6_PKS6_NS0_5tupleIJPlS6_EEENSE_IJSB_SB_EEENS0_18inequality_wrapperIN6hipcub16HIPCUB_304000_NS8EqualityEEESF_JS6_EEE10hipError_tPvRmT3_T4_T5_T6_T7_T9_mT8_P12ihipStream_tbDpT10_ENKUlT_T0_E_clISt17integral_constantIbLb1EES15_IbLb0EEEEDaS11_S12_EUlS11_E_NS1_11comp_targetILNS1_3genE10ELNS1_11target_archE1200ELNS1_3gpuE4ELNS1_3repE0EEENS1_30default_config_static_selectorELNS0_4arch9wavefront6targetE0EEEvT1_.kd
    .uniform_work_group_size: 1
    .uses_dynamic_stack: false
    .vgpr_count:     0
    .vgpr_spill_count: 0
    .wavefront_size: 32
  - .args:
      - .offset:         0
        .size:           112
        .value_kind:     by_value
    .group_segment_fixed_size: 0
    .kernarg_segment_align: 8
    .kernarg_segment_size: 112
    .language:       OpenCL C
    .language_version:
      - 2
      - 0
    .max_flat_workgroup_size: 512
    .name:           _ZN7rocprim17ROCPRIM_400000_NS6detail17trampoline_kernelINS0_14default_configENS1_25partition_config_selectorILNS1_17partition_subalgoE8ElNS0_10empty_typeEbEEZZNS1_14partition_implILS5_8ELb0ES3_jPKlPS6_PKS6_NS0_5tupleIJPlS6_EEENSE_IJSB_SB_EEENS0_18inequality_wrapperIN6hipcub16HIPCUB_304000_NS8EqualityEEESF_JS6_EEE10hipError_tPvRmT3_T4_T5_T6_T7_T9_mT8_P12ihipStream_tbDpT10_ENKUlT_T0_E_clISt17integral_constantIbLb1EES15_IbLb0EEEEDaS11_S12_EUlS11_E_NS1_11comp_targetILNS1_3genE9ELNS1_11target_archE1100ELNS1_3gpuE3ELNS1_3repE0EEENS1_30default_config_static_selectorELNS0_4arch9wavefront6targetE0EEEvT1_
    .private_segment_fixed_size: 0
    .sgpr_count:     0
    .sgpr_spill_count: 0
    .symbol:         _ZN7rocprim17ROCPRIM_400000_NS6detail17trampoline_kernelINS0_14default_configENS1_25partition_config_selectorILNS1_17partition_subalgoE8ElNS0_10empty_typeEbEEZZNS1_14partition_implILS5_8ELb0ES3_jPKlPS6_PKS6_NS0_5tupleIJPlS6_EEENSE_IJSB_SB_EEENS0_18inequality_wrapperIN6hipcub16HIPCUB_304000_NS8EqualityEEESF_JS6_EEE10hipError_tPvRmT3_T4_T5_T6_T7_T9_mT8_P12ihipStream_tbDpT10_ENKUlT_T0_E_clISt17integral_constantIbLb1EES15_IbLb0EEEEDaS11_S12_EUlS11_E_NS1_11comp_targetILNS1_3genE9ELNS1_11target_archE1100ELNS1_3gpuE3ELNS1_3repE0EEENS1_30default_config_static_selectorELNS0_4arch9wavefront6targetE0EEEvT1_.kd
    .uniform_work_group_size: 1
    .uses_dynamic_stack: false
    .vgpr_count:     0
    .vgpr_spill_count: 0
    .wavefront_size: 32
  - .args:
      - .offset:         0
        .size:           112
        .value_kind:     by_value
    .group_segment_fixed_size: 0
    .kernarg_segment_align: 8
    .kernarg_segment_size: 112
    .language:       OpenCL C
    .language_version:
      - 2
      - 0
    .max_flat_workgroup_size: 512
    .name:           _ZN7rocprim17ROCPRIM_400000_NS6detail17trampoline_kernelINS0_14default_configENS1_25partition_config_selectorILNS1_17partition_subalgoE8ElNS0_10empty_typeEbEEZZNS1_14partition_implILS5_8ELb0ES3_jPKlPS6_PKS6_NS0_5tupleIJPlS6_EEENSE_IJSB_SB_EEENS0_18inequality_wrapperIN6hipcub16HIPCUB_304000_NS8EqualityEEESF_JS6_EEE10hipError_tPvRmT3_T4_T5_T6_T7_T9_mT8_P12ihipStream_tbDpT10_ENKUlT_T0_E_clISt17integral_constantIbLb1EES15_IbLb0EEEEDaS11_S12_EUlS11_E_NS1_11comp_targetILNS1_3genE8ELNS1_11target_archE1030ELNS1_3gpuE2ELNS1_3repE0EEENS1_30default_config_static_selectorELNS0_4arch9wavefront6targetE0EEEvT1_
    .private_segment_fixed_size: 0
    .sgpr_count:     0
    .sgpr_spill_count: 0
    .symbol:         _ZN7rocprim17ROCPRIM_400000_NS6detail17trampoline_kernelINS0_14default_configENS1_25partition_config_selectorILNS1_17partition_subalgoE8ElNS0_10empty_typeEbEEZZNS1_14partition_implILS5_8ELb0ES3_jPKlPS6_PKS6_NS0_5tupleIJPlS6_EEENSE_IJSB_SB_EEENS0_18inequality_wrapperIN6hipcub16HIPCUB_304000_NS8EqualityEEESF_JS6_EEE10hipError_tPvRmT3_T4_T5_T6_T7_T9_mT8_P12ihipStream_tbDpT10_ENKUlT_T0_E_clISt17integral_constantIbLb1EES15_IbLb0EEEEDaS11_S12_EUlS11_E_NS1_11comp_targetILNS1_3genE8ELNS1_11target_archE1030ELNS1_3gpuE2ELNS1_3repE0EEENS1_30default_config_static_selectorELNS0_4arch9wavefront6targetE0EEEvT1_.kd
    .uniform_work_group_size: 1
    .uses_dynamic_stack: false
    .vgpr_count:     0
    .vgpr_spill_count: 0
    .wavefront_size: 32
  - .args:
      - .offset:         0
        .size:           128
        .value_kind:     by_value
    .group_segment_fixed_size: 28680
    .kernarg_segment_align: 8
    .kernarg_segment_size: 128
    .language:       OpenCL C
    .language_version:
      - 2
      - 0
    .max_flat_workgroup_size: 512
    .name:           _ZN7rocprim17ROCPRIM_400000_NS6detail17trampoline_kernelINS0_14default_configENS1_25partition_config_selectorILNS1_17partition_subalgoE8ElNS0_10empty_typeEbEEZZNS1_14partition_implILS5_8ELb0ES3_jPKlPS6_PKS6_NS0_5tupleIJPlS6_EEENSE_IJSB_SB_EEENS0_18inequality_wrapperIN6hipcub16HIPCUB_304000_NS8EqualityEEESF_JS6_EEE10hipError_tPvRmT3_T4_T5_T6_T7_T9_mT8_P12ihipStream_tbDpT10_ENKUlT_T0_E_clISt17integral_constantIbLb0EES15_IbLb1EEEEDaS11_S12_EUlS11_E_NS1_11comp_targetILNS1_3genE0ELNS1_11target_archE4294967295ELNS1_3gpuE0ELNS1_3repE0EEENS1_30default_config_static_selectorELNS0_4arch9wavefront6targetE0EEEvT1_
    .private_segment_fixed_size: 0
    .sgpr_count:     24
    .sgpr_spill_count: 0
    .symbol:         _ZN7rocprim17ROCPRIM_400000_NS6detail17trampoline_kernelINS0_14default_configENS1_25partition_config_selectorILNS1_17partition_subalgoE8ElNS0_10empty_typeEbEEZZNS1_14partition_implILS5_8ELb0ES3_jPKlPS6_PKS6_NS0_5tupleIJPlS6_EEENSE_IJSB_SB_EEENS0_18inequality_wrapperIN6hipcub16HIPCUB_304000_NS8EqualityEEESF_JS6_EEE10hipError_tPvRmT3_T4_T5_T6_T7_T9_mT8_P12ihipStream_tbDpT10_ENKUlT_T0_E_clISt17integral_constantIbLb0EES15_IbLb1EEEEDaS11_S12_EUlS11_E_NS1_11comp_targetILNS1_3genE0ELNS1_11target_archE4294967295ELNS1_3gpuE0ELNS1_3repE0EEENS1_30default_config_static_selectorELNS0_4arch9wavefront6targetE0EEEvT1_.kd
    .uniform_work_group_size: 1
    .uses_dynamic_stack: false
    .vgpr_count:     56
    .vgpr_spill_count: 0
    .wavefront_size: 32
  - .args:
      - .offset:         0
        .size:           128
        .value_kind:     by_value
    .group_segment_fixed_size: 0
    .kernarg_segment_align: 8
    .kernarg_segment_size: 128
    .language:       OpenCL C
    .language_version:
      - 2
      - 0
    .max_flat_workgroup_size: 512
    .name:           _ZN7rocprim17ROCPRIM_400000_NS6detail17trampoline_kernelINS0_14default_configENS1_25partition_config_selectorILNS1_17partition_subalgoE8ElNS0_10empty_typeEbEEZZNS1_14partition_implILS5_8ELb0ES3_jPKlPS6_PKS6_NS0_5tupleIJPlS6_EEENSE_IJSB_SB_EEENS0_18inequality_wrapperIN6hipcub16HIPCUB_304000_NS8EqualityEEESF_JS6_EEE10hipError_tPvRmT3_T4_T5_T6_T7_T9_mT8_P12ihipStream_tbDpT10_ENKUlT_T0_E_clISt17integral_constantIbLb0EES15_IbLb1EEEEDaS11_S12_EUlS11_E_NS1_11comp_targetILNS1_3genE5ELNS1_11target_archE942ELNS1_3gpuE9ELNS1_3repE0EEENS1_30default_config_static_selectorELNS0_4arch9wavefront6targetE0EEEvT1_
    .private_segment_fixed_size: 0
    .sgpr_count:     0
    .sgpr_spill_count: 0
    .symbol:         _ZN7rocprim17ROCPRIM_400000_NS6detail17trampoline_kernelINS0_14default_configENS1_25partition_config_selectorILNS1_17partition_subalgoE8ElNS0_10empty_typeEbEEZZNS1_14partition_implILS5_8ELb0ES3_jPKlPS6_PKS6_NS0_5tupleIJPlS6_EEENSE_IJSB_SB_EEENS0_18inequality_wrapperIN6hipcub16HIPCUB_304000_NS8EqualityEEESF_JS6_EEE10hipError_tPvRmT3_T4_T5_T6_T7_T9_mT8_P12ihipStream_tbDpT10_ENKUlT_T0_E_clISt17integral_constantIbLb0EES15_IbLb1EEEEDaS11_S12_EUlS11_E_NS1_11comp_targetILNS1_3genE5ELNS1_11target_archE942ELNS1_3gpuE9ELNS1_3repE0EEENS1_30default_config_static_selectorELNS0_4arch9wavefront6targetE0EEEvT1_.kd
    .uniform_work_group_size: 1
    .uses_dynamic_stack: false
    .vgpr_count:     0
    .vgpr_spill_count: 0
    .wavefront_size: 32
  - .args:
      - .offset:         0
        .size:           128
        .value_kind:     by_value
    .group_segment_fixed_size: 0
    .kernarg_segment_align: 8
    .kernarg_segment_size: 128
    .language:       OpenCL C
    .language_version:
      - 2
      - 0
    .max_flat_workgroup_size: 256
    .name:           _ZN7rocprim17ROCPRIM_400000_NS6detail17trampoline_kernelINS0_14default_configENS1_25partition_config_selectorILNS1_17partition_subalgoE8ElNS0_10empty_typeEbEEZZNS1_14partition_implILS5_8ELb0ES3_jPKlPS6_PKS6_NS0_5tupleIJPlS6_EEENSE_IJSB_SB_EEENS0_18inequality_wrapperIN6hipcub16HIPCUB_304000_NS8EqualityEEESF_JS6_EEE10hipError_tPvRmT3_T4_T5_T6_T7_T9_mT8_P12ihipStream_tbDpT10_ENKUlT_T0_E_clISt17integral_constantIbLb0EES15_IbLb1EEEEDaS11_S12_EUlS11_E_NS1_11comp_targetILNS1_3genE4ELNS1_11target_archE910ELNS1_3gpuE8ELNS1_3repE0EEENS1_30default_config_static_selectorELNS0_4arch9wavefront6targetE0EEEvT1_
    .private_segment_fixed_size: 0
    .sgpr_count:     0
    .sgpr_spill_count: 0
    .symbol:         _ZN7rocprim17ROCPRIM_400000_NS6detail17trampoline_kernelINS0_14default_configENS1_25partition_config_selectorILNS1_17partition_subalgoE8ElNS0_10empty_typeEbEEZZNS1_14partition_implILS5_8ELb0ES3_jPKlPS6_PKS6_NS0_5tupleIJPlS6_EEENSE_IJSB_SB_EEENS0_18inequality_wrapperIN6hipcub16HIPCUB_304000_NS8EqualityEEESF_JS6_EEE10hipError_tPvRmT3_T4_T5_T6_T7_T9_mT8_P12ihipStream_tbDpT10_ENKUlT_T0_E_clISt17integral_constantIbLb0EES15_IbLb1EEEEDaS11_S12_EUlS11_E_NS1_11comp_targetILNS1_3genE4ELNS1_11target_archE910ELNS1_3gpuE8ELNS1_3repE0EEENS1_30default_config_static_selectorELNS0_4arch9wavefront6targetE0EEEvT1_.kd
    .uniform_work_group_size: 1
    .uses_dynamic_stack: false
    .vgpr_count:     0
    .vgpr_spill_count: 0
    .wavefront_size: 32
  - .args:
      - .offset:         0
        .size:           128
        .value_kind:     by_value
    .group_segment_fixed_size: 0
    .kernarg_segment_align: 8
    .kernarg_segment_size: 128
    .language:       OpenCL C
    .language_version:
      - 2
      - 0
    .max_flat_workgroup_size: 512
    .name:           _ZN7rocprim17ROCPRIM_400000_NS6detail17trampoline_kernelINS0_14default_configENS1_25partition_config_selectorILNS1_17partition_subalgoE8ElNS0_10empty_typeEbEEZZNS1_14partition_implILS5_8ELb0ES3_jPKlPS6_PKS6_NS0_5tupleIJPlS6_EEENSE_IJSB_SB_EEENS0_18inequality_wrapperIN6hipcub16HIPCUB_304000_NS8EqualityEEESF_JS6_EEE10hipError_tPvRmT3_T4_T5_T6_T7_T9_mT8_P12ihipStream_tbDpT10_ENKUlT_T0_E_clISt17integral_constantIbLb0EES15_IbLb1EEEEDaS11_S12_EUlS11_E_NS1_11comp_targetILNS1_3genE3ELNS1_11target_archE908ELNS1_3gpuE7ELNS1_3repE0EEENS1_30default_config_static_selectorELNS0_4arch9wavefront6targetE0EEEvT1_
    .private_segment_fixed_size: 0
    .sgpr_count:     0
    .sgpr_spill_count: 0
    .symbol:         _ZN7rocprim17ROCPRIM_400000_NS6detail17trampoline_kernelINS0_14default_configENS1_25partition_config_selectorILNS1_17partition_subalgoE8ElNS0_10empty_typeEbEEZZNS1_14partition_implILS5_8ELb0ES3_jPKlPS6_PKS6_NS0_5tupleIJPlS6_EEENSE_IJSB_SB_EEENS0_18inequality_wrapperIN6hipcub16HIPCUB_304000_NS8EqualityEEESF_JS6_EEE10hipError_tPvRmT3_T4_T5_T6_T7_T9_mT8_P12ihipStream_tbDpT10_ENKUlT_T0_E_clISt17integral_constantIbLb0EES15_IbLb1EEEEDaS11_S12_EUlS11_E_NS1_11comp_targetILNS1_3genE3ELNS1_11target_archE908ELNS1_3gpuE7ELNS1_3repE0EEENS1_30default_config_static_selectorELNS0_4arch9wavefront6targetE0EEEvT1_.kd
    .uniform_work_group_size: 1
    .uses_dynamic_stack: false
    .vgpr_count:     0
    .vgpr_spill_count: 0
    .wavefront_size: 32
  - .args:
      - .offset:         0
        .size:           128
        .value_kind:     by_value
    .group_segment_fixed_size: 0
    .kernarg_segment_align: 8
    .kernarg_segment_size: 128
    .language:       OpenCL C
    .language_version:
      - 2
      - 0
    .max_flat_workgroup_size: 256
    .name:           _ZN7rocprim17ROCPRIM_400000_NS6detail17trampoline_kernelINS0_14default_configENS1_25partition_config_selectorILNS1_17partition_subalgoE8ElNS0_10empty_typeEbEEZZNS1_14partition_implILS5_8ELb0ES3_jPKlPS6_PKS6_NS0_5tupleIJPlS6_EEENSE_IJSB_SB_EEENS0_18inequality_wrapperIN6hipcub16HIPCUB_304000_NS8EqualityEEESF_JS6_EEE10hipError_tPvRmT3_T4_T5_T6_T7_T9_mT8_P12ihipStream_tbDpT10_ENKUlT_T0_E_clISt17integral_constantIbLb0EES15_IbLb1EEEEDaS11_S12_EUlS11_E_NS1_11comp_targetILNS1_3genE2ELNS1_11target_archE906ELNS1_3gpuE6ELNS1_3repE0EEENS1_30default_config_static_selectorELNS0_4arch9wavefront6targetE0EEEvT1_
    .private_segment_fixed_size: 0
    .sgpr_count:     0
    .sgpr_spill_count: 0
    .symbol:         _ZN7rocprim17ROCPRIM_400000_NS6detail17trampoline_kernelINS0_14default_configENS1_25partition_config_selectorILNS1_17partition_subalgoE8ElNS0_10empty_typeEbEEZZNS1_14partition_implILS5_8ELb0ES3_jPKlPS6_PKS6_NS0_5tupleIJPlS6_EEENSE_IJSB_SB_EEENS0_18inequality_wrapperIN6hipcub16HIPCUB_304000_NS8EqualityEEESF_JS6_EEE10hipError_tPvRmT3_T4_T5_T6_T7_T9_mT8_P12ihipStream_tbDpT10_ENKUlT_T0_E_clISt17integral_constantIbLb0EES15_IbLb1EEEEDaS11_S12_EUlS11_E_NS1_11comp_targetILNS1_3genE2ELNS1_11target_archE906ELNS1_3gpuE6ELNS1_3repE0EEENS1_30default_config_static_selectorELNS0_4arch9wavefront6targetE0EEEvT1_.kd
    .uniform_work_group_size: 1
    .uses_dynamic_stack: false
    .vgpr_count:     0
    .vgpr_spill_count: 0
    .wavefront_size: 32
  - .args:
      - .offset:         0
        .size:           128
        .value_kind:     by_value
    .group_segment_fixed_size: 0
    .kernarg_segment_align: 8
    .kernarg_segment_size: 128
    .language:       OpenCL C
    .language_version:
      - 2
      - 0
    .max_flat_workgroup_size: 384
    .name:           _ZN7rocprim17ROCPRIM_400000_NS6detail17trampoline_kernelINS0_14default_configENS1_25partition_config_selectorILNS1_17partition_subalgoE8ElNS0_10empty_typeEbEEZZNS1_14partition_implILS5_8ELb0ES3_jPKlPS6_PKS6_NS0_5tupleIJPlS6_EEENSE_IJSB_SB_EEENS0_18inequality_wrapperIN6hipcub16HIPCUB_304000_NS8EqualityEEESF_JS6_EEE10hipError_tPvRmT3_T4_T5_T6_T7_T9_mT8_P12ihipStream_tbDpT10_ENKUlT_T0_E_clISt17integral_constantIbLb0EES15_IbLb1EEEEDaS11_S12_EUlS11_E_NS1_11comp_targetILNS1_3genE10ELNS1_11target_archE1200ELNS1_3gpuE4ELNS1_3repE0EEENS1_30default_config_static_selectorELNS0_4arch9wavefront6targetE0EEEvT1_
    .private_segment_fixed_size: 0
    .sgpr_count:     0
    .sgpr_spill_count: 0
    .symbol:         _ZN7rocprim17ROCPRIM_400000_NS6detail17trampoline_kernelINS0_14default_configENS1_25partition_config_selectorILNS1_17partition_subalgoE8ElNS0_10empty_typeEbEEZZNS1_14partition_implILS5_8ELb0ES3_jPKlPS6_PKS6_NS0_5tupleIJPlS6_EEENSE_IJSB_SB_EEENS0_18inequality_wrapperIN6hipcub16HIPCUB_304000_NS8EqualityEEESF_JS6_EEE10hipError_tPvRmT3_T4_T5_T6_T7_T9_mT8_P12ihipStream_tbDpT10_ENKUlT_T0_E_clISt17integral_constantIbLb0EES15_IbLb1EEEEDaS11_S12_EUlS11_E_NS1_11comp_targetILNS1_3genE10ELNS1_11target_archE1200ELNS1_3gpuE4ELNS1_3repE0EEENS1_30default_config_static_selectorELNS0_4arch9wavefront6targetE0EEEvT1_.kd
    .uniform_work_group_size: 1
    .uses_dynamic_stack: false
    .vgpr_count:     0
    .vgpr_spill_count: 0
    .wavefront_size: 32
  - .args:
      - .offset:         0
        .size:           128
        .value_kind:     by_value
    .group_segment_fixed_size: 0
    .kernarg_segment_align: 8
    .kernarg_segment_size: 128
    .language:       OpenCL C
    .language_version:
      - 2
      - 0
    .max_flat_workgroup_size: 512
    .name:           _ZN7rocprim17ROCPRIM_400000_NS6detail17trampoline_kernelINS0_14default_configENS1_25partition_config_selectorILNS1_17partition_subalgoE8ElNS0_10empty_typeEbEEZZNS1_14partition_implILS5_8ELb0ES3_jPKlPS6_PKS6_NS0_5tupleIJPlS6_EEENSE_IJSB_SB_EEENS0_18inequality_wrapperIN6hipcub16HIPCUB_304000_NS8EqualityEEESF_JS6_EEE10hipError_tPvRmT3_T4_T5_T6_T7_T9_mT8_P12ihipStream_tbDpT10_ENKUlT_T0_E_clISt17integral_constantIbLb0EES15_IbLb1EEEEDaS11_S12_EUlS11_E_NS1_11comp_targetILNS1_3genE9ELNS1_11target_archE1100ELNS1_3gpuE3ELNS1_3repE0EEENS1_30default_config_static_selectorELNS0_4arch9wavefront6targetE0EEEvT1_
    .private_segment_fixed_size: 0
    .sgpr_count:     0
    .sgpr_spill_count: 0
    .symbol:         _ZN7rocprim17ROCPRIM_400000_NS6detail17trampoline_kernelINS0_14default_configENS1_25partition_config_selectorILNS1_17partition_subalgoE8ElNS0_10empty_typeEbEEZZNS1_14partition_implILS5_8ELb0ES3_jPKlPS6_PKS6_NS0_5tupleIJPlS6_EEENSE_IJSB_SB_EEENS0_18inequality_wrapperIN6hipcub16HIPCUB_304000_NS8EqualityEEESF_JS6_EEE10hipError_tPvRmT3_T4_T5_T6_T7_T9_mT8_P12ihipStream_tbDpT10_ENKUlT_T0_E_clISt17integral_constantIbLb0EES15_IbLb1EEEEDaS11_S12_EUlS11_E_NS1_11comp_targetILNS1_3genE9ELNS1_11target_archE1100ELNS1_3gpuE3ELNS1_3repE0EEENS1_30default_config_static_selectorELNS0_4arch9wavefront6targetE0EEEvT1_.kd
    .uniform_work_group_size: 1
    .uses_dynamic_stack: false
    .vgpr_count:     0
    .vgpr_spill_count: 0
    .wavefront_size: 32
  - .args:
      - .offset:         0
        .size:           128
        .value_kind:     by_value
    .group_segment_fixed_size: 0
    .kernarg_segment_align: 8
    .kernarg_segment_size: 128
    .language:       OpenCL C
    .language_version:
      - 2
      - 0
    .max_flat_workgroup_size: 512
    .name:           _ZN7rocprim17ROCPRIM_400000_NS6detail17trampoline_kernelINS0_14default_configENS1_25partition_config_selectorILNS1_17partition_subalgoE8ElNS0_10empty_typeEbEEZZNS1_14partition_implILS5_8ELb0ES3_jPKlPS6_PKS6_NS0_5tupleIJPlS6_EEENSE_IJSB_SB_EEENS0_18inequality_wrapperIN6hipcub16HIPCUB_304000_NS8EqualityEEESF_JS6_EEE10hipError_tPvRmT3_T4_T5_T6_T7_T9_mT8_P12ihipStream_tbDpT10_ENKUlT_T0_E_clISt17integral_constantIbLb0EES15_IbLb1EEEEDaS11_S12_EUlS11_E_NS1_11comp_targetILNS1_3genE8ELNS1_11target_archE1030ELNS1_3gpuE2ELNS1_3repE0EEENS1_30default_config_static_selectorELNS0_4arch9wavefront6targetE0EEEvT1_
    .private_segment_fixed_size: 0
    .sgpr_count:     0
    .sgpr_spill_count: 0
    .symbol:         _ZN7rocprim17ROCPRIM_400000_NS6detail17trampoline_kernelINS0_14default_configENS1_25partition_config_selectorILNS1_17partition_subalgoE8ElNS0_10empty_typeEbEEZZNS1_14partition_implILS5_8ELb0ES3_jPKlPS6_PKS6_NS0_5tupleIJPlS6_EEENSE_IJSB_SB_EEENS0_18inequality_wrapperIN6hipcub16HIPCUB_304000_NS8EqualityEEESF_JS6_EEE10hipError_tPvRmT3_T4_T5_T6_T7_T9_mT8_P12ihipStream_tbDpT10_ENKUlT_T0_E_clISt17integral_constantIbLb0EES15_IbLb1EEEEDaS11_S12_EUlS11_E_NS1_11comp_targetILNS1_3genE8ELNS1_11target_archE1030ELNS1_3gpuE2ELNS1_3repE0EEENS1_30default_config_static_selectorELNS0_4arch9wavefront6targetE0EEEvT1_.kd
    .uniform_work_group_size: 1
    .uses_dynamic_stack: false
    .vgpr_count:     0
    .vgpr_spill_count: 0
    .wavefront_size: 32
  - .args:
      - .offset:         0
        .size:           128
        .value_kind:     by_value
    .group_segment_fixed_size: 30720
    .kernarg_segment_align: 8
    .kernarg_segment_size: 128
    .language:       OpenCL C
    .language_version:
      - 2
      - 0
    .max_flat_workgroup_size: 256
    .name:           _ZN7rocprim17ROCPRIM_400000_NS6detail17trampoline_kernelINS0_14default_configENS1_33run_length_encode_config_selectorIljNS0_4plusIjEEEEZZNS1_33reduce_by_key_impl_wrapped_configILNS1_25lookback_scan_determinismE0ES3_S7_PKlNS0_17constant_iteratorIjlEEPlSE_SE_S6_NS0_8equal_toIlEEEE10hipError_tPvRmT2_T3_mT4_T5_T6_T7_T8_P12ihipStream_tbENKUlT_T0_E_clISt17integral_constantIbLb0EESY_EEDaST_SU_EUlST_E_NS1_11comp_targetILNS1_3genE0ELNS1_11target_archE4294967295ELNS1_3gpuE0ELNS1_3repE0EEENS1_30default_config_static_selectorELNS0_4arch9wavefront6targetE0EEEvT1_
    .private_segment_fixed_size: 0
    .sgpr_count:     42
    .sgpr_spill_count: 0
    .symbol:         _ZN7rocprim17ROCPRIM_400000_NS6detail17trampoline_kernelINS0_14default_configENS1_33run_length_encode_config_selectorIljNS0_4plusIjEEEEZZNS1_33reduce_by_key_impl_wrapped_configILNS1_25lookback_scan_determinismE0ES3_S7_PKlNS0_17constant_iteratorIjlEEPlSE_SE_S6_NS0_8equal_toIlEEEE10hipError_tPvRmT2_T3_mT4_T5_T6_T7_T8_P12ihipStream_tbENKUlT_T0_E_clISt17integral_constantIbLb0EESY_EEDaST_SU_EUlST_E_NS1_11comp_targetILNS1_3genE0ELNS1_11target_archE4294967295ELNS1_3gpuE0ELNS1_3repE0EEENS1_30default_config_static_selectorELNS0_4arch9wavefront6targetE0EEEvT1_.kd
    .uniform_work_group_size: 1
    .uses_dynamic_stack: false
    .vgpr_count:     101
    .vgpr_spill_count: 0
    .wavefront_size: 32
  - .args:
      - .offset:         0
        .size:           128
        .value_kind:     by_value
    .group_segment_fixed_size: 0
    .kernarg_segment_align: 8
    .kernarg_segment_size: 128
    .language:       OpenCL C
    .language_version:
      - 2
      - 0
    .max_flat_workgroup_size: 512
    .name:           _ZN7rocprim17ROCPRIM_400000_NS6detail17trampoline_kernelINS0_14default_configENS1_33run_length_encode_config_selectorIljNS0_4plusIjEEEEZZNS1_33reduce_by_key_impl_wrapped_configILNS1_25lookback_scan_determinismE0ES3_S7_PKlNS0_17constant_iteratorIjlEEPlSE_SE_S6_NS0_8equal_toIlEEEE10hipError_tPvRmT2_T3_mT4_T5_T6_T7_T8_P12ihipStream_tbENKUlT_T0_E_clISt17integral_constantIbLb0EESY_EEDaST_SU_EUlST_E_NS1_11comp_targetILNS1_3genE5ELNS1_11target_archE942ELNS1_3gpuE9ELNS1_3repE0EEENS1_30default_config_static_selectorELNS0_4arch9wavefront6targetE0EEEvT1_
    .private_segment_fixed_size: 0
    .sgpr_count:     0
    .sgpr_spill_count: 0
    .symbol:         _ZN7rocprim17ROCPRIM_400000_NS6detail17trampoline_kernelINS0_14default_configENS1_33run_length_encode_config_selectorIljNS0_4plusIjEEEEZZNS1_33reduce_by_key_impl_wrapped_configILNS1_25lookback_scan_determinismE0ES3_S7_PKlNS0_17constant_iteratorIjlEEPlSE_SE_S6_NS0_8equal_toIlEEEE10hipError_tPvRmT2_T3_mT4_T5_T6_T7_T8_P12ihipStream_tbENKUlT_T0_E_clISt17integral_constantIbLb0EESY_EEDaST_SU_EUlST_E_NS1_11comp_targetILNS1_3genE5ELNS1_11target_archE942ELNS1_3gpuE9ELNS1_3repE0EEENS1_30default_config_static_selectorELNS0_4arch9wavefront6targetE0EEEvT1_.kd
    .uniform_work_group_size: 1
    .uses_dynamic_stack: false
    .vgpr_count:     0
    .vgpr_spill_count: 0
    .wavefront_size: 32
  - .args:
      - .offset:         0
        .size:           128
        .value_kind:     by_value
    .group_segment_fixed_size: 0
    .kernarg_segment_align: 8
    .kernarg_segment_size: 128
    .language:       OpenCL C
    .language_version:
      - 2
      - 0
    .max_flat_workgroup_size: 256
    .name:           _ZN7rocprim17ROCPRIM_400000_NS6detail17trampoline_kernelINS0_14default_configENS1_33run_length_encode_config_selectorIljNS0_4plusIjEEEEZZNS1_33reduce_by_key_impl_wrapped_configILNS1_25lookback_scan_determinismE0ES3_S7_PKlNS0_17constant_iteratorIjlEEPlSE_SE_S6_NS0_8equal_toIlEEEE10hipError_tPvRmT2_T3_mT4_T5_T6_T7_T8_P12ihipStream_tbENKUlT_T0_E_clISt17integral_constantIbLb0EESY_EEDaST_SU_EUlST_E_NS1_11comp_targetILNS1_3genE4ELNS1_11target_archE910ELNS1_3gpuE8ELNS1_3repE0EEENS1_30default_config_static_selectorELNS0_4arch9wavefront6targetE0EEEvT1_
    .private_segment_fixed_size: 0
    .sgpr_count:     0
    .sgpr_spill_count: 0
    .symbol:         _ZN7rocprim17ROCPRIM_400000_NS6detail17trampoline_kernelINS0_14default_configENS1_33run_length_encode_config_selectorIljNS0_4plusIjEEEEZZNS1_33reduce_by_key_impl_wrapped_configILNS1_25lookback_scan_determinismE0ES3_S7_PKlNS0_17constant_iteratorIjlEEPlSE_SE_S6_NS0_8equal_toIlEEEE10hipError_tPvRmT2_T3_mT4_T5_T6_T7_T8_P12ihipStream_tbENKUlT_T0_E_clISt17integral_constantIbLb0EESY_EEDaST_SU_EUlST_E_NS1_11comp_targetILNS1_3genE4ELNS1_11target_archE910ELNS1_3gpuE8ELNS1_3repE0EEENS1_30default_config_static_selectorELNS0_4arch9wavefront6targetE0EEEvT1_.kd
    .uniform_work_group_size: 1
    .uses_dynamic_stack: false
    .vgpr_count:     0
    .vgpr_spill_count: 0
    .wavefront_size: 32
  - .args:
      - .offset:         0
        .size:           128
        .value_kind:     by_value
    .group_segment_fixed_size: 0
    .kernarg_segment_align: 8
    .kernarg_segment_size: 128
    .language:       OpenCL C
    .language_version:
      - 2
      - 0
    .max_flat_workgroup_size: 256
    .name:           _ZN7rocprim17ROCPRIM_400000_NS6detail17trampoline_kernelINS0_14default_configENS1_33run_length_encode_config_selectorIljNS0_4plusIjEEEEZZNS1_33reduce_by_key_impl_wrapped_configILNS1_25lookback_scan_determinismE0ES3_S7_PKlNS0_17constant_iteratorIjlEEPlSE_SE_S6_NS0_8equal_toIlEEEE10hipError_tPvRmT2_T3_mT4_T5_T6_T7_T8_P12ihipStream_tbENKUlT_T0_E_clISt17integral_constantIbLb0EESY_EEDaST_SU_EUlST_E_NS1_11comp_targetILNS1_3genE3ELNS1_11target_archE908ELNS1_3gpuE7ELNS1_3repE0EEENS1_30default_config_static_selectorELNS0_4arch9wavefront6targetE0EEEvT1_
    .private_segment_fixed_size: 0
    .sgpr_count:     0
    .sgpr_spill_count: 0
    .symbol:         _ZN7rocprim17ROCPRIM_400000_NS6detail17trampoline_kernelINS0_14default_configENS1_33run_length_encode_config_selectorIljNS0_4plusIjEEEEZZNS1_33reduce_by_key_impl_wrapped_configILNS1_25lookback_scan_determinismE0ES3_S7_PKlNS0_17constant_iteratorIjlEEPlSE_SE_S6_NS0_8equal_toIlEEEE10hipError_tPvRmT2_T3_mT4_T5_T6_T7_T8_P12ihipStream_tbENKUlT_T0_E_clISt17integral_constantIbLb0EESY_EEDaST_SU_EUlST_E_NS1_11comp_targetILNS1_3genE3ELNS1_11target_archE908ELNS1_3gpuE7ELNS1_3repE0EEENS1_30default_config_static_selectorELNS0_4arch9wavefront6targetE0EEEvT1_.kd
    .uniform_work_group_size: 1
    .uses_dynamic_stack: false
    .vgpr_count:     0
    .vgpr_spill_count: 0
    .wavefront_size: 32
  - .args:
      - .offset:         0
        .size:           128
        .value_kind:     by_value
    .group_segment_fixed_size: 0
    .kernarg_segment_align: 8
    .kernarg_segment_size: 128
    .language:       OpenCL C
    .language_version:
      - 2
      - 0
    .max_flat_workgroup_size: 256
    .name:           _ZN7rocprim17ROCPRIM_400000_NS6detail17trampoline_kernelINS0_14default_configENS1_33run_length_encode_config_selectorIljNS0_4plusIjEEEEZZNS1_33reduce_by_key_impl_wrapped_configILNS1_25lookback_scan_determinismE0ES3_S7_PKlNS0_17constant_iteratorIjlEEPlSE_SE_S6_NS0_8equal_toIlEEEE10hipError_tPvRmT2_T3_mT4_T5_T6_T7_T8_P12ihipStream_tbENKUlT_T0_E_clISt17integral_constantIbLb0EESY_EEDaST_SU_EUlST_E_NS1_11comp_targetILNS1_3genE2ELNS1_11target_archE906ELNS1_3gpuE6ELNS1_3repE0EEENS1_30default_config_static_selectorELNS0_4arch9wavefront6targetE0EEEvT1_
    .private_segment_fixed_size: 0
    .sgpr_count:     0
    .sgpr_spill_count: 0
    .symbol:         _ZN7rocprim17ROCPRIM_400000_NS6detail17trampoline_kernelINS0_14default_configENS1_33run_length_encode_config_selectorIljNS0_4plusIjEEEEZZNS1_33reduce_by_key_impl_wrapped_configILNS1_25lookback_scan_determinismE0ES3_S7_PKlNS0_17constant_iteratorIjlEEPlSE_SE_S6_NS0_8equal_toIlEEEE10hipError_tPvRmT2_T3_mT4_T5_T6_T7_T8_P12ihipStream_tbENKUlT_T0_E_clISt17integral_constantIbLb0EESY_EEDaST_SU_EUlST_E_NS1_11comp_targetILNS1_3genE2ELNS1_11target_archE906ELNS1_3gpuE6ELNS1_3repE0EEENS1_30default_config_static_selectorELNS0_4arch9wavefront6targetE0EEEvT1_.kd
    .uniform_work_group_size: 1
    .uses_dynamic_stack: false
    .vgpr_count:     0
    .vgpr_spill_count: 0
    .wavefront_size: 32
  - .args:
      - .offset:         0
        .size:           128
        .value_kind:     by_value
    .group_segment_fixed_size: 0
    .kernarg_segment_align: 8
    .kernarg_segment_size: 128
    .language:       OpenCL C
    .language_version:
      - 2
      - 0
    .max_flat_workgroup_size: 512
    .name:           _ZN7rocprim17ROCPRIM_400000_NS6detail17trampoline_kernelINS0_14default_configENS1_33run_length_encode_config_selectorIljNS0_4plusIjEEEEZZNS1_33reduce_by_key_impl_wrapped_configILNS1_25lookback_scan_determinismE0ES3_S7_PKlNS0_17constant_iteratorIjlEEPlSE_SE_S6_NS0_8equal_toIlEEEE10hipError_tPvRmT2_T3_mT4_T5_T6_T7_T8_P12ihipStream_tbENKUlT_T0_E_clISt17integral_constantIbLb0EESY_EEDaST_SU_EUlST_E_NS1_11comp_targetILNS1_3genE10ELNS1_11target_archE1201ELNS1_3gpuE5ELNS1_3repE0EEENS1_30default_config_static_selectorELNS0_4arch9wavefront6targetE0EEEvT1_
    .private_segment_fixed_size: 0
    .sgpr_count:     0
    .sgpr_spill_count: 0
    .symbol:         _ZN7rocprim17ROCPRIM_400000_NS6detail17trampoline_kernelINS0_14default_configENS1_33run_length_encode_config_selectorIljNS0_4plusIjEEEEZZNS1_33reduce_by_key_impl_wrapped_configILNS1_25lookback_scan_determinismE0ES3_S7_PKlNS0_17constant_iteratorIjlEEPlSE_SE_S6_NS0_8equal_toIlEEEE10hipError_tPvRmT2_T3_mT4_T5_T6_T7_T8_P12ihipStream_tbENKUlT_T0_E_clISt17integral_constantIbLb0EESY_EEDaST_SU_EUlST_E_NS1_11comp_targetILNS1_3genE10ELNS1_11target_archE1201ELNS1_3gpuE5ELNS1_3repE0EEENS1_30default_config_static_selectorELNS0_4arch9wavefront6targetE0EEEvT1_.kd
    .uniform_work_group_size: 1
    .uses_dynamic_stack: false
    .vgpr_count:     0
    .vgpr_spill_count: 0
    .wavefront_size: 32
  - .args:
      - .offset:         0
        .size:           128
        .value_kind:     by_value
    .group_segment_fixed_size: 0
    .kernarg_segment_align: 8
    .kernarg_segment_size: 128
    .language:       OpenCL C
    .language_version:
      - 2
      - 0
    .max_flat_workgroup_size: 512
    .name:           _ZN7rocprim17ROCPRIM_400000_NS6detail17trampoline_kernelINS0_14default_configENS1_33run_length_encode_config_selectorIljNS0_4plusIjEEEEZZNS1_33reduce_by_key_impl_wrapped_configILNS1_25lookback_scan_determinismE0ES3_S7_PKlNS0_17constant_iteratorIjlEEPlSE_SE_S6_NS0_8equal_toIlEEEE10hipError_tPvRmT2_T3_mT4_T5_T6_T7_T8_P12ihipStream_tbENKUlT_T0_E_clISt17integral_constantIbLb0EESY_EEDaST_SU_EUlST_E_NS1_11comp_targetILNS1_3genE10ELNS1_11target_archE1200ELNS1_3gpuE4ELNS1_3repE0EEENS1_30default_config_static_selectorELNS0_4arch9wavefront6targetE0EEEvT1_
    .private_segment_fixed_size: 0
    .sgpr_count:     0
    .sgpr_spill_count: 0
    .symbol:         _ZN7rocprim17ROCPRIM_400000_NS6detail17trampoline_kernelINS0_14default_configENS1_33run_length_encode_config_selectorIljNS0_4plusIjEEEEZZNS1_33reduce_by_key_impl_wrapped_configILNS1_25lookback_scan_determinismE0ES3_S7_PKlNS0_17constant_iteratorIjlEEPlSE_SE_S6_NS0_8equal_toIlEEEE10hipError_tPvRmT2_T3_mT4_T5_T6_T7_T8_P12ihipStream_tbENKUlT_T0_E_clISt17integral_constantIbLb0EESY_EEDaST_SU_EUlST_E_NS1_11comp_targetILNS1_3genE10ELNS1_11target_archE1200ELNS1_3gpuE4ELNS1_3repE0EEENS1_30default_config_static_selectorELNS0_4arch9wavefront6targetE0EEEvT1_.kd
    .uniform_work_group_size: 1
    .uses_dynamic_stack: false
    .vgpr_count:     0
    .vgpr_spill_count: 0
    .wavefront_size: 32
  - .args:
      - .offset:         0
        .size:           128
        .value_kind:     by_value
    .group_segment_fixed_size: 0
    .kernarg_segment_align: 8
    .kernarg_segment_size: 128
    .language:       OpenCL C
    .language_version:
      - 2
      - 0
    .max_flat_workgroup_size: 512
    .name:           _ZN7rocprim17ROCPRIM_400000_NS6detail17trampoline_kernelINS0_14default_configENS1_33run_length_encode_config_selectorIljNS0_4plusIjEEEEZZNS1_33reduce_by_key_impl_wrapped_configILNS1_25lookback_scan_determinismE0ES3_S7_PKlNS0_17constant_iteratorIjlEEPlSE_SE_S6_NS0_8equal_toIlEEEE10hipError_tPvRmT2_T3_mT4_T5_T6_T7_T8_P12ihipStream_tbENKUlT_T0_E_clISt17integral_constantIbLb0EESY_EEDaST_SU_EUlST_E_NS1_11comp_targetILNS1_3genE9ELNS1_11target_archE1100ELNS1_3gpuE3ELNS1_3repE0EEENS1_30default_config_static_selectorELNS0_4arch9wavefront6targetE0EEEvT1_
    .private_segment_fixed_size: 0
    .sgpr_count:     0
    .sgpr_spill_count: 0
    .symbol:         _ZN7rocprim17ROCPRIM_400000_NS6detail17trampoline_kernelINS0_14default_configENS1_33run_length_encode_config_selectorIljNS0_4plusIjEEEEZZNS1_33reduce_by_key_impl_wrapped_configILNS1_25lookback_scan_determinismE0ES3_S7_PKlNS0_17constant_iteratorIjlEEPlSE_SE_S6_NS0_8equal_toIlEEEE10hipError_tPvRmT2_T3_mT4_T5_T6_T7_T8_P12ihipStream_tbENKUlT_T0_E_clISt17integral_constantIbLb0EESY_EEDaST_SU_EUlST_E_NS1_11comp_targetILNS1_3genE9ELNS1_11target_archE1100ELNS1_3gpuE3ELNS1_3repE0EEENS1_30default_config_static_selectorELNS0_4arch9wavefront6targetE0EEEvT1_.kd
    .uniform_work_group_size: 1
    .uses_dynamic_stack: false
    .vgpr_count:     0
    .vgpr_spill_count: 0
    .wavefront_size: 32
  - .args:
      - .offset:         0
        .size:           128
        .value_kind:     by_value
    .group_segment_fixed_size: 0
    .kernarg_segment_align: 8
    .kernarg_segment_size: 128
    .language:       OpenCL C
    .language_version:
      - 2
      - 0
    .max_flat_workgroup_size: 512
    .name:           _ZN7rocprim17ROCPRIM_400000_NS6detail17trampoline_kernelINS0_14default_configENS1_33run_length_encode_config_selectorIljNS0_4plusIjEEEEZZNS1_33reduce_by_key_impl_wrapped_configILNS1_25lookback_scan_determinismE0ES3_S7_PKlNS0_17constant_iteratorIjlEEPlSE_SE_S6_NS0_8equal_toIlEEEE10hipError_tPvRmT2_T3_mT4_T5_T6_T7_T8_P12ihipStream_tbENKUlT_T0_E_clISt17integral_constantIbLb0EESY_EEDaST_SU_EUlST_E_NS1_11comp_targetILNS1_3genE8ELNS1_11target_archE1030ELNS1_3gpuE2ELNS1_3repE0EEENS1_30default_config_static_selectorELNS0_4arch9wavefront6targetE0EEEvT1_
    .private_segment_fixed_size: 0
    .sgpr_count:     0
    .sgpr_spill_count: 0
    .symbol:         _ZN7rocprim17ROCPRIM_400000_NS6detail17trampoline_kernelINS0_14default_configENS1_33run_length_encode_config_selectorIljNS0_4plusIjEEEEZZNS1_33reduce_by_key_impl_wrapped_configILNS1_25lookback_scan_determinismE0ES3_S7_PKlNS0_17constant_iteratorIjlEEPlSE_SE_S6_NS0_8equal_toIlEEEE10hipError_tPvRmT2_T3_mT4_T5_T6_T7_T8_P12ihipStream_tbENKUlT_T0_E_clISt17integral_constantIbLb0EESY_EEDaST_SU_EUlST_E_NS1_11comp_targetILNS1_3genE8ELNS1_11target_archE1030ELNS1_3gpuE2ELNS1_3repE0EEENS1_30default_config_static_selectorELNS0_4arch9wavefront6targetE0EEEvT1_.kd
    .uniform_work_group_size: 1
    .uses_dynamic_stack: false
    .vgpr_count:     0
    .vgpr_spill_count: 0
    .wavefront_size: 32
  - .args:
      - .offset:         0
        .size:           128
        .value_kind:     by_value
    .group_segment_fixed_size: 0
    .kernarg_segment_align: 8
    .kernarg_segment_size: 128
    .language:       OpenCL C
    .language_version:
      - 2
      - 0
    .max_flat_workgroup_size: 256
    .name:           _ZN7rocprim17ROCPRIM_400000_NS6detail17trampoline_kernelINS0_14default_configENS1_33run_length_encode_config_selectorIljNS0_4plusIjEEEEZZNS1_33reduce_by_key_impl_wrapped_configILNS1_25lookback_scan_determinismE0ES3_S7_PKlNS0_17constant_iteratorIjlEEPlSE_SE_S6_NS0_8equal_toIlEEEE10hipError_tPvRmT2_T3_mT4_T5_T6_T7_T8_P12ihipStream_tbENKUlT_T0_E_clISt17integral_constantIbLb1EESY_EEDaST_SU_EUlST_E_NS1_11comp_targetILNS1_3genE0ELNS1_11target_archE4294967295ELNS1_3gpuE0ELNS1_3repE0EEENS1_30default_config_static_selectorELNS0_4arch9wavefront6targetE0EEEvT1_
    .private_segment_fixed_size: 0
    .sgpr_count:     0
    .sgpr_spill_count: 0
    .symbol:         _ZN7rocprim17ROCPRIM_400000_NS6detail17trampoline_kernelINS0_14default_configENS1_33run_length_encode_config_selectorIljNS0_4plusIjEEEEZZNS1_33reduce_by_key_impl_wrapped_configILNS1_25lookback_scan_determinismE0ES3_S7_PKlNS0_17constant_iteratorIjlEEPlSE_SE_S6_NS0_8equal_toIlEEEE10hipError_tPvRmT2_T3_mT4_T5_T6_T7_T8_P12ihipStream_tbENKUlT_T0_E_clISt17integral_constantIbLb1EESY_EEDaST_SU_EUlST_E_NS1_11comp_targetILNS1_3genE0ELNS1_11target_archE4294967295ELNS1_3gpuE0ELNS1_3repE0EEENS1_30default_config_static_selectorELNS0_4arch9wavefront6targetE0EEEvT1_.kd
    .uniform_work_group_size: 1
    .uses_dynamic_stack: false
    .vgpr_count:     0
    .vgpr_spill_count: 0
    .wavefront_size: 32
  - .args:
      - .offset:         0
        .size:           128
        .value_kind:     by_value
    .group_segment_fixed_size: 0
    .kernarg_segment_align: 8
    .kernarg_segment_size: 128
    .language:       OpenCL C
    .language_version:
      - 2
      - 0
    .max_flat_workgroup_size: 512
    .name:           _ZN7rocprim17ROCPRIM_400000_NS6detail17trampoline_kernelINS0_14default_configENS1_33run_length_encode_config_selectorIljNS0_4plusIjEEEEZZNS1_33reduce_by_key_impl_wrapped_configILNS1_25lookback_scan_determinismE0ES3_S7_PKlNS0_17constant_iteratorIjlEEPlSE_SE_S6_NS0_8equal_toIlEEEE10hipError_tPvRmT2_T3_mT4_T5_T6_T7_T8_P12ihipStream_tbENKUlT_T0_E_clISt17integral_constantIbLb1EESY_EEDaST_SU_EUlST_E_NS1_11comp_targetILNS1_3genE5ELNS1_11target_archE942ELNS1_3gpuE9ELNS1_3repE0EEENS1_30default_config_static_selectorELNS0_4arch9wavefront6targetE0EEEvT1_
    .private_segment_fixed_size: 0
    .sgpr_count:     0
    .sgpr_spill_count: 0
    .symbol:         _ZN7rocprim17ROCPRIM_400000_NS6detail17trampoline_kernelINS0_14default_configENS1_33run_length_encode_config_selectorIljNS0_4plusIjEEEEZZNS1_33reduce_by_key_impl_wrapped_configILNS1_25lookback_scan_determinismE0ES3_S7_PKlNS0_17constant_iteratorIjlEEPlSE_SE_S6_NS0_8equal_toIlEEEE10hipError_tPvRmT2_T3_mT4_T5_T6_T7_T8_P12ihipStream_tbENKUlT_T0_E_clISt17integral_constantIbLb1EESY_EEDaST_SU_EUlST_E_NS1_11comp_targetILNS1_3genE5ELNS1_11target_archE942ELNS1_3gpuE9ELNS1_3repE0EEENS1_30default_config_static_selectorELNS0_4arch9wavefront6targetE0EEEvT1_.kd
    .uniform_work_group_size: 1
    .uses_dynamic_stack: false
    .vgpr_count:     0
    .vgpr_spill_count: 0
    .wavefront_size: 32
  - .args:
      - .offset:         0
        .size:           128
        .value_kind:     by_value
    .group_segment_fixed_size: 0
    .kernarg_segment_align: 8
    .kernarg_segment_size: 128
    .language:       OpenCL C
    .language_version:
      - 2
      - 0
    .max_flat_workgroup_size: 256
    .name:           _ZN7rocprim17ROCPRIM_400000_NS6detail17trampoline_kernelINS0_14default_configENS1_33run_length_encode_config_selectorIljNS0_4plusIjEEEEZZNS1_33reduce_by_key_impl_wrapped_configILNS1_25lookback_scan_determinismE0ES3_S7_PKlNS0_17constant_iteratorIjlEEPlSE_SE_S6_NS0_8equal_toIlEEEE10hipError_tPvRmT2_T3_mT4_T5_T6_T7_T8_P12ihipStream_tbENKUlT_T0_E_clISt17integral_constantIbLb1EESY_EEDaST_SU_EUlST_E_NS1_11comp_targetILNS1_3genE4ELNS1_11target_archE910ELNS1_3gpuE8ELNS1_3repE0EEENS1_30default_config_static_selectorELNS0_4arch9wavefront6targetE0EEEvT1_
    .private_segment_fixed_size: 0
    .sgpr_count:     0
    .sgpr_spill_count: 0
    .symbol:         _ZN7rocprim17ROCPRIM_400000_NS6detail17trampoline_kernelINS0_14default_configENS1_33run_length_encode_config_selectorIljNS0_4plusIjEEEEZZNS1_33reduce_by_key_impl_wrapped_configILNS1_25lookback_scan_determinismE0ES3_S7_PKlNS0_17constant_iteratorIjlEEPlSE_SE_S6_NS0_8equal_toIlEEEE10hipError_tPvRmT2_T3_mT4_T5_T6_T7_T8_P12ihipStream_tbENKUlT_T0_E_clISt17integral_constantIbLb1EESY_EEDaST_SU_EUlST_E_NS1_11comp_targetILNS1_3genE4ELNS1_11target_archE910ELNS1_3gpuE8ELNS1_3repE0EEENS1_30default_config_static_selectorELNS0_4arch9wavefront6targetE0EEEvT1_.kd
    .uniform_work_group_size: 1
    .uses_dynamic_stack: false
    .vgpr_count:     0
    .vgpr_spill_count: 0
    .wavefront_size: 32
  - .args:
      - .offset:         0
        .size:           128
        .value_kind:     by_value
    .group_segment_fixed_size: 0
    .kernarg_segment_align: 8
    .kernarg_segment_size: 128
    .language:       OpenCL C
    .language_version:
      - 2
      - 0
    .max_flat_workgroup_size: 256
    .name:           _ZN7rocprim17ROCPRIM_400000_NS6detail17trampoline_kernelINS0_14default_configENS1_33run_length_encode_config_selectorIljNS0_4plusIjEEEEZZNS1_33reduce_by_key_impl_wrapped_configILNS1_25lookback_scan_determinismE0ES3_S7_PKlNS0_17constant_iteratorIjlEEPlSE_SE_S6_NS0_8equal_toIlEEEE10hipError_tPvRmT2_T3_mT4_T5_T6_T7_T8_P12ihipStream_tbENKUlT_T0_E_clISt17integral_constantIbLb1EESY_EEDaST_SU_EUlST_E_NS1_11comp_targetILNS1_3genE3ELNS1_11target_archE908ELNS1_3gpuE7ELNS1_3repE0EEENS1_30default_config_static_selectorELNS0_4arch9wavefront6targetE0EEEvT1_
    .private_segment_fixed_size: 0
    .sgpr_count:     0
    .sgpr_spill_count: 0
    .symbol:         _ZN7rocprim17ROCPRIM_400000_NS6detail17trampoline_kernelINS0_14default_configENS1_33run_length_encode_config_selectorIljNS0_4plusIjEEEEZZNS1_33reduce_by_key_impl_wrapped_configILNS1_25lookback_scan_determinismE0ES3_S7_PKlNS0_17constant_iteratorIjlEEPlSE_SE_S6_NS0_8equal_toIlEEEE10hipError_tPvRmT2_T3_mT4_T5_T6_T7_T8_P12ihipStream_tbENKUlT_T0_E_clISt17integral_constantIbLb1EESY_EEDaST_SU_EUlST_E_NS1_11comp_targetILNS1_3genE3ELNS1_11target_archE908ELNS1_3gpuE7ELNS1_3repE0EEENS1_30default_config_static_selectorELNS0_4arch9wavefront6targetE0EEEvT1_.kd
    .uniform_work_group_size: 1
    .uses_dynamic_stack: false
    .vgpr_count:     0
    .vgpr_spill_count: 0
    .wavefront_size: 32
  - .args:
      - .offset:         0
        .size:           128
        .value_kind:     by_value
    .group_segment_fixed_size: 0
    .kernarg_segment_align: 8
    .kernarg_segment_size: 128
    .language:       OpenCL C
    .language_version:
      - 2
      - 0
    .max_flat_workgroup_size: 256
    .name:           _ZN7rocprim17ROCPRIM_400000_NS6detail17trampoline_kernelINS0_14default_configENS1_33run_length_encode_config_selectorIljNS0_4plusIjEEEEZZNS1_33reduce_by_key_impl_wrapped_configILNS1_25lookback_scan_determinismE0ES3_S7_PKlNS0_17constant_iteratorIjlEEPlSE_SE_S6_NS0_8equal_toIlEEEE10hipError_tPvRmT2_T3_mT4_T5_T6_T7_T8_P12ihipStream_tbENKUlT_T0_E_clISt17integral_constantIbLb1EESY_EEDaST_SU_EUlST_E_NS1_11comp_targetILNS1_3genE2ELNS1_11target_archE906ELNS1_3gpuE6ELNS1_3repE0EEENS1_30default_config_static_selectorELNS0_4arch9wavefront6targetE0EEEvT1_
    .private_segment_fixed_size: 0
    .sgpr_count:     0
    .sgpr_spill_count: 0
    .symbol:         _ZN7rocprim17ROCPRIM_400000_NS6detail17trampoline_kernelINS0_14default_configENS1_33run_length_encode_config_selectorIljNS0_4plusIjEEEEZZNS1_33reduce_by_key_impl_wrapped_configILNS1_25lookback_scan_determinismE0ES3_S7_PKlNS0_17constant_iteratorIjlEEPlSE_SE_S6_NS0_8equal_toIlEEEE10hipError_tPvRmT2_T3_mT4_T5_T6_T7_T8_P12ihipStream_tbENKUlT_T0_E_clISt17integral_constantIbLb1EESY_EEDaST_SU_EUlST_E_NS1_11comp_targetILNS1_3genE2ELNS1_11target_archE906ELNS1_3gpuE6ELNS1_3repE0EEENS1_30default_config_static_selectorELNS0_4arch9wavefront6targetE0EEEvT1_.kd
    .uniform_work_group_size: 1
    .uses_dynamic_stack: false
    .vgpr_count:     0
    .vgpr_spill_count: 0
    .wavefront_size: 32
  - .args:
      - .offset:         0
        .size:           128
        .value_kind:     by_value
    .group_segment_fixed_size: 0
    .kernarg_segment_align: 8
    .kernarg_segment_size: 128
    .language:       OpenCL C
    .language_version:
      - 2
      - 0
    .max_flat_workgroup_size: 512
    .name:           _ZN7rocprim17ROCPRIM_400000_NS6detail17trampoline_kernelINS0_14default_configENS1_33run_length_encode_config_selectorIljNS0_4plusIjEEEEZZNS1_33reduce_by_key_impl_wrapped_configILNS1_25lookback_scan_determinismE0ES3_S7_PKlNS0_17constant_iteratorIjlEEPlSE_SE_S6_NS0_8equal_toIlEEEE10hipError_tPvRmT2_T3_mT4_T5_T6_T7_T8_P12ihipStream_tbENKUlT_T0_E_clISt17integral_constantIbLb1EESY_EEDaST_SU_EUlST_E_NS1_11comp_targetILNS1_3genE10ELNS1_11target_archE1201ELNS1_3gpuE5ELNS1_3repE0EEENS1_30default_config_static_selectorELNS0_4arch9wavefront6targetE0EEEvT1_
    .private_segment_fixed_size: 0
    .sgpr_count:     0
    .sgpr_spill_count: 0
    .symbol:         _ZN7rocprim17ROCPRIM_400000_NS6detail17trampoline_kernelINS0_14default_configENS1_33run_length_encode_config_selectorIljNS0_4plusIjEEEEZZNS1_33reduce_by_key_impl_wrapped_configILNS1_25lookback_scan_determinismE0ES3_S7_PKlNS0_17constant_iteratorIjlEEPlSE_SE_S6_NS0_8equal_toIlEEEE10hipError_tPvRmT2_T3_mT4_T5_T6_T7_T8_P12ihipStream_tbENKUlT_T0_E_clISt17integral_constantIbLb1EESY_EEDaST_SU_EUlST_E_NS1_11comp_targetILNS1_3genE10ELNS1_11target_archE1201ELNS1_3gpuE5ELNS1_3repE0EEENS1_30default_config_static_selectorELNS0_4arch9wavefront6targetE0EEEvT1_.kd
    .uniform_work_group_size: 1
    .uses_dynamic_stack: false
    .vgpr_count:     0
    .vgpr_spill_count: 0
    .wavefront_size: 32
  - .args:
      - .offset:         0
        .size:           128
        .value_kind:     by_value
    .group_segment_fixed_size: 0
    .kernarg_segment_align: 8
    .kernarg_segment_size: 128
    .language:       OpenCL C
    .language_version:
      - 2
      - 0
    .max_flat_workgroup_size: 512
    .name:           _ZN7rocprim17ROCPRIM_400000_NS6detail17trampoline_kernelINS0_14default_configENS1_33run_length_encode_config_selectorIljNS0_4plusIjEEEEZZNS1_33reduce_by_key_impl_wrapped_configILNS1_25lookback_scan_determinismE0ES3_S7_PKlNS0_17constant_iteratorIjlEEPlSE_SE_S6_NS0_8equal_toIlEEEE10hipError_tPvRmT2_T3_mT4_T5_T6_T7_T8_P12ihipStream_tbENKUlT_T0_E_clISt17integral_constantIbLb1EESY_EEDaST_SU_EUlST_E_NS1_11comp_targetILNS1_3genE10ELNS1_11target_archE1200ELNS1_3gpuE4ELNS1_3repE0EEENS1_30default_config_static_selectorELNS0_4arch9wavefront6targetE0EEEvT1_
    .private_segment_fixed_size: 0
    .sgpr_count:     0
    .sgpr_spill_count: 0
    .symbol:         _ZN7rocprim17ROCPRIM_400000_NS6detail17trampoline_kernelINS0_14default_configENS1_33run_length_encode_config_selectorIljNS0_4plusIjEEEEZZNS1_33reduce_by_key_impl_wrapped_configILNS1_25lookback_scan_determinismE0ES3_S7_PKlNS0_17constant_iteratorIjlEEPlSE_SE_S6_NS0_8equal_toIlEEEE10hipError_tPvRmT2_T3_mT4_T5_T6_T7_T8_P12ihipStream_tbENKUlT_T0_E_clISt17integral_constantIbLb1EESY_EEDaST_SU_EUlST_E_NS1_11comp_targetILNS1_3genE10ELNS1_11target_archE1200ELNS1_3gpuE4ELNS1_3repE0EEENS1_30default_config_static_selectorELNS0_4arch9wavefront6targetE0EEEvT1_.kd
    .uniform_work_group_size: 1
    .uses_dynamic_stack: false
    .vgpr_count:     0
    .vgpr_spill_count: 0
    .wavefront_size: 32
  - .args:
      - .offset:         0
        .size:           128
        .value_kind:     by_value
    .group_segment_fixed_size: 0
    .kernarg_segment_align: 8
    .kernarg_segment_size: 128
    .language:       OpenCL C
    .language_version:
      - 2
      - 0
    .max_flat_workgroup_size: 512
    .name:           _ZN7rocprim17ROCPRIM_400000_NS6detail17trampoline_kernelINS0_14default_configENS1_33run_length_encode_config_selectorIljNS0_4plusIjEEEEZZNS1_33reduce_by_key_impl_wrapped_configILNS1_25lookback_scan_determinismE0ES3_S7_PKlNS0_17constant_iteratorIjlEEPlSE_SE_S6_NS0_8equal_toIlEEEE10hipError_tPvRmT2_T3_mT4_T5_T6_T7_T8_P12ihipStream_tbENKUlT_T0_E_clISt17integral_constantIbLb1EESY_EEDaST_SU_EUlST_E_NS1_11comp_targetILNS1_3genE9ELNS1_11target_archE1100ELNS1_3gpuE3ELNS1_3repE0EEENS1_30default_config_static_selectorELNS0_4arch9wavefront6targetE0EEEvT1_
    .private_segment_fixed_size: 0
    .sgpr_count:     0
    .sgpr_spill_count: 0
    .symbol:         _ZN7rocprim17ROCPRIM_400000_NS6detail17trampoline_kernelINS0_14default_configENS1_33run_length_encode_config_selectorIljNS0_4plusIjEEEEZZNS1_33reduce_by_key_impl_wrapped_configILNS1_25lookback_scan_determinismE0ES3_S7_PKlNS0_17constant_iteratorIjlEEPlSE_SE_S6_NS0_8equal_toIlEEEE10hipError_tPvRmT2_T3_mT4_T5_T6_T7_T8_P12ihipStream_tbENKUlT_T0_E_clISt17integral_constantIbLb1EESY_EEDaST_SU_EUlST_E_NS1_11comp_targetILNS1_3genE9ELNS1_11target_archE1100ELNS1_3gpuE3ELNS1_3repE0EEENS1_30default_config_static_selectorELNS0_4arch9wavefront6targetE0EEEvT1_.kd
    .uniform_work_group_size: 1
    .uses_dynamic_stack: false
    .vgpr_count:     0
    .vgpr_spill_count: 0
    .wavefront_size: 32
  - .args:
      - .offset:         0
        .size:           128
        .value_kind:     by_value
    .group_segment_fixed_size: 0
    .kernarg_segment_align: 8
    .kernarg_segment_size: 128
    .language:       OpenCL C
    .language_version:
      - 2
      - 0
    .max_flat_workgroup_size: 512
    .name:           _ZN7rocprim17ROCPRIM_400000_NS6detail17trampoline_kernelINS0_14default_configENS1_33run_length_encode_config_selectorIljNS0_4plusIjEEEEZZNS1_33reduce_by_key_impl_wrapped_configILNS1_25lookback_scan_determinismE0ES3_S7_PKlNS0_17constant_iteratorIjlEEPlSE_SE_S6_NS0_8equal_toIlEEEE10hipError_tPvRmT2_T3_mT4_T5_T6_T7_T8_P12ihipStream_tbENKUlT_T0_E_clISt17integral_constantIbLb1EESY_EEDaST_SU_EUlST_E_NS1_11comp_targetILNS1_3genE8ELNS1_11target_archE1030ELNS1_3gpuE2ELNS1_3repE0EEENS1_30default_config_static_selectorELNS0_4arch9wavefront6targetE0EEEvT1_
    .private_segment_fixed_size: 0
    .sgpr_count:     0
    .sgpr_spill_count: 0
    .symbol:         _ZN7rocprim17ROCPRIM_400000_NS6detail17trampoline_kernelINS0_14default_configENS1_33run_length_encode_config_selectorIljNS0_4plusIjEEEEZZNS1_33reduce_by_key_impl_wrapped_configILNS1_25lookback_scan_determinismE0ES3_S7_PKlNS0_17constant_iteratorIjlEEPlSE_SE_S6_NS0_8equal_toIlEEEE10hipError_tPvRmT2_T3_mT4_T5_T6_T7_T8_P12ihipStream_tbENKUlT_T0_E_clISt17integral_constantIbLb1EESY_EEDaST_SU_EUlST_E_NS1_11comp_targetILNS1_3genE8ELNS1_11target_archE1030ELNS1_3gpuE2ELNS1_3repE0EEENS1_30default_config_static_selectorELNS0_4arch9wavefront6targetE0EEEvT1_.kd
    .uniform_work_group_size: 1
    .uses_dynamic_stack: false
    .vgpr_count:     0
    .vgpr_spill_count: 0
    .wavefront_size: 32
  - .args:
      - .offset:         0
        .size:           128
        .value_kind:     by_value
    .group_segment_fixed_size: 0
    .kernarg_segment_align: 8
    .kernarg_segment_size: 128
    .language:       OpenCL C
    .language_version:
      - 2
      - 0
    .max_flat_workgroup_size: 256
    .name:           _ZN7rocprim17ROCPRIM_400000_NS6detail17trampoline_kernelINS0_14default_configENS1_33run_length_encode_config_selectorIljNS0_4plusIjEEEEZZNS1_33reduce_by_key_impl_wrapped_configILNS1_25lookback_scan_determinismE0ES3_S7_PKlNS0_17constant_iteratorIjlEEPlSE_SE_S6_NS0_8equal_toIlEEEE10hipError_tPvRmT2_T3_mT4_T5_T6_T7_T8_P12ihipStream_tbENKUlT_T0_E_clISt17integral_constantIbLb1EESX_IbLb0EEEEDaST_SU_EUlST_E_NS1_11comp_targetILNS1_3genE0ELNS1_11target_archE4294967295ELNS1_3gpuE0ELNS1_3repE0EEENS1_30default_config_static_selectorELNS0_4arch9wavefront6targetE0EEEvT1_
    .private_segment_fixed_size: 0
    .sgpr_count:     0
    .sgpr_spill_count: 0
    .symbol:         _ZN7rocprim17ROCPRIM_400000_NS6detail17trampoline_kernelINS0_14default_configENS1_33run_length_encode_config_selectorIljNS0_4plusIjEEEEZZNS1_33reduce_by_key_impl_wrapped_configILNS1_25lookback_scan_determinismE0ES3_S7_PKlNS0_17constant_iteratorIjlEEPlSE_SE_S6_NS0_8equal_toIlEEEE10hipError_tPvRmT2_T3_mT4_T5_T6_T7_T8_P12ihipStream_tbENKUlT_T0_E_clISt17integral_constantIbLb1EESX_IbLb0EEEEDaST_SU_EUlST_E_NS1_11comp_targetILNS1_3genE0ELNS1_11target_archE4294967295ELNS1_3gpuE0ELNS1_3repE0EEENS1_30default_config_static_selectorELNS0_4arch9wavefront6targetE0EEEvT1_.kd
    .uniform_work_group_size: 1
    .uses_dynamic_stack: false
    .vgpr_count:     0
    .vgpr_spill_count: 0
    .wavefront_size: 32
  - .args:
      - .offset:         0
        .size:           128
        .value_kind:     by_value
    .group_segment_fixed_size: 0
    .kernarg_segment_align: 8
    .kernarg_segment_size: 128
    .language:       OpenCL C
    .language_version:
      - 2
      - 0
    .max_flat_workgroup_size: 512
    .name:           _ZN7rocprim17ROCPRIM_400000_NS6detail17trampoline_kernelINS0_14default_configENS1_33run_length_encode_config_selectorIljNS0_4plusIjEEEEZZNS1_33reduce_by_key_impl_wrapped_configILNS1_25lookback_scan_determinismE0ES3_S7_PKlNS0_17constant_iteratorIjlEEPlSE_SE_S6_NS0_8equal_toIlEEEE10hipError_tPvRmT2_T3_mT4_T5_T6_T7_T8_P12ihipStream_tbENKUlT_T0_E_clISt17integral_constantIbLb1EESX_IbLb0EEEEDaST_SU_EUlST_E_NS1_11comp_targetILNS1_3genE5ELNS1_11target_archE942ELNS1_3gpuE9ELNS1_3repE0EEENS1_30default_config_static_selectorELNS0_4arch9wavefront6targetE0EEEvT1_
    .private_segment_fixed_size: 0
    .sgpr_count:     0
    .sgpr_spill_count: 0
    .symbol:         _ZN7rocprim17ROCPRIM_400000_NS6detail17trampoline_kernelINS0_14default_configENS1_33run_length_encode_config_selectorIljNS0_4plusIjEEEEZZNS1_33reduce_by_key_impl_wrapped_configILNS1_25lookback_scan_determinismE0ES3_S7_PKlNS0_17constant_iteratorIjlEEPlSE_SE_S6_NS0_8equal_toIlEEEE10hipError_tPvRmT2_T3_mT4_T5_T6_T7_T8_P12ihipStream_tbENKUlT_T0_E_clISt17integral_constantIbLb1EESX_IbLb0EEEEDaST_SU_EUlST_E_NS1_11comp_targetILNS1_3genE5ELNS1_11target_archE942ELNS1_3gpuE9ELNS1_3repE0EEENS1_30default_config_static_selectorELNS0_4arch9wavefront6targetE0EEEvT1_.kd
    .uniform_work_group_size: 1
    .uses_dynamic_stack: false
    .vgpr_count:     0
    .vgpr_spill_count: 0
    .wavefront_size: 32
  - .args:
      - .offset:         0
        .size:           128
        .value_kind:     by_value
    .group_segment_fixed_size: 0
    .kernarg_segment_align: 8
    .kernarg_segment_size: 128
    .language:       OpenCL C
    .language_version:
      - 2
      - 0
    .max_flat_workgroup_size: 256
    .name:           _ZN7rocprim17ROCPRIM_400000_NS6detail17trampoline_kernelINS0_14default_configENS1_33run_length_encode_config_selectorIljNS0_4plusIjEEEEZZNS1_33reduce_by_key_impl_wrapped_configILNS1_25lookback_scan_determinismE0ES3_S7_PKlNS0_17constant_iteratorIjlEEPlSE_SE_S6_NS0_8equal_toIlEEEE10hipError_tPvRmT2_T3_mT4_T5_T6_T7_T8_P12ihipStream_tbENKUlT_T0_E_clISt17integral_constantIbLb1EESX_IbLb0EEEEDaST_SU_EUlST_E_NS1_11comp_targetILNS1_3genE4ELNS1_11target_archE910ELNS1_3gpuE8ELNS1_3repE0EEENS1_30default_config_static_selectorELNS0_4arch9wavefront6targetE0EEEvT1_
    .private_segment_fixed_size: 0
    .sgpr_count:     0
    .sgpr_spill_count: 0
    .symbol:         _ZN7rocprim17ROCPRIM_400000_NS6detail17trampoline_kernelINS0_14default_configENS1_33run_length_encode_config_selectorIljNS0_4plusIjEEEEZZNS1_33reduce_by_key_impl_wrapped_configILNS1_25lookback_scan_determinismE0ES3_S7_PKlNS0_17constant_iteratorIjlEEPlSE_SE_S6_NS0_8equal_toIlEEEE10hipError_tPvRmT2_T3_mT4_T5_T6_T7_T8_P12ihipStream_tbENKUlT_T0_E_clISt17integral_constantIbLb1EESX_IbLb0EEEEDaST_SU_EUlST_E_NS1_11comp_targetILNS1_3genE4ELNS1_11target_archE910ELNS1_3gpuE8ELNS1_3repE0EEENS1_30default_config_static_selectorELNS0_4arch9wavefront6targetE0EEEvT1_.kd
    .uniform_work_group_size: 1
    .uses_dynamic_stack: false
    .vgpr_count:     0
    .vgpr_spill_count: 0
    .wavefront_size: 32
  - .args:
      - .offset:         0
        .size:           128
        .value_kind:     by_value
    .group_segment_fixed_size: 0
    .kernarg_segment_align: 8
    .kernarg_segment_size: 128
    .language:       OpenCL C
    .language_version:
      - 2
      - 0
    .max_flat_workgroup_size: 256
    .name:           _ZN7rocprim17ROCPRIM_400000_NS6detail17trampoline_kernelINS0_14default_configENS1_33run_length_encode_config_selectorIljNS0_4plusIjEEEEZZNS1_33reduce_by_key_impl_wrapped_configILNS1_25lookback_scan_determinismE0ES3_S7_PKlNS0_17constant_iteratorIjlEEPlSE_SE_S6_NS0_8equal_toIlEEEE10hipError_tPvRmT2_T3_mT4_T5_T6_T7_T8_P12ihipStream_tbENKUlT_T0_E_clISt17integral_constantIbLb1EESX_IbLb0EEEEDaST_SU_EUlST_E_NS1_11comp_targetILNS1_3genE3ELNS1_11target_archE908ELNS1_3gpuE7ELNS1_3repE0EEENS1_30default_config_static_selectorELNS0_4arch9wavefront6targetE0EEEvT1_
    .private_segment_fixed_size: 0
    .sgpr_count:     0
    .sgpr_spill_count: 0
    .symbol:         _ZN7rocprim17ROCPRIM_400000_NS6detail17trampoline_kernelINS0_14default_configENS1_33run_length_encode_config_selectorIljNS0_4plusIjEEEEZZNS1_33reduce_by_key_impl_wrapped_configILNS1_25lookback_scan_determinismE0ES3_S7_PKlNS0_17constant_iteratorIjlEEPlSE_SE_S6_NS0_8equal_toIlEEEE10hipError_tPvRmT2_T3_mT4_T5_T6_T7_T8_P12ihipStream_tbENKUlT_T0_E_clISt17integral_constantIbLb1EESX_IbLb0EEEEDaST_SU_EUlST_E_NS1_11comp_targetILNS1_3genE3ELNS1_11target_archE908ELNS1_3gpuE7ELNS1_3repE0EEENS1_30default_config_static_selectorELNS0_4arch9wavefront6targetE0EEEvT1_.kd
    .uniform_work_group_size: 1
    .uses_dynamic_stack: false
    .vgpr_count:     0
    .vgpr_spill_count: 0
    .wavefront_size: 32
  - .args:
      - .offset:         0
        .size:           128
        .value_kind:     by_value
    .group_segment_fixed_size: 0
    .kernarg_segment_align: 8
    .kernarg_segment_size: 128
    .language:       OpenCL C
    .language_version:
      - 2
      - 0
    .max_flat_workgroup_size: 256
    .name:           _ZN7rocprim17ROCPRIM_400000_NS6detail17trampoline_kernelINS0_14default_configENS1_33run_length_encode_config_selectorIljNS0_4plusIjEEEEZZNS1_33reduce_by_key_impl_wrapped_configILNS1_25lookback_scan_determinismE0ES3_S7_PKlNS0_17constant_iteratorIjlEEPlSE_SE_S6_NS0_8equal_toIlEEEE10hipError_tPvRmT2_T3_mT4_T5_T6_T7_T8_P12ihipStream_tbENKUlT_T0_E_clISt17integral_constantIbLb1EESX_IbLb0EEEEDaST_SU_EUlST_E_NS1_11comp_targetILNS1_3genE2ELNS1_11target_archE906ELNS1_3gpuE6ELNS1_3repE0EEENS1_30default_config_static_selectorELNS0_4arch9wavefront6targetE0EEEvT1_
    .private_segment_fixed_size: 0
    .sgpr_count:     0
    .sgpr_spill_count: 0
    .symbol:         _ZN7rocprim17ROCPRIM_400000_NS6detail17trampoline_kernelINS0_14default_configENS1_33run_length_encode_config_selectorIljNS0_4plusIjEEEEZZNS1_33reduce_by_key_impl_wrapped_configILNS1_25lookback_scan_determinismE0ES3_S7_PKlNS0_17constant_iteratorIjlEEPlSE_SE_S6_NS0_8equal_toIlEEEE10hipError_tPvRmT2_T3_mT4_T5_T6_T7_T8_P12ihipStream_tbENKUlT_T0_E_clISt17integral_constantIbLb1EESX_IbLb0EEEEDaST_SU_EUlST_E_NS1_11comp_targetILNS1_3genE2ELNS1_11target_archE906ELNS1_3gpuE6ELNS1_3repE0EEENS1_30default_config_static_selectorELNS0_4arch9wavefront6targetE0EEEvT1_.kd
    .uniform_work_group_size: 1
    .uses_dynamic_stack: false
    .vgpr_count:     0
    .vgpr_spill_count: 0
    .wavefront_size: 32
  - .args:
      - .offset:         0
        .size:           128
        .value_kind:     by_value
    .group_segment_fixed_size: 0
    .kernarg_segment_align: 8
    .kernarg_segment_size: 128
    .language:       OpenCL C
    .language_version:
      - 2
      - 0
    .max_flat_workgroup_size: 512
    .name:           _ZN7rocprim17ROCPRIM_400000_NS6detail17trampoline_kernelINS0_14default_configENS1_33run_length_encode_config_selectorIljNS0_4plusIjEEEEZZNS1_33reduce_by_key_impl_wrapped_configILNS1_25lookback_scan_determinismE0ES3_S7_PKlNS0_17constant_iteratorIjlEEPlSE_SE_S6_NS0_8equal_toIlEEEE10hipError_tPvRmT2_T3_mT4_T5_T6_T7_T8_P12ihipStream_tbENKUlT_T0_E_clISt17integral_constantIbLb1EESX_IbLb0EEEEDaST_SU_EUlST_E_NS1_11comp_targetILNS1_3genE10ELNS1_11target_archE1201ELNS1_3gpuE5ELNS1_3repE0EEENS1_30default_config_static_selectorELNS0_4arch9wavefront6targetE0EEEvT1_
    .private_segment_fixed_size: 0
    .sgpr_count:     0
    .sgpr_spill_count: 0
    .symbol:         _ZN7rocprim17ROCPRIM_400000_NS6detail17trampoline_kernelINS0_14default_configENS1_33run_length_encode_config_selectorIljNS0_4plusIjEEEEZZNS1_33reduce_by_key_impl_wrapped_configILNS1_25lookback_scan_determinismE0ES3_S7_PKlNS0_17constant_iteratorIjlEEPlSE_SE_S6_NS0_8equal_toIlEEEE10hipError_tPvRmT2_T3_mT4_T5_T6_T7_T8_P12ihipStream_tbENKUlT_T0_E_clISt17integral_constantIbLb1EESX_IbLb0EEEEDaST_SU_EUlST_E_NS1_11comp_targetILNS1_3genE10ELNS1_11target_archE1201ELNS1_3gpuE5ELNS1_3repE0EEENS1_30default_config_static_selectorELNS0_4arch9wavefront6targetE0EEEvT1_.kd
    .uniform_work_group_size: 1
    .uses_dynamic_stack: false
    .vgpr_count:     0
    .vgpr_spill_count: 0
    .wavefront_size: 32
  - .args:
      - .offset:         0
        .size:           128
        .value_kind:     by_value
    .group_segment_fixed_size: 0
    .kernarg_segment_align: 8
    .kernarg_segment_size: 128
    .language:       OpenCL C
    .language_version:
      - 2
      - 0
    .max_flat_workgroup_size: 512
    .name:           _ZN7rocprim17ROCPRIM_400000_NS6detail17trampoline_kernelINS0_14default_configENS1_33run_length_encode_config_selectorIljNS0_4plusIjEEEEZZNS1_33reduce_by_key_impl_wrapped_configILNS1_25lookback_scan_determinismE0ES3_S7_PKlNS0_17constant_iteratorIjlEEPlSE_SE_S6_NS0_8equal_toIlEEEE10hipError_tPvRmT2_T3_mT4_T5_T6_T7_T8_P12ihipStream_tbENKUlT_T0_E_clISt17integral_constantIbLb1EESX_IbLb0EEEEDaST_SU_EUlST_E_NS1_11comp_targetILNS1_3genE10ELNS1_11target_archE1200ELNS1_3gpuE4ELNS1_3repE0EEENS1_30default_config_static_selectorELNS0_4arch9wavefront6targetE0EEEvT1_
    .private_segment_fixed_size: 0
    .sgpr_count:     0
    .sgpr_spill_count: 0
    .symbol:         _ZN7rocprim17ROCPRIM_400000_NS6detail17trampoline_kernelINS0_14default_configENS1_33run_length_encode_config_selectorIljNS0_4plusIjEEEEZZNS1_33reduce_by_key_impl_wrapped_configILNS1_25lookback_scan_determinismE0ES3_S7_PKlNS0_17constant_iteratorIjlEEPlSE_SE_S6_NS0_8equal_toIlEEEE10hipError_tPvRmT2_T3_mT4_T5_T6_T7_T8_P12ihipStream_tbENKUlT_T0_E_clISt17integral_constantIbLb1EESX_IbLb0EEEEDaST_SU_EUlST_E_NS1_11comp_targetILNS1_3genE10ELNS1_11target_archE1200ELNS1_3gpuE4ELNS1_3repE0EEENS1_30default_config_static_selectorELNS0_4arch9wavefront6targetE0EEEvT1_.kd
    .uniform_work_group_size: 1
    .uses_dynamic_stack: false
    .vgpr_count:     0
    .vgpr_spill_count: 0
    .wavefront_size: 32
  - .args:
      - .offset:         0
        .size:           128
        .value_kind:     by_value
    .group_segment_fixed_size: 0
    .kernarg_segment_align: 8
    .kernarg_segment_size: 128
    .language:       OpenCL C
    .language_version:
      - 2
      - 0
    .max_flat_workgroup_size: 512
    .name:           _ZN7rocprim17ROCPRIM_400000_NS6detail17trampoline_kernelINS0_14default_configENS1_33run_length_encode_config_selectorIljNS0_4plusIjEEEEZZNS1_33reduce_by_key_impl_wrapped_configILNS1_25lookback_scan_determinismE0ES3_S7_PKlNS0_17constant_iteratorIjlEEPlSE_SE_S6_NS0_8equal_toIlEEEE10hipError_tPvRmT2_T3_mT4_T5_T6_T7_T8_P12ihipStream_tbENKUlT_T0_E_clISt17integral_constantIbLb1EESX_IbLb0EEEEDaST_SU_EUlST_E_NS1_11comp_targetILNS1_3genE9ELNS1_11target_archE1100ELNS1_3gpuE3ELNS1_3repE0EEENS1_30default_config_static_selectorELNS0_4arch9wavefront6targetE0EEEvT1_
    .private_segment_fixed_size: 0
    .sgpr_count:     0
    .sgpr_spill_count: 0
    .symbol:         _ZN7rocprim17ROCPRIM_400000_NS6detail17trampoline_kernelINS0_14default_configENS1_33run_length_encode_config_selectorIljNS0_4plusIjEEEEZZNS1_33reduce_by_key_impl_wrapped_configILNS1_25lookback_scan_determinismE0ES3_S7_PKlNS0_17constant_iteratorIjlEEPlSE_SE_S6_NS0_8equal_toIlEEEE10hipError_tPvRmT2_T3_mT4_T5_T6_T7_T8_P12ihipStream_tbENKUlT_T0_E_clISt17integral_constantIbLb1EESX_IbLb0EEEEDaST_SU_EUlST_E_NS1_11comp_targetILNS1_3genE9ELNS1_11target_archE1100ELNS1_3gpuE3ELNS1_3repE0EEENS1_30default_config_static_selectorELNS0_4arch9wavefront6targetE0EEEvT1_.kd
    .uniform_work_group_size: 1
    .uses_dynamic_stack: false
    .vgpr_count:     0
    .vgpr_spill_count: 0
    .wavefront_size: 32
  - .args:
      - .offset:         0
        .size:           128
        .value_kind:     by_value
    .group_segment_fixed_size: 0
    .kernarg_segment_align: 8
    .kernarg_segment_size: 128
    .language:       OpenCL C
    .language_version:
      - 2
      - 0
    .max_flat_workgroup_size: 512
    .name:           _ZN7rocprim17ROCPRIM_400000_NS6detail17trampoline_kernelINS0_14default_configENS1_33run_length_encode_config_selectorIljNS0_4plusIjEEEEZZNS1_33reduce_by_key_impl_wrapped_configILNS1_25lookback_scan_determinismE0ES3_S7_PKlNS0_17constant_iteratorIjlEEPlSE_SE_S6_NS0_8equal_toIlEEEE10hipError_tPvRmT2_T3_mT4_T5_T6_T7_T8_P12ihipStream_tbENKUlT_T0_E_clISt17integral_constantIbLb1EESX_IbLb0EEEEDaST_SU_EUlST_E_NS1_11comp_targetILNS1_3genE8ELNS1_11target_archE1030ELNS1_3gpuE2ELNS1_3repE0EEENS1_30default_config_static_selectorELNS0_4arch9wavefront6targetE0EEEvT1_
    .private_segment_fixed_size: 0
    .sgpr_count:     0
    .sgpr_spill_count: 0
    .symbol:         _ZN7rocprim17ROCPRIM_400000_NS6detail17trampoline_kernelINS0_14default_configENS1_33run_length_encode_config_selectorIljNS0_4plusIjEEEEZZNS1_33reduce_by_key_impl_wrapped_configILNS1_25lookback_scan_determinismE0ES3_S7_PKlNS0_17constant_iteratorIjlEEPlSE_SE_S6_NS0_8equal_toIlEEEE10hipError_tPvRmT2_T3_mT4_T5_T6_T7_T8_P12ihipStream_tbENKUlT_T0_E_clISt17integral_constantIbLb1EESX_IbLb0EEEEDaST_SU_EUlST_E_NS1_11comp_targetILNS1_3genE8ELNS1_11target_archE1030ELNS1_3gpuE2ELNS1_3repE0EEENS1_30default_config_static_selectorELNS0_4arch9wavefront6targetE0EEEvT1_.kd
    .uniform_work_group_size: 1
    .uses_dynamic_stack: false
    .vgpr_count:     0
    .vgpr_spill_count: 0
    .wavefront_size: 32
  - .args:
      - .offset:         0
        .size:           128
        .value_kind:     by_value
    .group_segment_fixed_size: 30720
    .kernarg_segment_align: 8
    .kernarg_segment_size: 128
    .language:       OpenCL C
    .language_version:
      - 2
      - 0
    .max_flat_workgroup_size: 256
    .name:           _ZN7rocprim17ROCPRIM_400000_NS6detail17trampoline_kernelINS0_14default_configENS1_33run_length_encode_config_selectorIljNS0_4plusIjEEEEZZNS1_33reduce_by_key_impl_wrapped_configILNS1_25lookback_scan_determinismE0ES3_S7_PKlNS0_17constant_iteratorIjlEEPlSE_SE_S6_NS0_8equal_toIlEEEE10hipError_tPvRmT2_T3_mT4_T5_T6_T7_T8_P12ihipStream_tbENKUlT_T0_E_clISt17integral_constantIbLb0EESX_IbLb1EEEEDaST_SU_EUlST_E_NS1_11comp_targetILNS1_3genE0ELNS1_11target_archE4294967295ELNS1_3gpuE0ELNS1_3repE0EEENS1_30default_config_static_selectorELNS0_4arch9wavefront6targetE0EEEvT1_
    .private_segment_fixed_size: 0
    .sgpr_count:     48
    .sgpr_spill_count: 0
    .symbol:         _ZN7rocprim17ROCPRIM_400000_NS6detail17trampoline_kernelINS0_14default_configENS1_33run_length_encode_config_selectorIljNS0_4plusIjEEEEZZNS1_33reduce_by_key_impl_wrapped_configILNS1_25lookback_scan_determinismE0ES3_S7_PKlNS0_17constant_iteratorIjlEEPlSE_SE_S6_NS0_8equal_toIlEEEE10hipError_tPvRmT2_T3_mT4_T5_T6_T7_T8_P12ihipStream_tbENKUlT_T0_E_clISt17integral_constantIbLb0EESX_IbLb1EEEEDaST_SU_EUlST_E_NS1_11comp_targetILNS1_3genE0ELNS1_11target_archE4294967295ELNS1_3gpuE0ELNS1_3repE0EEENS1_30default_config_static_selectorELNS0_4arch9wavefront6targetE0EEEvT1_.kd
    .uniform_work_group_size: 1
    .uses_dynamic_stack: false
    .vgpr_count:     101
    .vgpr_spill_count: 0
    .wavefront_size: 32
  - .args:
      - .offset:         0
        .size:           128
        .value_kind:     by_value
    .group_segment_fixed_size: 0
    .kernarg_segment_align: 8
    .kernarg_segment_size: 128
    .language:       OpenCL C
    .language_version:
      - 2
      - 0
    .max_flat_workgroup_size: 512
    .name:           _ZN7rocprim17ROCPRIM_400000_NS6detail17trampoline_kernelINS0_14default_configENS1_33run_length_encode_config_selectorIljNS0_4plusIjEEEEZZNS1_33reduce_by_key_impl_wrapped_configILNS1_25lookback_scan_determinismE0ES3_S7_PKlNS0_17constant_iteratorIjlEEPlSE_SE_S6_NS0_8equal_toIlEEEE10hipError_tPvRmT2_T3_mT4_T5_T6_T7_T8_P12ihipStream_tbENKUlT_T0_E_clISt17integral_constantIbLb0EESX_IbLb1EEEEDaST_SU_EUlST_E_NS1_11comp_targetILNS1_3genE5ELNS1_11target_archE942ELNS1_3gpuE9ELNS1_3repE0EEENS1_30default_config_static_selectorELNS0_4arch9wavefront6targetE0EEEvT1_
    .private_segment_fixed_size: 0
    .sgpr_count:     0
    .sgpr_spill_count: 0
    .symbol:         _ZN7rocprim17ROCPRIM_400000_NS6detail17trampoline_kernelINS0_14default_configENS1_33run_length_encode_config_selectorIljNS0_4plusIjEEEEZZNS1_33reduce_by_key_impl_wrapped_configILNS1_25lookback_scan_determinismE0ES3_S7_PKlNS0_17constant_iteratorIjlEEPlSE_SE_S6_NS0_8equal_toIlEEEE10hipError_tPvRmT2_T3_mT4_T5_T6_T7_T8_P12ihipStream_tbENKUlT_T0_E_clISt17integral_constantIbLb0EESX_IbLb1EEEEDaST_SU_EUlST_E_NS1_11comp_targetILNS1_3genE5ELNS1_11target_archE942ELNS1_3gpuE9ELNS1_3repE0EEENS1_30default_config_static_selectorELNS0_4arch9wavefront6targetE0EEEvT1_.kd
    .uniform_work_group_size: 1
    .uses_dynamic_stack: false
    .vgpr_count:     0
    .vgpr_spill_count: 0
    .wavefront_size: 32
  - .args:
      - .offset:         0
        .size:           128
        .value_kind:     by_value
    .group_segment_fixed_size: 0
    .kernarg_segment_align: 8
    .kernarg_segment_size: 128
    .language:       OpenCL C
    .language_version:
      - 2
      - 0
    .max_flat_workgroup_size: 256
    .name:           _ZN7rocprim17ROCPRIM_400000_NS6detail17trampoline_kernelINS0_14default_configENS1_33run_length_encode_config_selectorIljNS0_4plusIjEEEEZZNS1_33reduce_by_key_impl_wrapped_configILNS1_25lookback_scan_determinismE0ES3_S7_PKlNS0_17constant_iteratorIjlEEPlSE_SE_S6_NS0_8equal_toIlEEEE10hipError_tPvRmT2_T3_mT4_T5_T6_T7_T8_P12ihipStream_tbENKUlT_T0_E_clISt17integral_constantIbLb0EESX_IbLb1EEEEDaST_SU_EUlST_E_NS1_11comp_targetILNS1_3genE4ELNS1_11target_archE910ELNS1_3gpuE8ELNS1_3repE0EEENS1_30default_config_static_selectorELNS0_4arch9wavefront6targetE0EEEvT1_
    .private_segment_fixed_size: 0
    .sgpr_count:     0
    .sgpr_spill_count: 0
    .symbol:         _ZN7rocprim17ROCPRIM_400000_NS6detail17trampoline_kernelINS0_14default_configENS1_33run_length_encode_config_selectorIljNS0_4plusIjEEEEZZNS1_33reduce_by_key_impl_wrapped_configILNS1_25lookback_scan_determinismE0ES3_S7_PKlNS0_17constant_iteratorIjlEEPlSE_SE_S6_NS0_8equal_toIlEEEE10hipError_tPvRmT2_T3_mT4_T5_T6_T7_T8_P12ihipStream_tbENKUlT_T0_E_clISt17integral_constantIbLb0EESX_IbLb1EEEEDaST_SU_EUlST_E_NS1_11comp_targetILNS1_3genE4ELNS1_11target_archE910ELNS1_3gpuE8ELNS1_3repE0EEENS1_30default_config_static_selectorELNS0_4arch9wavefront6targetE0EEEvT1_.kd
    .uniform_work_group_size: 1
    .uses_dynamic_stack: false
    .vgpr_count:     0
    .vgpr_spill_count: 0
    .wavefront_size: 32
  - .args:
      - .offset:         0
        .size:           128
        .value_kind:     by_value
    .group_segment_fixed_size: 0
    .kernarg_segment_align: 8
    .kernarg_segment_size: 128
    .language:       OpenCL C
    .language_version:
      - 2
      - 0
    .max_flat_workgroup_size: 256
    .name:           _ZN7rocprim17ROCPRIM_400000_NS6detail17trampoline_kernelINS0_14default_configENS1_33run_length_encode_config_selectorIljNS0_4plusIjEEEEZZNS1_33reduce_by_key_impl_wrapped_configILNS1_25lookback_scan_determinismE0ES3_S7_PKlNS0_17constant_iteratorIjlEEPlSE_SE_S6_NS0_8equal_toIlEEEE10hipError_tPvRmT2_T3_mT4_T5_T6_T7_T8_P12ihipStream_tbENKUlT_T0_E_clISt17integral_constantIbLb0EESX_IbLb1EEEEDaST_SU_EUlST_E_NS1_11comp_targetILNS1_3genE3ELNS1_11target_archE908ELNS1_3gpuE7ELNS1_3repE0EEENS1_30default_config_static_selectorELNS0_4arch9wavefront6targetE0EEEvT1_
    .private_segment_fixed_size: 0
    .sgpr_count:     0
    .sgpr_spill_count: 0
    .symbol:         _ZN7rocprim17ROCPRIM_400000_NS6detail17trampoline_kernelINS0_14default_configENS1_33run_length_encode_config_selectorIljNS0_4plusIjEEEEZZNS1_33reduce_by_key_impl_wrapped_configILNS1_25lookback_scan_determinismE0ES3_S7_PKlNS0_17constant_iteratorIjlEEPlSE_SE_S6_NS0_8equal_toIlEEEE10hipError_tPvRmT2_T3_mT4_T5_T6_T7_T8_P12ihipStream_tbENKUlT_T0_E_clISt17integral_constantIbLb0EESX_IbLb1EEEEDaST_SU_EUlST_E_NS1_11comp_targetILNS1_3genE3ELNS1_11target_archE908ELNS1_3gpuE7ELNS1_3repE0EEENS1_30default_config_static_selectorELNS0_4arch9wavefront6targetE0EEEvT1_.kd
    .uniform_work_group_size: 1
    .uses_dynamic_stack: false
    .vgpr_count:     0
    .vgpr_spill_count: 0
    .wavefront_size: 32
  - .args:
      - .offset:         0
        .size:           128
        .value_kind:     by_value
    .group_segment_fixed_size: 0
    .kernarg_segment_align: 8
    .kernarg_segment_size: 128
    .language:       OpenCL C
    .language_version:
      - 2
      - 0
    .max_flat_workgroup_size: 256
    .name:           _ZN7rocprim17ROCPRIM_400000_NS6detail17trampoline_kernelINS0_14default_configENS1_33run_length_encode_config_selectorIljNS0_4plusIjEEEEZZNS1_33reduce_by_key_impl_wrapped_configILNS1_25lookback_scan_determinismE0ES3_S7_PKlNS0_17constant_iteratorIjlEEPlSE_SE_S6_NS0_8equal_toIlEEEE10hipError_tPvRmT2_T3_mT4_T5_T6_T7_T8_P12ihipStream_tbENKUlT_T0_E_clISt17integral_constantIbLb0EESX_IbLb1EEEEDaST_SU_EUlST_E_NS1_11comp_targetILNS1_3genE2ELNS1_11target_archE906ELNS1_3gpuE6ELNS1_3repE0EEENS1_30default_config_static_selectorELNS0_4arch9wavefront6targetE0EEEvT1_
    .private_segment_fixed_size: 0
    .sgpr_count:     0
    .sgpr_spill_count: 0
    .symbol:         _ZN7rocprim17ROCPRIM_400000_NS6detail17trampoline_kernelINS0_14default_configENS1_33run_length_encode_config_selectorIljNS0_4plusIjEEEEZZNS1_33reduce_by_key_impl_wrapped_configILNS1_25lookback_scan_determinismE0ES3_S7_PKlNS0_17constant_iteratorIjlEEPlSE_SE_S6_NS0_8equal_toIlEEEE10hipError_tPvRmT2_T3_mT4_T5_T6_T7_T8_P12ihipStream_tbENKUlT_T0_E_clISt17integral_constantIbLb0EESX_IbLb1EEEEDaST_SU_EUlST_E_NS1_11comp_targetILNS1_3genE2ELNS1_11target_archE906ELNS1_3gpuE6ELNS1_3repE0EEENS1_30default_config_static_selectorELNS0_4arch9wavefront6targetE0EEEvT1_.kd
    .uniform_work_group_size: 1
    .uses_dynamic_stack: false
    .vgpr_count:     0
    .vgpr_spill_count: 0
    .wavefront_size: 32
  - .args:
      - .offset:         0
        .size:           128
        .value_kind:     by_value
    .group_segment_fixed_size: 0
    .kernarg_segment_align: 8
    .kernarg_segment_size: 128
    .language:       OpenCL C
    .language_version:
      - 2
      - 0
    .max_flat_workgroup_size: 512
    .name:           _ZN7rocprim17ROCPRIM_400000_NS6detail17trampoline_kernelINS0_14default_configENS1_33run_length_encode_config_selectorIljNS0_4plusIjEEEEZZNS1_33reduce_by_key_impl_wrapped_configILNS1_25lookback_scan_determinismE0ES3_S7_PKlNS0_17constant_iteratorIjlEEPlSE_SE_S6_NS0_8equal_toIlEEEE10hipError_tPvRmT2_T3_mT4_T5_T6_T7_T8_P12ihipStream_tbENKUlT_T0_E_clISt17integral_constantIbLb0EESX_IbLb1EEEEDaST_SU_EUlST_E_NS1_11comp_targetILNS1_3genE10ELNS1_11target_archE1201ELNS1_3gpuE5ELNS1_3repE0EEENS1_30default_config_static_selectorELNS0_4arch9wavefront6targetE0EEEvT1_
    .private_segment_fixed_size: 0
    .sgpr_count:     0
    .sgpr_spill_count: 0
    .symbol:         _ZN7rocprim17ROCPRIM_400000_NS6detail17trampoline_kernelINS0_14default_configENS1_33run_length_encode_config_selectorIljNS0_4plusIjEEEEZZNS1_33reduce_by_key_impl_wrapped_configILNS1_25lookback_scan_determinismE0ES3_S7_PKlNS0_17constant_iteratorIjlEEPlSE_SE_S6_NS0_8equal_toIlEEEE10hipError_tPvRmT2_T3_mT4_T5_T6_T7_T8_P12ihipStream_tbENKUlT_T0_E_clISt17integral_constantIbLb0EESX_IbLb1EEEEDaST_SU_EUlST_E_NS1_11comp_targetILNS1_3genE10ELNS1_11target_archE1201ELNS1_3gpuE5ELNS1_3repE0EEENS1_30default_config_static_selectorELNS0_4arch9wavefront6targetE0EEEvT1_.kd
    .uniform_work_group_size: 1
    .uses_dynamic_stack: false
    .vgpr_count:     0
    .vgpr_spill_count: 0
    .wavefront_size: 32
  - .args:
      - .offset:         0
        .size:           128
        .value_kind:     by_value
    .group_segment_fixed_size: 0
    .kernarg_segment_align: 8
    .kernarg_segment_size: 128
    .language:       OpenCL C
    .language_version:
      - 2
      - 0
    .max_flat_workgroup_size: 512
    .name:           _ZN7rocprim17ROCPRIM_400000_NS6detail17trampoline_kernelINS0_14default_configENS1_33run_length_encode_config_selectorIljNS0_4plusIjEEEEZZNS1_33reduce_by_key_impl_wrapped_configILNS1_25lookback_scan_determinismE0ES3_S7_PKlNS0_17constant_iteratorIjlEEPlSE_SE_S6_NS0_8equal_toIlEEEE10hipError_tPvRmT2_T3_mT4_T5_T6_T7_T8_P12ihipStream_tbENKUlT_T0_E_clISt17integral_constantIbLb0EESX_IbLb1EEEEDaST_SU_EUlST_E_NS1_11comp_targetILNS1_3genE10ELNS1_11target_archE1200ELNS1_3gpuE4ELNS1_3repE0EEENS1_30default_config_static_selectorELNS0_4arch9wavefront6targetE0EEEvT1_
    .private_segment_fixed_size: 0
    .sgpr_count:     0
    .sgpr_spill_count: 0
    .symbol:         _ZN7rocprim17ROCPRIM_400000_NS6detail17trampoline_kernelINS0_14default_configENS1_33run_length_encode_config_selectorIljNS0_4plusIjEEEEZZNS1_33reduce_by_key_impl_wrapped_configILNS1_25lookback_scan_determinismE0ES3_S7_PKlNS0_17constant_iteratorIjlEEPlSE_SE_S6_NS0_8equal_toIlEEEE10hipError_tPvRmT2_T3_mT4_T5_T6_T7_T8_P12ihipStream_tbENKUlT_T0_E_clISt17integral_constantIbLb0EESX_IbLb1EEEEDaST_SU_EUlST_E_NS1_11comp_targetILNS1_3genE10ELNS1_11target_archE1200ELNS1_3gpuE4ELNS1_3repE0EEENS1_30default_config_static_selectorELNS0_4arch9wavefront6targetE0EEEvT1_.kd
    .uniform_work_group_size: 1
    .uses_dynamic_stack: false
    .vgpr_count:     0
    .vgpr_spill_count: 0
    .wavefront_size: 32
  - .args:
      - .offset:         0
        .size:           128
        .value_kind:     by_value
    .group_segment_fixed_size: 0
    .kernarg_segment_align: 8
    .kernarg_segment_size: 128
    .language:       OpenCL C
    .language_version:
      - 2
      - 0
    .max_flat_workgroup_size: 512
    .name:           _ZN7rocprim17ROCPRIM_400000_NS6detail17trampoline_kernelINS0_14default_configENS1_33run_length_encode_config_selectorIljNS0_4plusIjEEEEZZNS1_33reduce_by_key_impl_wrapped_configILNS1_25lookback_scan_determinismE0ES3_S7_PKlNS0_17constant_iteratorIjlEEPlSE_SE_S6_NS0_8equal_toIlEEEE10hipError_tPvRmT2_T3_mT4_T5_T6_T7_T8_P12ihipStream_tbENKUlT_T0_E_clISt17integral_constantIbLb0EESX_IbLb1EEEEDaST_SU_EUlST_E_NS1_11comp_targetILNS1_3genE9ELNS1_11target_archE1100ELNS1_3gpuE3ELNS1_3repE0EEENS1_30default_config_static_selectorELNS0_4arch9wavefront6targetE0EEEvT1_
    .private_segment_fixed_size: 0
    .sgpr_count:     0
    .sgpr_spill_count: 0
    .symbol:         _ZN7rocprim17ROCPRIM_400000_NS6detail17trampoline_kernelINS0_14default_configENS1_33run_length_encode_config_selectorIljNS0_4plusIjEEEEZZNS1_33reduce_by_key_impl_wrapped_configILNS1_25lookback_scan_determinismE0ES3_S7_PKlNS0_17constant_iteratorIjlEEPlSE_SE_S6_NS0_8equal_toIlEEEE10hipError_tPvRmT2_T3_mT4_T5_T6_T7_T8_P12ihipStream_tbENKUlT_T0_E_clISt17integral_constantIbLb0EESX_IbLb1EEEEDaST_SU_EUlST_E_NS1_11comp_targetILNS1_3genE9ELNS1_11target_archE1100ELNS1_3gpuE3ELNS1_3repE0EEENS1_30default_config_static_selectorELNS0_4arch9wavefront6targetE0EEEvT1_.kd
    .uniform_work_group_size: 1
    .uses_dynamic_stack: false
    .vgpr_count:     0
    .vgpr_spill_count: 0
    .wavefront_size: 32
  - .args:
      - .offset:         0
        .size:           128
        .value_kind:     by_value
    .group_segment_fixed_size: 0
    .kernarg_segment_align: 8
    .kernarg_segment_size: 128
    .language:       OpenCL C
    .language_version:
      - 2
      - 0
    .max_flat_workgroup_size: 512
    .name:           _ZN7rocprim17ROCPRIM_400000_NS6detail17trampoline_kernelINS0_14default_configENS1_33run_length_encode_config_selectorIljNS0_4plusIjEEEEZZNS1_33reduce_by_key_impl_wrapped_configILNS1_25lookback_scan_determinismE0ES3_S7_PKlNS0_17constant_iteratorIjlEEPlSE_SE_S6_NS0_8equal_toIlEEEE10hipError_tPvRmT2_T3_mT4_T5_T6_T7_T8_P12ihipStream_tbENKUlT_T0_E_clISt17integral_constantIbLb0EESX_IbLb1EEEEDaST_SU_EUlST_E_NS1_11comp_targetILNS1_3genE8ELNS1_11target_archE1030ELNS1_3gpuE2ELNS1_3repE0EEENS1_30default_config_static_selectorELNS0_4arch9wavefront6targetE0EEEvT1_
    .private_segment_fixed_size: 0
    .sgpr_count:     0
    .sgpr_spill_count: 0
    .symbol:         _ZN7rocprim17ROCPRIM_400000_NS6detail17trampoline_kernelINS0_14default_configENS1_33run_length_encode_config_selectorIljNS0_4plusIjEEEEZZNS1_33reduce_by_key_impl_wrapped_configILNS1_25lookback_scan_determinismE0ES3_S7_PKlNS0_17constant_iteratorIjlEEPlSE_SE_S6_NS0_8equal_toIlEEEE10hipError_tPvRmT2_T3_mT4_T5_T6_T7_T8_P12ihipStream_tbENKUlT_T0_E_clISt17integral_constantIbLb0EESX_IbLb1EEEEDaST_SU_EUlST_E_NS1_11comp_targetILNS1_3genE8ELNS1_11target_archE1030ELNS1_3gpuE2ELNS1_3repE0EEENS1_30default_config_static_selectorELNS0_4arch9wavefront6targetE0EEEvT1_.kd
    .uniform_work_group_size: 1
    .uses_dynamic_stack: false
    .vgpr_count:     0
    .vgpr_spill_count: 0
    .wavefront_size: 32
  - .args:
      - .offset:         0
        .size:           8
        .value_kind:     by_value
      - .address_space:  global
        .offset:         8
        .size:           8
        .value_kind:     global_buffer
      - .address_space:  global
        .offset:         16
        .size:           8
        .value_kind:     global_buffer
      - .offset:         24
        .size:           4
        .value_kind:     hidden_block_count_x
      - .offset:         28
        .size:           4
        .value_kind:     hidden_block_count_y
      - .offset:         32
        .size:           4
        .value_kind:     hidden_block_count_z
      - .offset:         36
        .size:           2
        .value_kind:     hidden_group_size_x
      - .offset:         38
        .size:           2
        .value_kind:     hidden_group_size_y
      - .offset:         40
        .size:           2
        .value_kind:     hidden_group_size_z
      - .offset:         42
        .size:           2
        .value_kind:     hidden_remainder_x
      - .offset:         44
        .size:           2
        .value_kind:     hidden_remainder_y
      - .offset:         46
        .size:           2
        .value_kind:     hidden_remainder_z
      - .offset:         64
        .size:           8
        .value_kind:     hidden_global_offset_x
      - .offset:         72
        .size:           8
        .value_kind:     hidden_global_offset_y
      - .offset:         80
        .size:           8
        .value_kind:     hidden_global_offset_z
      - .offset:         88
        .size:           2
        .value_kind:     hidden_grid_dims
    .group_segment_fixed_size: 0
    .kernarg_segment_align: 8
    .kernarg_segment_size: 280
    .language:       OpenCL C
    .language_version:
      - 2
      - 0
    .max_flat_workgroup_size: 1024
    .name:           _ZN2at6native8internal12_GLOBAL__N_126adjacent_difference_kernelIPKsEEvlT_Pi
    .private_segment_fixed_size: 0
    .sgpr_count:     20
    .sgpr_spill_count: 0
    .symbol:         _ZN2at6native8internal12_GLOBAL__N_126adjacent_difference_kernelIPKsEEvlT_Pi.kd
    .uniform_work_group_size: 1
    .uses_dynamic_stack: false
    .vgpr_count:     10
    .vgpr_spill_count: 0
    .wavefront_size: 32
  - .args:
      - .offset:         0
        .size:           112
        .value_kind:     by_value
    .group_segment_fixed_size: 15368
    .kernarg_segment_align: 8
    .kernarg_segment_size: 112
    .language:       OpenCL C
    .language_version:
      - 2
      - 0
    .max_flat_workgroup_size: 256
    .name:           _ZN7rocprim17ROCPRIM_400000_NS6detail17trampoline_kernelINS0_14default_configENS1_25partition_config_selectorILNS1_17partition_subalgoE8EsNS0_10empty_typeEbEEZZNS1_14partition_implILS5_8ELb0ES3_jPKsPS6_PKS6_NS0_5tupleIJPsS6_EEENSE_IJSB_SB_EEENS0_18inequality_wrapperIN6hipcub16HIPCUB_304000_NS8EqualityEEEPlJS6_EEE10hipError_tPvRmT3_T4_T5_T6_T7_T9_mT8_P12ihipStream_tbDpT10_ENKUlT_T0_E_clISt17integral_constantIbLb0EES17_EEDaS12_S13_EUlS12_E_NS1_11comp_targetILNS1_3genE0ELNS1_11target_archE4294967295ELNS1_3gpuE0ELNS1_3repE0EEENS1_30default_config_static_selectorELNS0_4arch9wavefront6targetE0EEEvT1_
    .private_segment_fixed_size: 0
    .sgpr_count:     51
    .sgpr_spill_count: 0
    .symbol:         _ZN7rocprim17ROCPRIM_400000_NS6detail17trampoline_kernelINS0_14default_configENS1_25partition_config_selectorILNS1_17partition_subalgoE8EsNS0_10empty_typeEbEEZZNS1_14partition_implILS5_8ELb0ES3_jPKsPS6_PKS6_NS0_5tupleIJPsS6_EEENSE_IJSB_SB_EEENS0_18inequality_wrapperIN6hipcub16HIPCUB_304000_NS8EqualityEEEPlJS6_EEE10hipError_tPvRmT3_T4_T5_T6_T7_T9_mT8_P12ihipStream_tbDpT10_ENKUlT_T0_E_clISt17integral_constantIbLb0EES17_EEDaS12_S13_EUlS12_E_NS1_11comp_targetILNS1_3genE0ELNS1_11target_archE4294967295ELNS1_3gpuE0ELNS1_3repE0EEENS1_30default_config_static_selectorELNS0_4arch9wavefront6targetE0EEEvT1_.kd
    .uniform_work_group_size: 1
    .uses_dynamic_stack: false
    .vgpr_count:     115
    .vgpr_spill_count: 0
    .wavefront_size: 32
  - .args:
      - .offset:         0
        .size:           112
        .value_kind:     by_value
    .group_segment_fixed_size: 0
    .kernarg_segment_align: 8
    .kernarg_segment_size: 112
    .language:       OpenCL C
    .language_version:
      - 2
      - 0
    .max_flat_workgroup_size: 512
    .name:           _ZN7rocprim17ROCPRIM_400000_NS6detail17trampoline_kernelINS0_14default_configENS1_25partition_config_selectorILNS1_17partition_subalgoE8EsNS0_10empty_typeEbEEZZNS1_14partition_implILS5_8ELb0ES3_jPKsPS6_PKS6_NS0_5tupleIJPsS6_EEENSE_IJSB_SB_EEENS0_18inequality_wrapperIN6hipcub16HIPCUB_304000_NS8EqualityEEEPlJS6_EEE10hipError_tPvRmT3_T4_T5_T6_T7_T9_mT8_P12ihipStream_tbDpT10_ENKUlT_T0_E_clISt17integral_constantIbLb0EES17_EEDaS12_S13_EUlS12_E_NS1_11comp_targetILNS1_3genE5ELNS1_11target_archE942ELNS1_3gpuE9ELNS1_3repE0EEENS1_30default_config_static_selectorELNS0_4arch9wavefront6targetE0EEEvT1_
    .private_segment_fixed_size: 0
    .sgpr_count:     0
    .sgpr_spill_count: 0
    .symbol:         _ZN7rocprim17ROCPRIM_400000_NS6detail17trampoline_kernelINS0_14default_configENS1_25partition_config_selectorILNS1_17partition_subalgoE8EsNS0_10empty_typeEbEEZZNS1_14partition_implILS5_8ELb0ES3_jPKsPS6_PKS6_NS0_5tupleIJPsS6_EEENSE_IJSB_SB_EEENS0_18inequality_wrapperIN6hipcub16HIPCUB_304000_NS8EqualityEEEPlJS6_EEE10hipError_tPvRmT3_T4_T5_T6_T7_T9_mT8_P12ihipStream_tbDpT10_ENKUlT_T0_E_clISt17integral_constantIbLb0EES17_EEDaS12_S13_EUlS12_E_NS1_11comp_targetILNS1_3genE5ELNS1_11target_archE942ELNS1_3gpuE9ELNS1_3repE0EEENS1_30default_config_static_selectorELNS0_4arch9wavefront6targetE0EEEvT1_.kd
    .uniform_work_group_size: 1
    .uses_dynamic_stack: false
    .vgpr_count:     0
    .vgpr_spill_count: 0
    .wavefront_size: 32
  - .args:
      - .offset:         0
        .size:           112
        .value_kind:     by_value
    .group_segment_fixed_size: 0
    .kernarg_segment_align: 8
    .kernarg_segment_size: 112
    .language:       OpenCL C
    .language_version:
      - 2
      - 0
    .max_flat_workgroup_size: 256
    .name:           _ZN7rocprim17ROCPRIM_400000_NS6detail17trampoline_kernelINS0_14default_configENS1_25partition_config_selectorILNS1_17partition_subalgoE8EsNS0_10empty_typeEbEEZZNS1_14partition_implILS5_8ELb0ES3_jPKsPS6_PKS6_NS0_5tupleIJPsS6_EEENSE_IJSB_SB_EEENS0_18inequality_wrapperIN6hipcub16HIPCUB_304000_NS8EqualityEEEPlJS6_EEE10hipError_tPvRmT3_T4_T5_T6_T7_T9_mT8_P12ihipStream_tbDpT10_ENKUlT_T0_E_clISt17integral_constantIbLb0EES17_EEDaS12_S13_EUlS12_E_NS1_11comp_targetILNS1_3genE4ELNS1_11target_archE910ELNS1_3gpuE8ELNS1_3repE0EEENS1_30default_config_static_selectorELNS0_4arch9wavefront6targetE0EEEvT1_
    .private_segment_fixed_size: 0
    .sgpr_count:     0
    .sgpr_spill_count: 0
    .symbol:         _ZN7rocprim17ROCPRIM_400000_NS6detail17trampoline_kernelINS0_14default_configENS1_25partition_config_selectorILNS1_17partition_subalgoE8EsNS0_10empty_typeEbEEZZNS1_14partition_implILS5_8ELb0ES3_jPKsPS6_PKS6_NS0_5tupleIJPsS6_EEENSE_IJSB_SB_EEENS0_18inequality_wrapperIN6hipcub16HIPCUB_304000_NS8EqualityEEEPlJS6_EEE10hipError_tPvRmT3_T4_T5_T6_T7_T9_mT8_P12ihipStream_tbDpT10_ENKUlT_T0_E_clISt17integral_constantIbLb0EES17_EEDaS12_S13_EUlS12_E_NS1_11comp_targetILNS1_3genE4ELNS1_11target_archE910ELNS1_3gpuE8ELNS1_3repE0EEENS1_30default_config_static_selectorELNS0_4arch9wavefront6targetE0EEEvT1_.kd
    .uniform_work_group_size: 1
    .uses_dynamic_stack: false
    .vgpr_count:     0
    .vgpr_spill_count: 0
    .wavefront_size: 32
  - .args:
      - .offset:         0
        .size:           112
        .value_kind:     by_value
    .group_segment_fixed_size: 0
    .kernarg_segment_align: 8
    .kernarg_segment_size: 112
    .language:       OpenCL C
    .language_version:
      - 2
      - 0
    .max_flat_workgroup_size: 256
    .name:           _ZN7rocprim17ROCPRIM_400000_NS6detail17trampoline_kernelINS0_14default_configENS1_25partition_config_selectorILNS1_17partition_subalgoE8EsNS0_10empty_typeEbEEZZNS1_14partition_implILS5_8ELb0ES3_jPKsPS6_PKS6_NS0_5tupleIJPsS6_EEENSE_IJSB_SB_EEENS0_18inequality_wrapperIN6hipcub16HIPCUB_304000_NS8EqualityEEEPlJS6_EEE10hipError_tPvRmT3_T4_T5_T6_T7_T9_mT8_P12ihipStream_tbDpT10_ENKUlT_T0_E_clISt17integral_constantIbLb0EES17_EEDaS12_S13_EUlS12_E_NS1_11comp_targetILNS1_3genE3ELNS1_11target_archE908ELNS1_3gpuE7ELNS1_3repE0EEENS1_30default_config_static_selectorELNS0_4arch9wavefront6targetE0EEEvT1_
    .private_segment_fixed_size: 0
    .sgpr_count:     0
    .sgpr_spill_count: 0
    .symbol:         _ZN7rocprim17ROCPRIM_400000_NS6detail17trampoline_kernelINS0_14default_configENS1_25partition_config_selectorILNS1_17partition_subalgoE8EsNS0_10empty_typeEbEEZZNS1_14partition_implILS5_8ELb0ES3_jPKsPS6_PKS6_NS0_5tupleIJPsS6_EEENSE_IJSB_SB_EEENS0_18inequality_wrapperIN6hipcub16HIPCUB_304000_NS8EqualityEEEPlJS6_EEE10hipError_tPvRmT3_T4_T5_T6_T7_T9_mT8_P12ihipStream_tbDpT10_ENKUlT_T0_E_clISt17integral_constantIbLb0EES17_EEDaS12_S13_EUlS12_E_NS1_11comp_targetILNS1_3genE3ELNS1_11target_archE908ELNS1_3gpuE7ELNS1_3repE0EEENS1_30default_config_static_selectorELNS0_4arch9wavefront6targetE0EEEvT1_.kd
    .uniform_work_group_size: 1
    .uses_dynamic_stack: false
    .vgpr_count:     0
    .vgpr_spill_count: 0
    .wavefront_size: 32
  - .args:
      - .offset:         0
        .size:           112
        .value_kind:     by_value
    .group_segment_fixed_size: 0
    .kernarg_segment_align: 8
    .kernarg_segment_size: 112
    .language:       OpenCL C
    .language_version:
      - 2
      - 0
    .max_flat_workgroup_size: 192
    .name:           _ZN7rocprim17ROCPRIM_400000_NS6detail17trampoline_kernelINS0_14default_configENS1_25partition_config_selectorILNS1_17partition_subalgoE8EsNS0_10empty_typeEbEEZZNS1_14partition_implILS5_8ELb0ES3_jPKsPS6_PKS6_NS0_5tupleIJPsS6_EEENSE_IJSB_SB_EEENS0_18inequality_wrapperIN6hipcub16HIPCUB_304000_NS8EqualityEEEPlJS6_EEE10hipError_tPvRmT3_T4_T5_T6_T7_T9_mT8_P12ihipStream_tbDpT10_ENKUlT_T0_E_clISt17integral_constantIbLb0EES17_EEDaS12_S13_EUlS12_E_NS1_11comp_targetILNS1_3genE2ELNS1_11target_archE906ELNS1_3gpuE6ELNS1_3repE0EEENS1_30default_config_static_selectorELNS0_4arch9wavefront6targetE0EEEvT1_
    .private_segment_fixed_size: 0
    .sgpr_count:     0
    .sgpr_spill_count: 0
    .symbol:         _ZN7rocprim17ROCPRIM_400000_NS6detail17trampoline_kernelINS0_14default_configENS1_25partition_config_selectorILNS1_17partition_subalgoE8EsNS0_10empty_typeEbEEZZNS1_14partition_implILS5_8ELb0ES3_jPKsPS6_PKS6_NS0_5tupleIJPsS6_EEENSE_IJSB_SB_EEENS0_18inequality_wrapperIN6hipcub16HIPCUB_304000_NS8EqualityEEEPlJS6_EEE10hipError_tPvRmT3_T4_T5_T6_T7_T9_mT8_P12ihipStream_tbDpT10_ENKUlT_T0_E_clISt17integral_constantIbLb0EES17_EEDaS12_S13_EUlS12_E_NS1_11comp_targetILNS1_3genE2ELNS1_11target_archE906ELNS1_3gpuE6ELNS1_3repE0EEENS1_30default_config_static_selectorELNS0_4arch9wavefront6targetE0EEEvT1_.kd
    .uniform_work_group_size: 1
    .uses_dynamic_stack: false
    .vgpr_count:     0
    .vgpr_spill_count: 0
    .wavefront_size: 32
  - .args:
      - .offset:         0
        .size:           112
        .value_kind:     by_value
    .group_segment_fixed_size: 0
    .kernarg_segment_align: 8
    .kernarg_segment_size: 112
    .language:       OpenCL C
    .language_version:
      - 2
      - 0
    .max_flat_workgroup_size: 256
    .name:           _ZN7rocprim17ROCPRIM_400000_NS6detail17trampoline_kernelINS0_14default_configENS1_25partition_config_selectorILNS1_17partition_subalgoE8EsNS0_10empty_typeEbEEZZNS1_14partition_implILS5_8ELb0ES3_jPKsPS6_PKS6_NS0_5tupleIJPsS6_EEENSE_IJSB_SB_EEENS0_18inequality_wrapperIN6hipcub16HIPCUB_304000_NS8EqualityEEEPlJS6_EEE10hipError_tPvRmT3_T4_T5_T6_T7_T9_mT8_P12ihipStream_tbDpT10_ENKUlT_T0_E_clISt17integral_constantIbLb0EES17_EEDaS12_S13_EUlS12_E_NS1_11comp_targetILNS1_3genE10ELNS1_11target_archE1200ELNS1_3gpuE4ELNS1_3repE0EEENS1_30default_config_static_selectorELNS0_4arch9wavefront6targetE0EEEvT1_
    .private_segment_fixed_size: 0
    .sgpr_count:     0
    .sgpr_spill_count: 0
    .symbol:         _ZN7rocprim17ROCPRIM_400000_NS6detail17trampoline_kernelINS0_14default_configENS1_25partition_config_selectorILNS1_17partition_subalgoE8EsNS0_10empty_typeEbEEZZNS1_14partition_implILS5_8ELb0ES3_jPKsPS6_PKS6_NS0_5tupleIJPsS6_EEENSE_IJSB_SB_EEENS0_18inequality_wrapperIN6hipcub16HIPCUB_304000_NS8EqualityEEEPlJS6_EEE10hipError_tPvRmT3_T4_T5_T6_T7_T9_mT8_P12ihipStream_tbDpT10_ENKUlT_T0_E_clISt17integral_constantIbLb0EES17_EEDaS12_S13_EUlS12_E_NS1_11comp_targetILNS1_3genE10ELNS1_11target_archE1200ELNS1_3gpuE4ELNS1_3repE0EEENS1_30default_config_static_selectorELNS0_4arch9wavefront6targetE0EEEvT1_.kd
    .uniform_work_group_size: 1
    .uses_dynamic_stack: false
    .vgpr_count:     0
    .vgpr_spill_count: 0
    .wavefront_size: 32
  - .args:
      - .offset:         0
        .size:           112
        .value_kind:     by_value
    .group_segment_fixed_size: 0
    .kernarg_segment_align: 8
    .kernarg_segment_size: 112
    .language:       OpenCL C
    .language_version:
      - 2
      - 0
    .max_flat_workgroup_size: 128
    .name:           _ZN7rocprim17ROCPRIM_400000_NS6detail17trampoline_kernelINS0_14default_configENS1_25partition_config_selectorILNS1_17partition_subalgoE8EsNS0_10empty_typeEbEEZZNS1_14partition_implILS5_8ELb0ES3_jPKsPS6_PKS6_NS0_5tupleIJPsS6_EEENSE_IJSB_SB_EEENS0_18inequality_wrapperIN6hipcub16HIPCUB_304000_NS8EqualityEEEPlJS6_EEE10hipError_tPvRmT3_T4_T5_T6_T7_T9_mT8_P12ihipStream_tbDpT10_ENKUlT_T0_E_clISt17integral_constantIbLb0EES17_EEDaS12_S13_EUlS12_E_NS1_11comp_targetILNS1_3genE9ELNS1_11target_archE1100ELNS1_3gpuE3ELNS1_3repE0EEENS1_30default_config_static_selectorELNS0_4arch9wavefront6targetE0EEEvT1_
    .private_segment_fixed_size: 0
    .sgpr_count:     0
    .sgpr_spill_count: 0
    .symbol:         _ZN7rocprim17ROCPRIM_400000_NS6detail17trampoline_kernelINS0_14default_configENS1_25partition_config_selectorILNS1_17partition_subalgoE8EsNS0_10empty_typeEbEEZZNS1_14partition_implILS5_8ELb0ES3_jPKsPS6_PKS6_NS0_5tupleIJPsS6_EEENSE_IJSB_SB_EEENS0_18inequality_wrapperIN6hipcub16HIPCUB_304000_NS8EqualityEEEPlJS6_EEE10hipError_tPvRmT3_T4_T5_T6_T7_T9_mT8_P12ihipStream_tbDpT10_ENKUlT_T0_E_clISt17integral_constantIbLb0EES17_EEDaS12_S13_EUlS12_E_NS1_11comp_targetILNS1_3genE9ELNS1_11target_archE1100ELNS1_3gpuE3ELNS1_3repE0EEENS1_30default_config_static_selectorELNS0_4arch9wavefront6targetE0EEEvT1_.kd
    .uniform_work_group_size: 1
    .uses_dynamic_stack: false
    .vgpr_count:     0
    .vgpr_spill_count: 0
    .wavefront_size: 32
  - .args:
      - .offset:         0
        .size:           112
        .value_kind:     by_value
    .group_segment_fixed_size: 0
    .kernarg_segment_align: 8
    .kernarg_segment_size: 112
    .language:       OpenCL C
    .language_version:
      - 2
      - 0
    .max_flat_workgroup_size: 384
    .name:           _ZN7rocprim17ROCPRIM_400000_NS6detail17trampoline_kernelINS0_14default_configENS1_25partition_config_selectorILNS1_17partition_subalgoE8EsNS0_10empty_typeEbEEZZNS1_14partition_implILS5_8ELb0ES3_jPKsPS6_PKS6_NS0_5tupleIJPsS6_EEENSE_IJSB_SB_EEENS0_18inequality_wrapperIN6hipcub16HIPCUB_304000_NS8EqualityEEEPlJS6_EEE10hipError_tPvRmT3_T4_T5_T6_T7_T9_mT8_P12ihipStream_tbDpT10_ENKUlT_T0_E_clISt17integral_constantIbLb0EES17_EEDaS12_S13_EUlS12_E_NS1_11comp_targetILNS1_3genE8ELNS1_11target_archE1030ELNS1_3gpuE2ELNS1_3repE0EEENS1_30default_config_static_selectorELNS0_4arch9wavefront6targetE0EEEvT1_
    .private_segment_fixed_size: 0
    .sgpr_count:     0
    .sgpr_spill_count: 0
    .symbol:         _ZN7rocprim17ROCPRIM_400000_NS6detail17trampoline_kernelINS0_14default_configENS1_25partition_config_selectorILNS1_17partition_subalgoE8EsNS0_10empty_typeEbEEZZNS1_14partition_implILS5_8ELb0ES3_jPKsPS6_PKS6_NS0_5tupleIJPsS6_EEENSE_IJSB_SB_EEENS0_18inequality_wrapperIN6hipcub16HIPCUB_304000_NS8EqualityEEEPlJS6_EEE10hipError_tPvRmT3_T4_T5_T6_T7_T9_mT8_P12ihipStream_tbDpT10_ENKUlT_T0_E_clISt17integral_constantIbLb0EES17_EEDaS12_S13_EUlS12_E_NS1_11comp_targetILNS1_3genE8ELNS1_11target_archE1030ELNS1_3gpuE2ELNS1_3repE0EEENS1_30default_config_static_selectorELNS0_4arch9wavefront6targetE0EEEvT1_.kd
    .uniform_work_group_size: 1
    .uses_dynamic_stack: false
    .vgpr_count:     0
    .vgpr_spill_count: 0
    .wavefront_size: 32
  - .args:
      - .offset:         0
        .size:           128
        .value_kind:     by_value
    .group_segment_fixed_size: 0
    .kernarg_segment_align: 8
    .kernarg_segment_size: 128
    .language:       OpenCL C
    .language_version:
      - 2
      - 0
    .max_flat_workgroup_size: 256
    .name:           _ZN7rocprim17ROCPRIM_400000_NS6detail17trampoline_kernelINS0_14default_configENS1_25partition_config_selectorILNS1_17partition_subalgoE8EsNS0_10empty_typeEbEEZZNS1_14partition_implILS5_8ELb0ES3_jPKsPS6_PKS6_NS0_5tupleIJPsS6_EEENSE_IJSB_SB_EEENS0_18inequality_wrapperIN6hipcub16HIPCUB_304000_NS8EqualityEEEPlJS6_EEE10hipError_tPvRmT3_T4_T5_T6_T7_T9_mT8_P12ihipStream_tbDpT10_ENKUlT_T0_E_clISt17integral_constantIbLb1EES17_EEDaS12_S13_EUlS12_E_NS1_11comp_targetILNS1_3genE0ELNS1_11target_archE4294967295ELNS1_3gpuE0ELNS1_3repE0EEENS1_30default_config_static_selectorELNS0_4arch9wavefront6targetE0EEEvT1_
    .private_segment_fixed_size: 0
    .sgpr_count:     0
    .sgpr_spill_count: 0
    .symbol:         _ZN7rocprim17ROCPRIM_400000_NS6detail17trampoline_kernelINS0_14default_configENS1_25partition_config_selectorILNS1_17partition_subalgoE8EsNS0_10empty_typeEbEEZZNS1_14partition_implILS5_8ELb0ES3_jPKsPS6_PKS6_NS0_5tupleIJPsS6_EEENSE_IJSB_SB_EEENS0_18inequality_wrapperIN6hipcub16HIPCUB_304000_NS8EqualityEEEPlJS6_EEE10hipError_tPvRmT3_T4_T5_T6_T7_T9_mT8_P12ihipStream_tbDpT10_ENKUlT_T0_E_clISt17integral_constantIbLb1EES17_EEDaS12_S13_EUlS12_E_NS1_11comp_targetILNS1_3genE0ELNS1_11target_archE4294967295ELNS1_3gpuE0ELNS1_3repE0EEENS1_30default_config_static_selectorELNS0_4arch9wavefront6targetE0EEEvT1_.kd
    .uniform_work_group_size: 1
    .uses_dynamic_stack: false
    .vgpr_count:     0
    .vgpr_spill_count: 0
    .wavefront_size: 32
  - .args:
      - .offset:         0
        .size:           128
        .value_kind:     by_value
    .group_segment_fixed_size: 0
    .kernarg_segment_align: 8
    .kernarg_segment_size: 128
    .language:       OpenCL C
    .language_version:
      - 2
      - 0
    .max_flat_workgroup_size: 512
    .name:           _ZN7rocprim17ROCPRIM_400000_NS6detail17trampoline_kernelINS0_14default_configENS1_25partition_config_selectorILNS1_17partition_subalgoE8EsNS0_10empty_typeEbEEZZNS1_14partition_implILS5_8ELb0ES3_jPKsPS6_PKS6_NS0_5tupleIJPsS6_EEENSE_IJSB_SB_EEENS0_18inequality_wrapperIN6hipcub16HIPCUB_304000_NS8EqualityEEEPlJS6_EEE10hipError_tPvRmT3_T4_T5_T6_T7_T9_mT8_P12ihipStream_tbDpT10_ENKUlT_T0_E_clISt17integral_constantIbLb1EES17_EEDaS12_S13_EUlS12_E_NS1_11comp_targetILNS1_3genE5ELNS1_11target_archE942ELNS1_3gpuE9ELNS1_3repE0EEENS1_30default_config_static_selectorELNS0_4arch9wavefront6targetE0EEEvT1_
    .private_segment_fixed_size: 0
    .sgpr_count:     0
    .sgpr_spill_count: 0
    .symbol:         _ZN7rocprim17ROCPRIM_400000_NS6detail17trampoline_kernelINS0_14default_configENS1_25partition_config_selectorILNS1_17partition_subalgoE8EsNS0_10empty_typeEbEEZZNS1_14partition_implILS5_8ELb0ES3_jPKsPS6_PKS6_NS0_5tupleIJPsS6_EEENSE_IJSB_SB_EEENS0_18inequality_wrapperIN6hipcub16HIPCUB_304000_NS8EqualityEEEPlJS6_EEE10hipError_tPvRmT3_T4_T5_T6_T7_T9_mT8_P12ihipStream_tbDpT10_ENKUlT_T0_E_clISt17integral_constantIbLb1EES17_EEDaS12_S13_EUlS12_E_NS1_11comp_targetILNS1_3genE5ELNS1_11target_archE942ELNS1_3gpuE9ELNS1_3repE0EEENS1_30default_config_static_selectorELNS0_4arch9wavefront6targetE0EEEvT1_.kd
    .uniform_work_group_size: 1
    .uses_dynamic_stack: false
    .vgpr_count:     0
    .vgpr_spill_count: 0
    .wavefront_size: 32
  - .args:
      - .offset:         0
        .size:           128
        .value_kind:     by_value
    .group_segment_fixed_size: 0
    .kernarg_segment_align: 8
    .kernarg_segment_size: 128
    .language:       OpenCL C
    .language_version:
      - 2
      - 0
    .max_flat_workgroup_size: 256
    .name:           _ZN7rocprim17ROCPRIM_400000_NS6detail17trampoline_kernelINS0_14default_configENS1_25partition_config_selectorILNS1_17partition_subalgoE8EsNS0_10empty_typeEbEEZZNS1_14partition_implILS5_8ELb0ES3_jPKsPS6_PKS6_NS0_5tupleIJPsS6_EEENSE_IJSB_SB_EEENS0_18inequality_wrapperIN6hipcub16HIPCUB_304000_NS8EqualityEEEPlJS6_EEE10hipError_tPvRmT3_T4_T5_T6_T7_T9_mT8_P12ihipStream_tbDpT10_ENKUlT_T0_E_clISt17integral_constantIbLb1EES17_EEDaS12_S13_EUlS12_E_NS1_11comp_targetILNS1_3genE4ELNS1_11target_archE910ELNS1_3gpuE8ELNS1_3repE0EEENS1_30default_config_static_selectorELNS0_4arch9wavefront6targetE0EEEvT1_
    .private_segment_fixed_size: 0
    .sgpr_count:     0
    .sgpr_spill_count: 0
    .symbol:         _ZN7rocprim17ROCPRIM_400000_NS6detail17trampoline_kernelINS0_14default_configENS1_25partition_config_selectorILNS1_17partition_subalgoE8EsNS0_10empty_typeEbEEZZNS1_14partition_implILS5_8ELb0ES3_jPKsPS6_PKS6_NS0_5tupleIJPsS6_EEENSE_IJSB_SB_EEENS0_18inequality_wrapperIN6hipcub16HIPCUB_304000_NS8EqualityEEEPlJS6_EEE10hipError_tPvRmT3_T4_T5_T6_T7_T9_mT8_P12ihipStream_tbDpT10_ENKUlT_T0_E_clISt17integral_constantIbLb1EES17_EEDaS12_S13_EUlS12_E_NS1_11comp_targetILNS1_3genE4ELNS1_11target_archE910ELNS1_3gpuE8ELNS1_3repE0EEENS1_30default_config_static_selectorELNS0_4arch9wavefront6targetE0EEEvT1_.kd
    .uniform_work_group_size: 1
    .uses_dynamic_stack: false
    .vgpr_count:     0
    .vgpr_spill_count: 0
    .wavefront_size: 32
  - .args:
      - .offset:         0
        .size:           128
        .value_kind:     by_value
    .group_segment_fixed_size: 0
    .kernarg_segment_align: 8
    .kernarg_segment_size: 128
    .language:       OpenCL C
    .language_version:
      - 2
      - 0
    .max_flat_workgroup_size: 256
    .name:           _ZN7rocprim17ROCPRIM_400000_NS6detail17trampoline_kernelINS0_14default_configENS1_25partition_config_selectorILNS1_17partition_subalgoE8EsNS0_10empty_typeEbEEZZNS1_14partition_implILS5_8ELb0ES3_jPKsPS6_PKS6_NS0_5tupleIJPsS6_EEENSE_IJSB_SB_EEENS0_18inequality_wrapperIN6hipcub16HIPCUB_304000_NS8EqualityEEEPlJS6_EEE10hipError_tPvRmT3_T4_T5_T6_T7_T9_mT8_P12ihipStream_tbDpT10_ENKUlT_T0_E_clISt17integral_constantIbLb1EES17_EEDaS12_S13_EUlS12_E_NS1_11comp_targetILNS1_3genE3ELNS1_11target_archE908ELNS1_3gpuE7ELNS1_3repE0EEENS1_30default_config_static_selectorELNS0_4arch9wavefront6targetE0EEEvT1_
    .private_segment_fixed_size: 0
    .sgpr_count:     0
    .sgpr_spill_count: 0
    .symbol:         _ZN7rocprim17ROCPRIM_400000_NS6detail17trampoline_kernelINS0_14default_configENS1_25partition_config_selectorILNS1_17partition_subalgoE8EsNS0_10empty_typeEbEEZZNS1_14partition_implILS5_8ELb0ES3_jPKsPS6_PKS6_NS0_5tupleIJPsS6_EEENSE_IJSB_SB_EEENS0_18inequality_wrapperIN6hipcub16HIPCUB_304000_NS8EqualityEEEPlJS6_EEE10hipError_tPvRmT3_T4_T5_T6_T7_T9_mT8_P12ihipStream_tbDpT10_ENKUlT_T0_E_clISt17integral_constantIbLb1EES17_EEDaS12_S13_EUlS12_E_NS1_11comp_targetILNS1_3genE3ELNS1_11target_archE908ELNS1_3gpuE7ELNS1_3repE0EEENS1_30default_config_static_selectorELNS0_4arch9wavefront6targetE0EEEvT1_.kd
    .uniform_work_group_size: 1
    .uses_dynamic_stack: false
    .vgpr_count:     0
    .vgpr_spill_count: 0
    .wavefront_size: 32
  - .args:
      - .offset:         0
        .size:           128
        .value_kind:     by_value
    .group_segment_fixed_size: 0
    .kernarg_segment_align: 8
    .kernarg_segment_size: 128
    .language:       OpenCL C
    .language_version:
      - 2
      - 0
    .max_flat_workgroup_size: 192
    .name:           _ZN7rocprim17ROCPRIM_400000_NS6detail17trampoline_kernelINS0_14default_configENS1_25partition_config_selectorILNS1_17partition_subalgoE8EsNS0_10empty_typeEbEEZZNS1_14partition_implILS5_8ELb0ES3_jPKsPS6_PKS6_NS0_5tupleIJPsS6_EEENSE_IJSB_SB_EEENS0_18inequality_wrapperIN6hipcub16HIPCUB_304000_NS8EqualityEEEPlJS6_EEE10hipError_tPvRmT3_T4_T5_T6_T7_T9_mT8_P12ihipStream_tbDpT10_ENKUlT_T0_E_clISt17integral_constantIbLb1EES17_EEDaS12_S13_EUlS12_E_NS1_11comp_targetILNS1_3genE2ELNS1_11target_archE906ELNS1_3gpuE6ELNS1_3repE0EEENS1_30default_config_static_selectorELNS0_4arch9wavefront6targetE0EEEvT1_
    .private_segment_fixed_size: 0
    .sgpr_count:     0
    .sgpr_spill_count: 0
    .symbol:         _ZN7rocprim17ROCPRIM_400000_NS6detail17trampoline_kernelINS0_14default_configENS1_25partition_config_selectorILNS1_17partition_subalgoE8EsNS0_10empty_typeEbEEZZNS1_14partition_implILS5_8ELb0ES3_jPKsPS6_PKS6_NS0_5tupleIJPsS6_EEENSE_IJSB_SB_EEENS0_18inequality_wrapperIN6hipcub16HIPCUB_304000_NS8EqualityEEEPlJS6_EEE10hipError_tPvRmT3_T4_T5_T6_T7_T9_mT8_P12ihipStream_tbDpT10_ENKUlT_T0_E_clISt17integral_constantIbLb1EES17_EEDaS12_S13_EUlS12_E_NS1_11comp_targetILNS1_3genE2ELNS1_11target_archE906ELNS1_3gpuE6ELNS1_3repE0EEENS1_30default_config_static_selectorELNS0_4arch9wavefront6targetE0EEEvT1_.kd
    .uniform_work_group_size: 1
    .uses_dynamic_stack: false
    .vgpr_count:     0
    .vgpr_spill_count: 0
    .wavefront_size: 32
  - .args:
      - .offset:         0
        .size:           128
        .value_kind:     by_value
    .group_segment_fixed_size: 0
    .kernarg_segment_align: 8
    .kernarg_segment_size: 128
    .language:       OpenCL C
    .language_version:
      - 2
      - 0
    .max_flat_workgroup_size: 256
    .name:           _ZN7rocprim17ROCPRIM_400000_NS6detail17trampoline_kernelINS0_14default_configENS1_25partition_config_selectorILNS1_17partition_subalgoE8EsNS0_10empty_typeEbEEZZNS1_14partition_implILS5_8ELb0ES3_jPKsPS6_PKS6_NS0_5tupleIJPsS6_EEENSE_IJSB_SB_EEENS0_18inequality_wrapperIN6hipcub16HIPCUB_304000_NS8EqualityEEEPlJS6_EEE10hipError_tPvRmT3_T4_T5_T6_T7_T9_mT8_P12ihipStream_tbDpT10_ENKUlT_T0_E_clISt17integral_constantIbLb1EES17_EEDaS12_S13_EUlS12_E_NS1_11comp_targetILNS1_3genE10ELNS1_11target_archE1200ELNS1_3gpuE4ELNS1_3repE0EEENS1_30default_config_static_selectorELNS0_4arch9wavefront6targetE0EEEvT1_
    .private_segment_fixed_size: 0
    .sgpr_count:     0
    .sgpr_spill_count: 0
    .symbol:         _ZN7rocprim17ROCPRIM_400000_NS6detail17trampoline_kernelINS0_14default_configENS1_25partition_config_selectorILNS1_17partition_subalgoE8EsNS0_10empty_typeEbEEZZNS1_14partition_implILS5_8ELb0ES3_jPKsPS6_PKS6_NS0_5tupleIJPsS6_EEENSE_IJSB_SB_EEENS0_18inequality_wrapperIN6hipcub16HIPCUB_304000_NS8EqualityEEEPlJS6_EEE10hipError_tPvRmT3_T4_T5_T6_T7_T9_mT8_P12ihipStream_tbDpT10_ENKUlT_T0_E_clISt17integral_constantIbLb1EES17_EEDaS12_S13_EUlS12_E_NS1_11comp_targetILNS1_3genE10ELNS1_11target_archE1200ELNS1_3gpuE4ELNS1_3repE0EEENS1_30default_config_static_selectorELNS0_4arch9wavefront6targetE0EEEvT1_.kd
    .uniform_work_group_size: 1
    .uses_dynamic_stack: false
    .vgpr_count:     0
    .vgpr_spill_count: 0
    .wavefront_size: 32
  - .args:
      - .offset:         0
        .size:           128
        .value_kind:     by_value
    .group_segment_fixed_size: 0
    .kernarg_segment_align: 8
    .kernarg_segment_size: 128
    .language:       OpenCL C
    .language_version:
      - 2
      - 0
    .max_flat_workgroup_size: 128
    .name:           _ZN7rocprim17ROCPRIM_400000_NS6detail17trampoline_kernelINS0_14default_configENS1_25partition_config_selectorILNS1_17partition_subalgoE8EsNS0_10empty_typeEbEEZZNS1_14partition_implILS5_8ELb0ES3_jPKsPS6_PKS6_NS0_5tupleIJPsS6_EEENSE_IJSB_SB_EEENS0_18inequality_wrapperIN6hipcub16HIPCUB_304000_NS8EqualityEEEPlJS6_EEE10hipError_tPvRmT3_T4_T5_T6_T7_T9_mT8_P12ihipStream_tbDpT10_ENKUlT_T0_E_clISt17integral_constantIbLb1EES17_EEDaS12_S13_EUlS12_E_NS1_11comp_targetILNS1_3genE9ELNS1_11target_archE1100ELNS1_3gpuE3ELNS1_3repE0EEENS1_30default_config_static_selectorELNS0_4arch9wavefront6targetE0EEEvT1_
    .private_segment_fixed_size: 0
    .sgpr_count:     0
    .sgpr_spill_count: 0
    .symbol:         _ZN7rocprim17ROCPRIM_400000_NS6detail17trampoline_kernelINS0_14default_configENS1_25partition_config_selectorILNS1_17partition_subalgoE8EsNS0_10empty_typeEbEEZZNS1_14partition_implILS5_8ELb0ES3_jPKsPS6_PKS6_NS0_5tupleIJPsS6_EEENSE_IJSB_SB_EEENS0_18inequality_wrapperIN6hipcub16HIPCUB_304000_NS8EqualityEEEPlJS6_EEE10hipError_tPvRmT3_T4_T5_T6_T7_T9_mT8_P12ihipStream_tbDpT10_ENKUlT_T0_E_clISt17integral_constantIbLb1EES17_EEDaS12_S13_EUlS12_E_NS1_11comp_targetILNS1_3genE9ELNS1_11target_archE1100ELNS1_3gpuE3ELNS1_3repE0EEENS1_30default_config_static_selectorELNS0_4arch9wavefront6targetE0EEEvT1_.kd
    .uniform_work_group_size: 1
    .uses_dynamic_stack: false
    .vgpr_count:     0
    .vgpr_spill_count: 0
    .wavefront_size: 32
  - .args:
      - .offset:         0
        .size:           128
        .value_kind:     by_value
    .group_segment_fixed_size: 0
    .kernarg_segment_align: 8
    .kernarg_segment_size: 128
    .language:       OpenCL C
    .language_version:
      - 2
      - 0
    .max_flat_workgroup_size: 384
    .name:           _ZN7rocprim17ROCPRIM_400000_NS6detail17trampoline_kernelINS0_14default_configENS1_25partition_config_selectorILNS1_17partition_subalgoE8EsNS0_10empty_typeEbEEZZNS1_14partition_implILS5_8ELb0ES3_jPKsPS6_PKS6_NS0_5tupleIJPsS6_EEENSE_IJSB_SB_EEENS0_18inequality_wrapperIN6hipcub16HIPCUB_304000_NS8EqualityEEEPlJS6_EEE10hipError_tPvRmT3_T4_T5_T6_T7_T9_mT8_P12ihipStream_tbDpT10_ENKUlT_T0_E_clISt17integral_constantIbLb1EES17_EEDaS12_S13_EUlS12_E_NS1_11comp_targetILNS1_3genE8ELNS1_11target_archE1030ELNS1_3gpuE2ELNS1_3repE0EEENS1_30default_config_static_selectorELNS0_4arch9wavefront6targetE0EEEvT1_
    .private_segment_fixed_size: 0
    .sgpr_count:     0
    .sgpr_spill_count: 0
    .symbol:         _ZN7rocprim17ROCPRIM_400000_NS6detail17trampoline_kernelINS0_14default_configENS1_25partition_config_selectorILNS1_17partition_subalgoE8EsNS0_10empty_typeEbEEZZNS1_14partition_implILS5_8ELb0ES3_jPKsPS6_PKS6_NS0_5tupleIJPsS6_EEENSE_IJSB_SB_EEENS0_18inequality_wrapperIN6hipcub16HIPCUB_304000_NS8EqualityEEEPlJS6_EEE10hipError_tPvRmT3_T4_T5_T6_T7_T9_mT8_P12ihipStream_tbDpT10_ENKUlT_T0_E_clISt17integral_constantIbLb1EES17_EEDaS12_S13_EUlS12_E_NS1_11comp_targetILNS1_3genE8ELNS1_11target_archE1030ELNS1_3gpuE2ELNS1_3repE0EEENS1_30default_config_static_selectorELNS0_4arch9wavefront6targetE0EEEvT1_.kd
    .uniform_work_group_size: 1
    .uses_dynamic_stack: false
    .vgpr_count:     0
    .vgpr_spill_count: 0
    .wavefront_size: 32
  - .args:
      - .offset:         0
        .size:           112
        .value_kind:     by_value
    .group_segment_fixed_size: 0
    .kernarg_segment_align: 8
    .kernarg_segment_size: 112
    .language:       OpenCL C
    .language_version:
      - 2
      - 0
    .max_flat_workgroup_size: 256
    .name:           _ZN7rocprim17ROCPRIM_400000_NS6detail17trampoline_kernelINS0_14default_configENS1_25partition_config_selectorILNS1_17partition_subalgoE8EsNS0_10empty_typeEbEEZZNS1_14partition_implILS5_8ELb0ES3_jPKsPS6_PKS6_NS0_5tupleIJPsS6_EEENSE_IJSB_SB_EEENS0_18inequality_wrapperIN6hipcub16HIPCUB_304000_NS8EqualityEEEPlJS6_EEE10hipError_tPvRmT3_T4_T5_T6_T7_T9_mT8_P12ihipStream_tbDpT10_ENKUlT_T0_E_clISt17integral_constantIbLb1EES16_IbLb0EEEEDaS12_S13_EUlS12_E_NS1_11comp_targetILNS1_3genE0ELNS1_11target_archE4294967295ELNS1_3gpuE0ELNS1_3repE0EEENS1_30default_config_static_selectorELNS0_4arch9wavefront6targetE0EEEvT1_
    .private_segment_fixed_size: 0
    .sgpr_count:     0
    .sgpr_spill_count: 0
    .symbol:         _ZN7rocprim17ROCPRIM_400000_NS6detail17trampoline_kernelINS0_14default_configENS1_25partition_config_selectorILNS1_17partition_subalgoE8EsNS0_10empty_typeEbEEZZNS1_14partition_implILS5_8ELb0ES3_jPKsPS6_PKS6_NS0_5tupleIJPsS6_EEENSE_IJSB_SB_EEENS0_18inequality_wrapperIN6hipcub16HIPCUB_304000_NS8EqualityEEEPlJS6_EEE10hipError_tPvRmT3_T4_T5_T6_T7_T9_mT8_P12ihipStream_tbDpT10_ENKUlT_T0_E_clISt17integral_constantIbLb1EES16_IbLb0EEEEDaS12_S13_EUlS12_E_NS1_11comp_targetILNS1_3genE0ELNS1_11target_archE4294967295ELNS1_3gpuE0ELNS1_3repE0EEENS1_30default_config_static_selectorELNS0_4arch9wavefront6targetE0EEEvT1_.kd
    .uniform_work_group_size: 1
    .uses_dynamic_stack: false
    .vgpr_count:     0
    .vgpr_spill_count: 0
    .wavefront_size: 32
  - .args:
      - .offset:         0
        .size:           112
        .value_kind:     by_value
    .group_segment_fixed_size: 0
    .kernarg_segment_align: 8
    .kernarg_segment_size: 112
    .language:       OpenCL C
    .language_version:
      - 2
      - 0
    .max_flat_workgroup_size: 512
    .name:           _ZN7rocprim17ROCPRIM_400000_NS6detail17trampoline_kernelINS0_14default_configENS1_25partition_config_selectorILNS1_17partition_subalgoE8EsNS0_10empty_typeEbEEZZNS1_14partition_implILS5_8ELb0ES3_jPKsPS6_PKS6_NS0_5tupleIJPsS6_EEENSE_IJSB_SB_EEENS0_18inequality_wrapperIN6hipcub16HIPCUB_304000_NS8EqualityEEEPlJS6_EEE10hipError_tPvRmT3_T4_T5_T6_T7_T9_mT8_P12ihipStream_tbDpT10_ENKUlT_T0_E_clISt17integral_constantIbLb1EES16_IbLb0EEEEDaS12_S13_EUlS12_E_NS1_11comp_targetILNS1_3genE5ELNS1_11target_archE942ELNS1_3gpuE9ELNS1_3repE0EEENS1_30default_config_static_selectorELNS0_4arch9wavefront6targetE0EEEvT1_
    .private_segment_fixed_size: 0
    .sgpr_count:     0
    .sgpr_spill_count: 0
    .symbol:         _ZN7rocprim17ROCPRIM_400000_NS6detail17trampoline_kernelINS0_14default_configENS1_25partition_config_selectorILNS1_17partition_subalgoE8EsNS0_10empty_typeEbEEZZNS1_14partition_implILS5_8ELb0ES3_jPKsPS6_PKS6_NS0_5tupleIJPsS6_EEENSE_IJSB_SB_EEENS0_18inequality_wrapperIN6hipcub16HIPCUB_304000_NS8EqualityEEEPlJS6_EEE10hipError_tPvRmT3_T4_T5_T6_T7_T9_mT8_P12ihipStream_tbDpT10_ENKUlT_T0_E_clISt17integral_constantIbLb1EES16_IbLb0EEEEDaS12_S13_EUlS12_E_NS1_11comp_targetILNS1_3genE5ELNS1_11target_archE942ELNS1_3gpuE9ELNS1_3repE0EEENS1_30default_config_static_selectorELNS0_4arch9wavefront6targetE0EEEvT1_.kd
    .uniform_work_group_size: 1
    .uses_dynamic_stack: false
    .vgpr_count:     0
    .vgpr_spill_count: 0
    .wavefront_size: 32
  - .args:
      - .offset:         0
        .size:           112
        .value_kind:     by_value
    .group_segment_fixed_size: 0
    .kernarg_segment_align: 8
    .kernarg_segment_size: 112
    .language:       OpenCL C
    .language_version:
      - 2
      - 0
    .max_flat_workgroup_size: 256
    .name:           _ZN7rocprim17ROCPRIM_400000_NS6detail17trampoline_kernelINS0_14default_configENS1_25partition_config_selectorILNS1_17partition_subalgoE8EsNS0_10empty_typeEbEEZZNS1_14partition_implILS5_8ELb0ES3_jPKsPS6_PKS6_NS0_5tupleIJPsS6_EEENSE_IJSB_SB_EEENS0_18inequality_wrapperIN6hipcub16HIPCUB_304000_NS8EqualityEEEPlJS6_EEE10hipError_tPvRmT3_T4_T5_T6_T7_T9_mT8_P12ihipStream_tbDpT10_ENKUlT_T0_E_clISt17integral_constantIbLb1EES16_IbLb0EEEEDaS12_S13_EUlS12_E_NS1_11comp_targetILNS1_3genE4ELNS1_11target_archE910ELNS1_3gpuE8ELNS1_3repE0EEENS1_30default_config_static_selectorELNS0_4arch9wavefront6targetE0EEEvT1_
    .private_segment_fixed_size: 0
    .sgpr_count:     0
    .sgpr_spill_count: 0
    .symbol:         _ZN7rocprim17ROCPRIM_400000_NS6detail17trampoline_kernelINS0_14default_configENS1_25partition_config_selectorILNS1_17partition_subalgoE8EsNS0_10empty_typeEbEEZZNS1_14partition_implILS5_8ELb0ES3_jPKsPS6_PKS6_NS0_5tupleIJPsS6_EEENSE_IJSB_SB_EEENS0_18inequality_wrapperIN6hipcub16HIPCUB_304000_NS8EqualityEEEPlJS6_EEE10hipError_tPvRmT3_T4_T5_T6_T7_T9_mT8_P12ihipStream_tbDpT10_ENKUlT_T0_E_clISt17integral_constantIbLb1EES16_IbLb0EEEEDaS12_S13_EUlS12_E_NS1_11comp_targetILNS1_3genE4ELNS1_11target_archE910ELNS1_3gpuE8ELNS1_3repE0EEENS1_30default_config_static_selectorELNS0_4arch9wavefront6targetE0EEEvT1_.kd
    .uniform_work_group_size: 1
    .uses_dynamic_stack: false
    .vgpr_count:     0
    .vgpr_spill_count: 0
    .wavefront_size: 32
  - .args:
      - .offset:         0
        .size:           112
        .value_kind:     by_value
    .group_segment_fixed_size: 0
    .kernarg_segment_align: 8
    .kernarg_segment_size: 112
    .language:       OpenCL C
    .language_version:
      - 2
      - 0
    .max_flat_workgroup_size: 256
    .name:           _ZN7rocprim17ROCPRIM_400000_NS6detail17trampoline_kernelINS0_14default_configENS1_25partition_config_selectorILNS1_17partition_subalgoE8EsNS0_10empty_typeEbEEZZNS1_14partition_implILS5_8ELb0ES3_jPKsPS6_PKS6_NS0_5tupleIJPsS6_EEENSE_IJSB_SB_EEENS0_18inequality_wrapperIN6hipcub16HIPCUB_304000_NS8EqualityEEEPlJS6_EEE10hipError_tPvRmT3_T4_T5_T6_T7_T9_mT8_P12ihipStream_tbDpT10_ENKUlT_T0_E_clISt17integral_constantIbLb1EES16_IbLb0EEEEDaS12_S13_EUlS12_E_NS1_11comp_targetILNS1_3genE3ELNS1_11target_archE908ELNS1_3gpuE7ELNS1_3repE0EEENS1_30default_config_static_selectorELNS0_4arch9wavefront6targetE0EEEvT1_
    .private_segment_fixed_size: 0
    .sgpr_count:     0
    .sgpr_spill_count: 0
    .symbol:         _ZN7rocprim17ROCPRIM_400000_NS6detail17trampoline_kernelINS0_14default_configENS1_25partition_config_selectorILNS1_17partition_subalgoE8EsNS0_10empty_typeEbEEZZNS1_14partition_implILS5_8ELb0ES3_jPKsPS6_PKS6_NS0_5tupleIJPsS6_EEENSE_IJSB_SB_EEENS0_18inequality_wrapperIN6hipcub16HIPCUB_304000_NS8EqualityEEEPlJS6_EEE10hipError_tPvRmT3_T4_T5_T6_T7_T9_mT8_P12ihipStream_tbDpT10_ENKUlT_T0_E_clISt17integral_constantIbLb1EES16_IbLb0EEEEDaS12_S13_EUlS12_E_NS1_11comp_targetILNS1_3genE3ELNS1_11target_archE908ELNS1_3gpuE7ELNS1_3repE0EEENS1_30default_config_static_selectorELNS0_4arch9wavefront6targetE0EEEvT1_.kd
    .uniform_work_group_size: 1
    .uses_dynamic_stack: false
    .vgpr_count:     0
    .vgpr_spill_count: 0
    .wavefront_size: 32
  - .args:
      - .offset:         0
        .size:           112
        .value_kind:     by_value
    .group_segment_fixed_size: 0
    .kernarg_segment_align: 8
    .kernarg_segment_size: 112
    .language:       OpenCL C
    .language_version:
      - 2
      - 0
    .max_flat_workgroup_size: 192
    .name:           _ZN7rocprim17ROCPRIM_400000_NS6detail17trampoline_kernelINS0_14default_configENS1_25partition_config_selectorILNS1_17partition_subalgoE8EsNS0_10empty_typeEbEEZZNS1_14partition_implILS5_8ELb0ES3_jPKsPS6_PKS6_NS0_5tupleIJPsS6_EEENSE_IJSB_SB_EEENS0_18inequality_wrapperIN6hipcub16HIPCUB_304000_NS8EqualityEEEPlJS6_EEE10hipError_tPvRmT3_T4_T5_T6_T7_T9_mT8_P12ihipStream_tbDpT10_ENKUlT_T0_E_clISt17integral_constantIbLb1EES16_IbLb0EEEEDaS12_S13_EUlS12_E_NS1_11comp_targetILNS1_3genE2ELNS1_11target_archE906ELNS1_3gpuE6ELNS1_3repE0EEENS1_30default_config_static_selectorELNS0_4arch9wavefront6targetE0EEEvT1_
    .private_segment_fixed_size: 0
    .sgpr_count:     0
    .sgpr_spill_count: 0
    .symbol:         _ZN7rocprim17ROCPRIM_400000_NS6detail17trampoline_kernelINS0_14default_configENS1_25partition_config_selectorILNS1_17partition_subalgoE8EsNS0_10empty_typeEbEEZZNS1_14partition_implILS5_8ELb0ES3_jPKsPS6_PKS6_NS0_5tupleIJPsS6_EEENSE_IJSB_SB_EEENS0_18inequality_wrapperIN6hipcub16HIPCUB_304000_NS8EqualityEEEPlJS6_EEE10hipError_tPvRmT3_T4_T5_T6_T7_T9_mT8_P12ihipStream_tbDpT10_ENKUlT_T0_E_clISt17integral_constantIbLb1EES16_IbLb0EEEEDaS12_S13_EUlS12_E_NS1_11comp_targetILNS1_3genE2ELNS1_11target_archE906ELNS1_3gpuE6ELNS1_3repE0EEENS1_30default_config_static_selectorELNS0_4arch9wavefront6targetE0EEEvT1_.kd
    .uniform_work_group_size: 1
    .uses_dynamic_stack: false
    .vgpr_count:     0
    .vgpr_spill_count: 0
    .wavefront_size: 32
  - .args:
      - .offset:         0
        .size:           112
        .value_kind:     by_value
    .group_segment_fixed_size: 0
    .kernarg_segment_align: 8
    .kernarg_segment_size: 112
    .language:       OpenCL C
    .language_version:
      - 2
      - 0
    .max_flat_workgroup_size: 256
    .name:           _ZN7rocprim17ROCPRIM_400000_NS6detail17trampoline_kernelINS0_14default_configENS1_25partition_config_selectorILNS1_17partition_subalgoE8EsNS0_10empty_typeEbEEZZNS1_14partition_implILS5_8ELb0ES3_jPKsPS6_PKS6_NS0_5tupleIJPsS6_EEENSE_IJSB_SB_EEENS0_18inequality_wrapperIN6hipcub16HIPCUB_304000_NS8EqualityEEEPlJS6_EEE10hipError_tPvRmT3_T4_T5_T6_T7_T9_mT8_P12ihipStream_tbDpT10_ENKUlT_T0_E_clISt17integral_constantIbLb1EES16_IbLb0EEEEDaS12_S13_EUlS12_E_NS1_11comp_targetILNS1_3genE10ELNS1_11target_archE1200ELNS1_3gpuE4ELNS1_3repE0EEENS1_30default_config_static_selectorELNS0_4arch9wavefront6targetE0EEEvT1_
    .private_segment_fixed_size: 0
    .sgpr_count:     0
    .sgpr_spill_count: 0
    .symbol:         _ZN7rocprim17ROCPRIM_400000_NS6detail17trampoline_kernelINS0_14default_configENS1_25partition_config_selectorILNS1_17partition_subalgoE8EsNS0_10empty_typeEbEEZZNS1_14partition_implILS5_8ELb0ES3_jPKsPS6_PKS6_NS0_5tupleIJPsS6_EEENSE_IJSB_SB_EEENS0_18inequality_wrapperIN6hipcub16HIPCUB_304000_NS8EqualityEEEPlJS6_EEE10hipError_tPvRmT3_T4_T5_T6_T7_T9_mT8_P12ihipStream_tbDpT10_ENKUlT_T0_E_clISt17integral_constantIbLb1EES16_IbLb0EEEEDaS12_S13_EUlS12_E_NS1_11comp_targetILNS1_3genE10ELNS1_11target_archE1200ELNS1_3gpuE4ELNS1_3repE0EEENS1_30default_config_static_selectorELNS0_4arch9wavefront6targetE0EEEvT1_.kd
    .uniform_work_group_size: 1
    .uses_dynamic_stack: false
    .vgpr_count:     0
    .vgpr_spill_count: 0
    .wavefront_size: 32
  - .args:
      - .offset:         0
        .size:           112
        .value_kind:     by_value
    .group_segment_fixed_size: 0
    .kernarg_segment_align: 8
    .kernarg_segment_size: 112
    .language:       OpenCL C
    .language_version:
      - 2
      - 0
    .max_flat_workgroup_size: 128
    .name:           _ZN7rocprim17ROCPRIM_400000_NS6detail17trampoline_kernelINS0_14default_configENS1_25partition_config_selectorILNS1_17partition_subalgoE8EsNS0_10empty_typeEbEEZZNS1_14partition_implILS5_8ELb0ES3_jPKsPS6_PKS6_NS0_5tupleIJPsS6_EEENSE_IJSB_SB_EEENS0_18inequality_wrapperIN6hipcub16HIPCUB_304000_NS8EqualityEEEPlJS6_EEE10hipError_tPvRmT3_T4_T5_T6_T7_T9_mT8_P12ihipStream_tbDpT10_ENKUlT_T0_E_clISt17integral_constantIbLb1EES16_IbLb0EEEEDaS12_S13_EUlS12_E_NS1_11comp_targetILNS1_3genE9ELNS1_11target_archE1100ELNS1_3gpuE3ELNS1_3repE0EEENS1_30default_config_static_selectorELNS0_4arch9wavefront6targetE0EEEvT1_
    .private_segment_fixed_size: 0
    .sgpr_count:     0
    .sgpr_spill_count: 0
    .symbol:         _ZN7rocprim17ROCPRIM_400000_NS6detail17trampoline_kernelINS0_14default_configENS1_25partition_config_selectorILNS1_17partition_subalgoE8EsNS0_10empty_typeEbEEZZNS1_14partition_implILS5_8ELb0ES3_jPKsPS6_PKS6_NS0_5tupleIJPsS6_EEENSE_IJSB_SB_EEENS0_18inequality_wrapperIN6hipcub16HIPCUB_304000_NS8EqualityEEEPlJS6_EEE10hipError_tPvRmT3_T4_T5_T6_T7_T9_mT8_P12ihipStream_tbDpT10_ENKUlT_T0_E_clISt17integral_constantIbLb1EES16_IbLb0EEEEDaS12_S13_EUlS12_E_NS1_11comp_targetILNS1_3genE9ELNS1_11target_archE1100ELNS1_3gpuE3ELNS1_3repE0EEENS1_30default_config_static_selectorELNS0_4arch9wavefront6targetE0EEEvT1_.kd
    .uniform_work_group_size: 1
    .uses_dynamic_stack: false
    .vgpr_count:     0
    .vgpr_spill_count: 0
    .wavefront_size: 32
  - .args:
      - .offset:         0
        .size:           112
        .value_kind:     by_value
    .group_segment_fixed_size: 0
    .kernarg_segment_align: 8
    .kernarg_segment_size: 112
    .language:       OpenCL C
    .language_version:
      - 2
      - 0
    .max_flat_workgroup_size: 384
    .name:           _ZN7rocprim17ROCPRIM_400000_NS6detail17trampoline_kernelINS0_14default_configENS1_25partition_config_selectorILNS1_17partition_subalgoE8EsNS0_10empty_typeEbEEZZNS1_14partition_implILS5_8ELb0ES3_jPKsPS6_PKS6_NS0_5tupleIJPsS6_EEENSE_IJSB_SB_EEENS0_18inequality_wrapperIN6hipcub16HIPCUB_304000_NS8EqualityEEEPlJS6_EEE10hipError_tPvRmT3_T4_T5_T6_T7_T9_mT8_P12ihipStream_tbDpT10_ENKUlT_T0_E_clISt17integral_constantIbLb1EES16_IbLb0EEEEDaS12_S13_EUlS12_E_NS1_11comp_targetILNS1_3genE8ELNS1_11target_archE1030ELNS1_3gpuE2ELNS1_3repE0EEENS1_30default_config_static_selectorELNS0_4arch9wavefront6targetE0EEEvT1_
    .private_segment_fixed_size: 0
    .sgpr_count:     0
    .sgpr_spill_count: 0
    .symbol:         _ZN7rocprim17ROCPRIM_400000_NS6detail17trampoline_kernelINS0_14default_configENS1_25partition_config_selectorILNS1_17partition_subalgoE8EsNS0_10empty_typeEbEEZZNS1_14partition_implILS5_8ELb0ES3_jPKsPS6_PKS6_NS0_5tupleIJPsS6_EEENSE_IJSB_SB_EEENS0_18inequality_wrapperIN6hipcub16HIPCUB_304000_NS8EqualityEEEPlJS6_EEE10hipError_tPvRmT3_T4_T5_T6_T7_T9_mT8_P12ihipStream_tbDpT10_ENKUlT_T0_E_clISt17integral_constantIbLb1EES16_IbLb0EEEEDaS12_S13_EUlS12_E_NS1_11comp_targetILNS1_3genE8ELNS1_11target_archE1030ELNS1_3gpuE2ELNS1_3repE0EEENS1_30default_config_static_selectorELNS0_4arch9wavefront6targetE0EEEvT1_.kd
    .uniform_work_group_size: 1
    .uses_dynamic_stack: false
    .vgpr_count:     0
    .vgpr_spill_count: 0
    .wavefront_size: 32
  - .args:
      - .offset:         0
        .size:           128
        .value_kind:     by_value
    .group_segment_fixed_size: 15368
    .kernarg_segment_align: 8
    .kernarg_segment_size: 128
    .language:       OpenCL C
    .language_version:
      - 2
      - 0
    .max_flat_workgroup_size: 256
    .name:           _ZN7rocprim17ROCPRIM_400000_NS6detail17trampoline_kernelINS0_14default_configENS1_25partition_config_selectorILNS1_17partition_subalgoE8EsNS0_10empty_typeEbEEZZNS1_14partition_implILS5_8ELb0ES3_jPKsPS6_PKS6_NS0_5tupleIJPsS6_EEENSE_IJSB_SB_EEENS0_18inequality_wrapperIN6hipcub16HIPCUB_304000_NS8EqualityEEEPlJS6_EEE10hipError_tPvRmT3_T4_T5_T6_T7_T9_mT8_P12ihipStream_tbDpT10_ENKUlT_T0_E_clISt17integral_constantIbLb0EES16_IbLb1EEEEDaS12_S13_EUlS12_E_NS1_11comp_targetILNS1_3genE0ELNS1_11target_archE4294967295ELNS1_3gpuE0ELNS1_3repE0EEENS1_30default_config_static_selectorELNS0_4arch9wavefront6targetE0EEEvT1_
    .private_segment_fixed_size: 0
    .sgpr_count:     53
    .sgpr_spill_count: 0
    .symbol:         _ZN7rocprim17ROCPRIM_400000_NS6detail17trampoline_kernelINS0_14default_configENS1_25partition_config_selectorILNS1_17partition_subalgoE8EsNS0_10empty_typeEbEEZZNS1_14partition_implILS5_8ELb0ES3_jPKsPS6_PKS6_NS0_5tupleIJPsS6_EEENSE_IJSB_SB_EEENS0_18inequality_wrapperIN6hipcub16HIPCUB_304000_NS8EqualityEEEPlJS6_EEE10hipError_tPvRmT3_T4_T5_T6_T7_T9_mT8_P12ihipStream_tbDpT10_ENKUlT_T0_E_clISt17integral_constantIbLb0EES16_IbLb1EEEEDaS12_S13_EUlS12_E_NS1_11comp_targetILNS1_3genE0ELNS1_11target_archE4294967295ELNS1_3gpuE0ELNS1_3repE0EEENS1_30default_config_static_selectorELNS0_4arch9wavefront6targetE0EEEvT1_.kd
    .uniform_work_group_size: 1
    .uses_dynamic_stack: false
    .vgpr_count:     116
    .vgpr_spill_count: 0
    .wavefront_size: 32
  - .args:
      - .offset:         0
        .size:           128
        .value_kind:     by_value
    .group_segment_fixed_size: 0
    .kernarg_segment_align: 8
    .kernarg_segment_size: 128
    .language:       OpenCL C
    .language_version:
      - 2
      - 0
    .max_flat_workgroup_size: 512
    .name:           _ZN7rocprim17ROCPRIM_400000_NS6detail17trampoline_kernelINS0_14default_configENS1_25partition_config_selectorILNS1_17partition_subalgoE8EsNS0_10empty_typeEbEEZZNS1_14partition_implILS5_8ELb0ES3_jPKsPS6_PKS6_NS0_5tupleIJPsS6_EEENSE_IJSB_SB_EEENS0_18inequality_wrapperIN6hipcub16HIPCUB_304000_NS8EqualityEEEPlJS6_EEE10hipError_tPvRmT3_T4_T5_T6_T7_T9_mT8_P12ihipStream_tbDpT10_ENKUlT_T0_E_clISt17integral_constantIbLb0EES16_IbLb1EEEEDaS12_S13_EUlS12_E_NS1_11comp_targetILNS1_3genE5ELNS1_11target_archE942ELNS1_3gpuE9ELNS1_3repE0EEENS1_30default_config_static_selectorELNS0_4arch9wavefront6targetE0EEEvT1_
    .private_segment_fixed_size: 0
    .sgpr_count:     0
    .sgpr_spill_count: 0
    .symbol:         _ZN7rocprim17ROCPRIM_400000_NS6detail17trampoline_kernelINS0_14default_configENS1_25partition_config_selectorILNS1_17partition_subalgoE8EsNS0_10empty_typeEbEEZZNS1_14partition_implILS5_8ELb0ES3_jPKsPS6_PKS6_NS0_5tupleIJPsS6_EEENSE_IJSB_SB_EEENS0_18inequality_wrapperIN6hipcub16HIPCUB_304000_NS8EqualityEEEPlJS6_EEE10hipError_tPvRmT3_T4_T5_T6_T7_T9_mT8_P12ihipStream_tbDpT10_ENKUlT_T0_E_clISt17integral_constantIbLb0EES16_IbLb1EEEEDaS12_S13_EUlS12_E_NS1_11comp_targetILNS1_3genE5ELNS1_11target_archE942ELNS1_3gpuE9ELNS1_3repE0EEENS1_30default_config_static_selectorELNS0_4arch9wavefront6targetE0EEEvT1_.kd
    .uniform_work_group_size: 1
    .uses_dynamic_stack: false
    .vgpr_count:     0
    .vgpr_spill_count: 0
    .wavefront_size: 32
  - .args:
      - .offset:         0
        .size:           128
        .value_kind:     by_value
    .group_segment_fixed_size: 0
    .kernarg_segment_align: 8
    .kernarg_segment_size: 128
    .language:       OpenCL C
    .language_version:
      - 2
      - 0
    .max_flat_workgroup_size: 256
    .name:           _ZN7rocprim17ROCPRIM_400000_NS6detail17trampoline_kernelINS0_14default_configENS1_25partition_config_selectorILNS1_17partition_subalgoE8EsNS0_10empty_typeEbEEZZNS1_14partition_implILS5_8ELb0ES3_jPKsPS6_PKS6_NS0_5tupleIJPsS6_EEENSE_IJSB_SB_EEENS0_18inequality_wrapperIN6hipcub16HIPCUB_304000_NS8EqualityEEEPlJS6_EEE10hipError_tPvRmT3_T4_T5_T6_T7_T9_mT8_P12ihipStream_tbDpT10_ENKUlT_T0_E_clISt17integral_constantIbLb0EES16_IbLb1EEEEDaS12_S13_EUlS12_E_NS1_11comp_targetILNS1_3genE4ELNS1_11target_archE910ELNS1_3gpuE8ELNS1_3repE0EEENS1_30default_config_static_selectorELNS0_4arch9wavefront6targetE0EEEvT1_
    .private_segment_fixed_size: 0
    .sgpr_count:     0
    .sgpr_spill_count: 0
    .symbol:         _ZN7rocprim17ROCPRIM_400000_NS6detail17trampoline_kernelINS0_14default_configENS1_25partition_config_selectorILNS1_17partition_subalgoE8EsNS0_10empty_typeEbEEZZNS1_14partition_implILS5_8ELb0ES3_jPKsPS6_PKS6_NS0_5tupleIJPsS6_EEENSE_IJSB_SB_EEENS0_18inequality_wrapperIN6hipcub16HIPCUB_304000_NS8EqualityEEEPlJS6_EEE10hipError_tPvRmT3_T4_T5_T6_T7_T9_mT8_P12ihipStream_tbDpT10_ENKUlT_T0_E_clISt17integral_constantIbLb0EES16_IbLb1EEEEDaS12_S13_EUlS12_E_NS1_11comp_targetILNS1_3genE4ELNS1_11target_archE910ELNS1_3gpuE8ELNS1_3repE0EEENS1_30default_config_static_selectorELNS0_4arch9wavefront6targetE0EEEvT1_.kd
    .uniform_work_group_size: 1
    .uses_dynamic_stack: false
    .vgpr_count:     0
    .vgpr_spill_count: 0
    .wavefront_size: 32
  - .args:
      - .offset:         0
        .size:           128
        .value_kind:     by_value
    .group_segment_fixed_size: 0
    .kernarg_segment_align: 8
    .kernarg_segment_size: 128
    .language:       OpenCL C
    .language_version:
      - 2
      - 0
    .max_flat_workgroup_size: 256
    .name:           _ZN7rocprim17ROCPRIM_400000_NS6detail17trampoline_kernelINS0_14default_configENS1_25partition_config_selectorILNS1_17partition_subalgoE8EsNS0_10empty_typeEbEEZZNS1_14partition_implILS5_8ELb0ES3_jPKsPS6_PKS6_NS0_5tupleIJPsS6_EEENSE_IJSB_SB_EEENS0_18inequality_wrapperIN6hipcub16HIPCUB_304000_NS8EqualityEEEPlJS6_EEE10hipError_tPvRmT3_T4_T5_T6_T7_T9_mT8_P12ihipStream_tbDpT10_ENKUlT_T0_E_clISt17integral_constantIbLb0EES16_IbLb1EEEEDaS12_S13_EUlS12_E_NS1_11comp_targetILNS1_3genE3ELNS1_11target_archE908ELNS1_3gpuE7ELNS1_3repE0EEENS1_30default_config_static_selectorELNS0_4arch9wavefront6targetE0EEEvT1_
    .private_segment_fixed_size: 0
    .sgpr_count:     0
    .sgpr_spill_count: 0
    .symbol:         _ZN7rocprim17ROCPRIM_400000_NS6detail17trampoline_kernelINS0_14default_configENS1_25partition_config_selectorILNS1_17partition_subalgoE8EsNS0_10empty_typeEbEEZZNS1_14partition_implILS5_8ELb0ES3_jPKsPS6_PKS6_NS0_5tupleIJPsS6_EEENSE_IJSB_SB_EEENS0_18inequality_wrapperIN6hipcub16HIPCUB_304000_NS8EqualityEEEPlJS6_EEE10hipError_tPvRmT3_T4_T5_T6_T7_T9_mT8_P12ihipStream_tbDpT10_ENKUlT_T0_E_clISt17integral_constantIbLb0EES16_IbLb1EEEEDaS12_S13_EUlS12_E_NS1_11comp_targetILNS1_3genE3ELNS1_11target_archE908ELNS1_3gpuE7ELNS1_3repE0EEENS1_30default_config_static_selectorELNS0_4arch9wavefront6targetE0EEEvT1_.kd
    .uniform_work_group_size: 1
    .uses_dynamic_stack: false
    .vgpr_count:     0
    .vgpr_spill_count: 0
    .wavefront_size: 32
  - .args:
      - .offset:         0
        .size:           128
        .value_kind:     by_value
    .group_segment_fixed_size: 0
    .kernarg_segment_align: 8
    .kernarg_segment_size: 128
    .language:       OpenCL C
    .language_version:
      - 2
      - 0
    .max_flat_workgroup_size: 192
    .name:           _ZN7rocprim17ROCPRIM_400000_NS6detail17trampoline_kernelINS0_14default_configENS1_25partition_config_selectorILNS1_17partition_subalgoE8EsNS0_10empty_typeEbEEZZNS1_14partition_implILS5_8ELb0ES3_jPKsPS6_PKS6_NS0_5tupleIJPsS6_EEENSE_IJSB_SB_EEENS0_18inequality_wrapperIN6hipcub16HIPCUB_304000_NS8EqualityEEEPlJS6_EEE10hipError_tPvRmT3_T4_T5_T6_T7_T9_mT8_P12ihipStream_tbDpT10_ENKUlT_T0_E_clISt17integral_constantIbLb0EES16_IbLb1EEEEDaS12_S13_EUlS12_E_NS1_11comp_targetILNS1_3genE2ELNS1_11target_archE906ELNS1_3gpuE6ELNS1_3repE0EEENS1_30default_config_static_selectorELNS0_4arch9wavefront6targetE0EEEvT1_
    .private_segment_fixed_size: 0
    .sgpr_count:     0
    .sgpr_spill_count: 0
    .symbol:         _ZN7rocprim17ROCPRIM_400000_NS6detail17trampoline_kernelINS0_14default_configENS1_25partition_config_selectorILNS1_17partition_subalgoE8EsNS0_10empty_typeEbEEZZNS1_14partition_implILS5_8ELb0ES3_jPKsPS6_PKS6_NS0_5tupleIJPsS6_EEENSE_IJSB_SB_EEENS0_18inequality_wrapperIN6hipcub16HIPCUB_304000_NS8EqualityEEEPlJS6_EEE10hipError_tPvRmT3_T4_T5_T6_T7_T9_mT8_P12ihipStream_tbDpT10_ENKUlT_T0_E_clISt17integral_constantIbLb0EES16_IbLb1EEEEDaS12_S13_EUlS12_E_NS1_11comp_targetILNS1_3genE2ELNS1_11target_archE906ELNS1_3gpuE6ELNS1_3repE0EEENS1_30default_config_static_selectorELNS0_4arch9wavefront6targetE0EEEvT1_.kd
    .uniform_work_group_size: 1
    .uses_dynamic_stack: false
    .vgpr_count:     0
    .vgpr_spill_count: 0
    .wavefront_size: 32
  - .args:
      - .offset:         0
        .size:           128
        .value_kind:     by_value
    .group_segment_fixed_size: 0
    .kernarg_segment_align: 8
    .kernarg_segment_size: 128
    .language:       OpenCL C
    .language_version:
      - 2
      - 0
    .max_flat_workgroup_size: 256
    .name:           _ZN7rocprim17ROCPRIM_400000_NS6detail17trampoline_kernelINS0_14default_configENS1_25partition_config_selectorILNS1_17partition_subalgoE8EsNS0_10empty_typeEbEEZZNS1_14partition_implILS5_8ELb0ES3_jPKsPS6_PKS6_NS0_5tupleIJPsS6_EEENSE_IJSB_SB_EEENS0_18inequality_wrapperIN6hipcub16HIPCUB_304000_NS8EqualityEEEPlJS6_EEE10hipError_tPvRmT3_T4_T5_T6_T7_T9_mT8_P12ihipStream_tbDpT10_ENKUlT_T0_E_clISt17integral_constantIbLb0EES16_IbLb1EEEEDaS12_S13_EUlS12_E_NS1_11comp_targetILNS1_3genE10ELNS1_11target_archE1200ELNS1_3gpuE4ELNS1_3repE0EEENS1_30default_config_static_selectorELNS0_4arch9wavefront6targetE0EEEvT1_
    .private_segment_fixed_size: 0
    .sgpr_count:     0
    .sgpr_spill_count: 0
    .symbol:         _ZN7rocprim17ROCPRIM_400000_NS6detail17trampoline_kernelINS0_14default_configENS1_25partition_config_selectorILNS1_17partition_subalgoE8EsNS0_10empty_typeEbEEZZNS1_14partition_implILS5_8ELb0ES3_jPKsPS6_PKS6_NS0_5tupleIJPsS6_EEENSE_IJSB_SB_EEENS0_18inequality_wrapperIN6hipcub16HIPCUB_304000_NS8EqualityEEEPlJS6_EEE10hipError_tPvRmT3_T4_T5_T6_T7_T9_mT8_P12ihipStream_tbDpT10_ENKUlT_T0_E_clISt17integral_constantIbLb0EES16_IbLb1EEEEDaS12_S13_EUlS12_E_NS1_11comp_targetILNS1_3genE10ELNS1_11target_archE1200ELNS1_3gpuE4ELNS1_3repE0EEENS1_30default_config_static_selectorELNS0_4arch9wavefront6targetE0EEEvT1_.kd
    .uniform_work_group_size: 1
    .uses_dynamic_stack: false
    .vgpr_count:     0
    .vgpr_spill_count: 0
    .wavefront_size: 32
  - .args:
      - .offset:         0
        .size:           128
        .value_kind:     by_value
    .group_segment_fixed_size: 0
    .kernarg_segment_align: 8
    .kernarg_segment_size: 128
    .language:       OpenCL C
    .language_version:
      - 2
      - 0
    .max_flat_workgroup_size: 128
    .name:           _ZN7rocprim17ROCPRIM_400000_NS6detail17trampoline_kernelINS0_14default_configENS1_25partition_config_selectorILNS1_17partition_subalgoE8EsNS0_10empty_typeEbEEZZNS1_14partition_implILS5_8ELb0ES3_jPKsPS6_PKS6_NS0_5tupleIJPsS6_EEENSE_IJSB_SB_EEENS0_18inequality_wrapperIN6hipcub16HIPCUB_304000_NS8EqualityEEEPlJS6_EEE10hipError_tPvRmT3_T4_T5_T6_T7_T9_mT8_P12ihipStream_tbDpT10_ENKUlT_T0_E_clISt17integral_constantIbLb0EES16_IbLb1EEEEDaS12_S13_EUlS12_E_NS1_11comp_targetILNS1_3genE9ELNS1_11target_archE1100ELNS1_3gpuE3ELNS1_3repE0EEENS1_30default_config_static_selectorELNS0_4arch9wavefront6targetE0EEEvT1_
    .private_segment_fixed_size: 0
    .sgpr_count:     0
    .sgpr_spill_count: 0
    .symbol:         _ZN7rocprim17ROCPRIM_400000_NS6detail17trampoline_kernelINS0_14default_configENS1_25partition_config_selectorILNS1_17partition_subalgoE8EsNS0_10empty_typeEbEEZZNS1_14partition_implILS5_8ELb0ES3_jPKsPS6_PKS6_NS0_5tupleIJPsS6_EEENSE_IJSB_SB_EEENS0_18inequality_wrapperIN6hipcub16HIPCUB_304000_NS8EqualityEEEPlJS6_EEE10hipError_tPvRmT3_T4_T5_T6_T7_T9_mT8_P12ihipStream_tbDpT10_ENKUlT_T0_E_clISt17integral_constantIbLb0EES16_IbLb1EEEEDaS12_S13_EUlS12_E_NS1_11comp_targetILNS1_3genE9ELNS1_11target_archE1100ELNS1_3gpuE3ELNS1_3repE0EEENS1_30default_config_static_selectorELNS0_4arch9wavefront6targetE0EEEvT1_.kd
    .uniform_work_group_size: 1
    .uses_dynamic_stack: false
    .vgpr_count:     0
    .vgpr_spill_count: 0
    .wavefront_size: 32
  - .args:
      - .offset:         0
        .size:           128
        .value_kind:     by_value
    .group_segment_fixed_size: 0
    .kernarg_segment_align: 8
    .kernarg_segment_size: 128
    .language:       OpenCL C
    .language_version:
      - 2
      - 0
    .max_flat_workgroup_size: 384
    .name:           _ZN7rocprim17ROCPRIM_400000_NS6detail17trampoline_kernelINS0_14default_configENS1_25partition_config_selectorILNS1_17partition_subalgoE8EsNS0_10empty_typeEbEEZZNS1_14partition_implILS5_8ELb0ES3_jPKsPS6_PKS6_NS0_5tupleIJPsS6_EEENSE_IJSB_SB_EEENS0_18inequality_wrapperIN6hipcub16HIPCUB_304000_NS8EqualityEEEPlJS6_EEE10hipError_tPvRmT3_T4_T5_T6_T7_T9_mT8_P12ihipStream_tbDpT10_ENKUlT_T0_E_clISt17integral_constantIbLb0EES16_IbLb1EEEEDaS12_S13_EUlS12_E_NS1_11comp_targetILNS1_3genE8ELNS1_11target_archE1030ELNS1_3gpuE2ELNS1_3repE0EEENS1_30default_config_static_selectorELNS0_4arch9wavefront6targetE0EEEvT1_
    .private_segment_fixed_size: 0
    .sgpr_count:     0
    .sgpr_spill_count: 0
    .symbol:         _ZN7rocprim17ROCPRIM_400000_NS6detail17trampoline_kernelINS0_14default_configENS1_25partition_config_selectorILNS1_17partition_subalgoE8EsNS0_10empty_typeEbEEZZNS1_14partition_implILS5_8ELb0ES3_jPKsPS6_PKS6_NS0_5tupleIJPsS6_EEENSE_IJSB_SB_EEENS0_18inequality_wrapperIN6hipcub16HIPCUB_304000_NS8EqualityEEEPlJS6_EEE10hipError_tPvRmT3_T4_T5_T6_T7_T9_mT8_P12ihipStream_tbDpT10_ENKUlT_T0_E_clISt17integral_constantIbLb0EES16_IbLb1EEEEDaS12_S13_EUlS12_E_NS1_11comp_targetILNS1_3genE8ELNS1_11target_archE1030ELNS1_3gpuE2ELNS1_3repE0EEENS1_30default_config_static_selectorELNS0_4arch9wavefront6targetE0EEEvT1_.kd
    .uniform_work_group_size: 1
    .uses_dynamic_stack: false
    .vgpr_count:     0
    .vgpr_spill_count: 0
    .wavefront_size: 32
  - .args:
      - .offset:         0
        .size:           128
        .value_kind:     by_value
    .group_segment_fixed_size: 20480
    .kernarg_segment_align: 8
    .kernarg_segment_size: 128
    .language:       OpenCL C
    .language_version:
      - 2
      - 0
    .max_flat_workgroup_size: 512
    .name:           _ZN7rocprim17ROCPRIM_400000_NS6detail17trampoline_kernelINS0_14default_configENS1_33run_length_encode_config_selectorIsjNS0_4plusIjEEEEZZNS1_33reduce_by_key_impl_wrapped_configILNS1_25lookback_scan_determinismE0ES3_S7_PKsNS0_17constant_iteratorIjlEEPsPlSF_S6_NS0_8equal_toIsEEEE10hipError_tPvRmT2_T3_mT4_T5_T6_T7_T8_P12ihipStream_tbENKUlT_T0_E_clISt17integral_constantIbLb0EESZ_EEDaSU_SV_EUlSU_E_NS1_11comp_targetILNS1_3genE0ELNS1_11target_archE4294967295ELNS1_3gpuE0ELNS1_3repE0EEENS1_30default_config_static_selectorELNS0_4arch9wavefront6targetE0EEEvT1_
    .private_segment_fixed_size: 0
    .sgpr_count:     36
    .sgpr_spill_count: 0
    .symbol:         _ZN7rocprim17ROCPRIM_400000_NS6detail17trampoline_kernelINS0_14default_configENS1_33run_length_encode_config_selectorIsjNS0_4plusIjEEEEZZNS1_33reduce_by_key_impl_wrapped_configILNS1_25lookback_scan_determinismE0ES3_S7_PKsNS0_17constant_iteratorIjlEEPsPlSF_S6_NS0_8equal_toIsEEEE10hipError_tPvRmT2_T3_mT4_T5_T6_T7_T8_P12ihipStream_tbENKUlT_T0_E_clISt17integral_constantIbLb0EESZ_EEDaSU_SV_EUlSU_E_NS1_11comp_targetILNS1_3genE0ELNS1_11target_archE4294967295ELNS1_3gpuE0ELNS1_3repE0EEENS1_30default_config_static_selectorELNS0_4arch9wavefront6targetE0EEEvT1_.kd
    .uniform_work_group_size: 1
    .uses_dynamic_stack: false
    .vgpr_count:     96
    .vgpr_spill_count: 0
    .wavefront_size: 32
  - .args:
      - .offset:         0
        .size:           128
        .value_kind:     by_value
    .group_segment_fixed_size: 0
    .kernarg_segment_align: 8
    .kernarg_segment_size: 128
    .language:       OpenCL C
    .language_version:
      - 2
      - 0
    .max_flat_workgroup_size: 512
    .name:           _ZN7rocprim17ROCPRIM_400000_NS6detail17trampoline_kernelINS0_14default_configENS1_33run_length_encode_config_selectorIsjNS0_4plusIjEEEEZZNS1_33reduce_by_key_impl_wrapped_configILNS1_25lookback_scan_determinismE0ES3_S7_PKsNS0_17constant_iteratorIjlEEPsPlSF_S6_NS0_8equal_toIsEEEE10hipError_tPvRmT2_T3_mT4_T5_T6_T7_T8_P12ihipStream_tbENKUlT_T0_E_clISt17integral_constantIbLb0EESZ_EEDaSU_SV_EUlSU_E_NS1_11comp_targetILNS1_3genE5ELNS1_11target_archE942ELNS1_3gpuE9ELNS1_3repE0EEENS1_30default_config_static_selectorELNS0_4arch9wavefront6targetE0EEEvT1_
    .private_segment_fixed_size: 0
    .sgpr_count:     0
    .sgpr_spill_count: 0
    .symbol:         _ZN7rocprim17ROCPRIM_400000_NS6detail17trampoline_kernelINS0_14default_configENS1_33run_length_encode_config_selectorIsjNS0_4plusIjEEEEZZNS1_33reduce_by_key_impl_wrapped_configILNS1_25lookback_scan_determinismE0ES3_S7_PKsNS0_17constant_iteratorIjlEEPsPlSF_S6_NS0_8equal_toIsEEEE10hipError_tPvRmT2_T3_mT4_T5_T6_T7_T8_P12ihipStream_tbENKUlT_T0_E_clISt17integral_constantIbLb0EESZ_EEDaSU_SV_EUlSU_E_NS1_11comp_targetILNS1_3genE5ELNS1_11target_archE942ELNS1_3gpuE9ELNS1_3repE0EEENS1_30default_config_static_selectorELNS0_4arch9wavefront6targetE0EEEvT1_.kd
    .uniform_work_group_size: 1
    .uses_dynamic_stack: false
    .vgpr_count:     0
    .vgpr_spill_count: 0
    .wavefront_size: 32
  - .args:
      - .offset:         0
        .size:           128
        .value_kind:     by_value
    .group_segment_fixed_size: 0
    .kernarg_segment_align: 8
    .kernarg_segment_size: 128
    .language:       OpenCL C
    .language_version:
      - 2
      - 0
    .max_flat_workgroup_size: 192
    .name:           _ZN7rocprim17ROCPRIM_400000_NS6detail17trampoline_kernelINS0_14default_configENS1_33run_length_encode_config_selectorIsjNS0_4plusIjEEEEZZNS1_33reduce_by_key_impl_wrapped_configILNS1_25lookback_scan_determinismE0ES3_S7_PKsNS0_17constant_iteratorIjlEEPsPlSF_S6_NS0_8equal_toIsEEEE10hipError_tPvRmT2_T3_mT4_T5_T6_T7_T8_P12ihipStream_tbENKUlT_T0_E_clISt17integral_constantIbLb0EESZ_EEDaSU_SV_EUlSU_E_NS1_11comp_targetILNS1_3genE4ELNS1_11target_archE910ELNS1_3gpuE8ELNS1_3repE0EEENS1_30default_config_static_selectorELNS0_4arch9wavefront6targetE0EEEvT1_
    .private_segment_fixed_size: 0
    .sgpr_count:     0
    .sgpr_spill_count: 0
    .symbol:         _ZN7rocprim17ROCPRIM_400000_NS6detail17trampoline_kernelINS0_14default_configENS1_33run_length_encode_config_selectorIsjNS0_4plusIjEEEEZZNS1_33reduce_by_key_impl_wrapped_configILNS1_25lookback_scan_determinismE0ES3_S7_PKsNS0_17constant_iteratorIjlEEPsPlSF_S6_NS0_8equal_toIsEEEE10hipError_tPvRmT2_T3_mT4_T5_T6_T7_T8_P12ihipStream_tbENKUlT_T0_E_clISt17integral_constantIbLb0EESZ_EEDaSU_SV_EUlSU_E_NS1_11comp_targetILNS1_3genE4ELNS1_11target_archE910ELNS1_3gpuE8ELNS1_3repE0EEENS1_30default_config_static_selectorELNS0_4arch9wavefront6targetE0EEEvT1_.kd
    .uniform_work_group_size: 1
    .uses_dynamic_stack: false
    .vgpr_count:     0
    .vgpr_spill_count: 0
    .wavefront_size: 32
  - .args:
      - .offset:         0
        .size:           128
        .value_kind:     by_value
    .group_segment_fixed_size: 0
    .kernarg_segment_align: 8
    .kernarg_segment_size: 128
    .language:       OpenCL C
    .language_version:
      - 2
      - 0
    .max_flat_workgroup_size: 512
    .name:           _ZN7rocprim17ROCPRIM_400000_NS6detail17trampoline_kernelINS0_14default_configENS1_33run_length_encode_config_selectorIsjNS0_4plusIjEEEEZZNS1_33reduce_by_key_impl_wrapped_configILNS1_25lookback_scan_determinismE0ES3_S7_PKsNS0_17constant_iteratorIjlEEPsPlSF_S6_NS0_8equal_toIsEEEE10hipError_tPvRmT2_T3_mT4_T5_T6_T7_T8_P12ihipStream_tbENKUlT_T0_E_clISt17integral_constantIbLb0EESZ_EEDaSU_SV_EUlSU_E_NS1_11comp_targetILNS1_3genE3ELNS1_11target_archE908ELNS1_3gpuE7ELNS1_3repE0EEENS1_30default_config_static_selectorELNS0_4arch9wavefront6targetE0EEEvT1_
    .private_segment_fixed_size: 0
    .sgpr_count:     0
    .sgpr_spill_count: 0
    .symbol:         _ZN7rocprim17ROCPRIM_400000_NS6detail17trampoline_kernelINS0_14default_configENS1_33run_length_encode_config_selectorIsjNS0_4plusIjEEEEZZNS1_33reduce_by_key_impl_wrapped_configILNS1_25lookback_scan_determinismE0ES3_S7_PKsNS0_17constant_iteratorIjlEEPsPlSF_S6_NS0_8equal_toIsEEEE10hipError_tPvRmT2_T3_mT4_T5_T6_T7_T8_P12ihipStream_tbENKUlT_T0_E_clISt17integral_constantIbLb0EESZ_EEDaSU_SV_EUlSU_E_NS1_11comp_targetILNS1_3genE3ELNS1_11target_archE908ELNS1_3gpuE7ELNS1_3repE0EEENS1_30default_config_static_selectorELNS0_4arch9wavefront6targetE0EEEvT1_.kd
    .uniform_work_group_size: 1
    .uses_dynamic_stack: false
    .vgpr_count:     0
    .vgpr_spill_count: 0
    .wavefront_size: 32
  - .args:
      - .offset:         0
        .size:           128
        .value_kind:     by_value
    .group_segment_fixed_size: 0
    .kernarg_segment_align: 8
    .kernarg_segment_size: 128
    .language:       OpenCL C
    .language_version:
      - 2
      - 0
    .max_flat_workgroup_size: 256
    .name:           _ZN7rocprim17ROCPRIM_400000_NS6detail17trampoline_kernelINS0_14default_configENS1_33run_length_encode_config_selectorIsjNS0_4plusIjEEEEZZNS1_33reduce_by_key_impl_wrapped_configILNS1_25lookback_scan_determinismE0ES3_S7_PKsNS0_17constant_iteratorIjlEEPsPlSF_S6_NS0_8equal_toIsEEEE10hipError_tPvRmT2_T3_mT4_T5_T6_T7_T8_P12ihipStream_tbENKUlT_T0_E_clISt17integral_constantIbLb0EESZ_EEDaSU_SV_EUlSU_E_NS1_11comp_targetILNS1_3genE2ELNS1_11target_archE906ELNS1_3gpuE6ELNS1_3repE0EEENS1_30default_config_static_selectorELNS0_4arch9wavefront6targetE0EEEvT1_
    .private_segment_fixed_size: 0
    .sgpr_count:     0
    .sgpr_spill_count: 0
    .symbol:         _ZN7rocprim17ROCPRIM_400000_NS6detail17trampoline_kernelINS0_14default_configENS1_33run_length_encode_config_selectorIsjNS0_4plusIjEEEEZZNS1_33reduce_by_key_impl_wrapped_configILNS1_25lookback_scan_determinismE0ES3_S7_PKsNS0_17constant_iteratorIjlEEPsPlSF_S6_NS0_8equal_toIsEEEE10hipError_tPvRmT2_T3_mT4_T5_T6_T7_T8_P12ihipStream_tbENKUlT_T0_E_clISt17integral_constantIbLb0EESZ_EEDaSU_SV_EUlSU_E_NS1_11comp_targetILNS1_3genE2ELNS1_11target_archE906ELNS1_3gpuE6ELNS1_3repE0EEENS1_30default_config_static_selectorELNS0_4arch9wavefront6targetE0EEEvT1_.kd
    .uniform_work_group_size: 1
    .uses_dynamic_stack: false
    .vgpr_count:     0
    .vgpr_spill_count: 0
    .wavefront_size: 32
  - .args:
      - .offset:         0
        .size:           128
        .value_kind:     by_value
    .group_segment_fixed_size: 0
    .kernarg_segment_align: 8
    .kernarg_segment_size: 128
    .language:       OpenCL C
    .language_version:
      - 2
      - 0
    .max_flat_workgroup_size: 512
    .name:           _ZN7rocprim17ROCPRIM_400000_NS6detail17trampoline_kernelINS0_14default_configENS1_33run_length_encode_config_selectorIsjNS0_4plusIjEEEEZZNS1_33reduce_by_key_impl_wrapped_configILNS1_25lookback_scan_determinismE0ES3_S7_PKsNS0_17constant_iteratorIjlEEPsPlSF_S6_NS0_8equal_toIsEEEE10hipError_tPvRmT2_T3_mT4_T5_T6_T7_T8_P12ihipStream_tbENKUlT_T0_E_clISt17integral_constantIbLb0EESZ_EEDaSU_SV_EUlSU_E_NS1_11comp_targetILNS1_3genE10ELNS1_11target_archE1201ELNS1_3gpuE5ELNS1_3repE0EEENS1_30default_config_static_selectorELNS0_4arch9wavefront6targetE0EEEvT1_
    .private_segment_fixed_size: 0
    .sgpr_count:     0
    .sgpr_spill_count: 0
    .symbol:         _ZN7rocprim17ROCPRIM_400000_NS6detail17trampoline_kernelINS0_14default_configENS1_33run_length_encode_config_selectorIsjNS0_4plusIjEEEEZZNS1_33reduce_by_key_impl_wrapped_configILNS1_25lookback_scan_determinismE0ES3_S7_PKsNS0_17constant_iteratorIjlEEPsPlSF_S6_NS0_8equal_toIsEEEE10hipError_tPvRmT2_T3_mT4_T5_T6_T7_T8_P12ihipStream_tbENKUlT_T0_E_clISt17integral_constantIbLb0EESZ_EEDaSU_SV_EUlSU_E_NS1_11comp_targetILNS1_3genE10ELNS1_11target_archE1201ELNS1_3gpuE5ELNS1_3repE0EEENS1_30default_config_static_selectorELNS0_4arch9wavefront6targetE0EEEvT1_.kd
    .uniform_work_group_size: 1
    .uses_dynamic_stack: false
    .vgpr_count:     0
    .vgpr_spill_count: 0
    .wavefront_size: 32
  - .args:
      - .offset:         0
        .size:           128
        .value_kind:     by_value
    .group_segment_fixed_size: 0
    .kernarg_segment_align: 8
    .kernarg_segment_size: 128
    .language:       OpenCL C
    .language_version:
      - 2
      - 0
    .max_flat_workgroup_size: 384
    .name:           _ZN7rocprim17ROCPRIM_400000_NS6detail17trampoline_kernelINS0_14default_configENS1_33run_length_encode_config_selectorIsjNS0_4plusIjEEEEZZNS1_33reduce_by_key_impl_wrapped_configILNS1_25lookback_scan_determinismE0ES3_S7_PKsNS0_17constant_iteratorIjlEEPsPlSF_S6_NS0_8equal_toIsEEEE10hipError_tPvRmT2_T3_mT4_T5_T6_T7_T8_P12ihipStream_tbENKUlT_T0_E_clISt17integral_constantIbLb0EESZ_EEDaSU_SV_EUlSU_E_NS1_11comp_targetILNS1_3genE10ELNS1_11target_archE1200ELNS1_3gpuE4ELNS1_3repE0EEENS1_30default_config_static_selectorELNS0_4arch9wavefront6targetE0EEEvT1_
    .private_segment_fixed_size: 0
    .sgpr_count:     0
    .sgpr_spill_count: 0
    .symbol:         _ZN7rocprim17ROCPRIM_400000_NS6detail17trampoline_kernelINS0_14default_configENS1_33run_length_encode_config_selectorIsjNS0_4plusIjEEEEZZNS1_33reduce_by_key_impl_wrapped_configILNS1_25lookback_scan_determinismE0ES3_S7_PKsNS0_17constant_iteratorIjlEEPsPlSF_S6_NS0_8equal_toIsEEEE10hipError_tPvRmT2_T3_mT4_T5_T6_T7_T8_P12ihipStream_tbENKUlT_T0_E_clISt17integral_constantIbLb0EESZ_EEDaSU_SV_EUlSU_E_NS1_11comp_targetILNS1_3genE10ELNS1_11target_archE1200ELNS1_3gpuE4ELNS1_3repE0EEENS1_30default_config_static_selectorELNS0_4arch9wavefront6targetE0EEEvT1_.kd
    .uniform_work_group_size: 1
    .uses_dynamic_stack: false
    .vgpr_count:     0
    .vgpr_spill_count: 0
    .wavefront_size: 32
  - .args:
      - .offset:         0
        .size:           128
        .value_kind:     by_value
    .group_segment_fixed_size: 0
    .kernarg_segment_align: 8
    .kernarg_segment_size: 128
    .language:       OpenCL C
    .language_version:
      - 2
      - 0
    .max_flat_workgroup_size: 512
    .name:           _ZN7rocprim17ROCPRIM_400000_NS6detail17trampoline_kernelINS0_14default_configENS1_33run_length_encode_config_selectorIsjNS0_4plusIjEEEEZZNS1_33reduce_by_key_impl_wrapped_configILNS1_25lookback_scan_determinismE0ES3_S7_PKsNS0_17constant_iteratorIjlEEPsPlSF_S6_NS0_8equal_toIsEEEE10hipError_tPvRmT2_T3_mT4_T5_T6_T7_T8_P12ihipStream_tbENKUlT_T0_E_clISt17integral_constantIbLb0EESZ_EEDaSU_SV_EUlSU_E_NS1_11comp_targetILNS1_3genE9ELNS1_11target_archE1100ELNS1_3gpuE3ELNS1_3repE0EEENS1_30default_config_static_selectorELNS0_4arch9wavefront6targetE0EEEvT1_
    .private_segment_fixed_size: 0
    .sgpr_count:     0
    .sgpr_spill_count: 0
    .symbol:         _ZN7rocprim17ROCPRIM_400000_NS6detail17trampoline_kernelINS0_14default_configENS1_33run_length_encode_config_selectorIsjNS0_4plusIjEEEEZZNS1_33reduce_by_key_impl_wrapped_configILNS1_25lookback_scan_determinismE0ES3_S7_PKsNS0_17constant_iteratorIjlEEPsPlSF_S6_NS0_8equal_toIsEEEE10hipError_tPvRmT2_T3_mT4_T5_T6_T7_T8_P12ihipStream_tbENKUlT_T0_E_clISt17integral_constantIbLb0EESZ_EEDaSU_SV_EUlSU_E_NS1_11comp_targetILNS1_3genE9ELNS1_11target_archE1100ELNS1_3gpuE3ELNS1_3repE0EEENS1_30default_config_static_selectorELNS0_4arch9wavefront6targetE0EEEvT1_.kd
    .uniform_work_group_size: 1
    .uses_dynamic_stack: false
    .vgpr_count:     0
    .vgpr_spill_count: 0
    .wavefront_size: 32
  - .args:
      - .offset:         0
        .size:           128
        .value_kind:     by_value
    .group_segment_fixed_size: 0
    .kernarg_segment_align: 8
    .kernarg_segment_size: 128
    .language:       OpenCL C
    .language_version:
      - 2
      - 0
    .max_flat_workgroup_size: 384
    .name:           _ZN7rocprim17ROCPRIM_400000_NS6detail17trampoline_kernelINS0_14default_configENS1_33run_length_encode_config_selectorIsjNS0_4plusIjEEEEZZNS1_33reduce_by_key_impl_wrapped_configILNS1_25lookback_scan_determinismE0ES3_S7_PKsNS0_17constant_iteratorIjlEEPsPlSF_S6_NS0_8equal_toIsEEEE10hipError_tPvRmT2_T3_mT4_T5_T6_T7_T8_P12ihipStream_tbENKUlT_T0_E_clISt17integral_constantIbLb0EESZ_EEDaSU_SV_EUlSU_E_NS1_11comp_targetILNS1_3genE8ELNS1_11target_archE1030ELNS1_3gpuE2ELNS1_3repE0EEENS1_30default_config_static_selectorELNS0_4arch9wavefront6targetE0EEEvT1_
    .private_segment_fixed_size: 0
    .sgpr_count:     0
    .sgpr_spill_count: 0
    .symbol:         _ZN7rocprim17ROCPRIM_400000_NS6detail17trampoline_kernelINS0_14default_configENS1_33run_length_encode_config_selectorIsjNS0_4plusIjEEEEZZNS1_33reduce_by_key_impl_wrapped_configILNS1_25lookback_scan_determinismE0ES3_S7_PKsNS0_17constant_iteratorIjlEEPsPlSF_S6_NS0_8equal_toIsEEEE10hipError_tPvRmT2_T3_mT4_T5_T6_T7_T8_P12ihipStream_tbENKUlT_T0_E_clISt17integral_constantIbLb0EESZ_EEDaSU_SV_EUlSU_E_NS1_11comp_targetILNS1_3genE8ELNS1_11target_archE1030ELNS1_3gpuE2ELNS1_3repE0EEENS1_30default_config_static_selectorELNS0_4arch9wavefront6targetE0EEEvT1_.kd
    .uniform_work_group_size: 1
    .uses_dynamic_stack: false
    .vgpr_count:     0
    .vgpr_spill_count: 0
    .wavefront_size: 32
  - .args:
      - .offset:         0
        .size:           128
        .value_kind:     by_value
    .group_segment_fixed_size: 0
    .kernarg_segment_align: 8
    .kernarg_segment_size: 128
    .language:       OpenCL C
    .language_version:
      - 2
      - 0
    .max_flat_workgroup_size: 512
    .name:           _ZN7rocprim17ROCPRIM_400000_NS6detail17trampoline_kernelINS0_14default_configENS1_33run_length_encode_config_selectorIsjNS0_4plusIjEEEEZZNS1_33reduce_by_key_impl_wrapped_configILNS1_25lookback_scan_determinismE0ES3_S7_PKsNS0_17constant_iteratorIjlEEPsPlSF_S6_NS0_8equal_toIsEEEE10hipError_tPvRmT2_T3_mT4_T5_T6_T7_T8_P12ihipStream_tbENKUlT_T0_E_clISt17integral_constantIbLb1EESZ_EEDaSU_SV_EUlSU_E_NS1_11comp_targetILNS1_3genE0ELNS1_11target_archE4294967295ELNS1_3gpuE0ELNS1_3repE0EEENS1_30default_config_static_selectorELNS0_4arch9wavefront6targetE0EEEvT1_
    .private_segment_fixed_size: 0
    .sgpr_count:     0
    .sgpr_spill_count: 0
    .symbol:         _ZN7rocprim17ROCPRIM_400000_NS6detail17trampoline_kernelINS0_14default_configENS1_33run_length_encode_config_selectorIsjNS0_4plusIjEEEEZZNS1_33reduce_by_key_impl_wrapped_configILNS1_25lookback_scan_determinismE0ES3_S7_PKsNS0_17constant_iteratorIjlEEPsPlSF_S6_NS0_8equal_toIsEEEE10hipError_tPvRmT2_T3_mT4_T5_T6_T7_T8_P12ihipStream_tbENKUlT_T0_E_clISt17integral_constantIbLb1EESZ_EEDaSU_SV_EUlSU_E_NS1_11comp_targetILNS1_3genE0ELNS1_11target_archE4294967295ELNS1_3gpuE0ELNS1_3repE0EEENS1_30default_config_static_selectorELNS0_4arch9wavefront6targetE0EEEvT1_.kd
    .uniform_work_group_size: 1
    .uses_dynamic_stack: false
    .vgpr_count:     0
    .vgpr_spill_count: 0
    .wavefront_size: 32
  - .args:
      - .offset:         0
        .size:           128
        .value_kind:     by_value
    .group_segment_fixed_size: 0
    .kernarg_segment_align: 8
    .kernarg_segment_size: 128
    .language:       OpenCL C
    .language_version:
      - 2
      - 0
    .max_flat_workgroup_size: 512
    .name:           _ZN7rocprim17ROCPRIM_400000_NS6detail17trampoline_kernelINS0_14default_configENS1_33run_length_encode_config_selectorIsjNS0_4plusIjEEEEZZNS1_33reduce_by_key_impl_wrapped_configILNS1_25lookback_scan_determinismE0ES3_S7_PKsNS0_17constant_iteratorIjlEEPsPlSF_S6_NS0_8equal_toIsEEEE10hipError_tPvRmT2_T3_mT4_T5_T6_T7_T8_P12ihipStream_tbENKUlT_T0_E_clISt17integral_constantIbLb1EESZ_EEDaSU_SV_EUlSU_E_NS1_11comp_targetILNS1_3genE5ELNS1_11target_archE942ELNS1_3gpuE9ELNS1_3repE0EEENS1_30default_config_static_selectorELNS0_4arch9wavefront6targetE0EEEvT1_
    .private_segment_fixed_size: 0
    .sgpr_count:     0
    .sgpr_spill_count: 0
    .symbol:         _ZN7rocprim17ROCPRIM_400000_NS6detail17trampoline_kernelINS0_14default_configENS1_33run_length_encode_config_selectorIsjNS0_4plusIjEEEEZZNS1_33reduce_by_key_impl_wrapped_configILNS1_25lookback_scan_determinismE0ES3_S7_PKsNS0_17constant_iteratorIjlEEPsPlSF_S6_NS0_8equal_toIsEEEE10hipError_tPvRmT2_T3_mT4_T5_T6_T7_T8_P12ihipStream_tbENKUlT_T0_E_clISt17integral_constantIbLb1EESZ_EEDaSU_SV_EUlSU_E_NS1_11comp_targetILNS1_3genE5ELNS1_11target_archE942ELNS1_3gpuE9ELNS1_3repE0EEENS1_30default_config_static_selectorELNS0_4arch9wavefront6targetE0EEEvT1_.kd
    .uniform_work_group_size: 1
    .uses_dynamic_stack: false
    .vgpr_count:     0
    .vgpr_spill_count: 0
    .wavefront_size: 32
  - .args:
      - .offset:         0
        .size:           128
        .value_kind:     by_value
    .group_segment_fixed_size: 0
    .kernarg_segment_align: 8
    .kernarg_segment_size: 128
    .language:       OpenCL C
    .language_version:
      - 2
      - 0
    .max_flat_workgroup_size: 192
    .name:           _ZN7rocprim17ROCPRIM_400000_NS6detail17trampoline_kernelINS0_14default_configENS1_33run_length_encode_config_selectorIsjNS0_4plusIjEEEEZZNS1_33reduce_by_key_impl_wrapped_configILNS1_25lookback_scan_determinismE0ES3_S7_PKsNS0_17constant_iteratorIjlEEPsPlSF_S6_NS0_8equal_toIsEEEE10hipError_tPvRmT2_T3_mT4_T5_T6_T7_T8_P12ihipStream_tbENKUlT_T0_E_clISt17integral_constantIbLb1EESZ_EEDaSU_SV_EUlSU_E_NS1_11comp_targetILNS1_3genE4ELNS1_11target_archE910ELNS1_3gpuE8ELNS1_3repE0EEENS1_30default_config_static_selectorELNS0_4arch9wavefront6targetE0EEEvT1_
    .private_segment_fixed_size: 0
    .sgpr_count:     0
    .sgpr_spill_count: 0
    .symbol:         _ZN7rocprim17ROCPRIM_400000_NS6detail17trampoline_kernelINS0_14default_configENS1_33run_length_encode_config_selectorIsjNS0_4plusIjEEEEZZNS1_33reduce_by_key_impl_wrapped_configILNS1_25lookback_scan_determinismE0ES3_S7_PKsNS0_17constant_iteratorIjlEEPsPlSF_S6_NS0_8equal_toIsEEEE10hipError_tPvRmT2_T3_mT4_T5_T6_T7_T8_P12ihipStream_tbENKUlT_T0_E_clISt17integral_constantIbLb1EESZ_EEDaSU_SV_EUlSU_E_NS1_11comp_targetILNS1_3genE4ELNS1_11target_archE910ELNS1_3gpuE8ELNS1_3repE0EEENS1_30default_config_static_selectorELNS0_4arch9wavefront6targetE0EEEvT1_.kd
    .uniform_work_group_size: 1
    .uses_dynamic_stack: false
    .vgpr_count:     0
    .vgpr_spill_count: 0
    .wavefront_size: 32
  - .args:
      - .offset:         0
        .size:           128
        .value_kind:     by_value
    .group_segment_fixed_size: 0
    .kernarg_segment_align: 8
    .kernarg_segment_size: 128
    .language:       OpenCL C
    .language_version:
      - 2
      - 0
    .max_flat_workgroup_size: 512
    .name:           _ZN7rocprim17ROCPRIM_400000_NS6detail17trampoline_kernelINS0_14default_configENS1_33run_length_encode_config_selectorIsjNS0_4plusIjEEEEZZNS1_33reduce_by_key_impl_wrapped_configILNS1_25lookback_scan_determinismE0ES3_S7_PKsNS0_17constant_iteratorIjlEEPsPlSF_S6_NS0_8equal_toIsEEEE10hipError_tPvRmT2_T3_mT4_T5_T6_T7_T8_P12ihipStream_tbENKUlT_T0_E_clISt17integral_constantIbLb1EESZ_EEDaSU_SV_EUlSU_E_NS1_11comp_targetILNS1_3genE3ELNS1_11target_archE908ELNS1_3gpuE7ELNS1_3repE0EEENS1_30default_config_static_selectorELNS0_4arch9wavefront6targetE0EEEvT1_
    .private_segment_fixed_size: 0
    .sgpr_count:     0
    .sgpr_spill_count: 0
    .symbol:         _ZN7rocprim17ROCPRIM_400000_NS6detail17trampoline_kernelINS0_14default_configENS1_33run_length_encode_config_selectorIsjNS0_4plusIjEEEEZZNS1_33reduce_by_key_impl_wrapped_configILNS1_25lookback_scan_determinismE0ES3_S7_PKsNS0_17constant_iteratorIjlEEPsPlSF_S6_NS0_8equal_toIsEEEE10hipError_tPvRmT2_T3_mT4_T5_T6_T7_T8_P12ihipStream_tbENKUlT_T0_E_clISt17integral_constantIbLb1EESZ_EEDaSU_SV_EUlSU_E_NS1_11comp_targetILNS1_3genE3ELNS1_11target_archE908ELNS1_3gpuE7ELNS1_3repE0EEENS1_30default_config_static_selectorELNS0_4arch9wavefront6targetE0EEEvT1_.kd
    .uniform_work_group_size: 1
    .uses_dynamic_stack: false
    .vgpr_count:     0
    .vgpr_spill_count: 0
    .wavefront_size: 32
  - .args:
      - .offset:         0
        .size:           128
        .value_kind:     by_value
    .group_segment_fixed_size: 0
    .kernarg_segment_align: 8
    .kernarg_segment_size: 128
    .language:       OpenCL C
    .language_version:
      - 2
      - 0
    .max_flat_workgroup_size: 256
    .name:           _ZN7rocprim17ROCPRIM_400000_NS6detail17trampoline_kernelINS0_14default_configENS1_33run_length_encode_config_selectorIsjNS0_4plusIjEEEEZZNS1_33reduce_by_key_impl_wrapped_configILNS1_25lookback_scan_determinismE0ES3_S7_PKsNS0_17constant_iteratorIjlEEPsPlSF_S6_NS0_8equal_toIsEEEE10hipError_tPvRmT2_T3_mT4_T5_T6_T7_T8_P12ihipStream_tbENKUlT_T0_E_clISt17integral_constantIbLb1EESZ_EEDaSU_SV_EUlSU_E_NS1_11comp_targetILNS1_3genE2ELNS1_11target_archE906ELNS1_3gpuE6ELNS1_3repE0EEENS1_30default_config_static_selectorELNS0_4arch9wavefront6targetE0EEEvT1_
    .private_segment_fixed_size: 0
    .sgpr_count:     0
    .sgpr_spill_count: 0
    .symbol:         _ZN7rocprim17ROCPRIM_400000_NS6detail17trampoline_kernelINS0_14default_configENS1_33run_length_encode_config_selectorIsjNS0_4plusIjEEEEZZNS1_33reduce_by_key_impl_wrapped_configILNS1_25lookback_scan_determinismE0ES3_S7_PKsNS0_17constant_iteratorIjlEEPsPlSF_S6_NS0_8equal_toIsEEEE10hipError_tPvRmT2_T3_mT4_T5_T6_T7_T8_P12ihipStream_tbENKUlT_T0_E_clISt17integral_constantIbLb1EESZ_EEDaSU_SV_EUlSU_E_NS1_11comp_targetILNS1_3genE2ELNS1_11target_archE906ELNS1_3gpuE6ELNS1_3repE0EEENS1_30default_config_static_selectorELNS0_4arch9wavefront6targetE0EEEvT1_.kd
    .uniform_work_group_size: 1
    .uses_dynamic_stack: false
    .vgpr_count:     0
    .vgpr_spill_count: 0
    .wavefront_size: 32
  - .args:
      - .offset:         0
        .size:           128
        .value_kind:     by_value
    .group_segment_fixed_size: 0
    .kernarg_segment_align: 8
    .kernarg_segment_size: 128
    .language:       OpenCL C
    .language_version:
      - 2
      - 0
    .max_flat_workgroup_size: 512
    .name:           _ZN7rocprim17ROCPRIM_400000_NS6detail17trampoline_kernelINS0_14default_configENS1_33run_length_encode_config_selectorIsjNS0_4plusIjEEEEZZNS1_33reduce_by_key_impl_wrapped_configILNS1_25lookback_scan_determinismE0ES3_S7_PKsNS0_17constant_iteratorIjlEEPsPlSF_S6_NS0_8equal_toIsEEEE10hipError_tPvRmT2_T3_mT4_T5_T6_T7_T8_P12ihipStream_tbENKUlT_T0_E_clISt17integral_constantIbLb1EESZ_EEDaSU_SV_EUlSU_E_NS1_11comp_targetILNS1_3genE10ELNS1_11target_archE1201ELNS1_3gpuE5ELNS1_3repE0EEENS1_30default_config_static_selectorELNS0_4arch9wavefront6targetE0EEEvT1_
    .private_segment_fixed_size: 0
    .sgpr_count:     0
    .sgpr_spill_count: 0
    .symbol:         _ZN7rocprim17ROCPRIM_400000_NS6detail17trampoline_kernelINS0_14default_configENS1_33run_length_encode_config_selectorIsjNS0_4plusIjEEEEZZNS1_33reduce_by_key_impl_wrapped_configILNS1_25lookback_scan_determinismE0ES3_S7_PKsNS0_17constant_iteratorIjlEEPsPlSF_S6_NS0_8equal_toIsEEEE10hipError_tPvRmT2_T3_mT4_T5_T6_T7_T8_P12ihipStream_tbENKUlT_T0_E_clISt17integral_constantIbLb1EESZ_EEDaSU_SV_EUlSU_E_NS1_11comp_targetILNS1_3genE10ELNS1_11target_archE1201ELNS1_3gpuE5ELNS1_3repE0EEENS1_30default_config_static_selectorELNS0_4arch9wavefront6targetE0EEEvT1_.kd
    .uniform_work_group_size: 1
    .uses_dynamic_stack: false
    .vgpr_count:     0
    .vgpr_spill_count: 0
    .wavefront_size: 32
  - .args:
      - .offset:         0
        .size:           128
        .value_kind:     by_value
    .group_segment_fixed_size: 0
    .kernarg_segment_align: 8
    .kernarg_segment_size: 128
    .language:       OpenCL C
    .language_version:
      - 2
      - 0
    .max_flat_workgroup_size: 384
    .name:           _ZN7rocprim17ROCPRIM_400000_NS6detail17trampoline_kernelINS0_14default_configENS1_33run_length_encode_config_selectorIsjNS0_4plusIjEEEEZZNS1_33reduce_by_key_impl_wrapped_configILNS1_25lookback_scan_determinismE0ES3_S7_PKsNS0_17constant_iteratorIjlEEPsPlSF_S6_NS0_8equal_toIsEEEE10hipError_tPvRmT2_T3_mT4_T5_T6_T7_T8_P12ihipStream_tbENKUlT_T0_E_clISt17integral_constantIbLb1EESZ_EEDaSU_SV_EUlSU_E_NS1_11comp_targetILNS1_3genE10ELNS1_11target_archE1200ELNS1_3gpuE4ELNS1_3repE0EEENS1_30default_config_static_selectorELNS0_4arch9wavefront6targetE0EEEvT1_
    .private_segment_fixed_size: 0
    .sgpr_count:     0
    .sgpr_spill_count: 0
    .symbol:         _ZN7rocprim17ROCPRIM_400000_NS6detail17trampoline_kernelINS0_14default_configENS1_33run_length_encode_config_selectorIsjNS0_4plusIjEEEEZZNS1_33reduce_by_key_impl_wrapped_configILNS1_25lookback_scan_determinismE0ES3_S7_PKsNS0_17constant_iteratorIjlEEPsPlSF_S6_NS0_8equal_toIsEEEE10hipError_tPvRmT2_T3_mT4_T5_T6_T7_T8_P12ihipStream_tbENKUlT_T0_E_clISt17integral_constantIbLb1EESZ_EEDaSU_SV_EUlSU_E_NS1_11comp_targetILNS1_3genE10ELNS1_11target_archE1200ELNS1_3gpuE4ELNS1_3repE0EEENS1_30default_config_static_selectorELNS0_4arch9wavefront6targetE0EEEvT1_.kd
    .uniform_work_group_size: 1
    .uses_dynamic_stack: false
    .vgpr_count:     0
    .vgpr_spill_count: 0
    .wavefront_size: 32
  - .args:
      - .offset:         0
        .size:           128
        .value_kind:     by_value
    .group_segment_fixed_size: 0
    .kernarg_segment_align: 8
    .kernarg_segment_size: 128
    .language:       OpenCL C
    .language_version:
      - 2
      - 0
    .max_flat_workgroup_size: 512
    .name:           _ZN7rocprim17ROCPRIM_400000_NS6detail17trampoline_kernelINS0_14default_configENS1_33run_length_encode_config_selectorIsjNS0_4plusIjEEEEZZNS1_33reduce_by_key_impl_wrapped_configILNS1_25lookback_scan_determinismE0ES3_S7_PKsNS0_17constant_iteratorIjlEEPsPlSF_S6_NS0_8equal_toIsEEEE10hipError_tPvRmT2_T3_mT4_T5_T6_T7_T8_P12ihipStream_tbENKUlT_T0_E_clISt17integral_constantIbLb1EESZ_EEDaSU_SV_EUlSU_E_NS1_11comp_targetILNS1_3genE9ELNS1_11target_archE1100ELNS1_3gpuE3ELNS1_3repE0EEENS1_30default_config_static_selectorELNS0_4arch9wavefront6targetE0EEEvT1_
    .private_segment_fixed_size: 0
    .sgpr_count:     0
    .sgpr_spill_count: 0
    .symbol:         _ZN7rocprim17ROCPRIM_400000_NS6detail17trampoline_kernelINS0_14default_configENS1_33run_length_encode_config_selectorIsjNS0_4plusIjEEEEZZNS1_33reduce_by_key_impl_wrapped_configILNS1_25lookback_scan_determinismE0ES3_S7_PKsNS0_17constant_iteratorIjlEEPsPlSF_S6_NS0_8equal_toIsEEEE10hipError_tPvRmT2_T3_mT4_T5_T6_T7_T8_P12ihipStream_tbENKUlT_T0_E_clISt17integral_constantIbLb1EESZ_EEDaSU_SV_EUlSU_E_NS1_11comp_targetILNS1_3genE9ELNS1_11target_archE1100ELNS1_3gpuE3ELNS1_3repE0EEENS1_30default_config_static_selectorELNS0_4arch9wavefront6targetE0EEEvT1_.kd
    .uniform_work_group_size: 1
    .uses_dynamic_stack: false
    .vgpr_count:     0
    .vgpr_spill_count: 0
    .wavefront_size: 32
  - .args:
      - .offset:         0
        .size:           128
        .value_kind:     by_value
    .group_segment_fixed_size: 0
    .kernarg_segment_align: 8
    .kernarg_segment_size: 128
    .language:       OpenCL C
    .language_version:
      - 2
      - 0
    .max_flat_workgroup_size: 384
    .name:           _ZN7rocprim17ROCPRIM_400000_NS6detail17trampoline_kernelINS0_14default_configENS1_33run_length_encode_config_selectorIsjNS0_4plusIjEEEEZZNS1_33reduce_by_key_impl_wrapped_configILNS1_25lookback_scan_determinismE0ES3_S7_PKsNS0_17constant_iteratorIjlEEPsPlSF_S6_NS0_8equal_toIsEEEE10hipError_tPvRmT2_T3_mT4_T5_T6_T7_T8_P12ihipStream_tbENKUlT_T0_E_clISt17integral_constantIbLb1EESZ_EEDaSU_SV_EUlSU_E_NS1_11comp_targetILNS1_3genE8ELNS1_11target_archE1030ELNS1_3gpuE2ELNS1_3repE0EEENS1_30default_config_static_selectorELNS0_4arch9wavefront6targetE0EEEvT1_
    .private_segment_fixed_size: 0
    .sgpr_count:     0
    .sgpr_spill_count: 0
    .symbol:         _ZN7rocprim17ROCPRIM_400000_NS6detail17trampoline_kernelINS0_14default_configENS1_33run_length_encode_config_selectorIsjNS0_4plusIjEEEEZZNS1_33reduce_by_key_impl_wrapped_configILNS1_25lookback_scan_determinismE0ES3_S7_PKsNS0_17constant_iteratorIjlEEPsPlSF_S6_NS0_8equal_toIsEEEE10hipError_tPvRmT2_T3_mT4_T5_T6_T7_T8_P12ihipStream_tbENKUlT_T0_E_clISt17integral_constantIbLb1EESZ_EEDaSU_SV_EUlSU_E_NS1_11comp_targetILNS1_3genE8ELNS1_11target_archE1030ELNS1_3gpuE2ELNS1_3repE0EEENS1_30default_config_static_selectorELNS0_4arch9wavefront6targetE0EEEvT1_.kd
    .uniform_work_group_size: 1
    .uses_dynamic_stack: false
    .vgpr_count:     0
    .vgpr_spill_count: 0
    .wavefront_size: 32
  - .args:
      - .offset:         0
        .size:           128
        .value_kind:     by_value
    .group_segment_fixed_size: 0
    .kernarg_segment_align: 8
    .kernarg_segment_size: 128
    .language:       OpenCL C
    .language_version:
      - 2
      - 0
    .max_flat_workgroup_size: 512
    .name:           _ZN7rocprim17ROCPRIM_400000_NS6detail17trampoline_kernelINS0_14default_configENS1_33run_length_encode_config_selectorIsjNS0_4plusIjEEEEZZNS1_33reduce_by_key_impl_wrapped_configILNS1_25lookback_scan_determinismE0ES3_S7_PKsNS0_17constant_iteratorIjlEEPsPlSF_S6_NS0_8equal_toIsEEEE10hipError_tPvRmT2_T3_mT4_T5_T6_T7_T8_P12ihipStream_tbENKUlT_T0_E_clISt17integral_constantIbLb1EESY_IbLb0EEEEDaSU_SV_EUlSU_E_NS1_11comp_targetILNS1_3genE0ELNS1_11target_archE4294967295ELNS1_3gpuE0ELNS1_3repE0EEENS1_30default_config_static_selectorELNS0_4arch9wavefront6targetE0EEEvT1_
    .private_segment_fixed_size: 0
    .sgpr_count:     0
    .sgpr_spill_count: 0
    .symbol:         _ZN7rocprim17ROCPRIM_400000_NS6detail17trampoline_kernelINS0_14default_configENS1_33run_length_encode_config_selectorIsjNS0_4plusIjEEEEZZNS1_33reduce_by_key_impl_wrapped_configILNS1_25lookback_scan_determinismE0ES3_S7_PKsNS0_17constant_iteratorIjlEEPsPlSF_S6_NS0_8equal_toIsEEEE10hipError_tPvRmT2_T3_mT4_T5_T6_T7_T8_P12ihipStream_tbENKUlT_T0_E_clISt17integral_constantIbLb1EESY_IbLb0EEEEDaSU_SV_EUlSU_E_NS1_11comp_targetILNS1_3genE0ELNS1_11target_archE4294967295ELNS1_3gpuE0ELNS1_3repE0EEENS1_30default_config_static_selectorELNS0_4arch9wavefront6targetE0EEEvT1_.kd
    .uniform_work_group_size: 1
    .uses_dynamic_stack: false
    .vgpr_count:     0
    .vgpr_spill_count: 0
    .wavefront_size: 32
  - .args:
      - .offset:         0
        .size:           128
        .value_kind:     by_value
    .group_segment_fixed_size: 0
    .kernarg_segment_align: 8
    .kernarg_segment_size: 128
    .language:       OpenCL C
    .language_version:
      - 2
      - 0
    .max_flat_workgroup_size: 512
    .name:           _ZN7rocprim17ROCPRIM_400000_NS6detail17trampoline_kernelINS0_14default_configENS1_33run_length_encode_config_selectorIsjNS0_4plusIjEEEEZZNS1_33reduce_by_key_impl_wrapped_configILNS1_25lookback_scan_determinismE0ES3_S7_PKsNS0_17constant_iteratorIjlEEPsPlSF_S6_NS0_8equal_toIsEEEE10hipError_tPvRmT2_T3_mT4_T5_T6_T7_T8_P12ihipStream_tbENKUlT_T0_E_clISt17integral_constantIbLb1EESY_IbLb0EEEEDaSU_SV_EUlSU_E_NS1_11comp_targetILNS1_3genE5ELNS1_11target_archE942ELNS1_3gpuE9ELNS1_3repE0EEENS1_30default_config_static_selectorELNS0_4arch9wavefront6targetE0EEEvT1_
    .private_segment_fixed_size: 0
    .sgpr_count:     0
    .sgpr_spill_count: 0
    .symbol:         _ZN7rocprim17ROCPRIM_400000_NS6detail17trampoline_kernelINS0_14default_configENS1_33run_length_encode_config_selectorIsjNS0_4plusIjEEEEZZNS1_33reduce_by_key_impl_wrapped_configILNS1_25lookback_scan_determinismE0ES3_S7_PKsNS0_17constant_iteratorIjlEEPsPlSF_S6_NS0_8equal_toIsEEEE10hipError_tPvRmT2_T3_mT4_T5_T6_T7_T8_P12ihipStream_tbENKUlT_T0_E_clISt17integral_constantIbLb1EESY_IbLb0EEEEDaSU_SV_EUlSU_E_NS1_11comp_targetILNS1_3genE5ELNS1_11target_archE942ELNS1_3gpuE9ELNS1_3repE0EEENS1_30default_config_static_selectorELNS0_4arch9wavefront6targetE0EEEvT1_.kd
    .uniform_work_group_size: 1
    .uses_dynamic_stack: false
    .vgpr_count:     0
    .vgpr_spill_count: 0
    .wavefront_size: 32
  - .args:
      - .offset:         0
        .size:           128
        .value_kind:     by_value
    .group_segment_fixed_size: 0
    .kernarg_segment_align: 8
    .kernarg_segment_size: 128
    .language:       OpenCL C
    .language_version:
      - 2
      - 0
    .max_flat_workgroup_size: 192
    .name:           _ZN7rocprim17ROCPRIM_400000_NS6detail17trampoline_kernelINS0_14default_configENS1_33run_length_encode_config_selectorIsjNS0_4plusIjEEEEZZNS1_33reduce_by_key_impl_wrapped_configILNS1_25lookback_scan_determinismE0ES3_S7_PKsNS0_17constant_iteratorIjlEEPsPlSF_S6_NS0_8equal_toIsEEEE10hipError_tPvRmT2_T3_mT4_T5_T6_T7_T8_P12ihipStream_tbENKUlT_T0_E_clISt17integral_constantIbLb1EESY_IbLb0EEEEDaSU_SV_EUlSU_E_NS1_11comp_targetILNS1_3genE4ELNS1_11target_archE910ELNS1_3gpuE8ELNS1_3repE0EEENS1_30default_config_static_selectorELNS0_4arch9wavefront6targetE0EEEvT1_
    .private_segment_fixed_size: 0
    .sgpr_count:     0
    .sgpr_spill_count: 0
    .symbol:         _ZN7rocprim17ROCPRIM_400000_NS6detail17trampoline_kernelINS0_14default_configENS1_33run_length_encode_config_selectorIsjNS0_4plusIjEEEEZZNS1_33reduce_by_key_impl_wrapped_configILNS1_25lookback_scan_determinismE0ES3_S7_PKsNS0_17constant_iteratorIjlEEPsPlSF_S6_NS0_8equal_toIsEEEE10hipError_tPvRmT2_T3_mT4_T5_T6_T7_T8_P12ihipStream_tbENKUlT_T0_E_clISt17integral_constantIbLb1EESY_IbLb0EEEEDaSU_SV_EUlSU_E_NS1_11comp_targetILNS1_3genE4ELNS1_11target_archE910ELNS1_3gpuE8ELNS1_3repE0EEENS1_30default_config_static_selectorELNS0_4arch9wavefront6targetE0EEEvT1_.kd
    .uniform_work_group_size: 1
    .uses_dynamic_stack: false
    .vgpr_count:     0
    .vgpr_spill_count: 0
    .wavefront_size: 32
  - .args:
      - .offset:         0
        .size:           128
        .value_kind:     by_value
    .group_segment_fixed_size: 0
    .kernarg_segment_align: 8
    .kernarg_segment_size: 128
    .language:       OpenCL C
    .language_version:
      - 2
      - 0
    .max_flat_workgroup_size: 512
    .name:           _ZN7rocprim17ROCPRIM_400000_NS6detail17trampoline_kernelINS0_14default_configENS1_33run_length_encode_config_selectorIsjNS0_4plusIjEEEEZZNS1_33reduce_by_key_impl_wrapped_configILNS1_25lookback_scan_determinismE0ES3_S7_PKsNS0_17constant_iteratorIjlEEPsPlSF_S6_NS0_8equal_toIsEEEE10hipError_tPvRmT2_T3_mT4_T5_T6_T7_T8_P12ihipStream_tbENKUlT_T0_E_clISt17integral_constantIbLb1EESY_IbLb0EEEEDaSU_SV_EUlSU_E_NS1_11comp_targetILNS1_3genE3ELNS1_11target_archE908ELNS1_3gpuE7ELNS1_3repE0EEENS1_30default_config_static_selectorELNS0_4arch9wavefront6targetE0EEEvT1_
    .private_segment_fixed_size: 0
    .sgpr_count:     0
    .sgpr_spill_count: 0
    .symbol:         _ZN7rocprim17ROCPRIM_400000_NS6detail17trampoline_kernelINS0_14default_configENS1_33run_length_encode_config_selectorIsjNS0_4plusIjEEEEZZNS1_33reduce_by_key_impl_wrapped_configILNS1_25lookback_scan_determinismE0ES3_S7_PKsNS0_17constant_iteratorIjlEEPsPlSF_S6_NS0_8equal_toIsEEEE10hipError_tPvRmT2_T3_mT4_T5_T6_T7_T8_P12ihipStream_tbENKUlT_T0_E_clISt17integral_constantIbLb1EESY_IbLb0EEEEDaSU_SV_EUlSU_E_NS1_11comp_targetILNS1_3genE3ELNS1_11target_archE908ELNS1_3gpuE7ELNS1_3repE0EEENS1_30default_config_static_selectorELNS0_4arch9wavefront6targetE0EEEvT1_.kd
    .uniform_work_group_size: 1
    .uses_dynamic_stack: false
    .vgpr_count:     0
    .vgpr_spill_count: 0
    .wavefront_size: 32
  - .args:
      - .offset:         0
        .size:           128
        .value_kind:     by_value
    .group_segment_fixed_size: 0
    .kernarg_segment_align: 8
    .kernarg_segment_size: 128
    .language:       OpenCL C
    .language_version:
      - 2
      - 0
    .max_flat_workgroup_size: 256
    .name:           _ZN7rocprim17ROCPRIM_400000_NS6detail17trampoline_kernelINS0_14default_configENS1_33run_length_encode_config_selectorIsjNS0_4plusIjEEEEZZNS1_33reduce_by_key_impl_wrapped_configILNS1_25lookback_scan_determinismE0ES3_S7_PKsNS0_17constant_iteratorIjlEEPsPlSF_S6_NS0_8equal_toIsEEEE10hipError_tPvRmT2_T3_mT4_T5_T6_T7_T8_P12ihipStream_tbENKUlT_T0_E_clISt17integral_constantIbLb1EESY_IbLb0EEEEDaSU_SV_EUlSU_E_NS1_11comp_targetILNS1_3genE2ELNS1_11target_archE906ELNS1_3gpuE6ELNS1_3repE0EEENS1_30default_config_static_selectorELNS0_4arch9wavefront6targetE0EEEvT1_
    .private_segment_fixed_size: 0
    .sgpr_count:     0
    .sgpr_spill_count: 0
    .symbol:         _ZN7rocprim17ROCPRIM_400000_NS6detail17trampoline_kernelINS0_14default_configENS1_33run_length_encode_config_selectorIsjNS0_4plusIjEEEEZZNS1_33reduce_by_key_impl_wrapped_configILNS1_25lookback_scan_determinismE0ES3_S7_PKsNS0_17constant_iteratorIjlEEPsPlSF_S6_NS0_8equal_toIsEEEE10hipError_tPvRmT2_T3_mT4_T5_T6_T7_T8_P12ihipStream_tbENKUlT_T0_E_clISt17integral_constantIbLb1EESY_IbLb0EEEEDaSU_SV_EUlSU_E_NS1_11comp_targetILNS1_3genE2ELNS1_11target_archE906ELNS1_3gpuE6ELNS1_3repE0EEENS1_30default_config_static_selectorELNS0_4arch9wavefront6targetE0EEEvT1_.kd
    .uniform_work_group_size: 1
    .uses_dynamic_stack: false
    .vgpr_count:     0
    .vgpr_spill_count: 0
    .wavefront_size: 32
  - .args:
      - .offset:         0
        .size:           128
        .value_kind:     by_value
    .group_segment_fixed_size: 0
    .kernarg_segment_align: 8
    .kernarg_segment_size: 128
    .language:       OpenCL C
    .language_version:
      - 2
      - 0
    .max_flat_workgroup_size: 512
    .name:           _ZN7rocprim17ROCPRIM_400000_NS6detail17trampoline_kernelINS0_14default_configENS1_33run_length_encode_config_selectorIsjNS0_4plusIjEEEEZZNS1_33reduce_by_key_impl_wrapped_configILNS1_25lookback_scan_determinismE0ES3_S7_PKsNS0_17constant_iteratorIjlEEPsPlSF_S6_NS0_8equal_toIsEEEE10hipError_tPvRmT2_T3_mT4_T5_T6_T7_T8_P12ihipStream_tbENKUlT_T0_E_clISt17integral_constantIbLb1EESY_IbLb0EEEEDaSU_SV_EUlSU_E_NS1_11comp_targetILNS1_3genE10ELNS1_11target_archE1201ELNS1_3gpuE5ELNS1_3repE0EEENS1_30default_config_static_selectorELNS0_4arch9wavefront6targetE0EEEvT1_
    .private_segment_fixed_size: 0
    .sgpr_count:     0
    .sgpr_spill_count: 0
    .symbol:         _ZN7rocprim17ROCPRIM_400000_NS6detail17trampoline_kernelINS0_14default_configENS1_33run_length_encode_config_selectorIsjNS0_4plusIjEEEEZZNS1_33reduce_by_key_impl_wrapped_configILNS1_25lookback_scan_determinismE0ES3_S7_PKsNS0_17constant_iteratorIjlEEPsPlSF_S6_NS0_8equal_toIsEEEE10hipError_tPvRmT2_T3_mT4_T5_T6_T7_T8_P12ihipStream_tbENKUlT_T0_E_clISt17integral_constantIbLb1EESY_IbLb0EEEEDaSU_SV_EUlSU_E_NS1_11comp_targetILNS1_3genE10ELNS1_11target_archE1201ELNS1_3gpuE5ELNS1_3repE0EEENS1_30default_config_static_selectorELNS0_4arch9wavefront6targetE0EEEvT1_.kd
    .uniform_work_group_size: 1
    .uses_dynamic_stack: false
    .vgpr_count:     0
    .vgpr_spill_count: 0
    .wavefront_size: 32
  - .args:
      - .offset:         0
        .size:           128
        .value_kind:     by_value
    .group_segment_fixed_size: 0
    .kernarg_segment_align: 8
    .kernarg_segment_size: 128
    .language:       OpenCL C
    .language_version:
      - 2
      - 0
    .max_flat_workgroup_size: 384
    .name:           _ZN7rocprim17ROCPRIM_400000_NS6detail17trampoline_kernelINS0_14default_configENS1_33run_length_encode_config_selectorIsjNS0_4plusIjEEEEZZNS1_33reduce_by_key_impl_wrapped_configILNS1_25lookback_scan_determinismE0ES3_S7_PKsNS0_17constant_iteratorIjlEEPsPlSF_S6_NS0_8equal_toIsEEEE10hipError_tPvRmT2_T3_mT4_T5_T6_T7_T8_P12ihipStream_tbENKUlT_T0_E_clISt17integral_constantIbLb1EESY_IbLb0EEEEDaSU_SV_EUlSU_E_NS1_11comp_targetILNS1_3genE10ELNS1_11target_archE1200ELNS1_3gpuE4ELNS1_3repE0EEENS1_30default_config_static_selectorELNS0_4arch9wavefront6targetE0EEEvT1_
    .private_segment_fixed_size: 0
    .sgpr_count:     0
    .sgpr_spill_count: 0
    .symbol:         _ZN7rocprim17ROCPRIM_400000_NS6detail17trampoline_kernelINS0_14default_configENS1_33run_length_encode_config_selectorIsjNS0_4plusIjEEEEZZNS1_33reduce_by_key_impl_wrapped_configILNS1_25lookback_scan_determinismE0ES3_S7_PKsNS0_17constant_iteratorIjlEEPsPlSF_S6_NS0_8equal_toIsEEEE10hipError_tPvRmT2_T3_mT4_T5_T6_T7_T8_P12ihipStream_tbENKUlT_T0_E_clISt17integral_constantIbLb1EESY_IbLb0EEEEDaSU_SV_EUlSU_E_NS1_11comp_targetILNS1_3genE10ELNS1_11target_archE1200ELNS1_3gpuE4ELNS1_3repE0EEENS1_30default_config_static_selectorELNS0_4arch9wavefront6targetE0EEEvT1_.kd
    .uniform_work_group_size: 1
    .uses_dynamic_stack: false
    .vgpr_count:     0
    .vgpr_spill_count: 0
    .wavefront_size: 32
  - .args:
      - .offset:         0
        .size:           128
        .value_kind:     by_value
    .group_segment_fixed_size: 0
    .kernarg_segment_align: 8
    .kernarg_segment_size: 128
    .language:       OpenCL C
    .language_version:
      - 2
      - 0
    .max_flat_workgroup_size: 512
    .name:           _ZN7rocprim17ROCPRIM_400000_NS6detail17trampoline_kernelINS0_14default_configENS1_33run_length_encode_config_selectorIsjNS0_4plusIjEEEEZZNS1_33reduce_by_key_impl_wrapped_configILNS1_25lookback_scan_determinismE0ES3_S7_PKsNS0_17constant_iteratorIjlEEPsPlSF_S6_NS0_8equal_toIsEEEE10hipError_tPvRmT2_T3_mT4_T5_T6_T7_T8_P12ihipStream_tbENKUlT_T0_E_clISt17integral_constantIbLb1EESY_IbLb0EEEEDaSU_SV_EUlSU_E_NS1_11comp_targetILNS1_3genE9ELNS1_11target_archE1100ELNS1_3gpuE3ELNS1_3repE0EEENS1_30default_config_static_selectorELNS0_4arch9wavefront6targetE0EEEvT1_
    .private_segment_fixed_size: 0
    .sgpr_count:     0
    .sgpr_spill_count: 0
    .symbol:         _ZN7rocprim17ROCPRIM_400000_NS6detail17trampoline_kernelINS0_14default_configENS1_33run_length_encode_config_selectorIsjNS0_4plusIjEEEEZZNS1_33reduce_by_key_impl_wrapped_configILNS1_25lookback_scan_determinismE0ES3_S7_PKsNS0_17constant_iteratorIjlEEPsPlSF_S6_NS0_8equal_toIsEEEE10hipError_tPvRmT2_T3_mT4_T5_T6_T7_T8_P12ihipStream_tbENKUlT_T0_E_clISt17integral_constantIbLb1EESY_IbLb0EEEEDaSU_SV_EUlSU_E_NS1_11comp_targetILNS1_3genE9ELNS1_11target_archE1100ELNS1_3gpuE3ELNS1_3repE0EEENS1_30default_config_static_selectorELNS0_4arch9wavefront6targetE0EEEvT1_.kd
    .uniform_work_group_size: 1
    .uses_dynamic_stack: false
    .vgpr_count:     0
    .vgpr_spill_count: 0
    .wavefront_size: 32
  - .args:
      - .offset:         0
        .size:           128
        .value_kind:     by_value
    .group_segment_fixed_size: 0
    .kernarg_segment_align: 8
    .kernarg_segment_size: 128
    .language:       OpenCL C
    .language_version:
      - 2
      - 0
    .max_flat_workgroup_size: 384
    .name:           _ZN7rocprim17ROCPRIM_400000_NS6detail17trampoline_kernelINS0_14default_configENS1_33run_length_encode_config_selectorIsjNS0_4plusIjEEEEZZNS1_33reduce_by_key_impl_wrapped_configILNS1_25lookback_scan_determinismE0ES3_S7_PKsNS0_17constant_iteratorIjlEEPsPlSF_S6_NS0_8equal_toIsEEEE10hipError_tPvRmT2_T3_mT4_T5_T6_T7_T8_P12ihipStream_tbENKUlT_T0_E_clISt17integral_constantIbLb1EESY_IbLb0EEEEDaSU_SV_EUlSU_E_NS1_11comp_targetILNS1_3genE8ELNS1_11target_archE1030ELNS1_3gpuE2ELNS1_3repE0EEENS1_30default_config_static_selectorELNS0_4arch9wavefront6targetE0EEEvT1_
    .private_segment_fixed_size: 0
    .sgpr_count:     0
    .sgpr_spill_count: 0
    .symbol:         _ZN7rocprim17ROCPRIM_400000_NS6detail17trampoline_kernelINS0_14default_configENS1_33run_length_encode_config_selectorIsjNS0_4plusIjEEEEZZNS1_33reduce_by_key_impl_wrapped_configILNS1_25lookback_scan_determinismE0ES3_S7_PKsNS0_17constant_iteratorIjlEEPsPlSF_S6_NS0_8equal_toIsEEEE10hipError_tPvRmT2_T3_mT4_T5_T6_T7_T8_P12ihipStream_tbENKUlT_T0_E_clISt17integral_constantIbLb1EESY_IbLb0EEEEDaSU_SV_EUlSU_E_NS1_11comp_targetILNS1_3genE8ELNS1_11target_archE1030ELNS1_3gpuE2ELNS1_3repE0EEENS1_30default_config_static_selectorELNS0_4arch9wavefront6targetE0EEEvT1_.kd
    .uniform_work_group_size: 1
    .uses_dynamic_stack: false
    .vgpr_count:     0
    .vgpr_spill_count: 0
    .wavefront_size: 32
  - .args:
      - .offset:         0
        .size:           128
        .value_kind:     by_value
    .group_segment_fixed_size: 20480
    .kernarg_segment_align: 8
    .kernarg_segment_size: 128
    .language:       OpenCL C
    .language_version:
      - 2
      - 0
    .max_flat_workgroup_size: 512
    .name:           _ZN7rocprim17ROCPRIM_400000_NS6detail17trampoline_kernelINS0_14default_configENS1_33run_length_encode_config_selectorIsjNS0_4plusIjEEEEZZNS1_33reduce_by_key_impl_wrapped_configILNS1_25lookback_scan_determinismE0ES3_S7_PKsNS0_17constant_iteratorIjlEEPsPlSF_S6_NS0_8equal_toIsEEEE10hipError_tPvRmT2_T3_mT4_T5_T6_T7_T8_P12ihipStream_tbENKUlT_T0_E_clISt17integral_constantIbLb0EESY_IbLb1EEEEDaSU_SV_EUlSU_E_NS1_11comp_targetILNS1_3genE0ELNS1_11target_archE4294967295ELNS1_3gpuE0ELNS1_3repE0EEENS1_30default_config_static_selectorELNS0_4arch9wavefront6targetE0EEEvT1_
    .private_segment_fixed_size: 0
    .sgpr_count:     41
    .sgpr_spill_count: 0
    .symbol:         _ZN7rocprim17ROCPRIM_400000_NS6detail17trampoline_kernelINS0_14default_configENS1_33run_length_encode_config_selectorIsjNS0_4plusIjEEEEZZNS1_33reduce_by_key_impl_wrapped_configILNS1_25lookback_scan_determinismE0ES3_S7_PKsNS0_17constant_iteratorIjlEEPsPlSF_S6_NS0_8equal_toIsEEEE10hipError_tPvRmT2_T3_mT4_T5_T6_T7_T8_P12ihipStream_tbENKUlT_T0_E_clISt17integral_constantIbLb0EESY_IbLb1EEEEDaSU_SV_EUlSU_E_NS1_11comp_targetILNS1_3genE0ELNS1_11target_archE4294967295ELNS1_3gpuE0ELNS1_3repE0EEENS1_30default_config_static_selectorELNS0_4arch9wavefront6targetE0EEEvT1_.kd
    .uniform_work_group_size: 1
    .uses_dynamic_stack: false
    .vgpr_count:     96
    .vgpr_spill_count: 0
    .wavefront_size: 32
  - .args:
      - .offset:         0
        .size:           128
        .value_kind:     by_value
    .group_segment_fixed_size: 0
    .kernarg_segment_align: 8
    .kernarg_segment_size: 128
    .language:       OpenCL C
    .language_version:
      - 2
      - 0
    .max_flat_workgroup_size: 512
    .name:           _ZN7rocprim17ROCPRIM_400000_NS6detail17trampoline_kernelINS0_14default_configENS1_33run_length_encode_config_selectorIsjNS0_4plusIjEEEEZZNS1_33reduce_by_key_impl_wrapped_configILNS1_25lookback_scan_determinismE0ES3_S7_PKsNS0_17constant_iteratorIjlEEPsPlSF_S6_NS0_8equal_toIsEEEE10hipError_tPvRmT2_T3_mT4_T5_T6_T7_T8_P12ihipStream_tbENKUlT_T0_E_clISt17integral_constantIbLb0EESY_IbLb1EEEEDaSU_SV_EUlSU_E_NS1_11comp_targetILNS1_3genE5ELNS1_11target_archE942ELNS1_3gpuE9ELNS1_3repE0EEENS1_30default_config_static_selectorELNS0_4arch9wavefront6targetE0EEEvT1_
    .private_segment_fixed_size: 0
    .sgpr_count:     0
    .sgpr_spill_count: 0
    .symbol:         _ZN7rocprim17ROCPRIM_400000_NS6detail17trampoline_kernelINS0_14default_configENS1_33run_length_encode_config_selectorIsjNS0_4plusIjEEEEZZNS1_33reduce_by_key_impl_wrapped_configILNS1_25lookback_scan_determinismE0ES3_S7_PKsNS0_17constant_iteratorIjlEEPsPlSF_S6_NS0_8equal_toIsEEEE10hipError_tPvRmT2_T3_mT4_T5_T6_T7_T8_P12ihipStream_tbENKUlT_T0_E_clISt17integral_constantIbLb0EESY_IbLb1EEEEDaSU_SV_EUlSU_E_NS1_11comp_targetILNS1_3genE5ELNS1_11target_archE942ELNS1_3gpuE9ELNS1_3repE0EEENS1_30default_config_static_selectorELNS0_4arch9wavefront6targetE0EEEvT1_.kd
    .uniform_work_group_size: 1
    .uses_dynamic_stack: false
    .vgpr_count:     0
    .vgpr_spill_count: 0
    .wavefront_size: 32
  - .args:
      - .offset:         0
        .size:           128
        .value_kind:     by_value
    .group_segment_fixed_size: 0
    .kernarg_segment_align: 8
    .kernarg_segment_size: 128
    .language:       OpenCL C
    .language_version:
      - 2
      - 0
    .max_flat_workgroup_size: 192
    .name:           _ZN7rocprim17ROCPRIM_400000_NS6detail17trampoline_kernelINS0_14default_configENS1_33run_length_encode_config_selectorIsjNS0_4plusIjEEEEZZNS1_33reduce_by_key_impl_wrapped_configILNS1_25lookback_scan_determinismE0ES3_S7_PKsNS0_17constant_iteratorIjlEEPsPlSF_S6_NS0_8equal_toIsEEEE10hipError_tPvRmT2_T3_mT4_T5_T6_T7_T8_P12ihipStream_tbENKUlT_T0_E_clISt17integral_constantIbLb0EESY_IbLb1EEEEDaSU_SV_EUlSU_E_NS1_11comp_targetILNS1_3genE4ELNS1_11target_archE910ELNS1_3gpuE8ELNS1_3repE0EEENS1_30default_config_static_selectorELNS0_4arch9wavefront6targetE0EEEvT1_
    .private_segment_fixed_size: 0
    .sgpr_count:     0
    .sgpr_spill_count: 0
    .symbol:         _ZN7rocprim17ROCPRIM_400000_NS6detail17trampoline_kernelINS0_14default_configENS1_33run_length_encode_config_selectorIsjNS0_4plusIjEEEEZZNS1_33reduce_by_key_impl_wrapped_configILNS1_25lookback_scan_determinismE0ES3_S7_PKsNS0_17constant_iteratorIjlEEPsPlSF_S6_NS0_8equal_toIsEEEE10hipError_tPvRmT2_T3_mT4_T5_T6_T7_T8_P12ihipStream_tbENKUlT_T0_E_clISt17integral_constantIbLb0EESY_IbLb1EEEEDaSU_SV_EUlSU_E_NS1_11comp_targetILNS1_3genE4ELNS1_11target_archE910ELNS1_3gpuE8ELNS1_3repE0EEENS1_30default_config_static_selectorELNS0_4arch9wavefront6targetE0EEEvT1_.kd
    .uniform_work_group_size: 1
    .uses_dynamic_stack: false
    .vgpr_count:     0
    .vgpr_spill_count: 0
    .wavefront_size: 32
  - .args:
      - .offset:         0
        .size:           128
        .value_kind:     by_value
    .group_segment_fixed_size: 0
    .kernarg_segment_align: 8
    .kernarg_segment_size: 128
    .language:       OpenCL C
    .language_version:
      - 2
      - 0
    .max_flat_workgroup_size: 512
    .name:           _ZN7rocprim17ROCPRIM_400000_NS6detail17trampoline_kernelINS0_14default_configENS1_33run_length_encode_config_selectorIsjNS0_4plusIjEEEEZZNS1_33reduce_by_key_impl_wrapped_configILNS1_25lookback_scan_determinismE0ES3_S7_PKsNS0_17constant_iteratorIjlEEPsPlSF_S6_NS0_8equal_toIsEEEE10hipError_tPvRmT2_T3_mT4_T5_T6_T7_T8_P12ihipStream_tbENKUlT_T0_E_clISt17integral_constantIbLb0EESY_IbLb1EEEEDaSU_SV_EUlSU_E_NS1_11comp_targetILNS1_3genE3ELNS1_11target_archE908ELNS1_3gpuE7ELNS1_3repE0EEENS1_30default_config_static_selectorELNS0_4arch9wavefront6targetE0EEEvT1_
    .private_segment_fixed_size: 0
    .sgpr_count:     0
    .sgpr_spill_count: 0
    .symbol:         _ZN7rocprim17ROCPRIM_400000_NS6detail17trampoline_kernelINS0_14default_configENS1_33run_length_encode_config_selectorIsjNS0_4plusIjEEEEZZNS1_33reduce_by_key_impl_wrapped_configILNS1_25lookback_scan_determinismE0ES3_S7_PKsNS0_17constant_iteratorIjlEEPsPlSF_S6_NS0_8equal_toIsEEEE10hipError_tPvRmT2_T3_mT4_T5_T6_T7_T8_P12ihipStream_tbENKUlT_T0_E_clISt17integral_constantIbLb0EESY_IbLb1EEEEDaSU_SV_EUlSU_E_NS1_11comp_targetILNS1_3genE3ELNS1_11target_archE908ELNS1_3gpuE7ELNS1_3repE0EEENS1_30default_config_static_selectorELNS0_4arch9wavefront6targetE0EEEvT1_.kd
    .uniform_work_group_size: 1
    .uses_dynamic_stack: false
    .vgpr_count:     0
    .vgpr_spill_count: 0
    .wavefront_size: 32
  - .args:
      - .offset:         0
        .size:           128
        .value_kind:     by_value
    .group_segment_fixed_size: 0
    .kernarg_segment_align: 8
    .kernarg_segment_size: 128
    .language:       OpenCL C
    .language_version:
      - 2
      - 0
    .max_flat_workgroup_size: 256
    .name:           _ZN7rocprim17ROCPRIM_400000_NS6detail17trampoline_kernelINS0_14default_configENS1_33run_length_encode_config_selectorIsjNS0_4plusIjEEEEZZNS1_33reduce_by_key_impl_wrapped_configILNS1_25lookback_scan_determinismE0ES3_S7_PKsNS0_17constant_iteratorIjlEEPsPlSF_S6_NS0_8equal_toIsEEEE10hipError_tPvRmT2_T3_mT4_T5_T6_T7_T8_P12ihipStream_tbENKUlT_T0_E_clISt17integral_constantIbLb0EESY_IbLb1EEEEDaSU_SV_EUlSU_E_NS1_11comp_targetILNS1_3genE2ELNS1_11target_archE906ELNS1_3gpuE6ELNS1_3repE0EEENS1_30default_config_static_selectorELNS0_4arch9wavefront6targetE0EEEvT1_
    .private_segment_fixed_size: 0
    .sgpr_count:     0
    .sgpr_spill_count: 0
    .symbol:         _ZN7rocprim17ROCPRIM_400000_NS6detail17trampoline_kernelINS0_14default_configENS1_33run_length_encode_config_selectorIsjNS0_4plusIjEEEEZZNS1_33reduce_by_key_impl_wrapped_configILNS1_25lookback_scan_determinismE0ES3_S7_PKsNS0_17constant_iteratorIjlEEPsPlSF_S6_NS0_8equal_toIsEEEE10hipError_tPvRmT2_T3_mT4_T5_T6_T7_T8_P12ihipStream_tbENKUlT_T0_E_clISt17integral_constantIbLb0EESY_IbLb1EEEEDaSU_SV_EUlSU_E_NS1_11comp_targetILNS1_3genE2ELNS1_11target_archE906ELNS1_3gpuE6ELNS1_3repE0EEENS1_30default_config_static_selectorELNS0_4arch9wavefront6targetE0EEEvT1_.kd
    .uniform_work_group_size: 1
    .uses_dynamic_stack: false
    .vgpr_count:     0
    .vgpr_spill_count: 0
    .wavefront_size: 32
  - .args:
      - .offset:         0
        .size:           128
        .value_kind:     by_value
    .group_segment_fixed_size: 0
    .kernarg_segment_align: 8
    .kernarg_segment_size: 128
    .language:       OpenCL C
    .language_version:
      - 2
      - 0
    .max_flat_workgroup_size: 512
    .name:           _ZN7rocprim17ROCPRIM_400000_NS6detail17trampoline_kernelINS0_14default_configENS1_33run_length_encode_config_selectorIsjNS0_4plusIjEEEEZZNS1_33reduce_by_key_impl_wrapped_configILNS1_25lookback_scan_determinismE0ES3_S7_PKsNS0_17constant_iteratorIjlEEPsPlSF_S6_NS0_8equal_toIsEEEE10hipError_tPvRmT2_T3_mT4_T5_T6_T7_T8_P12ihipStream_tbENKUlT_T0_E_clISt17integral_constantIbLb0EESY_IbLb1EEEEDaSU_SV_EUlSU_E_NS1_11comp_targetILNS1_3genE10ELNS1_11target_archE1201ELNS1_3gpuE5ELNS1_3repE0EEENS1_30default_config_static_selectorELNS0_4arch9wavefront6targetE0EEEvT1_
    .private_segment_fixed_size: 0
    .sgpr_count:     0
    .sgpr_spill_count: 0
    .symbol:         _ZN7rocprim17ROCPRIM_400000_NS6detail17trampoline_kernelINS0_14default_configENS1_33run_length_encode_config_selectorIsjNS0_4plusIjEEEEZZNS1_33reduce_by_key_impl_wrapped_configILNS1_25lookback_scan_determinismE0ES3_S7_PKsNS0_17constant_iteratorIjlEEPsPlSF_S6_NS0_8equal_toIsEEEE10hipError_tPvRmT2_T3_mT4_T5_T6_T7_T8_P12ihipStream_tbENKUlT_T0_E_clISt17integral_constantIbLb0EESY_IbLb1EEEEDaSU_SV_EUlSU_E_NS1_11comp_targetILNS1_3genE10ELNS1_11target_archE1201ELNS1_3gpuE5ELNS1_3repE0EEENS1_30default_config_static_selectorELNS0_4arch9wavefront6targetE0EEEvT1_.kd
    .uniform_work_group_size: 1
    .uses_dynamic_stack: false
    .vgpr_count:     0
    .vgpr_spill_count: 0
    .wavefront_size: 32
  - .args:
      - .offset:         0
        .size:           128
        .value_kind:     by_value
    .group_segment_fixed_size: 0
    .kernarg_segment_align: 8
    .kernarg_segment_size: 128
    .language:       OpenCL C
    .language_version:
      - 2
      - 0
    .max_flat_workgroup_size: 384
    .name:           _ZN7rocprim17ROCPRIM_400000_NS6detail17trampoline_kernelINS0_14default_configENS1_33run_length_encode_config_selectorIsjNS0_4plusIjEEEEZZNS1_33reduce_by_key_impl_wrapped_configILNS1_25lookback_scan_determinismE0ES3_S7_PKsNS0_17constant_iteratorIjlEEPsPlSF_S6_NS0_8equal_toIsEEEE10hipError_tPvRmT2_T3_mT4_T5_T6_T7_T8_P12ihipStream_tbENKUlT_T0_E_clISt17integral_constantIbLb0EESY_IbLb1EEEEDaSU_SV_EUlSU_E_NS1_11comp_targetILNS1_3genE10ELNS1_11target_archE1200ELNS1_3gpuE4ELNS1_3repE0EEENS1_30default_config_static_selectorELNS0_4arch9wavefront6targetE0EEEvT1_
    .private_segment_fixed_size: 0
    .sgpr_count:     0
    .sgpr_spill_count: 0
    .symbol:         _ZN7rocprim17ROCPRIM_400000_NS6detail17trampoline_kernelINS0_14default_configENS1_33run_length_encode_config_selectorIsjNS0_4plusIjEEEEZZNS1_33reduce_by_key_impl_wrapped_configILNS1_25lookback_scan_determinismE0ES3_S7_PKsNS0_17constant_iteratorIjlEEPsPlSF_S6_NS0_8equal_toIsEEEE10hipError_tPvRmT2_T3_mT4_T5_T6_T7_T8_P12ihipStream_tbENKUlT_T0_E_clISt17integral_constantIbLb0EESY_IbLb1EEEEDaSU_SV_EUlSU_E_NS1_11comp_targetILNS1_3genE10ELNS1_11target_archE1200ELNS1_3gpuE4ELNS1_3repE0EEENS1_30default_config_static_selectorELNS0_4arch9wavefront6targetE0EEEvT1_.kd
    .uniform_work_group_size: 1
    .uses_dynamic_stack: false
    .vgpr_count:     0
    .vgpr_spill_count: 0
    .wavefront_size: 32
  - .args:
      - .offset:         0
        .size:           128
        .value_kind:     by_value
    .group_segment_fixed_size: 0
    .kernarg_segment_align: 8
    .kernarg_segment_size: 128
    .language:       OpenCL C
    .language_version:
      - 2
      - 0
    .max_flat_workgroup_size: 512
    .name:           _ZN7rocprim17ROCPRIM_400000_NS6detail17trampoline_kernelINS0_14default_configENS1_33run_length_encode_config_selectorIsjNS0_4plusIjEEEEZZNS1_33reduce_by_key_impl_wrapped_configILNS1_25lookback_scan_determinismE0ES3_S7_PKsNS0_17constant_iteratorIjlEEPsPlSF_S6_NS0_8equal_toIsEEEE10hipError_tPvRmT2_T3_mT4_T5_T6_T7_T8_P12ihipStream_tbENKUlT_T0_E_clISt17integral_constantIbLb0EESY_IbLb1EEEEDaSU_SV_EUlSU_E_NS1_11comp_targetILNS1_3genE9ELNS1_11target_archE1100ELNS1_3gpuE3ELNS1_3repE0EEENS1_30default_config_static_selectorELNS0_4arch9wavefront6targetE0EEEvT1_
    .private_segment_fixed_size: 0
    .sgpr_count:     0
    .sgpr_spill_count: 0
    .symbol:         _ZN7rocprim17ROCPRIM_400000_NS6detail17trampoline_kernelINS0_14default_configENS1_33run_length_encode_config_selectorIsjNS0_4plusIjEEEEZZNS1_33reduce_by_key_impl_wrapped_configILNS1_25lookback_scan_determinismE0ES3_S7_PKsNS0_17constant_iteratorIjlEEPsPlSF_S6_NS0_8equal_toIsEEEE10hipError_tPvRmT2_T3_mT4_T5_T6_T7_T8_P12ihipStream_tbENKUlT_T0_E_clISt17integral_constantIbLb0EESY_IbLb1EEEEDaSU_SV_EUlSU_E_NS1_11comp_targetILNS1_3genE9ELNS1_11target_archE1100ELNS1_3gpuE3ELNS1_3repE0EEENS1_30default_config_static_selectorELNS0_4arch9wavefront6targetE0EEEvT1_.kd
    .uniform_work_group_size: 1
    .uses_dynamic_stack: false
    .vgpr_count:     0
    .vgpr_spill_count: 0
    .wavefront_size: 32
  - .args:
      - .offset:         0
        .size:           128
        .value_kind:     by_value
    .group_segment_fixed_size: 0
    .kernarg_segment_align: 8
    .kernarg_segment_size: 128
    .language:       OpenCL C
    .language_version:
      - 2
      - 0
    .max_flat_workgroup_size: 384
    .name:           _ZN7rocprim17ROCPRIM_400000_NS6detail17trampoline_kernelINS0_14default_configENS1_33run_length_encode_config_selectorIsjNS0_4plusIjEEEEZZNS1_33reduce_by_key_impl_wrapped_configILNS1_25lookback_scan_determinismE0ES3_S7_PKsNS0_17constant_iteratorIjlEEPsPlSF_S6_NS0_8equal_toIsEEEE10hipError_tPvRmT2_T3_mT4_T5_T6_T7_T8_P12ihipStream_tbENKUlT_T0_E_clISt17integral_constantIbLb0EESY_IbLb1EEEEDaSU_SV_EUlSU_E_NS1_11comp_targetILNS1_3genE8ELNS1_11target_archE1030ELNS1_3gpuE2ELNS1_3repE0EEENS1_30default_config_static_selectorELNS0_4arch9wavefront6targetE0EEEvT1_
    .private_segment_fixed_size: 0
    .sgpr_count:     0
    .sgpr_spill_count: 0
    .symbol:         _ZN7rocprim17ROCPRIM_400000_NS6detail17trampoline_kernelINS0_14default_configENS1_33run_length_encode_config_selectorIsjNS0_4plusIjEEEEZZNS1_33reduce_by_key_impl_wrapped_configILNS1_25lookback_scan_determinismE0ES3_S7_PKsNS0_17constant_iteratorIjlEEPsPlSF_S6_NS0_8equal_toIsEEEE10hipError_tPvRmT2_T3_mT4_T5_T6_T7_T8_P12ihipStream_tbENKUlT_T0_E_clISt17integral_constantIbLb0EESY_IbLb1EEEEDaSU_SV_EUlSU_E_NS1_11comp_targetILNS1_3genE8ELNS1_11target_archE1030ELNS1_3gpuE2ELNS1_3repE0EEENS1_30default_config_static_selectorELNS0_4arch9wavefront6targetE0EEEvT1_.kd
    .uniform_work_group_size: 1
    .uses_dynamic_stack: false
    .vgpr_count:     0
    .vgpr_spill_count: 0
    .wavefront_size: 32
  - .args:
      - .offset:         0
        .size:           8
        .value_kind:     by_value
      - .address_space:  global
        .offset:         8
        .size:           8
        .value_kind:     global_buffer
      - .address_space:  global
        .offset:         16
        .size:           8
        .value_kind:     global_buffer
      - .offset:         24
        .size:           4
        .value_kind:     hidden_block_count_x
      - .offset:         28
        .size:           4
        .value_kind:     hidden_block_count_y
      - .offset:         32
        .size:           4
        .value_kind:     hidden_block_count_z
      - .offset:         36
        .size:           2
        .value_kind:     hidden_group_size_x
      - .offset:         38
        .size:           2
        .value_kind:     hidden_group_size_y
      - .offset:         40
        .size:           2
        .value_kind:     hidden_group_size_z
      - .offset:         42
        .size:           2
        .value_kind:     hidden_remainder_x
      - .offset:         44
        .size:           2
        .value_kind:     hidden_remainder_y
      - .offset:         46
        .size:           2
        .value_kind:     hidden_remainder_z
      - .offset:         64
        .size:           8
        .value_kind:     hidden_global_offset_x
      - .offset:         72
        .size:           8
        .value_kind:     hidden_global_offset_y
      - .offset:         80
        .size:           8
        .value_kind:     hidden_global_offset_z
      - .offset:         88
        .size:           2
        .value_kind:     hidden_grid_dims
    .group_segment_fixed_size: 0
    .kernarg_segment_align: 8
    .kernarg_segment_size: 280
    .language:       OpenCL C
    .language_version:
      - 2
      - 0
    .max_flat_workgroup_size: 1024
    .name:           _ZN2at6native8internal12_GLOBAL__N_126adjacent_difference_kernelIPKjEEvlT_Pi
    .private_segment_fixed_size: 0
    .sgpr_count:     20
    .sgpr_spill_count: 0
    .symbol:         _ZN2at6native8internal12_GLOBAL__N_126adjacent_difference_kernelIPKjEEvlT_Pi.kd
    .uniform_work_group_size: 1
    .uses_dynamic_stack: false
    .vgpr_count:     10
    .vgpr_spill_count: 0
    .wavefront_size: 32
  - .args:
      - .offset:         0
        .size:           112
        .value_kind:     by_value
    .group_segment_fixed_size: 22536
    .kernarg_segment_align: 8
    .kernarg_segment_size: 112
    .language:       OpenCL C
    .language_version:
      - 2
      - 0
    .max_flat_workgroup_size: 512
    .name:           _ZN7rocprim17ROCPRIM_400000_NS6detail17trampoline_kernelINS0_14default_configENS1_25partition_config_selectorILNS1_17partition_subalgoE8EjNS0_10empty_typeEbEEZZNS1_14partition_implILS5_8ELb0ES3_jPKjPS6_PKS6_NS0_5tupleIJPjS6_EEENSE_IJSB_SB_EEENS0_18inequality_wrapperIN6hipcub16HIPCUB_304000_NS8EqualityEEEPlJS6_EEE10hipError_tPvRmT3_T4_T5_T6_T7_T9_mT8_P12ihipStream_tbDpT10_ENKUlT_T0_E_clISt17integral_constantIbLb0EES17_EEDaS12_S13_EUlS12_E_NS1_11comp_targetILNS1_3genE0ELNS1_11target_archE4294967295ELNS1_3gpuE0ELNS1_3repE0EEENS1_30default_config_static_selectorELNS0_4arch9wavefront6targetE0EEEvT1_
    .private_segment_fixed_size: 0
    .sgpr_count:     32
    .sgpr_spill_count: 0
    .symbol:         _ZN7rocprim17ROCPRIM_400000_NS6detail17trampoline_kernelINS0_14default_configENS1_25partition_config_selectorILNS1_17partition_subalgoE8EjNS0_10empty_typeEbEEZZNS1_14partition_implILS5_8ELb0ES3_jPKjPS6_PKS6_NS0_5tupleIJPjS6_EEENSE_IJSB_SB_EEENS0_18inequality_wrapperIN6hipcub16HIPCUB_304000_NS8EqualityEEEPlJS6_EEE10hipError_tPvRmT3_T4_T5_T6_T7_T9_mT8_P12ihipStream_tbDpT10_ENKUlT_T0_E_clISt17integral_constantIbLb0EES17_EEDaS12_S13_EUlS12_E_NS1_11comp_targetILNS1_3genE0ELNS1_11target_archE4294967295ELNS1_3gpuE0ELNS1_3repE0EEENS1_30default_config_static_selectorELNS0_4arch9wavefront6targetE0EEEvT1_.kd
    .uniform_work_group_size: 1
    .uses_dynamic_stack: false
    .vgpr_count:     58
    .vgpr_spill_count: 0
    .wavefront_size: 32
  - .args:
      - .offset:         0
        .size:           112
        .value_kind:     by_value
    .group_segment_fixed_size: 0
    .kernarg_segment_align: 8
    .kernarg_segment_size: 112
    .language:       OpenCL C
    .language_version:
      - 2
      - 0
    .max_flat_workgroup_size: 512
    .name:           _ZN7rocprim17ROCPRIM_400000_NS6detail17trampoline_kernelINS0_14default_configENS1_25partition_config_selectorILNS1_17partition_subalgoE8EjNS0_10empty_typeEbEEZZNS1_14partition_implILS5_8ELb0ES3_jPKjPS6_PKS6_NS0_5tupleIJPjS6_EEENSE_IJSB_SB_EEENS0_18inequality_wrapperIN6hipcub16HIPCUB_304000_NS8EqualityEEEPlJS6_EEE10hipError_tPvRmT3_T4_T5_T6_T7_T9_mT8_P12ihipStream_tbDpT10_ENKUlT_T0_E_clISt17integral_constantIbLb0EES17_EEDaS12_S13_EUlS12_E_NS1_11comp_targetILNS1_3genE5ELNS1_11target_archE942ELNS1_3gpuE9ELNS1_3repE0EEENS1_30default_config_static_selectorELNS0_4arch9wavefront6targetE0EEEvT1_
    .private_segment_fixed_size: 0
    .sgpr_count:     0
    .sgpr_spill_count: 0
    .symbol:         _ZN7rocprim17ROCPRIM_400000_NS6detail17trampoline_kernelINS0_14default_configENS1_25partition_config_selectorILNS1_17partition_subalgoE8EjNS0_10empty_typeEbEEZZNS1_14partition_implILS5_8ELb0ES3_jPKjPS6_PKS6_NS0_5tupleIJPjS6_EEENSE_IJSB_SB_EEENS0_18inequality_wrapperIN6hipcub16HIPCUB_304000_NS8EqualityEEEPlJS6_EEE10hipError_tPvRmT3_T4_T5_T6_T7_T9_mT8_P12ihipStream_tbDpT10_ENKUlT_T0_E_clISt17integral_constantIbLb0EES17_EEDaS12_S13_EUlS12_E_NS1_11comp_targetILNS1_3genE5ELNS1_11target_archE942ELNS1_3gpuE9ELNS1_3repE0EEENS1_30default_config_static_selectorELNS0_4arch9wavefront6targetE0EEEvT1_.kd
    .uniform_work_group_size: 1
    .uses_dynamic_stack: false
    .vgpr_count:     0
    .vgpr_spill_count: 0
    .wavefront_size: 32
  - .args:
      - .offset:         0
        .size:           112
        .value_kind:     by_value
    .group_segment_fixed_size: 0
    .kernarg_segment_align: 8
    .kernarg_segment_size: 112
    .language:       OpenCL C
    .language_version:
      - 2
      - 0
    .max_flat_workgroup_size: 256
    .name:           _ZN7rocprim17ROCPRIM_400000_NS6detail17trampoline_kernelINS0_14default_configENS1_25partition_config_selectorILNS1_17partition_subalgoE8EjNS0_10empty_typeEbEEZZNS1_14partition_implILS5_8ELb0ES3_jPKjPS6_PKS6_NS0_5tupleIJPjS6_EEENSE_IJSB_SB_EEENS0_18inequality_wrapperIN6hipcub16HIPCUB_304000_NS8EqualityEEEPlJS6_EEE10hipError_tPvRmT3_T4_T5_T6_T7_T9_mT8_P12ihipStream_tbDpT10_ENKUlT_T0_E_clISt17integral_constantIbLb0EES17_EEDaS12_S13_EUlS12_E_NS1_11comp_targetILNS1_3genE4ELNS1_11target_archE910ELNS1_3gpuE8ELNS1_3repE0EEENS1_30default_config_static_selectorELNS0_4arch9wavefront6targetE0EEEvT1_
    .private_segment_fixed_size: 0
    .sgpr_count:     0
    .sgpr_spill_count: 0
    .symbol:         _ZN7rocprim17ROCPRIM_400000_NS6detail17trampoline_kernelINS0_14default_configENS1_25partition_config_selectorILNS1_17partition_subalgoE8EjNS0_10empty_typeEbEEZZNS1_14partition_implILS5_8ELb0ES3_jPKjPS6_PKS6_NS0_5tupleIJPjS6_EEENSE_IJSB_SB_EEENS0_18inequality_wrapperIN6hipcub16HIPCUB_304000_NS8EqualityEEEPlJS6_EEE10hipError_tPvRmT3_T4_T5_T6_T7_T9_mT8_P12ihipStream_tbDpT10_ENKUlT_T0_E_clISt17integral_constantIbLb0EES17_EEDaS12_S13_EUlS12_E_NS1_11comp_targetILNS1_3genE4ELNS1_11target_archE910ELNS1_3gpuE8ELNS1_3repE0EEENS1_30default_config_static_selectorELNS0_4arch9wavefront6targetE0EEEvT1_.kd
    .uniform_work_group_size: 1
    .uses_dynamic_stack: false
    .vgpr_count:     0
    .vgpr_spill_count: 0
    .wavefront_size: 32
  - .args:
      - .offset:         0
        .size:           112
        .value_kind:     by_value
    .group_segment_fixed_size: 0
    .kernarg_segment_align: 8
    .kernarg_segment_size: 112
    .language:       OpenCL C
    .language_version:
      - 2
      - 0
    .max_flat_workgroup_size: 512
    .name:           _ZN7rocprim17ROCPRIM_400000_NS6detail17trampoline_kernelINS0_14default_configENS1_25partition_config_selectorILNS1_17partition_subalgoE8EjNS0_10empty_typeEbEEZZNS1_14partition_implILS5_8ELb0ES3_jPKjPS6_PKS6_NS0_5tupleIJPjS6_EEENSE_IJSB_SB_EEENS0_18inequality_wrapperIN6hipcub16HIPCUB_304000_NS8EqualityEEEPlJS6_EEE10hipError_tPvRmT3_T4_T5_T6_T7_T9_mT8_P12ihipStream_tbDpT10_ENKUlT_T0_E_clISt17integral_constantIbLb0EES17_EEDaS12_S13_EUlS12_E_NS1_11comp_targetILNS1_3genE3ELNS1_11target_archE908ELNS1_3gpuE7ELNS1_3repE0EEENS1_30default_config_static_selectorELNS0_4arch9wavefront6targetE0EEEvT1_
    .private_segment_fixed_size: 0
    .sgpr_count:     0
    .sgpr_spill_count: 0
    .symbol:         _ZN7rocprim17ROCPRIM_400000_NS6detail17trampoline_kernelINS0_14default_configENS1_25partition_config_selectorILNS1_17partition_subalgoE8EjNS0_10empty_typeEbEEZZNS1_14partition_implILS5_8ELb0ES3_jPKjPS6_PKS6_NS0_5tupleIJPjS6_EEENSE_IJSB_SB_EEENS0_18inequality_wrapperIN6hipcub16HIPCUB_304000_NS8EqualityEEEPlJS6_EEE10hipError_tPvRmT3_T4_T5_T6_T7_T9_mT8_P12ihipStream_tbDpT10_ENKUlT_T0_E_clISt17integral_constantIbLb0EES17_EEDaS12_S13_EUlS12_E_NS1_11comp_targetILNS1_3genE3ELNS1_11target_archE908ELNS1_3gpuE7ELNS1_3repE0EEENS1_30default_config_static_selectorELNS0_4arch9wavefront6targetE0EEEvT1_.kd
    .uniform_work_group_size: 1
    .uses_dynamic_stack: false
    .vgpr_count:     0
    .vgpr_spill_count: 0
    .wavefront_size: 32
  - .args:
      - .offset:         0
        .size:           112
        .value_kind:     by_value
    .group_segment_fixed_size: 0
    .kernarg_segment_align: 8
    .kernarg_segment_size: 112
    .language:       OpenCL C
    .language_version:
      - 2
      - 0
    .max_flat_workgroup_size: 256
    .name:           _ZN7rocprim17ROCPRIM_400000_NS6detail17trampoline_kernelINS0_14default_configENS1_25partition_config_selectorILNS1_17partition_subalgoE8EjNS0_10empty_typeEbEEZZNS1_14partition_implILS5_8ELb0ES3_jPKjPS6_PKS6_NS0_5tupleIJPjS6_EEENSE_IJSB_SB_EEENS0_18inequality_wrapperIN6hipcub16HIPCUB_304000_NS8EqualityEEEPlJS6_EEE10hipError_tPvRmT3_T4_T5_T6_T7_T9_mT8_P12ihipStream_tbDpT10_ENKUlT_T0_E_clISt17integral_constantIbLb0EES17_EEDaS12_S13_EUlS12_E_NS1_11comp_targetILNS1_3genE2ELNS1_11target_archE906ELNS1_3gpuE6ELNS1_3repE0EEENS1_30default_config_static_selectorELNS0_4arch9wavefront6targetE0EEEvT1_
    .private_segment_fixed_size: 0
    .sgpr_count:     0
    .sgpr_spill_count: 0
    .symbol:         _ZN7rocprim17ROCPRIM_400000_NS6detail17trampoline_kernelINS0_14default_configENS1_25partition_config_selectorILNS1_17partition_subalgoE8EjNS0_10empty_typeEbEEZZNS1_14partition_implILS5_8ELb0ES3_jPKjPS6_PKS6_NS0_5tupleIJPjS6_EEENSE_IJSB_SB_EEENS0_18inequality_wrapperIN6hipcub16HIPCUB_304000_NS8EqualityEEEPlJS6_EEE10hipError_tPvRmT3_T4_T5_T6_T7_T9_mT8_P12ihipStream_tbDpT10_ENKUlT_T0_E_clISt17integral_constantIbLb0EES17_EEDaS12_S13_EUlS12_E_NS1_11comp_targetILNS1_3genE2ELNS1_11target_archE906ELNS1_3gpuE6ELNS1_3repE0EEENS1_30default_config_static_selectorELNS0_4arch9wavefront6targetE0EEEvT1_.kd
    .uniform_work_group_size: 1
    .uses_dynamic_stack: false
    .vgpr_count:     0
    .vgpr_spill_count: 0
    .wavefront_size: 32
  - .args:
      - .offset:         0
        .size:           112
        .value_kind:     by_value
    .group_segment_fixed_size: 0
    .kernarg_segment_align: 8
    .kernarg_segment_size: 112
    .language:       OpenCL C
    .language_version:
      - 2
      - 0
    .max_flat_workgroup_size: 384
    .name:           _ZN7rocprim17ROCPRIM_400000_NS6detail17trampoline_kernelINS0_14default_configENS1_25partition_config_selectorILNS1_17partition_subalgoE8EjNS0_10empty_typeEbEEZZNS1_14partition_implILS5_8ELb0ES3_jPKjPS6_PKS6_NS0_5tupleIJPjS6_EEENSE_IJSB_SB_EEENS0_18inequality_wrapperIN6hipcub16HIPCUB_304000_NS8EqualityEEEPlJS6_EEE10hipError_tPvRmT3_T4_T5_T6_T7_T9_mT8_P12ihipStream_tbDpT10_ENKUlT_T0_E_clISt17integral_constantIbLb0EES17_EEDaS12_S13_EUlS12_E_NS1_11comp_targetILNS1_3genE10ELNS1_11target_archE1200ELNS1_3gpuE4ELNS1_3repE0EEENS1_30default_config_static_selectorELNS0_4arch9wavefront6targetE0EEEvT1_
    .private_segment_fixed_size: 0
    .sgpr_count:     0
    .sgpr_spill_count: 0
    .symbol:         _ZN7rocprim17ROCPRIM_400000_NS6detail17trampoline_kernelINS0_14default_configENS1_25partition_config_selectorILNS1_17partition_subalgoE8EjNS0_10empty_typeEbEEZZNS1_14partition_implILS5_8ELb0ES3_jPKjPS6_PKS6_NS0_5tupleIJPjS6_EEENSE_IJSB_SB_EEENS0_18inequality_wrapperIN6hipcub16HIPCUB_304000_NS8EqualityEEEPlJS6_EEE10hipError_tPvRmT3_T4_T5_T6_T7_T9_mT8_P12ihipStream_tbDpT10_ENKUlT_T0_E_clISt17integral_constantIbLb0EES17_EEDaS12_S13_EUlS12_E_NS1_11comp_targetILNS1_3genE10ELNS1_11target_archE1200ELNS1_3gpuE4ELNS1_3repE0EEENS1_30default_config_static_selectorELNS0_4arch9wavefront6targetE0EEEvT1_.kd
    .uniform_work_group_size: 1
    .uses_dynamic_stack: false
    .vgpr_count:     0
    .vgpr_spill_count: 0
    .wavefront_size: 32
  - .args:
      - .offset:         0
        .size:           112
        .value_kind:     by_value
    .group_segment_fixed_size: 0
    .kernarg_segment_align: 8
    .kernarg_segment_size: 112
    .language:       OpenCL C
    .language_version:
      - 2
      - 0
    .max_flat_workgroup_size: 384
    .name:           _ZN7rocprim17ROCPRIM_400000_NS6detail17trampoline_kernelINS0_14default_configENS1_25partition_config_selectorILNS1_17partition_subalgoE8EjNS0_10empty_typeEbEEZZNS1_14partition_implILS5_8ELb0ES3_jPKjPS6_PKS6_NS0_5tupleIJPjS6_EEENSE_IJSB_SB_EEENS0_18inequality_wrapperIN6hipcub16HIPCUB_304000_NS8EqualityEEEPlJS6_EEE10hipError_tPvRmT3_T4_T5_T6_T7_T9_mT8_P12ihipStream_tbDpT10_ENKUlT_T0_E_clISt17integral_constantIbLb0EES17_EEDaS12_S13_EUlS12_E_NS1_11comp_targetILNS1_3genE9ELNS1_11target_archE1100ELNS1_3gpuE3ELNS1_3repE0EEENS1_30default_config_static_selectorELNS0_4arch9wavefront6targetE0EEEvT1_
    .private_segment_fixed_size: 0
    .sgpr_count:     0
    .sgpr_spill_count: 0
    .symbol:         _ZN7rocprim17ROCPRIM_400000_NS6detail17trampoline_kernelINS0_14default_configENS1_25partition_config_selectorILNS1_17partition_subalgoE8EjNS0_10empty_typeEbEEZZNS1_14partition_implILS5_8ELb0ES3_jPKjPS6_PKS6_NS0_5tupleIJPjS6_EEENSE_IJSB_SB_EEENS0_18inequality_wrapperIN6hipcub16HIPCUB_304000_NS8EqualityEEEPlJS6_EEE10hipError_tPvRmT3_T4_T5_T6_T7_T9_mT8_P12ihipStream_tbDpT10_ENKUlT_T0_E_clISt17integral_constantIbLb0EES17_EEDaS12_S13_EUlS12_E_NS1_11comp_targetILNS1_3genE9ELNS1_11target_archE1100ELNS1_3gpuE3ELNS1_3repE0EEENS1_30default_config_static_selectorELNS0_4arch9wavefront6targetE0EEEvT1_.kd
    .uniform_work_group_size: 1
    .uses_dynamic_stack: false
    .vgpr_count:     0
    .vgpr_spill_count: 0
    .wavefront_size: 32
  - .args:
      - .offset:         0
        .size:           112
        .value_kind:     by_value
    .group_segment_fixed_size: 0
    .kernarg_segment_align: 8
    .kernarg_segment_size: 112
    .language:       OpenCL C
    .language_version:
      - 2
      - 0
    .max_flat_workgroup_size: 512
    .name:           _ZN7rocprim17ROCPRIM_400000_NS6detail17trampoline_kernelINS0_14default_configENS1_25partition_config_selectorILNS1_17partition_subalgoE8EjNS0_10empty_typeEbEEZZNS1_14partition_implILS5_8ELb0ES3_jPKjPS6_PKS6_NS0_5tupleIJPjS6_EEENSE_IJSB_SB_EEENS0_18inequality_wrapperIN6hipcub16HIPCUB_304000_NS8EqualityEEEPlJS6_EEE10hipError_tPvRmT3_T4_T5_T6_T7_T9_mT8_P12ihipStream_tbDpT10_ENKUlT_T0_E_clISt17integral_constantIbLb0EES17_EEDaS12_S13_EUlS12_E_NS1_11comp_targetILNS1_3genE8ELNS1_11target_archE1030ELNS1_3gpuE2ELNS1_3repE0EEENS1_30default_config_static_selectorELNS0_4arch9wavefront6targetE0EEEvT1_
    .private_segment_fixed_size: 0
    .sgpr_count:     0
    .sgpr_spill_count: 0
    .symbol:         _ZN7rocprim17ROCPRIM_400000_NS6detail17trampoline_kernelINS0_14default_configENS1_25partition_config_selectorILNS1_17partition_subalgoE8EjNS0_10empty_typeEbEEZZNS1_14partition_implILS5_8ELb0ES3_jPKjPS6_PKS6_NS0_5tupleIJPjS6_EEENSE_IJSB_SB_EEENS0_18inequality_wrapperIN6hipcub16HIPCUB_304000_NS8EqualityEEEPlJS6_EEE10hipError_tPvRmT3_T4_T5_T6_T7_T9_mT8_P12ihipStream_tbDpT10_ENKUlT_T0_E_clISt17integral_constantIbLb0EES17_EEDaS12_S13_EUlS12_E_NS1_11comp_targetILNS1_3genE8ELNS1_11target_archE1030ELNS1_3gpuE2ELNS1_3repE0EEENS1_30default_config_static_selectorELNS0_4arch9wavefront6targetE0EEEvT1_.kd
    .uniform_work_group_size: 1
    .uses_dynamic_stack: false
    .vgpr_count:     0
    .vgpr_spill_count: 0
    .wavefront_size: 32
  - .args:
      - .offset:         0
        .size:           128
        .value_kind:     by_value
    .group_segment_fixed_size: 0
    .kernarg_segment_align: 8
    .kernarg_segment_size: 128
    .language:       OpenCL C
    .language_version:
      - 2
      - 0
    .max_flat_workgroup_size: 512
    .name:           _ZN7rocprim17ROCPRIM_400000_NS6detail17trampoline_kernelINS0_14default_configENS1_25partition_config_selectorILNS1_17partition_subalgoE8EjNS0_10empty_typeEbEEZZNS1_14partition_implILS5_8ELb0ES3_jPKjPS6_PKS6_NS0_5tupleIJPjS6_EEENSE_IJSB_SB_EEENS0_18inequality_wrapperIN6hipcub16HIPCUB_304000_NS8EqualityEEEPlJS6_EEE10hipError_tPvRmT3_T4_T5_T6_T7_T9_mT8_P12ihipStream_tbDpT10_ENKUlT_T0_E_clISt17integral_constantIbLb1EES17_EEDaS12_S13_EUlS12_E_NS1_11comp_targetILNS1_3genE0ELNS1_11target_archE4294967295ELNS1_3gpuE0ELNS1_3repE0EEENS1_30default_config_static_selectorELNS0_4arch9wavefront6targetE0EEEvT1_
    .private_segment_fixed_size: 0
    .sgpr_count:     0
    .sgpr_spill_count: 0
    .symbol:         _ZN7rocprim17ROCPRIM_400000_NS6detail17trampoline_kernelINS0_14default_configENS1_25partition_config_selectorILNS1_17partition_subalgoE8EjNS0_10empty_typeEbEEZZNS1_14partition_implILS5_8ELb0ES3_jPKjPS6_PKS6_NS0_5tupleIJPjS6_EEENSE_IJSB_SB_EEENS0_18inequality_wrapperIN6hipcub16HIPCUB_304000_NS8EqualityEEEPlJS6_EEE10hipError_tPvRmT3_T4_T5_T6_T7_T9_mT8_P12ihipStream_tbDpT10_ENKUlT_T0_E_clISt17integral_constantIbLb1EES17_EEDaS12_S13_EUlS12_E_NS1_11comp_targetILNS1_3genE0ELNS1_11target_archE4294967295ELNS1_3gpuE0ELNS1_3repE0EEENS1_30default_config_static_selectorELNS0_4arch9wavefront6targetE0EEEvT1_.kd
    .uniform_work_group_size: 1
    .uses_dynamic_stack: false
    .vgpr_count:     0
    .vgpr_spill_count: 0
    .wavefront_size: 32
  - .args:
      - .offset:         0
        .size:           128
        .value_kind:     by_value
    .group_segment_fixed_size: 0
    .kernarg_segment_align: 8
    .kernarg_segment_size: 128
    .language:       OpenCL C
    .language_version:
      - 2
      - 0
    .max_flat_workgroup_size: 512
    .name:           _ZN7rocprim17ROCPRIM_400000_NS6detail17trampoline_kernelINS0_14default_configENS1_25partition_config_selectorILNS1_17partition_subalgoE8EjNS0_10empty_typeEbEEZZNS1_14partition_implILS5_8ELb0ES3_jPKjPS6_PKS6_NS0_5tupleIJPjS6_EEENSE_IJSB_SB_EEENS0_18inequality_wrapperIN6hipcub16HIPCUB_304000_NS8EqualityEEEPlJS6_EEE10hipError_tPvRmT3_T4_T5_T6_T7_T9_mT8_P12ihipStream_tbDpT10_ENKUlT_T0_E_clISt17integral_constantIbLb1EES17_EEDaS12_S13_EUlS12_E_NS1_11comp_targetILNS1_3genE5ELNS1_11target_archE942ELNS1_3gpuE9ELNS1_3repE0EEENS1_30default_config_static_selectorELNS0_4arch9wavefront6targetE0EEEvT1_
    .private_segment_fixed_size: 0
    .sgpr_count:     0
    .sgpr_spill_count: 0
    .symbol:         _ZN7rocprim17ROCPRIM_400000_NS6detail17trampoline_kernelINS0_14default_configENS1_25partition_config_selectorILNS1_17partition_subalgoE8EjNS0_10empty_typeEbEEZZNS1_14partition_implILS5_8ELb0ES3_jPKjPS6_PKS6_NS0_5tupleIJPjS6_EEENSE_IJSB_SB_EEENS0_18inequality_wrapperIN6hipcub16HIPCUB_304000_NS8EqualityEEEPlJS6_EEE10hipError_tPvRmT3_T4_T5_T6_T7_T9_mT8_P12ihipStream_tbDpT10_ENKUlT_T0_E_clISt17integral_constantIbLb1EES17_EEDaS12_S13_EUlS12_E_NS1_11comp_targetILNS1_3genE5ELNS1_11target_archE942ELNS1_3gpuE9ELNS1_3repE0EEENS1_30default_config_static_selectorELNS0_4arch9wavefront6targetE0EEEvT1_.kd
    .uniform_work_group_size: 1
    .uses_dynamic_stack: false
    .vgpr_count:     0
    .vgpr_spill_count: 0
    .wavefront_size: 32
  - .args:
      - .offset:         0
        .size:           128
        .value_kind:     by_value
    .group_segment_fixed_size: 0
    .kernarg_segment_align: 8
    .kernarg_segment_size: 128
    .language:       OpenCL C
    .language_version:
      - 2
      - 0
    .max_flat_workgroup_size: 256
    .name:           _ZN7rocprim17ROCPRIM_400000_NS6detail17trampoline_kernelINS0_14default_configENS1_25partition_config_selectorILNS1_17partition_subalgoE8EjNS0_10empty_typeEbEEZZNS1_14partition_implILS5_8ELb0ES3_jPKjPS6_PKS6_NS0_5tupleIJPjS6_EEENSE_IJSB_SB_EEENS0_18inequality_wrapperIN6hipcub16HIPCUB_304000_NS8EqualityEEEPlJS6_EEE10hipError_tPvRmT3_T4_T5_T6_T7_T9_mT8_P12ihipStream_tbDpT10_ENKUlT_T0_E_clISt17integral_constantIbLb1EES17_EEDaS12_S13_EUlS12_E_NS1_11comp_targetILNS1_3genE4ELNS1_11target_archE910ELNS1_3gpuE8ELNS1_3repE0EEENS1_30default_config_static_selectorELNS0_4arch9wavefront6targetE0EEEvT1_
    .private_segment_fixed_size: 0
    .sgpr_count:     0
    .sgpr_spill_count: 0
    .symbol:         _ZN7rocprim17ROCPRIM_400000_NS6detail17trampoline_kernelINS0_14default_configENS1_25partition_config_selectorILNS1_17partition_subalgoE8EjNS0_10empty_typeEbEEZZNS1_14partition_implILS5_8ELb0ES3_jPKjPS6_PKS6_NS0_5tupleIJPjS6_EEENSE_IJSB_SB_EEENS0_18inequality_wrapperIN6hipcub16HIPCUB_304000_NS8EqualityEEEPlJS6_EEE10hipError_tPvRmT3_T4_T5_T6_T7_T9_mT8_P12ihipStream_tbDpT10_ENKUlT_T0_E_clISt17integral_constantIbLb1EES17_EEDaS12_S13_EUlS12_E_NS1_11comp_targetILNS1_3genE4ELNS1_11target_archE910ELNS1_3gpuE8ELNS1_3repE0EEENS1_30default_config_static_selectorELNS0_4arch9wavefront6targetE0EEEvT1_.kd
    .uniform_work_group_size: 1
    .uses_dynamic_stack: false
    .vgpr_count:     0
    .vgpr_spill_count: 0
    .wavefront_size: 32
  - .args:
      - .offset:         0
        .size:           128
        .value_kind:     by_value
    .group_segment_fixed_size: 0
    .kernarg_segment_align: 8
    .kernarg_segment_size: 128
    .language:       OpenCL C
    .language_version:
      - 2
      - 0
    .max_flat_workgroup_size: 512
    .name:           _ZN7rocprim17ROCPRIM_400000_NS6detail17trampoline_kernelINS0_14default_configENS1_25partition_config_selectorILNS1_17partition_subalgoE8EjNS0_10empty_typeEbEEZZNS1_14partition_implILS5_8ELb0ES3_jPKjPS6_PKS6_NS0_5tupleIJPjS6_EEENSE_IJSB_SB_EEENS0_18inequality_wrapperIN6hipcub16HIPCUB_304000_NS8EqualityEEEPlJS6_EEE10hipError_tPvRmT3_T4_T5_T6_T7_T9_mT8_P12ihipStream_tbDpT10_ENKUlT_T0_E_clISt17integral_constantIbLb1EES17_EEDaS12_S13_EUlS12_E_NS1_11comp_targetILNS1_3genE3ELNS1_11target_archE908ELNS1_3gpuE7ELNS1_3repE0EEENS1_30default_config_static_selectorELNS0_4arch9wavefront6targetE0EEEvT1_
    .private_segment_fixed_size: 0
    .sgpr_count:     0
    .sgpr_spill_count: 0
    .symbol:         _ZN7rocprim17ROCPRIM_400000_NS6detail17trampoline_kernelINS0_14default_configENS1_25partition_config_selectorILNS1_17partition_subalgoE8EjNS0_10empty_typeEbEEZZNS1_14partition_implILS5_8ELb0ES3_jPKjPS6_PKS6_NS0_5tupleIJPjS6_EEENSE_IJSB_SB_EEENS0_18inequality_wrapperIN6hipcub16HIPCUB_304000_NS8EqualityEEEPlJS6_EEE10hipError_tPvRmT3_T4_T5_T6_T7_T9_mT8_P12ihipStream_tbDpT10_ENKUlT_T0_E_clISt17integral_constantIbLb1EES17_EEDaS12_S13_EUlS12_E_NS1_11comp_targetILNS1_3genE3ELNS1_11target_archE908ELNS1_3gpuE7ELNS1_3repE0EEENS1_30default_config_static_selectorELNS0_4arch9wavefront6targetE0EEEvT1_.kd
    .uniform_work_group_size: 1
    .uses_dynamic_stack: false
    .vgpr_count:     0
    .vgpr_spill_count: 0
    .wavefront_size: 32
  - .args:
      - .offset:         0
        .size:           128
        .value_kind:     by_value
    .group_segment_fixed_size: 0
    .kernarg_segment_align: 8
    .kernarg_segment_size: 128
    .language:       OpenCL C
    .language_version:
      - 2
      - 0
    .max_flat_workgroup_size: 256
    .name:           _ZN7rocprim17ROCPRIM_400000_NS6detail17trampoline_kernelINS0_14default_configENS1_25partition_config_selectorILNS1_17partition_subalgoE8EjNS0_10empty_typeEbEEZZNS1_14partition_implILS5_8ELb0ES3_jPKjPS6_PKS6_NS0_5tupleIJPjS6_EEENSE_IJSB_SB_EEENS0_18inequality_wrapperIN6hipcub16HIPCUB_304000_NS8EqualityEEEPlJS6_EEE10hipError_tPvRmT3_T4_T5_T6_T7_T9_mT8_P12ihipStream_tbDpT10_ENKUlT_T0_E_clISt17integral_constantIbLb1EES17_EEDaS12_S13_EUlS12_E_NS1_11comp_targetILNS1_3genE2ELNS1_11target_archE906ELNS1_3gpuE6ELNS1_3repE0EEENS1_30default_config_static_selectorELNS0_4arch9wavefront6targetE0EEEvT1_
    .private_segment_fixed_size: 0
    .sgpr_count:     0
    .sgpr_spill_count: 0
    .symbol:         _ZN7rocprim17ROCPRIM_400000_NS6detail17trampoline_kernelINS0_14default_configENS1_25partition_config_selectorILNS1_17partition_subalgoE8EjNS0_10empty_typeEbEEZZNS1_14partition_implILS5_8ELb0ES3_jPKjPS6_PKS6_NS0_5tupleIJPjS6_EEENSE_IJSB_SB_EEENS0_18inequality_wrapperIN6hipcub16HIPCUB_304000_NS8EqualityEEEPlJS6_EEE10hipError_tPvRmT3_T4_T5_T6_T7_T9_mT8_P12ihipStream_tbDpT10_ENKUlT_T0_E_clISt17integral_constantIbLb1EES17_EEDaS12_S13_EUlS12_E_NS1_11comp_targetILNS1_3genE2ELNS1_11target_archE906ELNS1_3gpuE6ELNS1_3repE0EEENS1_30default_config_static_selectorELNS0_4arch9wavefront6targetE0EEEvT1_.kd
    .uniform_work_group_size: 1
    .uses_dynamic_stack: false
    .vgpr_count:     0
    .vgpr_spill_count: 0
    .wavefront_size: 32
  - .args:
      - .offset:         0
        .size:           128
        .value_kind:     by_value
    .group_segment_fixed_size: 0
    .kernarg_segment_align: 8
    .kernarg_segment_size: 128
    .language:       OpenCL C
    .language_version:
      - 2
      - 0
    .max_flat_workgroup_size: 384
    .name:           _ZN7rocprim17ROCPRIM_400000_NS6detail17trampoline_kernelINS0_14default_configENS1_25partition_config_selectorILNS1_17partition_subalgoE8EjNS0_10empty_typeEbEEZZNS1_14partition_implILS5_8ELb0ES3_jPKjPS6_PKS6_NS0_5tupleIJPjS6_EEENSE_IJSB_SB_EEENS0_18inequality_wrapperIN6hipcub16HIPCUB_304000_NS8EqualityEEEPlJS6_EEE10hipError_tPvRmT3_T4_T5_T6_T7_T9_mT8_P12ihipStream_tbDpT10_ENKUlT_T0_E_clISt17integral_constantIbLb1EES17_EEDaS12_S13_EUlS12_E_NS1_11comp_targetILNS1_3genE10ELNS1_11target_archE1200ELNS1_3gpuE4ELNS1_3repE0EEENS1_30default_config_static_selectorELNS0_4arch9wavefront6targetE0EEEvT1_
    .private_segment_fixed_size: 0
    .sgpr_count:     0
    .sgpr_spill_count: 0
    .symbol:         _ZN7rocprim17ROCPRIM_400000_NS6detail17trampoline_kernelINS0_14default_configENS1_25partition_config_selectorILNS1_17partition_subalgoE8EjNS0_10empty_typeEbEEZZNS1_14partition_implILS5_8ELb0ES3_jPKjPS6_PKS6_NS0_5tupleIJPjS6_EEENSE_IJSB_SB_EEENS0_18inequality_wrapperIN6hipcub16HIPCUB_304000_NS8EqualityEEEPlJS6_EEE10hipError_tPvRmT3_T4_T5_T6_T7_T9_mT8_P12ihipStream_tbDpT10_ENKUlT_T0_E_clISt17integral_constantIbLb1EES17_EEDaS12_S13_EUlS12_E_NS1_11comp_targetILNS1_3genE10ELNS1_11target_archE1200ELNS1_3gpuE4ELNS1_3repE0EEENS1_30default_config_static_selectorELNS0_4arch9wavefront6targetE0EEEvT1_.kd
    .uniform_work_group_size: 1
    .uses_dynamic_stack: false
    .vgpr_count:     0
    .vgpr_spill_count: 0
    .wavefront_size: 32
  - .args:
      - .offset:         0
        .size:           128
        .value_kind:     by_value
    .group_segment_fixed_size: 0
    .kernarg_segment_align: 8
    .kernarg_segment_size: 128
    .language:       OpenCL C
    .language_version:
      - 2
      - 0
    .max_flat_workgroup_size: 384
    .name:           _ZN7rocprim17ROCPRIM_400000_NS6detail17trampoline_kernelINS0_14default_configENS1_25partition_config_selectorILNS1_17partition_subalgoE8EjNS0_10empty_typeEbEEZZNS1_14partition_implILS5_8ELb0ES3_jPKjPS6_PKS6_NS0_5tupleIJPjS6_EEENSE_IJSB_SB_EEENS0_18inequality_wrapperIN6hipcub16HIPCUB_304000_NS8EqualityEEEPlJS6_EEE10hipError_tPvRmT3_T4_T5_T6_T7_T9_mT8_P12ihipStream_tbDpT10_ENKUlT_T0_E_clISt17integral_constantIbLb1EES17_EEDaS12_S13_EUlS12_E_NS1_11comp_targetILNS1_3genE9ELNS1_11target_archE1100ELNS1_3gpuE3ELNS1_3repE0EEENS1_30default_config_static_selectorELNS0_4arch9wavefront6targetE0EEEvT1_
    .private_segment_fixed_size: 0
    .sgpr_count:     0
    .sgpr_spill_count: 0
    .symbol:         _ZN7rocprim17ROCPRIM_400000_NS6detail17trampoline_kernelINS0_14default_configENS1_25partition_config_selectorILNS1_17partition_subalgoE8EjNS0_10empty_typeEbEEZZNS1_14partition_implILS5_8ELb0ES3_jPKjPS6_PKS6_NS0_5tupleIJPjS6_EEENSE_IJSB_SB_EEENS0_18inequality_wrapperIN6hipcub16HIPCUB_304000_NS8EqualityEEEPlJS6_EEE10hipError_tPvRmT3_T4_T5_T6_T7_T9_mT8_P12ihipStream_tbDpT10_ENKUlT_T0_E_clISt17integral_constantIbLb1EES17_EEDaS12_S13_EUlS12_E_NS1_11comp_targetILNS1_3genE9ELNS1_11target_archE1100ELNS1_3gpuE3ELNS1_3repE0EEENS1_30default_config_static_selectorELNS0_4arch9wavefront6targetE0EEEvT1_.kd
    .uniform_work_group_size: 1
    .uses_dynamic_stack: false
    .vgpr_count:     0
    .vgpr_spill_count: 0
    .wavefront_size: 32
  - .args:
      - .offset:         0
        .size:           128
        .value_kind:     by_value
    .group_segment_fixed_size: 0
    .kernarg_segment_align: 8
    .kernarg_segment_size: 128
    .language:       OpenCL C
    .language_version:
      - 2
      - 0
    .max_flat_workgroup_size: 512
    .name:           _ZN7rocprim17ROCPRIM_400000_NS6detail17trampoline_kernelINS0_14default_configENS1_25partition_config_selectorILNS1_17partition_subalgoE8EjNS0_10empty_typeEbEEZZNS1_14partition_implILS5_8ELb0ES3_jPKjPS6_PKS6_NS0_5tupleIJPjS6_EEENSE_IJSB_SB_EEENS0_18inequality_wrapperIN6hipcub16HIPCUB_304000_NS8EqualityEEEPlJS6_EEE10hipError_tPvRmT3_T4_T5_T6_T7_T9_mT8_P12ihipStream_tbDpT10_ENKUlT_T0_E_clISt17integral_constantIbLb1EES17_EEDaS12_S13_EUlS12_E_NS1_11comp_targetILNS1_3genE8ELNS1_11target_archE1030ELNS1_3gpuE2ELNS1_3repE0EEENS1_30default_config_static_selectorELNS0_4arch9wavefront6targetE0EEEvT1_
    .private_segment_fixed_size: 0
    .sgpr_count:     0
    .sgpr_spill_count: 0
    .symbol:         _ZN7rocprim17ROCPRIM_400000_NS6detail17trampoline_kernelINS0_14default_configENS1_25partition_config_selectorILNS1_17partition_subalgoE8EjNS0_10empty_typeEbEEZZNS1_14partition_implILS5_8ELb0ES3_jPKjPS6_PKS6_NS0_5tupleIJPjS6_EEENSE_IJSB_SB_EEENS0_18inequality_wrapperIN6hipcub16HIPCUB_304000_NS8EqualityEEEPlJS6_EEE10hipError_tPvRmT3_T4_T5_T6_T7_T9_mT8_P12ihipStream_tbDpT10_ENKUlT_T0_E_clISt17integral_constantIbLb1EES17_EEDaS12_S13_EUlS12_E_NS1_11comp_targetILNS1_3genE8ELNS1_11target_archE1030ELNS1_3gpuE2ELNS1_3repE0EEENS1_30default_config_static_selectorELNS0_4arch9wavefront6targetE0EEEvT1_.kd
    .uniform_work_group_size: 1
    .uses_dynamic_stack: false
    .vgpr_count:     0
    .vgpr_spill_count: 0
    .wavefront_size: 32
  - .args:
      - .offset:         0
        .size:           112
        .value_kind:     by_value
    .group_segment_fixed_size: 0
    .kernarg_segment_align: 8
    .kernarg_segment_size: 112
    .language:       OpenCL C
    .language_version:
      - 2
      - 0
    .max_flat_workgroup_size: 512
    .name:           _ZN7rocprim17ROCPRIM_400000_NS6detail17trampoline_kernelINS0_14default_configENS1_25partition_config_selectorILNS1_17partition_subalgoE8EjNS0_10empty_typeEbEEZZNS1_14partition_implILS5_8ELb0ES3_jPKjPS6_PKS6_NS0_5tupleIJPjS6_EEENSE_IJSB_SB_EEENS0_18inequality_wrapperIN6hipcub16HIPCUB_304000_NS8EqualityEEEPlJS6_EEE10hipError_tPvRmT3_T4_T5_T6_T7_T9_mT8_P12ihipStream_tbDpT10_ENKUlT_T0_E_clISt17integral_constantIbLb1EES16_IbLb0EEEEDaS12_S13_EUlS12_E_NS1_11comp_targetILNS1_3genE0ELNS1_11target_archE4294967295ELNS1_3gpuE0ELNS1_3repE0EEENS1_30default_config_static_selectorELNS0_4arch9wavefront6targetE0EEEvT1_
    .private_segment_fixed_size: 0
    .sgpr_count:     0
    .sgpr_spill_count: 0
    .symbol:         _ZN7rocprim17ROCPRIM_400000_NS6detail17trampoline_kernelINS0_14default_configENS1_25partition_config_selectorILNS1_17partition_subalgoE8EjNS0_10empty_typeEbEEZZNS1_14partition_implILS5_8ELb0ES3_jPKjPS6_PKS6_NS0_5tupleIJPjS6_EEENSE_IJSB_SB_EEENS0_18inequality_wrapperIN6hipcub16HIPCUB_304000_NS8EqualityEEEPlJS6_EEE10hipError_tPvRmT3_T4_T5_T6_T7_T9_mT8_P12ihipStream_tbDpT10_ENKUlT_T0_E_clISt17integral_constantIbLb1EES16_IbLb0EEEEDaS12_S13_EUlS12_E_NS1_11comp_targetILNS1_3genE0ELNS1_11target_archE4294967295ELNS1_3gpuE0ELNS1_3repE0EEENS1_30default_config_static_selectorELNS0_4arch9wavefront6targetE0EEEvT1_.kd
    .uniform_work_group_size: 1
    .uses_dynamic_stack: false
    .vgpr_count:     0
    .vgpr_spill_count: 0
    .wavefront_size: 32
  - .args:
      - .offset:         0
        .size:           112
        .value_kind:     by_value
    .group_segment_fixed_size: 0
    .kernarg_segment_align: 8
    .kernarg_segment_size: 112
    .language:       OpenCL C
    .language_version:
      - 2
      - 0
    .max_flat_workgroup_size: 512
    .name:           _ZN7rocprim17ROCPRIM_400000_NS6detail17trampoline_kernelINS0_14default_configENS1_25partition_config_selectorILNS1_17partition_subalgoE8EjNS0_10empty_typeEbEEZZNS1_14partition_implILS5_8ELb0ES3_jPKjPS6_PKS6_NS0_5tupleIJPjS6_EEENSE_IJSB_SB_EEENS0_18inequality_wrapperIN6hipcub16HIPCUB_304000_NS8EqualityEEEPlJS6_EEE10hipError_tPvRmT3_T4_T5_T6_T7_T9_mT8_P12ihipStream_tbDpT10_ENKUlT_T0_E_clISt17integral_constantIbLb1EES16_IbLb0EEEEDaS12_S13_EUlS12_E_NS1_11comp_targetILNS1_3genE5ELNS1_11target_archE942ELNS1_3gpuE9ELNS1_3repE0EEENS1_30default_config_static_selectorELNS0_4arch9wavefront6targetE0EEEvT1_
    .private_segment_fixed_size: 0
    .sgpr_count:     0
    .sgpr_spill_count: 0
    .symbol:         _ZN7rocprim17ROCPRIM_400000_NS6detail17trampoline_kernelINS0_14default_configENS1_25partition_config_selectorILNS1_17partition_subalgoE8EjNS0_10empty_typeEbEEZZNS1_14partition_implILS5_8ELb0ES3_jPKjPS6_PKS6_NS0_5tupleIJPjS6_EEENSE_IJSB_SB_EEENS0_18inequality_wrapperIN6hipcub16HIPCUB_304000_NS8EqualityEEEPlJS6_EEE10hipError_tPvRmT3_T4_T5_T6_T7_T9_mT8_P12ihipStream_tbDpT10_ENKUlT_T0_E_clISt17integral_constantIbLb1EES16_IbLb0EEEEDaS12_S13_EUlS12_E_NS1_11comp_targetILNS1_3genE5ELNS1_11target_archE942ELNS1_3gpuE9ELNS1_3repE0EEENS1_30default_config_static_selectorELNS0_4arch9wavefront6targetE0EEEvT1_.kd
    .uniform_work_group_size: 1
    .uses_dynamic_stack: false
    .vgpr_count:     0
    .vgpr_spill_count: 0
    .wavefront_size: 32
  - .args:
      - .offset:         0
        .size:           112
        .value_kind:     by_value
    .group_segment_fixed_size: 0
    .kernarg_segment_align: 8
    .kernarg_segment_size: 112
    .language:       OpenCL C
    .language_version:
      - 2
      - 0
    .max_flat_workgroup_size: 256
    .name:           _ZN7rocprim17ROCPRIM_400000_NS6detail17trampoline_kernelINS0_14default_configENS1_25partition_config_selectorILNS1_17partition_subalgoE8EjNS0_10empty_typeEbEEZZNS1_14partition_implILS5_8ELb0ES3_jPKjPS6_PKS6_NS0_5tupleIJPjS6_EEENSE_IJSB_SB_EEENS0_18inequality_wrapperIN6hipcub16HIPCUB_304000_NS8EqualityEEEPlJS6_EEE10hipError_tPvRmT3_T4_T5_T6_T7_T9_mT8_P12ihipStream_tbDpT10_ENKUlT_T0_E_clISt17integral_constantIbLb1EES16_IbLb0EEEEDaS12_S13_EUlS12_E_NS1_11comp_targetILNS1_3genE4ELNS1_11target_archE910ELNS1_3gpuE8ELNS1_3repE0EEENS1_30default_config_static_selectorELNS0_4arch9wavefront6targetE0EEEvT1_
    .private_segment_fixed_size: 0
    .sgpr_count:     0
    .sgpr_spill_count: 0
    .symbol:         _ZN7rocprim17ROCPRIM_400000_NS6detail17trampoline_kernelINS0_14default_configENS1_25partition_config_selectorILNS1_17partition_subalgoE8EjNS0_10empty_typeEbEEZZNS1_14partition_implILS5_8ELb0ES3_jPKjPS6_PKS6_NS0_5tupleIJPjS6_EEENSE_IJSB_SB_EEENS0_18inequality_wrapperIN6hipcub16HIPCUB_304000_NS8EqualityEEEPlJS6_EEE10hipError_tPvRmT3_T4_T5_T6_T7_T9_mT8_P12ihipStream_tbDpT10_ENKUlT_T0_E_clISt17integral_constantIbLb1EES16_IbLb0EEEEDaS12_S13_EUlS12_E_NS1_11comp_targetILNS1_3genE4ELNS1_11target_archE910ELNS1_3gpuE8ELNS1_3repE0EEENS1_30default_config_static_selectorELNS0_4arch9wavefront6targetE0EEEvT1_.kd
    .uniform_work_group_size: 1
    .uses_dynamic_stack: false
    .vgpr_count:     0
    .vgpr_spill_count: 0
    .wavefront_size: 32
  - .args:
      - .offset:         0
        .size:           112
        .value_kind:     by_value
    .group_segment_fixed_size: 0
    .kernarg_segment_align: 8
    .kernarg_segment_size: 112
    .language:       OpenCL C
    .language_version:
      - 2
      - 0
    .max_flat_workgroup_size: 512
    .name:           _ZN7rocprim17ROCPRIM_400000_NS6detail17trampoline_kernelINS0_14default_configENS1_25partition_config_selectorILNS1_17partition_subalgoE8EjNS0_10empty_typeEbEEZZNS1_14partition_implILS5_8ELb0ES3_jPKjPS6_PKS6_NS0_5tupleIJPjS6_EEENSE_IJSB_SB_EEENS0_18inequality_wrapperIN6hipcub16HIPCUB_304000_NS8EqualityEEEPlJS6_EEE10hipError_tPvRmT3_T4_T5_T6_T7_T9_mT8_P12ihipStream_tbDpT10_ENKUlT_T0_E_clISt17integral_constantIbLb1EES16_IbLb0EEEEDaS12_S13_EUlS12_E_NS1_11comp_targetILNS1_3genE3ELNS1_11target_archE908ELNS1_3gpuE7ELNS1_3repE0EEENS1_30default_config_static_selectorELNS0_4arch9wavefront6targetE0EEEvT1_
    .private_segment_fixed_size: 0
    .sgpr_count:     0
    .sgpr_spill_count: 0
    .symbol:         _ZN7rocprim17ROCPRIM_400000_NS6detail17trampoline_kernelINS0_14default_configENS1_25partition_config_selectorILNS1_17partition_subalgoE8EjNS0_10empty_typeEbEEZZNS1_14partition_implILS5_8ELb0ES3_jPKjPS6_PKS6_NS0_5tupleIJPjS6_EEENSE_IJSB_SB_EEENS0_18inequality_wrapperIN6hipcub16HIPCUB_304000_NS8EqualityEEEPlJS6_EEE10hipError_tPvRmT3_T4_T5_T6_T7_T9_mT8_P12ihipStream_tbDpT10_ENKUlT_T0_E_clISt17integral_constantIbLb1EES16_IbLb0EEEEDaS12_S13_EUlS12_E_NS1_11comp_targetILNS1_3genE3ELNS1_11target_archE908ELNS1_3gpuE7ELNS1_3repE0EEENS1_30default_config_static_selectorELNS0_4arch9wavefront6targetE0EEEvT1_.kd
    .uniform_work_group_size: 1
    .uses_dynamic_stack: false
    .vgpr_count:     0
    .vgpr_spill_count: 0
    .wavefront_size: 32
  - .args:
      - .offset:         0
        .size:           112
        .value_kind:     by_value
    .group_segment_fixed_size: 0
    .kernarg_segment_align: 8
    .kernarg_segment_size: 112
    .language:       OpenCL C
    .language_version:
      - 2
      - 0
    .max_flat_workgroup_size: 256
    .name:           _ZN7rocprim17ROCPRIM_400000_NS6detail17trampoline_kernelINS0_14default_configENS1_25partition_config_selectorILNS1_17partition_subalgoE8EjNS0_10empty_typeEbEEZZNS1_14partition_implILS5_8ELb0ES3_jPKjPS6_PKS6_NS0_5tupleIJPjS6_EEENSE_IJSB_SB_EEENS0_18inequality_wrapperIN6hipcub16HIPCUB_304000_NS8EqualityEEEPlJS6_EEE10hipError_tPvRmT3_T4_T5_T6_T7_T9_mT8_P12ihipStream_tbDpT10_ENKUlT_T0_E_clISt17integral_constantIbLb1EES16_IbLb0EEEEDaS12_S13_EUlS12_E_NS1_11comp_targetILNS1_3genE2ELNS1_11target_archE906ELNS1_3gpuE6ELNS1_3repE0EEENS1_30default_config_static_selectorELNS0_4arch9wavefront6targetE0EEEvT1_
    .private_segment_fixed_size: 0
    .sgpr_count:     0
    .sgpr_spill_count: 0
    .symbol:         _ZN7rocprim17ROCPRIM_400000_NS6detail17trampoline_kernelINS0_14default_configENS1_25partition_config_selectorILNS1_17partition_subalgoE8EjNS0_10empty_typeEbEEZZNS1_14partition_implILS5_8ELb0ES3_jPKjPS6_PKS6_NS0_5tupleIJPjS6_EEENSE_IJSB_SB_EEENS0_18inequality_wrapperIN6hipcub16HIPCUB_304000_NS8EqualityEEEPlJS6_EEE10hipError_tPvRmT3_T4_T5_T6_T7_T9_mT8_P12ihipStream_tbDpT10_ENKUlT_T0_E_clISt17integral_constantIbLb1EES16_IbLb0EEEEDaS12_S13_EUlS12_E_NS1_11comp_targetILNS1_3genE2ELNS1_11target_archE906ELNS1_3gpuE6ELNS1_3repE0EEENS1_30default_config_static_selectorELNS0_4arch9wavefront6targetE0EEEvT1_.kd
    .uniform_work_group_size: 1
    .uses_dynamic_stack: false
    .vgpr_count:     0
    .vgpr_spill_count: 0
    .wavefront_size: 32
  - .args:
      - .offset:         0
        .size:           112
        .value_kind:     by_value
    .group_segment_fixed_size: 0
    .kernarg_segment_align: 8
    .kernarg_segment_size: 112
    .language:       OpenCL C
    .language_version:
      - 2
      - 0
    .max_flat_workgroup_size: 384
    .name:           _ZN7rocprim17ROCPRIM_400000_NS6detail17trampoline_kernelINS0_14default_configENS1_25partition_config_selectorILNS1_17partition_subalgoE8EjNS0_10empty_typeEbEEZZNS1_14partition_implILS5_8ELb0ES3_jPKjPS6_PKS6_NS0_5tupleIJPjS6_EEENSE_IJSB_SB_EEENS0_18inequality_wrapperIN6hipcub16HIPCUB_304000_NS8EqualityEEEPlJS6_EEE10hipError_tPvRmT3_T4_T5_T6_T7_T9_mT8_P12ihipStream_tbDpT10_ENKUlT_T0_E_clISt17integral_constantIbLb1EES16_IbLb0EEEEDaS12_S13_EUlS12_E_NS1_11comp_targetILNS1_3genE10ELNS1_11target_archE1200ELNS1_3gpuE4ELNS1_3repE0EEENS1_30default_config_static_selectorELNS0_4arch9wavefront6targetE0EEEvT1_
    .private_segment_fixed_size: 0
    .sgpr_count:     0
    .sgpr_spill_count: 0
    .symbol:         _ZN7rocprim17ROCPRIM_400000_NS6detail17trampoline_kernelINS0_14default_configENS1_25partition_config_selectorILNS1_17partition_subalgoE8EjNS0_10empty_typeEbEEZZNS1_14partition_implILS5_8ELb0ES3_jPKjPS6_PKS6_NS0_5tupleIJPjS6_EEENSE_IJSB_SB_EEENS0_18inequality_wrapperIN6hipcub16HIPCUB_304000_NS8EqualityEEEPlJS6_EEE10hipError_tPvRmT3_T4_T5_T6_T7_T9_mT8_P12ihipStream_tbDpT10_ENKUlT_T0_E_clISt17integral_constantIbLb1EES16_IbLb0EEEEDaS12_S13_EUlS12_E_NS1_11comp_targetILNS1_3genE10ELNS1_11target_archE1200ELNS1_3gpuE4ELNS1_3repE0EEENS1_30default_config_static_selectorELNS0_4arch9wavefront6targetE0EEEvT1_.kd
    .uniform_work_group_size: 1
    .uses_dynamic_stack: false
    .vgpr_count:     0
    .vgpr_spill_count: 0
    .wavefront_size: 32
  - .args:
      - .offset:         0
        .size:           112
        .value_kind:     by_value
    .group_segment_fixed_size: 0
    .kernarg_segment_align: 8
    .kernarg_segment_size: 112
    .language:       OpenCL C
    .language_version:
      - 2
      - 0
    .max_flat_workgroup_size: 384
    .name:           _ZN7rocprim17ROCPRIM_400000_NS6detail17trampoline_kernelINS0_14default_configENS1_25partition_config_selectorILNS1_17partition_subalgoE8EjNS0_10empty_typeEbEEZZNS1_14partition_implILS5_8ELb0ES3_jPKjPS6_PKS6_NS0_5tupleIJPjS6_EEENSE_IJSB_SB_EEENS0_18inequality_wrapperIN6hipcub16HIPCUB_304000_NS8EqualityEEEPlJS6_EEE10hipError_tPvRmT3_T4_T5_T6_T7_T9_mT8_P12ihipStream_tbDpT10_ENKUlT_T0_E_clISt17integral_constantIbLb1EES16_IbLb0EEEEDaS12_S13_EUlS12_E_NS1_11comp_targetILNS1_3genE9ELNS1_11target_archE1100ELNS1_3gpuE3ELNS1_3repE0EEENS1_30default_config_static_selectorELNS0_4arch9wavefront6targetE0EEEvT1_
    .private_segment_fixed_size: 0
    .sgpr_count:     0
    .sgpr_spill_count: 0
    .symbol:         _ZN7rocprim17ROCPRIM_400000_NS6detail17trampoline_kernelINS0_14default_configENS1_25partition_config_selectorILNS1_17partition_subalgoE8EjNS0_10empty_typeEbEEZZNS1_14partition_implILS5_8ELb0ES3_jPKjPS6_PKS6_NS0_5tupleIJPjS6_EEENSE_IJSB_SB_EEENS0_18inequality_wrapperIN6hipcub16HIPCUB_304000_NS8EqualityEEEPlJS6_EEE10hipError_tPvRmT3_T4_T5_T6_T7_T9_mT8_P12ihipStream_tbDpT10_ENKUlT_T0_E_clISt17integral_constantIbLb1EES16_IbLb0EEEEDaS12_S13_EUlS12_E_NS1_11comp_targetILNS1_3genE9ELNS1_11target_archE1100ELNS1_3gpuE3ELNS1_3repE0EEENS1_30default_config_static_selectorELNS0_4arch9wavefront6targetE0EEEvT1_.kd
    .uniform_work_group_size: 1
    .uses_dynamic_stack: false
    .vgpr_count:     0
    .vgpr_spill_count: 0
    .wavefront_size: 32
  - .args:
      - .offset:         0
        .size:           112
        .value_kind:     by_value
    .group_segment_fixed_size: 0
    .kernarg_segment_align: 8
    .kernarg_segment_size: 112
    .language:       OpenCL C
    .language_version:
      - 2
      - 0
    .max_flat_workgroup_size: 512
    .name:           _ZN7rocprim17ROCPRIM_400000_NS6detail17trampoline_kernelINS0_14default_configENS1_25partition_config_selectorILNS1_17partition_subalgoE8EjNS0_10empty_typeEbEEZZNS1_14partition_implILS5_8ELb0ES3_jPKjPS6_PKS6_NS0_5tupleIJPjS6_EEENSE_IJSB_SB_EEENS0_18inequality_wrapperIN6hipcub16HIPCUB_304000_NS8EqualityEEEPlJS6_EEE10hipError_tPvRmT3_T4_T5_T6_T7_T9_mT8_P12ihipStream_tbDpT10_ENKUlT_T0_E_clISt17integral_constantIbLb1EES16_IbLb0EEEEDaS12_S13_EUlS12_E_NS1_11comp_targetILNS1_3genE8ELNS1_11target_archE1030ELNS1_3gpuE2ELNS1_3repE0EEENS1_30default_config_static_selectorELNS0_4arch9wavefront6targetE0EEEvT1_
    .private_segment_fixed_size: 0
    .sgpr_count:     0
    .sgpr_spill_count: 0
    .symbol:         _ZN7rocprim17ROCPRIM_400000_NS6detail17trampoline_kernelINS0_14default_configENS1_25partition_config_selectorILNS1_17partition_subalgoE8EjNS0_10empty_typeEbEEZZNS1_14partition_implILS5_8ELb0ES3_jPKjPS6_PKS6_NS0_5tupleIJPjS6_EEENSE_IJSB_SB_EEENS0_18inequality_wrapperIN6hipcub16HIPCUB_304000_NS8EqualityEEEPlJS6_EEE10hipError_tPvRmT3_T4_T5_T6_T7_T9_mT8_P12ihipStream_tbDpT10_ENKUlT_T0_E_clISt17integral_constantIbLb1EES16_IbLb0EEEEDaS12_S13_EUlS12_E_NS1_11comp_targetILNS1_3genE8ELNS1_11target_archE1030ELNS1_3gpuE2ELNS1_3repE0EEENS1_30default_config_static_selectorELNS0_4arch9wavefront6targetE0EEEvT1_.kd
    .uniform_work_group_size: 1
    .uses_dynamic_stack: false
    .vgpr_count:     0
    .vgpr_spill_count: 0
    .wavefront_size: 32
  - .args:
      - .offset:         0
        .size:           128
        .value_kind:     by_value
    .group_segment_fixed_size: 22536
    .kernarg_segment_align: 8
    .kernarg_segment_size: 128
    .language:       OpenCL C
    .language_version:
      - 2
      - 0
    .max_flat_workgroup_size: 512
    .name:           _ZN7rocprim17ROCPRIM_400000_NS6detail17trampoline_kernelINS0_14default_configENS1_25partition_config_selectorILNS1_17partition_subalgoE8EjNS0_10empty_typeEbEEZZNS1_14partition_implILS5_8ELb0ES3_jPKjPS6_PKS6_NS0_5tupleIJPjS6_EEENSE_IJSB_SB_EEENS0_18inequality_wrapperIN6hipcub16HIPCUB_304000_NS8EqualityEEEPlJS6_EEE10hipError_tPvRmT3_T4_T5_T6_T7_T9_mT8_P12ihipStream_tbDpT10_ENKUlT_T0_E_clISt17integral_constantIbLb0EES16_IbLb1EEEEDaS12_S13_EUlS12_E_NS1_11comp_targetILNS1_3genE0ELNS1_11target_archE4294967295ELNS1_3gpuE0ELNS1_3repE0EEENS1_30default_config_static_selectorELNS0_4arch9wavefront6targetE0EEEvT1_
    .private_segment_fixed_size: 0
    .sgpr_count:     34
    .sgpr_spill_count: 0
    .symbol:         _ZN7rocprim17ROCPRIM_400000_NS6detail17trampoline_kernelINS0_14default_configENS1_25partition_config_selectorILNS1_17partition_subalgoE8EjNS0_10empty_typeEbEEZZNS1_14partition_implILS5_8ELb0ES3_jPKjPS6_PKS6_NS0_5tupleIJPjS6_EEENSE_IJSB_SB_EEENS0_18inequality_wrapperIN6hipcub16HIPCUB_304000_NS8EqualityEEEPlJS6_EEE10hipError_tPvRmT3_T4_T5_T6_T7_T9_mT8_P12ihipStream_tbDpT10_ENKUlT_T0_E_clISt17integral_constantIbLb0EES16_IbLb1EEEEDaS12_S13_EUlS12_E_NS1_11comp_targetILNS1_3genE0ELNS1_11target_archE4294967295ELNS1_3gpuE0ELNS1_3repE0EEENS1_30default_config_static_selectorELNS0_4arch9wavefront6targetE0EEEvT1_.kd
    .uniform_work_group_size: 1
    .uses_dynamic_stack: false
    .vgpr_count:     62
    .vgpr_spill_count: 0
    .wavefront_size: 32
  - .args:
      - .offset:         0
        .size:           128
        .value_kind:     by_value
    .group_segment_fixed_size: 0
    .kernarg_segment_align: 8
    .kernarg_segment_size: 128
    .language:       OpenCL C
    .language_version:
      - 2
      - 0
    .max_flat_workgroup_size: 512
    .name:           _ZN7rocprim17ROCPRIM_400000_NS6detail17trampoline_kernelINS0_14default_configENS1_25partition_config_selectorILNS1_17partition_subalgoE8EjNS0_10empty_typeEbEEZZNS1_14partition_implILS5_8ELb0ES3_jPKjPS6_PKS6_NS0_5tupleIJPjS6_EEENSE_IJSB_SB_EEENS0_18inequality_wrapperIN6hipcub16HIPCUB_304000_NS8EqualityEEEPlJS6_EEE10hipError_tPvRmT3_T4_T5_T6_T7_T9_mT8_P12ihipStream_tbDpT10_ENKUlT_T0_E_clISt17integral_constantIbLb0EES16_IbLb1EEEEDaS12_S13_EUlS12_E_NS1_11comp_targetILNS1_3genE5ELNS1_11target_archE942ELNS1_3gpuE9ELNS1_3repE0EEENS1_30default_config_static_selectorELNS0_4arch9wavefront6targetE0EEEvT1_
    .private_segment_fixed_size: 0
    .sgpr_count:     0
    .sgpr_spill_count: 0
    .symbol:         _ZN7rocprim17ROCPRIM_400000_NS6detail17trampoline_kernelINS0_14default_configENS1_25partition_config_selectorILNS1_17partition_subalgoE8EjNS0_10empty_typeEbEEZZNS1_14partition_implILS5_8ELb0ES3_jPKjPS6_PKS6_NS0_5tupleIJPjS6_EEENSE_IJSB_SB_EEENS0_18inequality_wrapperIN6hipcub16HIPCUB_304000_NS8EqualityEEEPlJS6_EEE10hipError_tPvRmT3_T4_T5_T6_T7_T9_mT8_P12ihipStream_tbDpT10_ENKUlT_T0_E_clISt17integral_constantIbLb0EES16_IbLb1EEEEDaS12_S13_EUlS12_E_NS1_11comp_targetILNS1_3genE5ELNS1_11target_archE942ELNS1_3gpuE9ELNS1_3repE0EEENS1_30default_config_static_selectorELNS0_4arch9wavefront6targetE0EEEvT1_.kd
    .uniform_work_group_size: 1
    .uses_dynamic_stack: false
    .vgpr_count:     0
    .vgpr_spill_count: 0
    .wavefront_size: 32
  - .args:
      - .offset:         0
        .size:           128
        .value_kind:     by_value
    .group_segment_fixed_size: 0
    .kernarg_segment_align: 8
    .kernarg_segment_size: 128
    .language:       OpenCL C
    .language_version:
      - 2
      - 0
    .max_flat_workgroup_size: 256
    .name:           _ZN7rocprim17ROCPRIM_400000_NS6detail17trampoline_kernelINS0_14default_configENS1_25partition_config_selectorILNS1_17partition_subalgoE8EjNS0_10empty_typeEbEEZZNS1_14partition_implILS5_8ELb0ES3_jPKjPS6_PKS6_NS0_5tupleIJPjS6_EEENSE_IJSB_SB_EEENS0_18inequality_wrapperIN6hipcub16HIPCUB_304000_NS8EqualityEEEPlJS6_EEE10hipError_tPvRmT3_T4_T5_T6_T7_T9_mT8_P12ihipStream_tbDpT10_ENKUlT_T0_E_clISt17integral_constantIbLb0EES16_IbLb1EEEEDaS12_S13_EUlS12_E_NS1_11comp_targetILNS1_3genE4ELNS1_11target_archE910ELNS1_3gpuE8ELNS1_3repE0EEENS1_30default_config_static_selectorELNS0_4arch9wavefront6targetE0EEEvT1_
    .private_segment_fixed_size: 0
    .sgpr_count:     0
    .sgpr_spill_count: 0
    .symbol:         _ZN7rocprim17ROCPRIM_400000_NS6detail17trampoline_kernelINS0_14default_configENS1_25partition_config_selectorILNS1_17partition_subalgoE8EjNS0_10empty_typeEbEEZZNS1_14partition_implILS5_8ELb0ES3_jPKjPS6_PKS6_NS0_5tupleIJPjS6_EEENSE_IJSB_SB_EEENS0_18inequality_wrapperIN6hipcub16HIPCUB_304000_NS8EqualityEEEPlJS6_EEE10hipError_tPvRmT3_T4_T5_T6_T7_T9_mT8_P12ihipStream_tbDpT10_ENKUlT_T0_E_clISt17integral_constantIbLb0EES16_IbLb1EEEEDaS12_S13_EUlS12_E_NS1_11comp_targetILNS1_3genE4ELNS1_11target_archE910ELNS1_3gpuE8ELNS1_3repE0EEENS1_30default_config_static_selectorELNS0_4arch9wavefront6targetE0EEEvT1_.kd
    .uniform_work_group_size: 1
    .uses_dynamic_stack: false
    .vgpr_count:     0
    .vgpr_spill_count: 0
    .wavefront_size: 32
  - .args:
      - .offset:         0
        .size:           128
        .value_kind:     by_value
    .group_segment_fixed_size: 0
    .kernarg_segment_align: 8
    .kernarg_segment_size: 128
    .language:       OpenCL C
    .language_version:
      - 2
      - 0
    .max_flat_workgroup_size: 512
    .name:           _ZN7rocprim17ROCPRIM_400000_NS6detail17trampoline_kernelINS0_14default_configENS1_25partition_config_selectorILNS1_17partition_subalgoE8EjNS0_10empty_typeEbEEZZNS1_14partition_implILS5_8ELb0ES3_jPKjPS6_PKS6_NS0_5tupleIJPjS6_EEENSE_IJSB_SB_EEENS0_18inequality_wrapperIN6hipcub16HIPCUB_304000_NS8EqualityEEEPlJS6_EEE10hipError_tPvRmT3_T4_T5_T6_T7_T9_mT8_P12ihipStream_tbDpT10_ENKUlT_T0_E_clISt17integral_constantIbLb0EES16_IbLb1EEEEDaS12_S13_EUlS12_E_NS1_11comp_targetILNS1_3genE3ELNS1_11target_archE908ELNS1_3gpuE7ELNS1_3repE0EEENS1_30default_config_static_selectorELNS0_4arch9wavefront6targetE0EEEvT1_
    .private_segment_fixed_size: 0
    .sgpr_count:     0
    .sgpr_spill_count: 0
    .symbol:         _ZN7rocprim17ROCPRIM_400000_NS6detail17trampoline_kernelINS0_14default_configENS1_25partition_config_selectorILNS1_17partition_subalgoE8EjNS0_10empty_typeEbEEZZNS1_14partition_implILS5_8ELb0ES3_jPKjPS6_PKS6_NS0_5tupleIJPjS6_EEENSE_IJSB_SB_EEENS0_18inequality_wrapperIN6hipcub16HIPCUB_304000_NS8EqualityEEEPlJS6_EEE10hipError_tPvRmT3_T4_T5_T6_T7_T9_mT8_P12ihipStream_tbDpT10_ENKUlT_T0_E_clISt17integral_constantIbLb0EES16_IbLb1EEEEDaS12_S13_EUlS12_E_NS1_11comp_targetILNS1_3genE3ELNS1_11target_archE908ELNS1_3gpuE7ELNS1_3repE0EEENS1_30default_config_static_selectorELNS0_4arch9wavefront6targetE0EEEvT1_.kd
    .uniform_work_group_size: 1
    .uses_dynamic_stack: false
    .vgpr_count:     0
    .vgpr_spill_count: 0
    .wavefront_size: 32
  - .args:
      - .offset:         0
        .size:           128
        .value_kind:     by_value
    .group_segment_fixed_size: 0
    .kernarg_segment_align: 8
    .kernarg_segment_size: 128
    .language:       OpenCL C
    .language_version:
      - 2
      - 0
    .max_flat_workgroup_size: 256
    .name:           _ZN7rocprim17ROCPRIM_400000_NS6detail17trampoline_kernelINS0_14default_configENS1_25partition_config_selectorILNS1_17partition_subalgoE8EjNS0_10empty_typeEbEEZZNS1_14partition_implILS5_8ELb0ES3_jPKjPS6_PKS6_NS0_5tupleIJPjS6_EEENSE_IJSB_SB_EEENS0_18inequality_wrapperIN6hipcub16HIPCUB_304000_NS8EqualityEEEPlJS6_EEE10hipError_tPvRmT3_T4_T5_T6_T7_T9_mT8_P12ihipStream_tbDpT10_ENKUlT_T0_E_clISt17integral_constantIbLb0EES16_IbLb1EEEEDaS12_S13_EUlS12_E_NS1_11comp_targetILNS1_3genE2ELNS1_11target_archE906ELNS1_3gpuE6ELNS1_3repE0EEENS1_30default_config_static_selectorELNS0_4arch9wavefront6targetE0EEEvT1_
    .private_segment_fixed_size: 0
    .sgpr_count:     0
    .sgpr_spill_count: 0
    .symbol:         _ZN7rocprim17ROCPRIM_400000_NS6detail17trampoline_kernelINS0_14default_configENS1_25partition_config_selectorILNS1_17partition_subalgoE8EjNS0_10empty_typeEbEEZZNS1_14partition_implILS5_8ELb0ES3_jPKjPS6_PKS6_NS0_5tupleIJPjS6_EEENSE_IJSB_SB_EEENS0_18inequality_wrapperIN6hipcub16HIPCUB_304000_NS8EqualityEEEPlJS6_EEE10hipError_tPvRmT3_T4_T5_T6_T7_T9_mT8_P12ihipStream_tbDpT10_ENKUlT_T0_E_clISt17integral_constantIbLb0EES16_IbLb1EEEEDaS12_S13_EUlS12_E_NS1_11comp_targetILNS1_3genE2ELNS1_11target_archE906ELNS1_3gpuE6ELNS1_3repE0EEENS1_30default_config_static_selectorELNS0_4arch9wavefront6targetE0EEEvT1_.kd
    .uniform_work_group_size: 1
    .uses_dynamic_stack: false
    .vgpr_count:     0
    .vgpr_spill_count: 0
    .wavefront_size: 32
  - .args:
      - .offset:         0
        .size:           128
        .value_kind:     by_value
    .group_segment_fixed_size: 0
    .kernarg_segment_align: 8
    .kernarg_segment_size: 128
    .language:       OpenCL C
    .language_version:
      - 2
      - 0
    .max_flat_workgroup_size: 384
    .name:           _ZN7rocprim17ROCPRIM_400000_NS6detail17trampoline_kernelINS0_14default_configENS1_25partition_config_selectorILNS1_17partition_subalgoE8EjNS0_10empty_typeEbEEZZNS1_14partition_implILS5_8ELb0ES3_jPKjPS6_PKS6_NS0_5tupleIJPjS6_EEENSE_IJSB_SB_EEENS0_18inequality_wrapperIN6hipcub16HIPCUB_304000_NS8EqualityEEEPlJS6_EEE10hipError_tPvRmT3_T4_T5_T6_T7_T9_mT8_P12ihipStream_tbDpT10_ENKUlT_T0_E_clISt17integral_constantIbLb0EES16_IbLb1EEEEDaS12_S13_EUlS12_E_NS1_11comp_targetILNS1_3genE10ELNS1_11target_archE1200ELNS1_3gpuE4ELNS1_3repE0EEENS1_30default_config_static_selectorELNS0_4arch9wavefront6targetE0EEEvT1_
    .private_segment_fixed_size: 0
    .sgpr_count:     0
    .sgpr_spill_count: 0
    .symbol:         _ZN7rocprim17ROCPRIM_400000_NS6detail17trampoline_kernelINS0_14default_configENS1_25partition_config_selectorILNS1_17partition_subalgoE8EjNS0_10empty_typeEbEEZZNS1_14partition_implILS5_8ELb0ES3_jPKjPS6_PKS6_NS0_5tupleIJPjS6_EEENSE_IJSB_SB_EEENS0_18inequality_wrapperIN6hipcub16HIPCUB_304000_NS8EqualityEEEPlJS6_EEE10hipError_tPvRmT3_T4_T5_T6_T7_T9_mT8_P12ihipStream_tbDpT10_ENKUlT_T0_E_clISt17integral_constantIbLb0EES16_IbLb1EEEEDaS12_S13_EUlS12_E_NS1_11comp_targetILNS1_3genE10ELNS1_11target_archE1200ELNS1_3gpuE4ELNS1_3repE0EEENS1_30default_config_static_selectorELNS0_4arch9wavefront6targetE0EEEvT1_.kd
    .uniform_work_group_size: 1
    .uses_dynamic_stack: false
    .vgpr_count:     0
    .vgpr_spill_count: 0
    .wavefront_size: 32
  - .args:
      - .offset:         0
        .size:           128
        .value_kind:     by_value
    .group_segment_fixed_size: 0
    .kernarg_segment_align: 8
    .kernarg_segment_size: 128
    .language:       OpenCL C
    .language_version:
      - 2
      - 0
    .max_flat_workgroup_size: 384
    .name:           _ZN7rocprim17ROCPRIM_400000_NS6detail17trampoline_kernelINS0_14default_configENS1_25partition_config_selectorILNS1_17partition_subalgoE8EjNS0_10empty_typeEbEEZZNS1_14partition_implILS5_8ELb0ES3_jPKjPS6_PKS6_NS0_5tupleIJPjS6_EEENSE_IJSB_SB_EEENS0_18inequality_wrapperIN6hipcub16HIPCUB_304000_NS8EqualityEEEPlJS6_EEE10hipError_tPvRmT3_T4_T5_T6_T7_T9_mT8_P12ihipStream_tbDpT10_ENKUlT_T0_E_clISt17integral_constantIbLb0EES16_IbLb1EEEEDaS12_S13_EUlS12_E_NS1_11comp_targetILNS1_3genE9ELNS1_11target_archE1100ELNS1_3gpuE3ELNS1_3repE0EEENS1_30default_config_static_selectorELNS0_4arch9wavefront6targetE0EEEvT1_
    .private_segment_fixed_size: 0
    .sgpr_count:     0
    .sgpr_spill_count: 0
    .symbol:         _ZN7rocprim17ROCPRIM_400000_NS6detail17trampoline_kernelINS0_14default_configENS1_25partition_config_selectorILNS1_17partition_subalgoE8EjNS0_10empty_typeEbEEZZNS1_14partition_implILS5_8ELb0ES3_jPKjPS6_PKS6_NS0_5tupleIJPjS6_EEENSE_IJSB_SB_EEENS0_18inequality_wrapperIN6hipcub16HIPCUB_304000_NS8EqualityEEEPlJS6_EEE10hipError_tPvRmT3_T4_T5_T6_T7_T9_mT8_P12ihipStream_tbDpT10_ENKUlT_T0_E_clISt17integral_constantIbLb0EES16_IbLb1EEEEDaS12_S13_EUlS12_E_NS1_11comp_targetILNS1_3genE9ELNS1_11target_archE1100ELNS1_3gpuE3ELNS1_3repE0EEENS1_30default_config_static_selectorELNS0_4arch9wavefront6targetE0EEEvT1_.kd
    .uniform_work_group_size: 1
    .uses_dynamic_stack: false
    .vgpr_count:     0
    .vgpr_spill_count: 0
    .wavefront_size: 32
  - .args:
      - .offset:         0
        .size:           128
        .value_kind:     by_value
    .group_segment_fixed_size: 0
    .kernarg_segment_align: 8
    .kernarg_segment_size: 128
    .language:       OpenCL C
    .language_version:
      - 2
      - 0
    .max_flat_workgroup_size: 512
    .name:           _ZN7rocprim17ROCPRIM_400000_NS6detail17trampoline_kernelINS0_14default_configENS1_25partition_config_selectorILNS1_17partition_subalgoE8EjNS0_10empty_typeEbEEZZNS1_14partition_implILS5_8ELb0ES3_jPKjPS6_PKS6_NS0_5tupleIJPjS6_EEENSE_IJSB_SB_EEENS0_18inequality_wrapperIN6hipcub16HIPCUB_304000_NS8EqualityEEEPlJS6_EEE10hipError_tPvRmT3_T4_T5_T6_T7_T9_mT8_P12ihipStream_tbDpT10_ENKUlT_T0_E_clISt17integral_constantIbLb0EES16_IbLb1EEEEDaS12_S13_EUlS12_E_NS1_11comp_targetILNS1_3genE8ELNS1_11target_archE1030ELNS1_3gpuE2ELNS1_3repE0EEENS1_30default_config_static_selectorELNS0_4arch9wavefront6targetE0EEEvT1_
    .private_segment_fixed_size: 0
    .sgpr_count:     0
    .sgpr_spill_count: 0
    .symbol:         _ZN7rocprim17ROCPRIM_400000_NS6detail17trampoline_kernelINS0_14default_configENS1_25partition_config_selectorILNS1_17partition_subalgoE8EjNS0_10empty_typeEbEEZZNS1_14partition_implILS5_8ELb0ES3_jPKjPS6_PKS6_NS0_5tupleIJPjS6_EEENSE_IJSB_SB_EEENS0_18inequality_wrapperIN6hipcub16HIPCUB_304000_NS8EqualityEEEPlJS6_EEE10hipError_tPvRmT3_T4_T5_T6_T7_T9_mT8_P12ihipStream_tbDpT10_ENKUlT_T0_E_clISt17integral_constantIbLb0EES16_IbLb1EEEEDaS12_S13_EUlS12_E_NS1_11comp_targetILNS1_3genE8ELNS1_11target_archE1030ELNS1_3gpuE2ELNS1_3repE0EEENS1_30default_config_static_selectorELNS0_4arch9wavefront6targetE0EEEvT1_.kd
    .uniform_work_group_size: 1
    .uses_dynamic_stack: false
    .vgpr_count:     0
    .vgpr_spill_count: 0
    .wavefront_size: 32
  - .args:
      - .offset:         0
        .size:           128
        .value_kind:     by_value
    .group_segment_fixed_size: 14336
    .kernarg_segment_align: 8
    .kernarg_segment_size: 128
    .language:       OpenCL C
    .language_version:
      - 2
      - 0
    .max_flat_workgroup_size: 256
    .name:           _ZN7rocprim17ROCPRIM_400000_NS6detail17trampoline_kernelINS0_14default_configENS1_33run_length_encode_config_selectorIjjNS0_4plusIjEEEEZZNS1_33reduce_by_key_impl_wrapped_configILNS1_25lookback_scan_determinismE0ES3_S7_PKjNS0_17constant_iteratorIjlEEPjPlSF_S6_NS0_8equal_toIjEEEE10hipError_tPvRmT2_T3_mT4_T5_T6_T7_T8_P12ihipStream_tbENKUlT_T0_E_clISt17integral_constantIbLb0EESZ_EEDaSU_SV_EUlSU_E_NS1_11comp_targetILNS1_3genE0ELNS1_11target_archE4294967295ELNS1_3gpuE0ELNS1_3repE0EEENS1_30default_config_static_selectorELNS0_4arch9wavefront6targetE0EEEvT1_
    .private_segment_fixed_size: 0
    .sgpr_count:     41
    .sgpr_spill_count: 0
    .symbol:         _ZN7rocprim17ROCPRIM_400000_NS6detail17trampoline_kernelINS0_14default_configENS1_33run_length_encode_config_selectorIjjNS0_4plusIjEEEEZZNS1_33reduce_by_key_impl_wrapped_configILNS1_25lookback_scan_determinismE0ES3_S7_PKjNS0_17constant_iteratorIjlEEPjPlSF_S6_NS0_8equal_toIjEEEE10hipError_tPvRmT2_T3_mT4_T5_T6_T7_T8_P12ihipStream_tbENKUlT_T0_E_clISt17integral_constantIbLb0EESZ_EEDaSU_SV_EUlSU_E_NS1_11comp_targetILNS1_3genE0ELNS1_11target_archE4294967295ELNS1_3gpuE0ELNS1_3repE0EEENS1_30default_config_static_selectorELNS0_4arch9wavefront6targetE0EEEvT1_.kd
    .uniform_work_group_size: 1
    .uses_dynamic_stack: false
    .vgpr_count:     102
    .vgpr_spill_count: 0
    .wavefront_size: 32
  - .args:
      - .offset:         0
        .size:           128
        .value_kind:     by_value
    .group_segment_fixed_size: 0
    .kernarg_segment_align: 8
    .kernarg_segment_size: 128
    .language:       OpenCL C
    .language_version:
      - 2
      - 0
    .max_flat_workgroup_size: 512
    .name:           _ZN7rocprim17ROCPRIM_400000_NS6detail17trampoline_kernelINS0_14default_configENS1_33run_length_encode_config_selectorIjjNS0_4plusIjEEEEZZNS1_33reduce_by_key_impl_wrapped_configILNS1_25lookback_scan_determinismE0ES3_S7_PKjNS0_17constant_iteratorIjlEEPjPlSF_S6_NS0_8equal_toIjEEEE10hipError_tPvRmT2_T3_mT4_T5_T6_T7_T8_P12ihipStream_tbENKUlT_T0_E_clISt17integral_constantIbLb0EESZ_EEDaSU_SV_EUlSU_E_NS1_11comp_targetILNS1_3genE5ELNS1_11target_archE942ELNS1_3gpuE9ELNS1_3repE0EEENS1_30default_config_static_selectorELNS0_4arch9wavefront6targetE0EEEvT1_
    .private_segment_fixed_size: 0
    .sgpr_count:     0
    .sgpr_spill_count: 0
    .symbol:         _ZN7rocprim17ROCPRIM_400000_NS6detail17trampoline_kernelINS0_14default_configENS1_33run_length_encode_config_selectorIjjNS0_4plusIjEEEEZZNS1_33reduce_by_key_impl_wrapped_configILNS1_25lookback_scan_determinismE0ES3_S7_PKjNS0_17constant_iteratorIjlEEPjPlSF_S6_NS0_8equal_toIjEEEE10hipError_tPvRmT2_T3_mT4_T5_T6_T7_T8_P12ihipStream_tbENKUlT_T0_E_clISt17integral_constantIbLb0EESZ_EEDaSU_SV_EUlSU_E_NS1_11comp_targetILNS1_3genE5ELNS1_11target_archE942ELNS1_3gpuE9ELNS1_3repE0EEENS1_30default_config_static_selectorELNS0_4arch9wavefront6targetE0EEEvT1_.kd
    .uniform_work_group_size: 1
    .uses_dynamic_stack: false
    .vgpr_count:     0
    .vgpr_spill_count: 0
    .wavefront_size: 32
  - .args:
      - .offset:         0
        .size:           128
        .value_kind:     by_value
    .group_segment_fixed_size: 0
    .kernarg_segment_align: 8
    .kernarg_segment_size: 128
    .language:       OpenCL C
    .language_version:
      - 2
      - 0
    .max_flat_workgroup_size: 256
    .name:           _ZN7rocprim17ROCPRIM_400000_NS6detail17trampoline_kernelINS0_14default_configENS1_33run_length_encode_config_selectorIjjNS0_4plusIjEEEEZZNS1_33reduce_by_key_impl_wrapped_configILNS1_25lookback_scan_determinismE0ES3_S7_PKjNS0_17constant_iteratorIjlEEPjPlSF_S6_NS0_8equal_toIjEEEE10hipError_tPvRmT2_T3_mT4_T5_T6_T7_T8_P12ihipStream_tbENKUlT_T0_E_clISt17integral_constantIbLb0EESZ_EEDaSU_SV_EUlSU_E_NS1_11comp_targetILNS1_3genE4ELNS1_11target_archE910ELNS1_3gpuE8ELNS1_3repE0EEENS1_30default_config_static_selectorELNS0_4arch9wavefront6targetE0EEEvT1_
    .private_segment_fixed_size: 0
    .sgpr_count:     0
    .sgpr_spill_count: 0
    .symbol:         _ZN7rocprim17ROCPRIM_400000_NS6detail17trampoline_kernelINS0_14default_configENS1_33run_length_encode_config_selectorIjjNS0_4plusIjEEEEZZNS1_33reduce_by_key_impl_wrapped_configILNS1_25lookback_scan_determinismE0ES3_S7_PKjNS0_17constant_iteratorIjlEEPjPlSF_S6_NS0_8equal_toIjEEEE10hipError_tPvRmT2_T3_mT4_T5_T6_T7_T8_P12ihipStream_tbENKUlT_T0_E_clISt17integral_constantIbLb0EESZ_EEDaSU_SV_EUlSU_E_NS1_11comp_targetILNS1_3genE4ELNS1_11target_archE910ELNS1_3gpuE8ELNS1_3repE0EEENS1_30default_config_static_selectorELNS0_4arch9wavefront6targetE0EEEvT1_.kd
    .uniform_work_group_size: 1
    .uses_dynamic_stack: false
    .vgpr_count:     0
    .vgpr_spill_count: 0
    .wavefront_size: 32
  - .args:
      - .offset:         0
        .size:           128
        .value_kind:     by_value
    .group_segment_fixed_size: 0
    .kernarg_segment_align: 8
    .kernarg_segment_size: 128
    .language:       OpenCL C
    .language_version:
      - 2
      - 0
    .max_flat_workgroup_size: 256
    .name:           _ZN7rocprim17ROCPRIM_400000_NS6detail17trampoline_kernelINS0_14default_configENS1_33run_length_encode_config_selectorIjjNS0_4plusIjEEEEZZNS1_33reduce_by_key_impl_wrapped_configILNS1_25lookback_scan_determinismE0ES3_S7_PKjNS0_17constant_iteratorIjlEEPjPlSF_S6_NS0_8equal_toIjEEEE10hipError_tPvRmT2_T3_mT4_T5_T6_T7_T8_P12ihipStream_tbENKUlT_T0_E_clISt17integral_constantIbLb0EESZ_EEDaSU_SV_EUlSU_E_NS1_11comp_targetILNS1_3genE3ELNS1_11target_archE908ELNS1_3gpuE7ELNS1_3repE0EEENS1_30default_config_static_selectorELNS0_4arch9wavefront6targetE0EEEvT1_
    .private_segment_fixed_size: 0
    .sgpr_count:     0
    .sgpr_spill_count: 0
    .symbol:         _ZN7rocprim17ROCPRIM_400000_NS6detail17trampoline_kernelINS0_14default_configENS1_33run_length_encode_config_selectorIjjNS0_4plusIjEEEEZZNS1_33reduce_by_key_impl_wrapped_configILNS1_25lookback_scan_determinismE0ES3_S7_PKjNS0_17constant_iteratorIjlEEPjPlSF_S6_NS0_8equal_toIjEEEE10hipError_tPvRmT2_T3_mT4_T5_T6_T7_T8_P12ihipStream_tbENKUlT_T0_E_clISt17integral_constantIbLb0EESZ_EEDaSU_SV_EUlSU_E_NS1_11comp_targetILNS1_3genE3ELNS1_11target_archE908ELNS1_3gpuE7ELNS1_3repE0EEENS1_30default_config_static_selectorELNS0_4arch9wavefront6targetE0EEEvT1_.kd
    .uniform_work_group_size: 1
    .uses_dynamic_stack: false
    .vgpr_count:     0
    .vgpr_spill_count: 0
    .wavefront_size: 32
  - .args:
      - .offset:         0
        .size:           128
        .value_kind:     by_value
    .group_segment_fixed_size: 0
    .kernarg_segment_align: 8
    .kernarg_segment_size: 128
    .language:       OpenCL C
    .language_version:
      - 2
      - 0
    .max_flat_workgroup_size: 256
    .name:           _ZN7rocprim17ROCPRIM_400000_NS6detail17trampoline_kernelINS0_14default_configENS1_33run_length_encode_config_selectorIjjNS0_4plusIjEEEEZZNS1_33reduce_by_key_impl_wrapped_configILNS1_25lookback_scan_determinismE0ES3_S7_PKjNS0_17constant_iteratorIjlEEPjPlSF_S6_NS0_8equal_toIjEEEE10hipError_tPvRmT2_T3_mT4_T5_T6_T7_T8_P12ihipStream_tbENKUlT_T0_E_clISt17integral_constantIbLb0EESZ_EEDaSU_SV_EUlSU_E_NS1_11comp_targetILNS1_3genE2ELNS1_11target_archE906ELNS1_3gpuE6ELNS1_3repE0EEENS1_30default_config_static_selectorELNS0_4arch9wavefront6targetE0EEEvT1_
    .private_segment_fixed_size: 0
    .sgpr_count:     0
    .sgpr_spill_count: 0
    .symbol:         _ZN7rocprim17ROCPRIM_400000_NS6detail17trampoline_kernelINS0_14default_configENS1_33run_length_encode_config_selectorIjjNS0_4plusIjEEEEZZNS1_33reduce_by_key_impl_wrapped_configILNS1_25lookback_scan_determinismE0ES3_S7_PKjNS0_17constant_iteratorIjlEEPjPlSF_S6_NS0_8equal_toIjEEEE10hipError_tPvRmT2_T3_mT4_T5_T6_T7_T8_P12ihipStream_tbENKUlT_T0_E_clISt17integral_constantIbLb0EESZ_EEDaSU_SV_EUlSU_E_NS1_11comp_targetILNS1_3genE2ELNS1_11target_archE906ELNS1_3gpuE6ELNS1_3repE0EEENS1_30default_config_static_selectorELNS0_4arch9wavefront6targetE0EEEvT1_.kd
    .uniform_work_group_size: 1
    .uses_dynamic_stack: false
    .vgpr_count:     0
    .vgpr_spill_count: 0
    .wavefront_size: 32
  - .args:
      - .offset:         0
        .size:           128
        .value_kind:     by_value
    .group_segment_fixed_size: 0
    .kernarg_segment_align: 8
    .kernarg_segment_size: 128
    .language:       OpenCL C
    .language_version:
      - 2
      - 0
    .max_flat_workgroup_size: 384
    .name:           _ZN7rocprim17ROCPRIM_400000_NS6detail17trampoline_kernelINS0_14default_configENS1_33run_length_encode_config_selectorIjjNS0_4plusIjEEEEZZNS1_33reduce_by_key_impl_wrapped_configILNS1_25lookback_scan_determinismE0ES3_S7_PKjNS0_17constant_iteratorIjlEEPjPlSF_S6_NS0_8equal_toIjEEEE10hipError_tPvRmT2_T3_mT4_T5_T6_T7_T8_P12ihipStream_tbENKUlT_T0_E_clISt17integral_constantIbLb0EESZ_EEDaSU_SV_EUlSU_E_NS1_11comp_targetILNS1_3genE10ELNS1_11target_archE1201ELNS1_3gpuE5ELNS1_3repE0EEENS1_30default_config_static_selectorELNS0_4arch9wavefront6targetE0EEEvT1_
    .private_segment_fixed_size: 0
    .sgpr_count:     0
    .sgpr_spill_count: 0
    .symbol:         _ZN7rocprim17ROCPRIM_400000_NS6detail17trampoline_kernelINS0_14default_configENS1_33run_length_encode_config_selectorIjjNS0_4plusIjEEEEZZNS1_33reduce_by_key_impl_wrapped_configILNS1_25lookback_scan_determinismE0ES3_S7_PKjNS0_17constant_iteratorIjlEEPjPlSF_S6_NS0_8equal_toIjEEEE10hipError_tPvRmT2_T3_mT4_T5_T6_T7_T8_P12ihipStream_tbENKUlT_T0_E_clISt17integral_constantIbLb0EESZ_EEDaSU_SV_EUlSU_E_NS1_11comp_targetILNS1_3genE10ELNS1_11target_archE1201ELNS1_3gpuE5ELNS1_3repE0EEENS1_30default_config_static_selectorELNS0_4arch9wavefront6targetE0EEEvT1_.kd
    .uniform_work_group_size: 1
    .uses_dynamic_stack: false
    .vgpr_count:     0
    .vgpr_spill_count: 0
    .wavefront_size: 32
  - .args:
      - .offset:         0
        .size:           128
        .value_kind:     by_value
    .group_segment_fixed_size: 0
    .kernarg_segment_align: 8
    .kernarg_segment_size: 128
    .language:       OpenCL C
    .language_version:
      - 2
      - 0
    .max_flat_workgroup_size: 256
    .name:           _ZN7rocprim17ROCPRIM_400000_NS6detail17trampoline_kernelINS0_14default_configENS1_33run_length_encode_config_selectorIjjNS0_4plusIjEEEEZZNS1_33reduce_by_key_impl_wrapped_configILNS1_25lookback_scan_determinismE0ES3_S7_PKjNS0_17constant_iteratorIjlEEPjPlSF_S6_NS0_8equal_toIjEEEE10hipError_tPvRmT2_T3_mT4_T5_T6_T7_T8_P12ihipStream_tbENKUlT_T0_E_clISt17integral_constantIbLb0EESZ_EEDaSU_SV_EUlSU_E_NS1_11comp_targetILNS1_3genE10ELNS1_11target_archE1200ELNS1_3gpuE4ELNS1_3repE0EEENS1_30default_config_static_selectorELNS0_4arch9wavefront6targetE0EEEvT1_
    .private_segment_fixed_size: 0
    .sgpr_count:     0
    .sgpr_spill_count: 0
    .symbol:         _ZN7rocprim17ROCPRIM_400000_NS6detail17trampoline_kernelINS0_14default_configENS1_33run_length_encode_config_selectorIjjNS0_4plusIjEEEEZZNS1_33reduce_by_key_impl_wrapped_configILNS1_25lookback_scan_determinismE0ES3_S7_PKjNS0_17constant_iteratorIjlEEPjPlSF_S6_NS0_8equal_toIjEEEE10hipError_tPvRmT2_T3_mT4_T5_T6_T7_T8_P12ihipStream_tbENKUlT_T0_E_clISt17integral_constantIbLb0EESZ_EEDaSU_SV_EUlSU_E_NS1_11comp_targetILNS1_3genE10ELNS1_11target_archE1200ELNS1_3gpuE4ELNS1_3repE0EEENS1_30default_config_static_selectorELNS0_4arch9wavefront6targetE0EEEvT1_.kd
    .uniform_work_group_size: 1
    .uses_dynamic_stack: false
    .vgpr_count:     0
    .vgpr_spill_count: 0
    .wavefront_size: 32
  - .args:
      - .offset:         0
        .size:           128
        .value_kind:     by_value
    .group_segment_fixed_size: 0
    .kernarg_segment_align: 8
    .kernarg_segment_size: 128
    .language:       OpenCL C
    .language_version:
      - 2
      - 0
    .max_flat_workgroup_size: 512
    .name:           _ZN7rocprim17ROCPRIM_400000_NS6detail17trampoline_kernelINS0_14default_configENS1_33run_length_encode_config_selectorIjjNS0_4plusIjEEEEZZNS1_33reduce_by_key_impl_wrapped_configILNS1_25lookback_scan_determinismE0ES3_S7_PKjNS0_17constant_iteratorIjlEEPjPlSF_S6_NS0_8equal_toIjEEEE10hipError_tPvRmT2_T3_mT4_T5_T6_T7_T8_P12ihipStream_tbENKUlT_T0_E_clISt17integral_constantIbLb0EESZ_EEDaSU_SV_EUlSU_E_NS1_11comp_targetILNS1_3genE9ELNS1_11target_archE1100ELNS1_3gpuE3ELNS1_3repE0EEENS1_30default_config_static_selectorELNS0_4arch9wavefront6targetE0EEEvT1_
    .private_segment_fixed_size: 0
    .sgpr_count:     0
    .sgpr_spill_count: 0
    .symbol:         _ZN7rocprim17ROCPRIM_400000_NS6detail17trampoline_kernelINS0_14default_configENS1_33run_length_encode_config_selectorIjjNS0_4plusIjEEEEZZNS1_33reduce_by_key_impl_wrapped_configILNS1_25lookback_scan_determinismE0ES3_S7_PKjNS0_17constant_iteratorIjlEEPjPlSF_S6_NS0_8equal_toIjEEEE10hipError_tPvRmT2_T3_mT4_T5_T6_T7_T8_P12ihipStream_tbENKUlT_T0_E_clISt17integral_constantIbLb0EESZ_EEDaSU_SV_EUlSU_E_NS1_11comp_targetILNS1_3genE9ELNS1_11target_archE1100ELNS1_3gpuE3ELNS1_3repE0EEENS1_30default_config_static_selectorELNS0_4arch9wavefront6targetE0EEEvT1_.kd
    .uniform_work_group_size: 1
    .uses_dynamic_stack: false
    .vgpr_count:     0
    .vgpr_spill_count: 0
    .wavefront_size: 32
  - .args:
      - .offset:         0
        .size:           128
        .value_kind:     by_value
    .group_segment_fixed_size: 0
    .kernarg_segment_align: 8
    .kernarg_segment_size: 128
    .language:       OpenCL C
    .language_version:
      - 2
      - 0
    .max_flat_workgroup_size: 192
    .name:           _ZN7rocprim17ROCPRIM_400000_NS6detail17trampoline_kernelINS0_14default_configENS1_33run_length_encode_config_selectorIjjNS0_4plusIjEEEEZZNS1_33reduce_by_key_impl_wrapped_configILNS1_25lookback_scan_determinismE0ES3_S7_PKjNS0_17constant_iteratorIjlEEPjPlSF_S6_NS0_8equal_toIjEEEE10hipError_tPvRmT2_T3_mT4_T5_T6_T7_T8_P12ihipStream_tbENKUlT_T0_E_clISt17integral_constantIbLb0EESZ_EEDaSU_SV_EUlSU_E_NS1_11comp_targetILNS1_3genE8ELNS1_11target_archE1030ELNS1_3gpuE2ELNS1_3repE0EEENS1_30default_config_static_selectorELNS0_4arch9wavefront6targetE0EEEvT1_
    .private_segment_fixed_size: 0
    .sgpr_count:     0
    .sgpr_spill_count: 0
    .symbol:         _ZN7rocprim17ROCPRIM_400000_NS6detail17trampoline_kernelINS0_14default_configENS1_33run_length_encode_config_selectorIjjNS0_4plusIjEEEEZZNS1_33reduce_by_key_impl_wrapped_configILNS1_25lookback_scan_determinismE0ES3_S7_PKjNS0_17constant_iteratorIjlEEPjPlSF_S6_NS0_8equal_toIjEEEE10hipError_tPvRmT2_T3_mT4_T5_T6_T7_T8_P12ihipStream_tbENKUlT_T0_E_clISt17integral_constantIbLb0EESZ_EEDaSU_SV_EUlSU_E_NS1_11comp_targetILNS1_3genE8ELNS1_11target_archE1030ELNS1_3gpuE2ELNS1_3repE0EEENS1_30default_config_static_selectorELNS0_4arch9wavefront6targetE0EEEvT1_.kd
    .uniform_work_group_size: 1
    .uses_dynamic_stack: false
    .vgpr_count:     0
    .vgpr_spill_count: 0
    .wavefront_size: 32
  - .args:
      - .offset:         0
        .size:           128
        .value_kind:     by_value
    .group_segment_fixed_size: 0
    .kernarg_segment_align: 8
    .kernarg_segment_size: 128
    .language:       OpenCL C
    .language_version:
      - 2
      - 0
    .max_flat_workgroup_size: 256
    .name:           _ZN7rocprim17ROCPRIM_400000_NS6detail17trampoline_kernelINS0_14default_configENS1_33run_length_encode_config_selectorIjjNS0_4plusIjEEEEZZNS1_33reduce_by_key_impl_wrapped_configILNS1_25lookback_scan_determinismE0ES3_S7_PKjNS0_17constant_iteratorIjlEEPjPlSF_S6_NS0_8equal_toIjEEEE10hipError_tPvRmT2_T3_mT4_T5_T6_T7_T8_P12ihipStream_tbENKUlT_T0_E_clISt17integral_constantIbLb1EESZ_EEDaSU_SV_EUlSU_E_NS1_11comp_targetILNS1_3genE0ELNS1_11target_archE4294967295ELNS1_3gpuE0ELNS1_3repE0EEENS1_30default_config_static_selectorELNS0_4arch9wavefront6targetE0EEEvT1_
    .private_segment_fixed_size: 0
    .sgpr_count:     0
    .sgpr_spill_count: 0
    .symbol:         _ZN7rocprim17ROCPRIM_400000_NS6detail17trampoline_kernelINS0_14default_configENS1_33run_length_encode_config_selectorIjjNS0_4plusIjEEEEZZNS1_33reduce_by_key_impl_wrapped_configILNS1_25lookback_scan_determinismE0ES3_S7_PKjNS0_17constant_iteratorIjlEEPjPlSF_S6_NS0_8equal_toIjEEEE10hipError_tPvRmT2_T3_mT4_T5_T6_T7_T8_P12ihipStream_tbENKUlT_T0_E_clISt17integral_constantIbLb1EESZ_EEDaSU_SV_EUlSU_E_NS1_11comp_targetILNS1_3genE0ELNS1_11target_archE4294967295ELNS1_3gpuE0ELNS1_3repE0EEENS1_30default_config_static_selectorELNS0_4arch9wavefront6targetE0EEEvT1_.kd
    .uniform_work_group_size: 1
    .uses_dynamic_stack: false
    .vgpr_count:     0
    .vgpr_spill_count: 0
    .wavefront_size: 32
  - .args:
      - .offset:         0
        .size:           128
        .value_kind:     by_value
    .group_segment_fixed_size: 0
    .kernarg_segment_align: 8
    .kernarg_segment_size: 128
    .language:       OpenCL C
    .language_version:
      - 2
      - 0
    .max_flat_workgroup_size: 512
    .name:           _ZN7rocprim17ROCPRIM_400000_NS6detail17trampoline_kernelINS0_14default_configENS1_33run_length_encode_config_selectorIjjNS0_4plusIjEEEEZZNS1_33reduce_by_key_impl_wrapped_configILNS1_25lookback_scan_determinismE0ES3_S7_PKjNS0_17constant_iteratorIjlEEPjPlSF_S6_NS0_8equal_toIjEEEE10hipError_tPvRmT2_T3_mT4_T5_T6_T7_T8_P12ihipStream_tbENKUlT_T0_E_clISt17integral_constantIbLb1EESZ_EEDaSU_SV_EUlSU_E_NS1_11comp_targetILNS1_3genE5ELNS1_11target_archE942ELNS1_3gpuE9ELNS1_3repE0EEENS1_30default_config_static_selectorELNS0_4arch9wavefront6targetE0EEEvT1_
    .private_segment_fixed_size: 0
    .sgpr_count:     0
    .sgpr_spill_count: 0
    .symbol:         _ZN7rocprim17ROCPRIM_400000_NS6detail17trampoline_kernelINS0_14default_configENS1_33run_length_encode_config_selectorIjjNS0_4plusIjEEEEZZNS1_33reduce_by_key_impl_wrapped_configILNS1_25lookback_scan_determinismE0ES3_S7_PKjNS0_17constant_iteratorIjlEEPjPlSF_S6_NS0_8equal_toIjEEEE10hipError_tPvRmT2_T3_mT4_T5_T6_T7_T8_P12ihipStream_tbENKUlT_T0_E_clISt17integral_constantIbLb1EESZ_EEDaSU_SV_EUlSU_E_NS1_11comp_targetILNS1_3genE5ELNS1_11target_archE942ELNS1_3gpuE9ELNS1_3repE0EEENS1_30default_config_static_selectorELNS0_4arch9wavefront6targetE0EEEvT1_.kd
    .uniform_work_group_size: 1
    .uses_dynamic_stack: false
    .vgpr_count:     0
    .vgpr_spill_count: 0
    .wavefront_size: 32
  - .args:
      - .offset:         0
        .size:           128
        .value_kind:     by_value
    .group_segment_fixed_size: 0
    .kernarg_segment_align: 8
    .kernarg_segment_size: 128
    .language:       OpenCL C
    .language_version:
      - 2
      - 0
    .max_flat_workgroup_size: 256
    .name:           _ZN7rocprim17ROCPRIM_400000_NS6detail17trampoline_kernelINS0_14default_configENS1_33run_length_encode_config_selectorIjjNS0_4plusIjEEEEZZNS1_33reduce_by_key_impl_wrapped_configILNS1_25lookback_scan_determinismE0ES3_S7_PKjNS0_17constant_iteratorIjlEEPjPlSF_S6_NS0_8equal_toIjEEEE10hipError_tPvRmT2_T3_mT4_T5_T6_T7_T8_P12ihipStream_tbENKUlT_T0_E_clISt17integral_constantIbLb1EESZ_EEDaSU_SV_EUlSU_E_NS1_11comp_targetILNS1_3genE4ELNS1_11target_archE910ELNS1_3gpuE8ELNS1_3repE0EEENS1_30default_config_static_selectorELNS0_4arch9wavefront6targetE0EEEvT1_
    .private_segment_fixed_size: 0
    .sgpr_count:     0
    .sgpr_spill_count: 0
    .symbol:         _ZN7rocprim17ROCPRIM_400000_NS6detail17trampoline_kernelINS0_14default_configENS1_33run_length_encode_config_selectorIjjNS0_4plusIjEEEEZZNS1_33reduce_by_key_impl_wrapped_configILNS1_25lookback_scan_determinismE0ES3_S7_PKjNS0_17constant_iteratorIjlEEPjPlSF_S6_NS0_8equal_toIjEEEE10hipError_tPvRmT2_T3_mT4_T5_T6_T7_T8_P12ihipStream_tbENKUlT_T0_E_clISt17integral_constantIbLb1EESZ_EEDaSU_SV_EUlSU_E_NS1_11comp_targetILNS1_3genE4ELNS1_11target_archE910ELNS1_3gpuE8ELNS1_3repE0EEENS1_30default_config_static_selectorELNS0_4arch9wavefront6targetE0EEEvT1_.kd
    .uniform_work_group_size: 1
    .uses_dynamic_stack: false
    .vgpr_count:     0
    .vgpr_spill_count: 0
    .wavefront_size: 32
  - .args:
      - .offset:         0
        .size:           128
        .value_kind:     by_value
    .group_segment_fixed_size: 0
    .kernarg_segment_align: 8
    .kernarg_segment_size: 128
    .language:       OpenCL C
    .language_version:
      - 2
      - 0
    .max_flat_workgroup_size: 256
    .name:           _ZN7rocprim17ROCPRIM_400000_NS6detail17trampoline_kernelINS0_14default_configENS1_33run_length_encode_config_selectorIjjNS0_4plusIjEEEEZZNS1_33reduce_by_key_impl_wrapped_configILNS1_25lookback_scan_determinismE0ES3_S7_PKjNS0_17constant_iteratorIjlEEPjPlSF_S6_NS0_8equal_toIjEEEE10hipError_tPvRmT2_T3_mT4_T5_T6_T7_T8_P12ihipStream_tbENKUlT_T0_E_clISt17integral_constantIbLb1EESZ_EEDaSU_SV_EUlSU_E_NS1_11comp_targetILNS1_3genE3ELNS1_11target_archE908ELNS1_3gpuE7ELNS1_3repE0EEENS1_30default_config_static_selectorELNS0_4arch9wavefront6targetE0EEEvT1_
    .private_segment_fixed_size: 0
    .sgpr_count:     0
    .sgpr_spill_count: 0
    .symbol:         _ZN7rocprim17ROCPRIM_400000_NS6detail17trampoline_kernelINS0_14default_configENS1_33run_length_encode_config_selectorIjjNS0_4plusIjEEEEZZNS1_33reduce_by_key_impl_wrapped_configILNS1_25lookback_scan_determinismE0ES3_S7_PKjNS0_17constant_iteratorIjlEEPjPlSF_S6_NS0_8equal_toIjEEEE10hipError_tPvRmT2_T3_mT4_T5_T6_T7_T8_P12ihipStream_tbENKUlT_T0_E_clISt17integral_constantIbLb1EESZ_EEDaSU_SV_EUlSU_E_NS1_11comp_targetILNS1_3genE3ELNS1_11target_archE908ELNS1_3gpuE7ELNS1_3repE0EEENS1_30default_config_static_selectorELNS0_4arch9wavefront6targetE0EEEvT1_.kd
    .uniform_work_group_size: 1
    .uses_dynamic_stack: false
    .vgpr_count:     0
    .vgpr_spill_count: 0
    .wavefront_size: 32
  - .args:
      - .offset:         0
        .size:           128
        .value_kind:     by_value
    .group_segment_fixed_size: 0
    .kernarg_segment_align: 8
    .kernarg_segment_size: 128
    .language:       OpenCL C
    .language_version:
      - 2
      - 0
    .max_flat_workgroup_size: 256
    .name:           _ZN7rocprim17ROCPRIM_400000_NS6detail17trampoline_kernelINS0_14default_configENS1_33run_length_encode_config_selectorIjjNS0_4plusIjEEEEZZNS1_33reduce_by_key_impl_wrapped_configILNS1_25lookback_scan_determinismE0ES3_S7_PKjNS0_17constant_iteratorIjlEEPjPlSF_S6_NS0_8equal_toIjEEEE10hipError_tPvRmT2_T3_mT4_T5_T6_T7_T8_P12ihipStream_tbENKUlT_T0_E_clISt17integral_constantIbLb1EESZ_EEDaSU_SV_EUlSU_E_NS1_11comp_targetILNS1_3genE2ELNS1_11target_archE906ELNS1_3gpuE6ELNS1_3repE0EEENS1_30default_config_static_selectorELNS0_4arch9wavefront6targetE0EEEvT1_
    .private_segment_fixed_size: 0
    .sgpr_count:     0
    .sgpr_spill_count: 0
    .symbol:         _ZN7rocprim17ROCPRIM_400000_NS6detail17trampoline_kernelINS0_14default_configENS1_33run_length_encode_config_selectorIjjNS0_4plusIjEEEEZZNS1_33reduce_by_key_impl_wrapped_configILNS1_25lookback_scan_determinismE0ES3_S7_PKjNS0_17constant_iteratorIjlEEPjPlSF_S6_NS0_8equal_toIjEEEE10hipError_tPvRmT2_T3_mT4_T5_T6_T7_T8_P12ihipStream_tbENKUlT_T0_E_clISt17integral_constantIbLb1EESZ_EEDaSU_SV_EUlSU_E_NS1_11comp_targetILNS1_3genE2ELNS1_11target_archE906ELNS1_3gpuE6ELNS1_3repE0EEENS1_30default_config_static_selectorELNS0_4arch9wavefront6targetE0EEEvT1_.kd
    .uniform_work_group_size: 1
    .uses_dynamic_stack: false
    .vgpr_count:     0
    .vgpr_spill_count: 0
    .wavefront_size: 32
  - .args:
      - .offset:         0
        .size:           128
        .value_kind:     by_value
    .group_segment_fixed_size: 0
    .kernarg_segment_align: 8
    .kernarg_segment_size: 128
    .language:       OpenCL C
    .language_version:
      - 2
      - 0
    .max_flat_workgroup_size: 384
    .name:           _ZN7rocprim17ROCPRIM_400000_NS6detail17trampoline_kernelINS0_14default_configENS1_33run_length_encode_config_selectorIjjNS0_4plusIjEEEEZZNS1_33reduce_by_key_impl_wrapped_configILNS1_25lookback_scan_determinismE0ES3_S7_PKjNS0_17constant_iteratorIjlEEPjPlSF_S6_NS0_8equal_toIjEEEE10hipError_tPvRmT2_T3_mT4_T5_T6_T7_T8_P12ihipStream_tbENKUlT_T0_E_clISt17integral_constantIbLb1EESZ_EEDaSU_SV_EUlSU_E_NS1_11comp_targetILNS1_3genE10ELNS1_11target_archE1201ELNS1_3gpuE5ELNS1_3repE0EEENS1_30default_config_static_selectorELNS0_4arch9wavefront6targetE0EEEvT1_
    .private_segment_fixed_size: 0
    .sgpr_count:     0
    .sgpr_spill_count: 0
    .symbol:         _ZN7rocprim17ROCPRIM_400000_NS6detail17trampoline_kernelINS0_14default_configENS1_33run_length_encode_config_selectorIjjNS0_4plusIjEEEEZZNS1_33reduce_by_key_impl_wrapped_configILNS1_25lookback_scan_determinismE0ES3_S7_PKjNS0_17constant_iteratorIjlEEPjPlSF_S6_NS0_8equal_toIjEEEE10hipError_tPvRmT2_T3_mT4_T5_T6_T7_T8_P12ihipStream_tbENKUlT_T0_E_clISt17integral_constantIbLb1EESZ_EEDaSU_SV_EUlSU_E_NS1_11comp_targetILNS1_3genE10ELNS1_11target_archE1201ELNS1_3gpuE5ELNS1_3repE0EEENS1_30default_config_static_selectorELNS0_4arch9wavefront6targetE0EEEvT1_.kd
    .uniform_work_group_size: 1
    .uses_dynamic_stack: false
    .vgpr_count:     0
    .vgpr_spill_count: 0
    .wavefront_size: 32
  - .args:
      - .offset:         0
        .size:           128
        .value_kind:     by_value
    .group_segment_fixed_size: 0
    .kernarg_segment_align: 8
    .kernarg_segment_size: 128
    .language:       OpenCL C
    .language_version:
      - 2
      - 0
    .max_flat_workgroup_size: 256
    .name:           _ZN7rocprim17ROCPRIM_400000_NS6detail17trampoline_kernelINS0_14default_configENS1_33run_length_encode_config_selectorIjjNS0_4plusIjEEEEZZNS1_33reduce_by_key_impl_wrapped_configILNS1_25lookback_scan_determinismE0ES3_S7_PKjNS0_17constant_iteratorIjlEEPjPlSF_S6_NS0_8equal_toIjEEEE10hipError_tPvRmT2_T3_mT4_T5_T6_T7_T8_P12ihipStream_tbENKUlT_T0_E_clISt17integral_constantIbLb1EESZ_EEDaSU_SV_EUlSU_E_NS1_11comp_targetILNS1_3genE10ELNS1_11target_archE1200ELNS1_3gpuE4ELNS1_3repE0EEENS1_30default_config_static_selectorELNS0_4arch9wavefront6targetE0EEEvT1_
    .private_segment_fixed_size: 0
    .sgpr_count:     0
    .sgpr_spill_count: 0
    .symbol:         _ZN7rocprim17ROCPRIM_400000_NS6detail17trampoline_kernelINS0_14default_configENS1_33run_length_encode_config_selectorIjjNS0_4plusIjEEEEZZNS1_33reduce_by_key_impl_wrapped_configILNS1_25lookback_scan_determinismE0ES3_S7_PKjNS0_17constant_iteratorIjlEEPjPlSF_S6_NS0_8equal_toIjEEEE10hipError_tPvRmT2_T3_mT4_T5_T6_T7_T8_P12ihipStream_tbENKUlT_T0_E_clISt17integral_constantIbLb1EESZ_EEDaSU_SV_EUlSU_E_NS1_11comp_targetILNS1_3genE10ELNS1_11target_archE1200ELNS1_3gpuE4ELNS1_3repE0EEENS1_30default_config_static_selectorELNS0_4arch9wavefront6targetE0EEEvT1_.kd
    .uniform_work_group_size: 1
    .uses_dynamic_stack: false
    .vgpr_count:     0
    .vgpr_spill_count: 0
    .wavefront_size: 32
  - .args:
      - .offset:         0
        .size:           128
        .value_kind:     by_value
    .group_segment_fixed_size: 0
    .kernarg_segment_align: 8
    .kernarg_segment_size: 128
    .language:       OpenCL C
    .language_version:
      - 2
      - 0
    .max_flat_workgroup_size: 512
    .name:           _ZN7rocprim17ROCPRIM_400000_NS6detail17trampoline_kernelINS0_14default_configENS1_33run_length_encode_config_selectorIjjNS0_4plusIjEEEEZZNS1_33reduce_by_key_impl_wrapped_configILNS1_25lookback_scan_determinismE0ES3_S7_PKjNS0_17constant_iteratorIjlEEPjPlSF_S6_NS0_8equal_toIjEEEE10hipError_tPvRmT2_T3_mT4_T5_T6_T7_T8_P12ihipStream_tbENKUlT_T0_E_clISt17integral_constantIbLb1EESZ_EEDaSU_SV_EUlSU_E_NS1_11comp_targetILNS1_3genE9ELNS1_11target_archE1100ELNS1_3gpuE3ELNS1_3repE0EEENS1_30default_config_static_selectorELNS0_4arch9wavefront6targetE0EEEvT1_
    .private_segment_fixed_size: 0
    .sgpr_count:     0
    .sgpr_spill_count: 0
    .symbol:         _ZN7rocprim17ROCPRIM_400000_NS6detail17trampoline_kernelINS0_14default_configENS1_33run_length_encode_config_selectorIjjNS0_4plusIjEEEEZZNS1_33reduce_by_key_impl_wrapped_configILNS1_25lookback_scan_determinismE0ES3_S7_PKjNS0_17constant_iteratorIjlEEPjPlSF_S6_NS0_8equal_toIjEEEE10hipError_tPvRmT2_T3_mT4_T5_T6_T7_T8_P12ihipStream_tbENKUlT_T0_E_clISt17integral_constantIbLb1EESZ_EEDaSU_SV_EUlSU_E_NS1_11comp_targetILNS1_3genE9ELNS1_11target_archE1100ELNS1_3gpuE3ELNS1_3repE0EEENS1_30default_config_static_selectorELNS0_4arch9wavefront6targetE0EEEvT1_.kd
    .uniform_work_group_size: 1
    .uses_dynamic_stack: false
    .vgpr_count:     0
    .vgpr_spill_count: 0
    .wavefront_size: 32
  - .args:
      - .offset:         0
        .size:           128
        .value_kind:     by_value
    .group_segment_fixed_size: 0
    .kernarg_segment_align: 8
    .kernarg_segment_size: 128
    .language:       OpenCL C
    .language_version:
      - 2
      - 0
    .max_flat_workgroup_size: 192
    .name:           _ZN7rocprim17ROCPRIM_400000_NS6detail17trampoline_kernelINS0_14default_configENS1_33run_length_encode_config_selectorIjjNS0_4plusIjEEEEZZNS1_33reduce_by_key_impl_wrapped_configILNS1_25lookback_scan_determinismE0ES3_S7_PKjNS0_17constant_iteratorIjlEEPjPlSF_S6_NS0_8equal_toIjEEEE10hipError_tPvRmT2_T3_mT4_T5_T6_T7_T8_P12ihipStream_tbENKUlT_T0_E_clISt17integral_constantIbLb1EESZ_EEDaSU_SV_EUlSU_E_NS1_11comp_targetILNS1_3genE8ELNS1_11target_archE1030ELNS1_3gpuE2ELNS1_3repE0EEENS1_30default_config_static_selectorELNS0_4arch9wavefront6targetE0EEEvT1_
    .private_segment_fixed_size: 0
    .sgpr_count:     0
    .sgpr_spill_count: 0
    .symbol:         _ZN7rocprim17ROCPRIM_400000_NS6detail17trampoline_kernelINS0_14default_configENS1_33run_length_encode_config_selectorIjjNS0_4plusIjEEEEZZNS1_33reduce_by_key_impl_wrapped_configILNS1_25lookback_scan_determinismE0ES3_S7_PKjNS0_17constant_iteratorIjlEEPjPlSF_S6_NS0_8equal_toIjEEEE10hipError_tPvRmT2_T3_mT4_T5_T6_T7_T8_P12ihipStream_tbENKUlT_T0_E_clISt17integral_constantIbLb1EESZ_EEDaSU_SV_EUlSU_E_NS1_11comp_targetILNS1_3genE8ELNS1_11target_archE1030ELNS1_3gpuE2ELNS1_3repE0EEENS1_30default_config_static_selectorELNS0_4arch9wavefront6targetE0EEEvT1_.kd
    .uniform_work_group_size: 1
    .uses_dynamic_stack: false
    .vgpr_count:     0
    .vgpr_spill_count: 0
    .wavefront_size: 32
  - .args:
      - .offset:         0
        .size:           128
        .value_kind:     by_value
    .group_segment_fixed_size: 0
    .kernarg_segment_align: 8
    .kernarg_segment_size: 128
    .language:       OpenCL C
    .language_version:
      - 2
      - 0
    .max_flat_workgroup_size: 256
    .name:           _ZN7rocprim17ROCPRIM_400000_NS6detail17trampoline_kernelINS0_14default_configENS1_33run_length_encode_config_selectorIjjNS0_4plusIjEEEEZZNS1_33reduce_by_key_impl_wrapped_configILNS1_25lookback_scan_determinismE0ES3_S7_PKjNS0_17constant_iteratorIjlEEPjPlSF_S6_NS0_8equal_toIjEEEE10hipError_tPvRmT2_T3_mT4_T5_T6_T7_T8_P12ihipStream_tbENKUlT_T0_E_clISt17integral_constantIbLb1EESY_IbLb0EEEEDaSU_SV_EUlSU_E_NS1_11comp_targetILNS1_3genE0ELNS1_11target_archE4294967295ELNS1_3gpuE0ELNS1_3repE0EEENS1_30default_config_static_selectorELNS0_4arch9wavefront6targetE0EEEvT1_
    .private_segment_fixed_size: 0
    .sgpr_count:     0
    .sgpr_spill_count: 0
    .symbol:         _ZN7rocprim17ROCPRIM_400000_NS6detail17trampoline_kernelINS0_14default_configENS1_33run_length_encode_config_selectorIjjNS0_4plusIjEEEEZZNS1_33reduce_by_key_impl_wrapped_configILNS1_25lookback_scan_determinismE0ES3_S7_PKjNS0_17constant_iteratorIjlEEPjPlSF_S6_NS0_8equal_toIjEEEE10hipError_tPvRmT2_T3_mT4_T5_T6_T7_T8_P12ihipStream_tbENKUlT_T0_E_clISt17integral_constantIbLb1EESY_IbLb0EEEEDaSU_SV_EUlSU_E_NS1_11comp_targetILNS1_3genE0ELNS1_11target_archE4294967295ELNS1_3gpuE0ELNS1_3repE0EEENS1_30default_config_static_selectorELNS0_4arch9wavefront6targetE0EEEvT1_.kd
    .uniform_work_group_size: 1
    .uses_dynamic_stack: false
    .vgpr_count:     0
    .vgpr_spill_count: 0
    .wavefront_size: 32
  - .args:
      - .offset:         0
        .size:           128
        .value_kind:     by_value
    .group_segment_fixed_size: 0
    .kernarg_segment_align: 8
    .kernarg_segment_size: 128
    .language:       OpenCL C
    .language_version:
      - 2
      - 0
    .max_flat_workgroup_size: 512
    .name:           _ZN7rocprim17ROCPRIM_400000_NS6detail17trampoline_kernelINS0_14default_configENS1_33run_length_encode_config_selectorIjjNS0_4plusIjEEEEZZNS1_33reduce_by_key_impl_wrapped_configILNS1_25lookback_scan_determinismE0ES3_S7_PKjNS0_17constant_iteratorIjlEEPjPlSF_S6_NS0_8equal_toIjEEEE10hipError_tPvRmT2_T3_mT4_T5_T6_T7_T8_P12ihipStream_tbENKUlT_T0_E_clISt17integral_constantIbLb1EESY_IbLb0EEEEDaSU_SV_EUlSU_E_NS1_11comp_targetILNS1_3genE5ELNS1_11target_archE942ELNS1_3gpuE9ELNS1_3repE0EEENS1_30default_config_static_selectorELNS0_4arch9wavefront6targetE0EEEvT1_
    .private_segment_fixed_size: 0
    .sgpr_count:     0
    .sgpr_spill_count: 0
    .symbol:         _ZN7rocprim17ROCPRIM_400000_NS6detail17trampoline_kernelINS0_14default_configENS1_33run_length_encode_config_selectorIjjNS0_4plusIjEEEEZZNS1_33reduce_by_key_impl_wrapped_configILNS1_25lookback_scan_determinismE0ES3_S7_PKjNS0_17constant_iteratorIjlEEPjPlSF_S6_NS0_8equal_toIjEEEE10hipError_tPvRmT2_T3_mT4_T5_T6_T7_T8_P12ihipStream_tbENKUlT_T0_E_clISt17integral_constantIbLb1EESY_IbLb0EEEEDaSU_SV_EUlSU_E_NS1_11comp_targetILNS1_3genE5ELNS1_11target_archE942ELNS1_3gpuE9ELNS1_3repE0EEENS1_30default_config_static_selectorELNS0_4arch9wavefront6targetE0EEEvT1_.kd
    .uniform_work_group_size: 1
    .uses_dynamic_stack: false
    .vgpr_count:     0
    .vgpr_spill_count: 0
    .wavefront_size: 32
  - .args:
      - .offset:         0
        .size:           128
        .value_kind:     by_value
    .group_segment_fixed_size: 0
    .kernarg_segment_align: 8
    .kernarg_segment_size: 128
    .language:       OpenCL C
    .language_version:
      - 2
      - 0
    .max_flat_workgroup_size: 256
    .name:           _ZN7rocprim17ROCPRIM_400000_NS6detail17trampoline_kernelINS0_14default_configENS1_33run_length_encode_config_selectorIjjNS0_4plusIjEEEEZZNS1_33reduce_by_key_impl_wrapped_configILNS1_25lookback_scan_determinismE0ES3_S7_PKjNS0_17constant_iteratorIjlEEPjPlSF_S6_NS0_8equal_toIjEEEE10hipError_tPvRmT2_T3_mT4_T5_T6_T7_T8_P12ihipStream_tbENKUlT_T0_E_clISt17integral_constantIbLb1EESY_IbLb0EEEEDaSU_SV_EUlSU_E_NS1_11comp_targetILNS1_3genE4ELNS1_11target_archE910ELNS1_3gpuE8ELNS1_3repE0EEENS1_30default_config_static_selectorELNS0_4arch9wavefront6targetE0EEEvT1_
    .private_segment_fixed_size: 0
    .sgpr_count:     0
    .sgpr_spill_count: 0
    .symbol:         _ZN7rocprim17ROCPRIM_400000_NS6detail17trampoline_kernelINS0_14default_configENS1_33run_length_encode_config_selectorIjjNS0_4plusIjEEEEZZNS1_33reduce_by_key_impl_wrapped_configILNS1_25lookback_scan_determinismE0ES3_S7_PKjNS0_17constant_iteratorIjlEEPjPlSF_S6_NS0_8equal_toIjEEEE10hipError_tPvRmT2_T3_mT4_T5_T6_T7_T8_P12ihipStream_tbENKUlT_T0_E_clISt17integral_constantIbLb1EESY_IbLb0EEEEDaSU_SV_EUlSU_E_NS1_11comp_targetILNS1_3genE4ELNS1_11target_archE910ELNS1_3gpuE8ELNS1_3repE0EEENS1_30default_config_static_selectorELNS0_4arch9wavefront6targetE0EEEvT1_.kd
    .uniform_work_group_size: 1
    .uses_dynamic_stack: false
    .vgpr_count:     0
    .vgpr_spill_count: 0
    .wavefront_size: 32
  - .args:
      - .offset:         0
        .size:           128
        .value_kind:     by_value
    .group_segment_fixed_size: 0
    .kernarg_segment_align: 8
    .kernarg_segment_size: 128
    .language:       OpenCL C
    .language_version:
      - 2
      - 0
    .max_flat_workgroup_size: 256
    .name:           _ZN7rocprim17ROCPRIM_400000_NS6detail17trampoline_kernelINS0_14default_configENS1_33run_length_encode_config_selectorIjjNS0_4plusIjEEEEZZNS1_33reduce_by_key_impl_wrapped_configILNS1_25lookback_scan_determinismE0ES3_S7_PKjNS0_17constant_iteratorIjlEEPjPlSF_S6_NS0_8equal_toIjEEEE10hipError_tPvRmT2_T3_mT4_T5_T6_T7_T8_P12ihipStream_tbENKUlT_T0_E_clISt17integral_constantIbLb1EESY_IbLb0EEEEDaSU_SV_EUlSU_E_NS1_11comp_targetILNS1_3genE3ELNS1_11target_archE908ELNS1_3gpuE7ELNS1_3repE0EEENS1_30default_config_static_selectorELNS0_4arch9wavefront6targetE0EEEvT1_
    .private_segment_fixed_size: 0
    .sgpr_count:     0
    .sgpr_spill_count: 0
    .symbol:         _ZN7rocprim17ROCPRIM_400000_NS6detail17trampoline_kernelINS0_14default_configENS1_33run_length_encode_config_selectorIjjNS0_4plusIjEEEEZZNS1_33reduce_by_key_impl_wrapped_configILNS1_25lookback_scan_determinismE0ES3_S7_PKjNS0_17constant_iteratorIjlEEPjPlSF_S6_NS0_8equal_toIjEEEE10hipError_tPvRmT2_T3_mT4_T5_T6_T7_T8_P12ihipStream_tbENKUlT_T0_E_clISt17integral_constantIbLb1EESY_IbLb0EEEEDaSU_SV_EUlSU_E_NS1_11comp_targetILNS1_3genE3ELNS1_11target_archE908ELNS1_3gpuE7ELNS1_3repE0EEENS1_30default_config_static_selectorELNS0_4arch9wavefront6targetE0EEEvT1_.kd
    .uniform_work_group_size: 1
    .uses_dynamic_stack: false
    .vgpr_count:     0
    .vgpr_spill_count: 0
    .wavefront_size: 32
  - .args:
      - .offset:         0
        .size:           128
        .value_kind:     by_value
    .group_segment_fixed_size: 0
    .kernarg_segment_align: 8
    .kernarg_segment_size: 128
    .language:       OpenCL C
    .language_version:
      - 2
      - 0
    .max_flat_workgroup_size: 256
    .name:           _ZN7rocprim17ROCPRIM_400000_NS6detail17trampoline_kernelINS0_14default_configENS1_33run_length_encode_config_selectorIjjNS0_4plusIjEEEEZZNS1_33reduce_by_key_impl_wrapped_configILNS1_25lookback_scan_determinismE0ES3_S7_PKjNS0_17constant_iteratorIjlEEPjPlSF_S6_NS0_8equal_toIjEEEE10hipError_tPvRmT2_T3_mT4_T5_T6_T7_T8_P12ihipStream_tbENKUlT_T0_E_clISt17integral_constantIbLb1EESY_IbLb0EEEEDaSU_SV_EUlSU_E_NS1_11comp_targetILNS1_3genE2ELNS1_11target_archE906ELNS1_3gpuE6ELNS1_3repE0EEENS1_30default_config_static_selectorELNS0_4arch9wavefront6targetE0EEEvT1_
    .private_segment_fixed_size: 0
    .sgpr_count:     0
    .sgpr_spill_count: 0
    .symbol:         _ZN7rocprim17ROCPRIM_400000_NS6detail17trampoline_kernelINS0_14default_configENS1_33run_length_encode_config_selectorIjjNS0_4plusIjEEEEZZNS1_33reduce_by_key_impl_wrapped_configILNS1_25lookback_scan_determinismE0ES3_S7_PKjNS0_17constant_iteratorIjlEEPjPlSF_S6_NS0_8equal_toIjEEEE10hipError_tPvRmT2_T3_mT4_T5_T6_T7_T8_P12ihipStream_tbENKUlT_T0_E_clISt17integral_constantIbLb1EESY_IbLb0EEEEDaSU_SV_EUlSU_E_NS1_11comp_targetILNS1_3genE2ELNS1_11target_archE906ELNS1_3gpuE6ELNS1_3repE0EEENS1_30default_config_static_selectorELNS0_4arch9wavefront6targetE0EEEvT1_.kd
    .uniform_work_group_size: 1
    .uses_dynamic_stack: false
    .vgpr_count:     0
    .vgpr_spill_count: 0
    .wavefront_size: 32
  - .args:
      - .offset:         0
        .size:           128
        .value_kind:     by_value
    .group_segment_fixed_size: 0
    .kernarg_segment_align: 8
    .kernarg_segment_size: 128
    .language:       OpenCL C
    .language_version:
      - 2
      - 0
    .max_flat_workgroup_size: 384
    .name:           _ZN7rocprim17ROCPRIM_400000_NS6detail17trampoline_kernelINS0_14default_configENS1_33run_length_encode_config_selectorIjjNS0_4plusIjEEEEZZNS1_33reduce_by_key_impl_wrapped_configILNS1_25lookback_scan_determinismE0ES3_S7_PKjNS0_17constant_iteratorIjlEEPjPlSF_S6_NS0_8equal_toIjEEEE10hipError_tPvRmT2_T3_mT4_T5_T6_T7_T8_P12ihipStream_tbENKUlT_T0_E_clISt17integral_constantIbLb1EESY_IbLb0EEEEDaSU_SV_EUlSU_E_NS1_11comp_targetILNS1_3genE10ELNS1_11target_archE1201ELNS1_3gpuE5ELNS1_3repE0EEENS1_30default_config_static_selectorELNS0_4arch9wavefront6targetE0EEEvT1_
    .private_segment_fixed_size: 0
    .sgpr_count:     0
    .sgpr_spill_count: 0
    .symbol:         _ZN7rocprim17ROCPRIM_400000_NS6detail17trampoline_kernelINS0_14default_configENS1_33run_length_encode_config_selectorIjjNS0_4plusIjEEEEZZNS1_33reduce_by_key_impl_wrapped_configILNS1_25lookback_scan_determinismE0ES3_S7_PKjNS0_17constant_iteratorIjlEEPjPlSF_S6_NS0_8equal_toIjEEEE10hipError_tPvRmT2_T3_mT4_T5_T6_T7_T8_P12ihipStream_tbENKUlT_T0_E_clISt17integral_constantIbLb1EESY_IbLb0EEEEDaSU_SV_EUlSU_E_NS1_11comp_targetILNS1_3genE10ELNS1_11target_archE1201ELNS1_3gpuE5ELNS1_3repE0EEENS1_30default_config_static_selectorELNS0_4arch9wavefront6targetE0EEEvT1_.kd
    .uniform_work_group_size: 1
    .uses_dynamic_stack: false
    .vgpr_count:     0
    .vgpr_spill_count: 0
    .wavefront_size: 32
  - .args:
      - .offset:         0
        .size:           128
        .value_kind:     by_value
    .group_segment_fixed_size: 0
    .kernarg_segment_align: 8
    .kernarg_segment_size: 128
    .language:       OpenCL C
    .language_version:
      - 2
      - 0
    .max_flat_workgroup_size: 256
    .name:           _ZN7rocprim17ROCPRIM_400000_NS6detail17trampoline_kernelINS0_14default_configENS1_33run_length_encode_config_selectorIjjNS0_4plusIjEEEEZZNS1_33reduce_by_key_impl_wrapped_configILNS1_25lookback_scan_determinismE0ES3_S7_PKjNS0_17constant_iteratorIjlEEPjPlSF_S6_NS0_8equal_toIjEEEE10hipError_tPvRmT2_T3_mT4_T5_T6_T7_T8_P12ihipStream_tbENKUlT_T0_E_clISt17integral_constantIbLb1EESY_IbLb0EEEEDaSU_SV_EUlSU_E_NS1_11comp_targetILNS1_3genE10ELNS1_11target_archE1200ELNS1_3gpuE4ELNS1_3repE0EEENS1_30default_config_static_selectorELNS0_4arch9wavefront6targetE0EEEvT1_
    .private_segment_fixed_size: 0
    .sgpr_count:     0
    .sgpr_spill_count: 0
    .symbol:         _ZN7rocprim17ROCPRIM_400000_NS6detail17trampoline_kernelINS0_14default_configENS1_33run_length_encode_config_selectorIjjNS0_4plusIjEEEEZZNS1_33reduce_by_key_impl_wrapped_configILNS1_25lookback_scan_determinismE0ES3_S7_PKjNS0_17constant_iteratorIjlEEPjPlSF_S6_NS0_8equal_toIjEEEE10hipError_tPvRmT2_T3_mT4_T5_T6_T7_T8_P12ihipStream_tbENKUlT_T0_E_clISt17integral_constantIbLb1EESY_IbLb0EEEEDaSU_SV_EUlSU_E_NS1_11comp_targetILNS1_3genE10ELNS1_11target_archE1200ELNS1_3gpuE4ELNS1_3repE0EEENS1_30default_config_static_selectorELNS0_4arch9wavefront6targetE0EEEvT1_.kd
    .uniform_work_group_size: 1
    .uses_dynamic_stack: false
    .vgpr_count:     0
    .vgpr_spill_count: 0
    .wavefront_size: 32
  - .args:
      - .offset:         0
        .size:           128
        .value_kind:     by_value
    .group_segment_fixed_size: 0
    .kernarg_segment_align: 8
    .kernarg_segment_size: 128
    .language:       OpenCL C
    .language_version:
      - 2
      - 0
    .max_flat_workgroup_size: 512
    .name:           _ZN7rocprim17ROCPRIM_400000_NS6detail17trampoline_kernelINS0_14default_configENS1_33run_length_encode_config_selectorIjjNS0_4plusIjEEEEZZNS1_33reduce_by_key_impl_wrapped_configILNS1_25lookback_scan_determinismE0ES3_S7_PKjNS0_17constant_iteratorIjlEEPjPlSF_S6_NS0_8equal_toIjEEEE10hipError_tPvRmT2_T3_mT4_T5_T6_T7_T8_P12ihipStream_tbENKUlT_T0_E_clISt17integral_constantIbLb1EESY_IbLb0EEEEDaSU_SV_EUlSU_E_NS1_11comp_targetILNS1_3genE9ELNS1_11target_archE1100ELNS1_3gpuE3ELNS1_3repE0EEENS1_30default_config_static_selectorELNS0_4arch9wavefront6targetE0EEEvT1_
    .private_segment_fixed_size: 0
    .sgpr_count:     0
    .sgpr_spill_count: 0
    .symbol:         _ZN7rocprim17ROCPRIM_400000_NS6detail17trampoline_kernelINS0_14default_configENS1_33run_length_encode_config_selectorIjjNS0_4plusIjEEEEZZNS1_33reduce_by_key_impl_wrapped_configILNS1_25lookback_scan_determinismE0ES3_S7_PKjNS0_17constant_iteratorIjlEEPjPlSF_S6_NS0_8equal_toIjEEEE10hipError_tPvRmT2_T3_mT4_T5_T6_T7_T8_P12ihipStream_tbENKUlT_T0_E_clISt17integral_constantIbLb1EESY_IbLb0EEEEDaSU_SV_EUlSU_E_NS1_11comp_targetILNS1_3genE9ELNS1_11target_archE1100ELNS1_3gpuE3ELNS1_3repE0EEENS1_30default_config_static_selectorELNS0_4arch9wavefront6targetE0EEEvT1_.kd
    .uniform_work_group_size: 1
    .uses_dynamic_stack: false
    .vgpr_count:     0
    .vgpr_spill_count: 0
    .wavefront_size: 32
  - .args:
      - .offset:         0
        .size:           128
        .value_kind:     by_value
    .group_segment_fixed_size: 0
    .kernarg_segment_align: 8
    .kernarg_segment_size: 128
    .language:       OpenCL C
    .language_version:
      - 2
      - 0
    .max_flat_workgroup_size: 192
    .name:           _ZN7rocprim17ROCPRIM_400000_NS6detail17trampoline_kernelINS0_14default_configENS1_33run_length_encode_config_selectorIjjNS0_4plusIjEEEEZZNS1_33reduce_by_key_impl_wrapped_configILNS1_25lookback_scan_determinismE0ES3_S7_PKjNS0_17constant_iteratorIjlEEPjPlSF_S6_NS0_8equal_toIjEEEE10hipError_tPvRmT2_T3_mT4_T5_T6_T7_T8_P12ihipStream_tbENKUlT_T0_E_clISt17integral_constantIbLb1EESY_IbLb0EEEEDaSU_SV_EUlSU_E_NS1_11comp_targetILNS1_3genE8ELNS1_11target_archE1030ELNS1_3gpuE2ELNS1_3repE0EEENS1_30default_config_static_selectorELNS0_4arch9wavefront6targetE0EEEvT1_
    .private_segment_fixed_size: 0
    .sgpr_count:     0
    .sgpr_spill_count: 0
    .symbol:         _ZN7rocprim17ROCPRIM_400000_NS6detail17trampoline_kernelINS0_14default_configENS1_33run_length_encode_config_selectorIjjNS0_4plusIjEEEEZZNS1_33reduce_by_key_impl_wrapped_configILNS1_25lookback_scan_determinismE0ES3_S7_PKjNS0_17constant_iteratorIjlEEPjPlSF_S6_NS0_8equal_toIjEEEE10hipError_tPvRmT2_T3_mT4_T5_T6_T7_T8_P12ihipStream_tbENKUlT_T0_E_clISt17integral_constantIbLb1EESY_IbLb0EEEEDaSU_SV_EUlSU_E_NS1_11comp_targetILNS1_3genE8ELNS1_11target_archE1030ELNS1_3gpuE2ELNS1_3repE0EEENS1_30default_config_static_selectorELNS0_4arch9wavefront6targetE0EEEvT1_.kd
    .uniform_work_group_size: 1
    .uses_dynamic_stack: false
    .vgpr_count:     0
    .vgpr_spill_count: 0
    .wavefront_size: 32
  - .args:
      - .offset:         0
        .size:           128
        .value_kind:     by_value
    .group_segment_fixed_size: 14336
    .kernarg_segment_align: 8
    .kernarg_segment_size: 128
    .language:       OpenCL C
    .language_version:
      - 2
      - 0
    .max_flat_workgroup_size: 256
    .name:           _ZN7rocprim17ROCPRIM_400000_NS6detail17trampoline_kernelINS0_14default_configENS1_33run_length_encode_config_selectorIjjNS0_4plusIjEEEEZZNS1_33reduce_by_key_impl_wrapped_configILNS1_25lookback_scan_determinismE0ES3_S7_PKjNS0_17constant_iteratorIjlEEPjPlSF_S6_NS0_8equal_toIjEEEE10hipError_tPvRmT2_T3_mT4_T5_T6_T7_T8_P12ihipStream_tbENKUlT_T0_E_clISt17integral_constantIbLb0EESY_IbLb1EEEEDaSU_SV_EUlSU_E_NS1_11comp_targetILNS1_3genE0ELNS1_11target_archE4294967295ELNS1_3gpuE0ELNS1_3repE0EEENS1_30default_config_static_selectorELNS0_4arch9wavefront6targetE0EEEvT1_
    .private_segment_fixed_size: 0
    .sgpr_count:     45
    .sgpr_spill_count: 0
    .symbol:         _ZN7rocprim17ROCPRIM_400000_NS6detail17trampoline_kernelINS0_14default_configENS1_33run_length_encode_config_selectorIjjNS0_4plusIjEEEEZZNS1_33reduce_by_key_impl_wrapped_configILNS1_25lookback_scan_determinismE0ES3_S7_PKjNS0_17constant_iteratorIjlEEPjPlSF_S6_NS0_8equal_toIjEEEE10hipError_tPvRmT2_T3_mT4_T5_T6_T7_T8_P12ihipStream_tbENKUlT_T0_E_clISt17integral_constantIbLb0EESY_IbLb1EEEEDaSU_SV_EUlSU_E_NS1_11comp_targetILNS1_3genE0ELNS1_11target_archE4294967295ELNS1_3gpuE0ELNS1_3repE0EEENS1_30default_config_static_selectorELNS0_4arch9wavefront6targetE0EEEvT1_.kd
    .uniform_work_group_size: 1
    .uses_dynamic_stack: false
    .vgpr_count:     102
    .vgpr_spill_count: 0
    .wavefront_size: 32
  - .args:
      - .offset:         0
        .size:           128
        .value_kind:     by_value
    .group_segment_fixed_size: 0
    .kernarg_segment_align: 8
    .kernarg_segment_size: 128
    .language:       OpenCL C
    .language_version:
      - 2
      - 0
    .max_flat_workgroup_size: 512
    .name:           _ZN7rocprim17ROCPRIM_400000_NS6detail17trampoline_kernelINS0_14default_configENS1_33run_length_encode_config_selectorIjjNS0_4plusIjEEEEZZNS1_33reduce_by_key_impl_wrapped_configILNS1_25lookback_scan_determinismE0ES3_S7_PKjNS0_17constant_iteratorIjlEEPjPlSF_S6_NS0_8equal_toIjEEEE10hipError_tPvRmT2_T3_mT4_T5_T6_T7_T8_P12ihipStream_tbENKUlT_T0_E_clISt17integral_constantIbLb0EESY_IbLb1EEEEDaSU_SV_EUlSU_E_NS1_11comp_targetILNS1_3genE5ELNS1_11target_archE942ELNS1_3gpuE9ELNS1_3repE0EEENS1_30default_config_static_selectorELNS0_4arch9wavefront6targetE0EEEvT1_
    .private_segment_fixed_size: 0
    .sgpr_count:     0
    .sgpr_spill_count: 0
    .symbol:         _ZN7rocprim17ROCPRIM_400000_NS6detail17trampoline_kernelINS0_14default_configENS1_33run_length_encode_config_selectorIjjNS0_4plusIjEEEEZZNS1_33reduce_by_key_impl_wrapped_configILNS1_25lookback_scan_determinismE0ES3_S7_PKjNS0_17constant_iteratorIjlEEPjPlSF_S6_NS0_8equal_toIjEEEE10hipError_tPvRmT2_T3_mT4_T5_T6_T7_T8_P12ihipStream_tbENKUlT_T0_E_clISt17integral_constantIbLb0EESY_IbLb1EEEEDaSU_SV_EUlSU_E_NS1_11comp_targetILNS1_3genE5ELNS1_11target_archE942ELNS1_3gpuE9ELNS1_3repE0EEENS1_30default_config_static_selectorELNS0_4arch9wavefront6targetE0EEEvT1_.kd
    .uniform_work_group_size: 1
    .uses_dynamic_stack: false
    .vgpr_count:     0
    .vgpr_spill_count: 0
    .wavefront_size: 32
  - .args:
      - .offset:         0
        .size:           128
        .value_kind:     by_value
    .group_segment_fixed_size: 0
    .kernarg_segment_align: 8
    .kernarg_segment_size: 128
    .language:       OpenCL C
    .language_version:
      - 2
      - 0
    .max_flat_workgroup_size: 256
    .name:           _ZN7rocprim17ROCPRIM_400000_NS6detail17trampoline_kernelINS0_14default_configENS1_33run_length_encode_config_selectorIjjNS0_4plusIjEEEEZZNS1_33reduce_by_key_impl_wrapped_configILNS1_25lookback_scan_determinismE0ES3_S7_PKjNS0_17constant_iteratorIjlEEPjPlSF_S6_NS0_8equal_toIjEEEE10hipError_tPvRmT2_T3_mT4_T5_T6_T7_T8_P12ihipStream_tbENKUlT_T0_E_clISt17integral_constantIbLb0EESY_IbLb1EEEEDaSU_SV_EUlSU_E_NS1_11comp_targetILNS1_3genE4ELNS1_11target_archE910ELNS1_3gpuE8ELNS1_3repE0EEENS1_30default_config_static_selectorELNS0_4arch9wavefront6targetE0EEEvT1_
    .private_segment_fixed_size: 0
    .sgpr_count:     0
    .sgpr_spill_count: 0
    .symbol:         _ZN7rocprim17ROCPRIM_400000_NS6detail17trampoline_kernelINS0_14default_configENS1_33run_length_encode_config_selectorIjjNS0_4plusIjEEEEZZNS1_33reduce_by_key_impl_wrapped_configILNS1_25lookback_scan_determinismE0ES3_S7_PKjNS0_17constant_iteratorIjlEEPjPlSF_S6_NS0_8equal_toIjEEEE10hipError_tPvRmT2_T3_mT4_T5_T6_T7_T8_P12ihipStream_tbENKUlT_T0_E_clISt17integral_constantIbLb0EESY_IbLb1EEEEDaSU_SV_EUlSU_E_NS1_11comp_targetILNS1_3genE4ELNS1_11target_archE910ELNS1_3gpuE8ELNS1_3repE0EEENS1_30default_config_static_selectorELNS0_4arch9wavefront6targetE0EEEvT1_.kd
    .uniform_work_group_size: 1
    .uses_dynamic_stack: false
    .vgpr_count:     0
    .vgpr_spill_count: 0
    .wavefront_size: 32
  - .args:
      - .offset:         0
        .size:           128
        .value_kind:     by_value
    .group_segment_fixed_size: 0
    .kernarg_segment_align: 8
    .kernarg_segment_size: 128
    .language:       OpenCL C
    .language_version:
      - 2
      - 0
    .max_flat_workgroup_size: 256
    .name:           _ZN7rocprim17ROCPRIM_400000_NS6detail17trampoline_kernelINS0_14default_configENS1_33run_length_encode_config_selectorIjjNS0_4plusIjEEEEZZNS1_33reduce_by_key_impl_wrapped_configILNS1_25lookback_scan_determinismE0ES3_S7_PKjNS0_17constant_iteratorIjlEEPjPlSF_S6_NS0_8equal_toIjEEEE10hipError_tPvRmT2_T3_mT4_T5_T6_T7_T8_P12ihipStream_tbENKUlT_T0_E_clISt17integral_constantIbLb0EESY_IbLb1EEEEDaSU_SV_EUlSU_E_NS1_11comp_targetILNS1_3genE3ELNS1_11target_archE908ELNS1_3gpuE7ELNS1_3repE0EEENS1_30default_config_static_selectorELNS0_4arch9wavefront6targetE0EEEvT1_
    .private_segment_fixed_size: 0
    .sgpr_count:     0
    .sgpr_spill_count: 0
    .symbol:         _ZN7rocprim17ROCPRIM_400000_NS6detail17trampoline_kernelINS0_14default_configENS1_33run_length_encode_config_selectorIjjNS0_4plusIjEEEEZZNS1_33reduce_by_key_impl_wrapped_configILNS1_25lookback_scan_determinismE0ES3_S7_PKjNS0_17constant_iteratorIjlEEPjPlSF_S6_NS0_8equal_toIjEEEE10hipError_tPvRmT2_T3_mT4_T5_T6_T7_T8_P12ihipStream_tbENKUlT_T0_E_clISt17integral_constantIbLb0EESY_IbLb1EEEEDaSU_SV_EUlSU_E_NS1_11comp_targetILNS1_3genE3ELNS1_11target_archE908ELNS1_3gpuE7ELNS1_3repE0EEENS1_30default_config_static_selectorELNS0_4arch9wavefront6targetE0EEEvT1_.kd
    .uniform_work_group_size: 1
    .uses_dynamic_stack: false
    .vgpr_count:     0
    .vgpr_spill_count: 0
    .wavefront_size: 32
  - .args:
      - .offset:         0
        .size:           128
        .value_kind:     by_value
    .group_segment_fixed_size: 0
    .kernarg_segment_align: 8
    .kernarg_segment_size: 128
    .language:       OpenCL C
    .language_version:
      - 2
      - 0
    .max_flat_workgroup_size: 256
    .name:           _ZN7rocprim17ROCPRIM_400000_NS6detail17trampoline_kernelINS0_14default_configENS1_33run_length_encode_config_selectorIjjNS0_4plusIjEEEEZZNS1_33reduce_by_key_impl_wrapped_configILNS1_25lookback_scan_determinismE0ES3_S7_PKjNS0_17constant_iteratorIjlEEPjPlSF_S6_NS0_8equal_toIjEEEE10hipError_tPvRmT2_T3_mT4_T5_T6_T7_T8_P12ihipStream_tbENKUlT_T0_E_clISt17integral_constantIbLb0EESY_IbLb1EEEEDaSU_SV_EUlSU_E_NS1_11comp_targetILNS1_3genE2ELNS1_11target_archE906ELNS1_3gpuE6ELNS1_3repE0EEENS1_30default_config_static_selectorELNS0_4arch9wavefront6targetE0EEEvT1_
    .private_segment_fixed_size: 0
    .sgpr_count:     0
    .sgpr_spill_count: 0
    .symbol:         _ZN7rocprim17ROCPRIM_400000_NS6detail17trampoline_kernelINS0_14default_configENS1_33run_length_encode_config_selectorIjjNS0_4plusIjEEEEZZNS1_33reduce_by_key_impl_wrapped_configILNS1_25lookback_scan_determinismE0ES3_S7_PKjNS0_17constant_iteratorIjlEEPjPlSF_S6_NS0_8equal_toIjEEEE10hipError_tPvRmT2_T3_mT4_T5_T6_T7_T8_P12ihipStream_tbENKUlT_T0_E_clISt17integral_constantIbLb0EESY_IbLb1EEEEDaSU_SV_EUlSU_E_NS1_11comp_targetILNS1_3genE2ELNS1_11target_archE906ELNS1_3gpuE6ELNS1_3repE0EEENS1_30default_config_static_selectorELNS0_4arch9wavefront6targetE0EEEvT1_.kd
    .uniform_work_group_size: 1
    .uses_dynamic_stack: false
    .vgpr_count:     0
    .vgpr_spill_count: 0
    .wavefront_size: 32
  - .args:
      - .offset:         0
        .size:           128
        .value_kind:     by_value
    .group_segment_fixed_size: 0
    .kernarg_segment_align: 8
    .kernarg_segment_size: 128
    .language:       OpenCL C
    .language_version:
      - 2
      - 0
    .max_flat_workgroup_size: 384
    .name:           _ZN7rocprim17ROCPRIM_400000_NS6detail17trampoline_kernelINS0_14default_configENS1_33run_length_encode_config_selectorIjjNS0_4plusIjEEEEZZNS1_33reduce_by_key_impl_wrapped_configILNS1_25lookback_scan_determinismE0ES3_S7_PKjNS0_17constant_iteratorIjlEEPjPlSF_S6_NS0_8equal_toIjEEEE10hipError_tPvRmT2_T3_mT4_T5_T6_T7_T8_P12ihipStream_tbENKUlT_T0_E_clISt17integral_constantIbLb0EESY_IbLb1EEEEDaSU_SV_EUlSU_E_NS1_11comp_targetILNS1_3genE10ELNS1_11target_archE1201ELNS1_3gpuE5ELNS1_3repE0EEENS1_30default_config_static_selectorELNS0_4arch9wavefront6targetE0EEEvT1_
    .private_segment_fixed_size: 0
    .sgpr_count:     0
    .sgpr_spill_count: 0
    .symbol:         _ZN7rocprim17ROCPRIM_400000_NS6detail17trampoline_kernelINS0_14default_configENS1_33run_length_encode_config_selectorIjjNS0_4plusIjEEEEZZNS1_33reduce_by_key_impl_wrapped_configILNS1_25lookback_scan_determinismE0ES3_S7_PKjNS0_17constant_iteratorIjlEEPjPlSF_S6_NS0_8equal_toIjEEEE10hipError_tPvRmT2_T3_mT4_T5_T6_T7_T8_P12ihipStream_tbENKUlT_T0_E_clISt17integral_constantIbLb0EESY_IbLb1EEEEDaSU_SV_EUlSU_E_NS1_11comp_targetILNS1_3genE10ELNS1_11target_archE1201ELNS1_3gpuE5ELNS1_3repE0EEENS1_30default_config_static_selectorELNS0_4arch9wavefront6targetE0EEEvT1_.kd
    .uniform_work_group_size: 1
    .uses_dynamic_stack: false
    .vgpr_count:     0
    .vgpr_spill_count: 0
    .wavefront_size: 32
  - .args:
      - .offset:         0
        .size:           128
        .value_kind:     by_value
    .group_segment_fixed_size: 0
    .kernarg_segment_align: 8
    .kernarg_segment_size: 128
    .language:       OpenCL C
    .language_version:
      - 2
      - 0
    .max_flat_workgroup_size: 256
    .name:           _ZN7rocprim17ROCPRIM_400000_NS6detail17trampoline_kernelINS0_14default_configENS1_33run_length_encode_config_selectorIjjNS0_4plusIjEEEEZZNS1_33reduce_by_key_impl_wrapped_configILNS1_25lookback_scan_determinismE0ES3_S7_PKjNS0_17constant_iteratorIjlEEPjPlSF_S6_NS0_8equal_toIjEEEE10hipError_tPvRmT2_T3_mT4_T5_T6_T7_T8_P12ihipStream_tbENKUlT_T0_E_clISt17integral_constantIbLb0EESY_IbLb1EEEEDaSU_SV_EUlSU_E_NS1_11comp_targetILNS1_3genE10ELNS1_11target_archE1200ELNS1_3gpuE4ELNS1_3repE0EEENS1_30default_config_static_selectorELNS0_4arch9wavefront6targetE0EEEvT1_
    .private_segment_fixed_size: 0
    .sgpr_count:     0
    .sgpr_spill_count: 0
    .symbol:         _ZN7rocprim17ROCPRIM_400000_NS6detail17trampoline_kernelINS0_14default_configENS1_33run_length_encode_config_selectorIjjNS0_4plusIjEEEEZZNS1_33reduce_by_key_impl_wrapped_configILNS1_25lookback_scan_determinismE0ES3_S7_PKjNS0_17constant_iteratorIjlEEPjPlSF_S6_NS0_8equal_toIjEEEE10hipError_tPvRmT2_T3_mT4_T5_T6_T7_T8_P12ihipStream_tbENKUlT_T0_E_clISt17integral_constantIbLb0EESY_IbLb1EEEEDaSU_SV_EUlSU_E_NS1_11comp_targetILNS1_3genE10ELNS1_11target_archE1200ELNS1_3gpuE4ELNS1_3repE0EEENS1_30default_config_static_selectorELNS0_4arch9wavefront6targetE0EEEvT1_.kd
    .uniform_work_group_size: 1
    .uses_dynamic_stack: false
    .vgpr_count:     0
    .vgpr_spill_count: 0
    .wavefront_size: 32
  - .args:
      - .offset:         0
        .size:           128
        .value_kind:     by_value
    .group_segment_fixed_size: 0
    .kernarg_segment_align: 8
    .kernarg_segment_size: 128
    .language:       OpenCL C
    .language_version:
      - 2
      - 0
    .max_flat_workgroup_size: 512
    .name:           _ZN7rocprim17ROCPRIM_400000_NS6detail17trampoline_kernelINS0_14default_configENS1_33run_length_encode_config_selectorIjjNS0_4plusIjEEEEZZNS1_33reduce_by_key_impl_wrapped_configILNS1_25lookback_scan_determinismE0ES3_S7_PKjNS0_17constant_iteratorIjlEEPjPlSF_S6_NS0_8equal_toIjEEEE10hipError_tPvRmT2_T3_mT4_T5_T6_T7_T8_P12ihipStream_tbENKUlT_T0_E_clISt17integral_constantIbLb0EESY_IbLb1EEEEDaSU_SV_EUlSU_E_NS1_11comp_targetILNS1_3genE9ELNS1_11target_archE1100ELNS1_3gpuE3ELNS1_3repE0EEENS1_30default_config_static_selectorELNS0_4arch9wavefront6targetE0EEEvT1_
    .private_segment_fixed_size: 0
    .sgpr_count:     0
    .sgpr_spill_count: 0
    .symbol:         _ZN7rocprim17ROCPRIM_400000_NS6detail17trampoline_kernelINS0_14default_configENS1_33run_length_encode_config_selectorIjjNS0_4plusIjEEEEZZNS1_33reduce_by_key_impl_wrapped_configILNS1_25lookback_scan_determinismE0ES3_S7_PKjNS0_17constant_iteratorIjlEEPjPlSF_S6_NS0_8equal_toIjEEEE10hipError_tPvRmT2_T3_mT4_T5_T6_T7_T8_P12ihipStream_tbENKUlT_T0_E_clISt17integral_constantIbLb0EESY_IbLb1EEEEDaSU_SV_EUlSU_E_NS1_11comp_targetILNS1_3genE9ELNS1_11target_archE1100ELNS1_3gpuE3ELNS1_3repE0EEENS1_30default_config_static_selectorELNS0_4arch9wavefront6targetE0EEEvT1_.kd
    .uniform_work_group_size: 1
    .uses_dynamic_stack: false
    .vgpr_count:     0
    .vgpr_spill_count: 0
    .wavefront_size: 32
  - .args:
      - .offset:         0
        .size:           128
        .value_kind:     by_value
    .group_segment_fixed_size: 0
    .kernarg_segment_align: 8
    .kernarg_segment_size: 128
    .language:       OpenCL C
    .language_version:
      - 2
      - 0
    .max_flat_workgroup_size: 192
    .name:           _ZN7rocprim17ROCPRIM_400000_NS6detail17trampoline_kernelINS0_14default_configENS1_33run_length_encode_config_selectorIjjNS0_4plusIjEEEEZZNS1_33reduce_by_key_impl_wrapped_configILNS1_25lookback_scan_determinismE0ES3_S7_PKjNS0_17constant_iteratorIjlEEPjPlSF_S6_NS0_8equal_toIjEEEE10hipError_tPvRmT2_T3_mT4_T5_T6_T7_T8_P12ihipStream_tbENKUlT_T0_E_clISt17integral_constantIbLb0EESY_IbLb1EEEEDaSU_SV_EUlSU_E_NS1_11comp_targetILNS1_3genE8ELNS1_11target_archE1030ELNS1_3gpuE2ELNS1_3repE0EEENS1_30default_config_static_selectorELNS0_4arch9wavefront6targetE0EEEvT1_
    .private_segment_fixed_size: 0
    .sgpr_count:     0
    .sgpr_spill_count: 0
    .symbol:         _ZN7rocprim17ROCPRIM_400000_NS6detail17trampoline_kernelINS0_14default_configENS1_33run_length_encode_config_selectorIjjNS0_4plusIjEEEEZZNS1_33reduce_by_key_impl_wrapped_configILNS1_25lookback_scan_determinismE0ES3_S7_PKjNS0_17constant_iteratorIjlEEPjPlSF_S6_NS0_8equal_toIjEEEE10hipError_tPvRmT2_T3_mT4_T5_T6_T7_T8_P12ihipStream_tbENKUlT_T0_E_clISt17integral_constantIbLb0EESY_IbLb1EEEEDaSU_SV_EUlSU_E_NS1_11comp_targetILNS1_3genE8ELNS1_11target_archE1030ELNS1_3gpuE2ELNS1_3repE0EEENS1_30default_config_static_selectorELNS0_4arch9wavefront6targetE0EEEvT1_.kd
    .uniform_work_group_size: 1
    .uses_dynamic_stack: false
    .vgpr_count:     0
    .vgpr_spill_count: 0
    .wavefront_size: 32
  - .args:
      - .offset:         0
        .size:           8
        .value_kind:     by_value
      - .address_space:  global
        .offset:         8
        .size:           8
        .value_kind:     global_buffer
      - .address_space:  global
        .offset:         16
        .size:           8
        .value_kind:     global_buffer
      - .offset:         24
        .size:           4
        .value_kind:     hidden_block_count_x
      - .offset:         28
        .size:           4
        .value_kind:     hidden_block_count_y
      - .offset:         32
        .size:           4
        .value_kind:     hidden_block_count_z
      - .offset:         36
        .size:           2
        .value_kind:     hidden_group_size_x
      - .offset:         38
        .size:           2
        .value_kind:     hidden_group_size_y
      - .offset:         40
        .size:           2
        .value_kind:     hidden_group_size_z
      - .offset:         42
        .size:           2
        .value_kind:     hidden_remainder_x
      - .offset:         44
        .size:           2
        .value_kind:     hidden_remainder_y
      - .offset:         46
        .size:           2
        .value_kind:     hidden_remainder_z
      - .offset:         64
        .size:           8
        .value_kind:     hidden_global_offset_x
      - .offset:         72
        .size:           8
        .value_kind:     hidden_global_offset_y
      - .offset:         80
        .size:           8
        .value_kind:     hidden_global_offset_z
      - .offset:         88
        .size:           2
        .value_kind:     hidden_grid_dims
    .group_segment_fixed_size: 0
    .kernarg_segment_align: 8
    .kernarg_segment_size: 280
    .language:       OpenCL C
    .language_version:
      - 2
      - 0
    .max_flat_workgroup_size: 1024
    .name:           _ZN2at6native8internal12_GLOBAL__N_126adjacent_difference_kernelIPKmEEvlT_Pi
    .private_segment_fixed_size: 0
    .sgpr_count:     20
    .sgpr_spill_count: 0
    .symbol:         _ZN2at6native8internal12_GLOBAL__N_126adjacent_difference_kernelIPKmEEvlT_Pi.kd
    .uniform_work_group_size: 1
    .uses_dynamic_stack: false
    .vgpr_count:     12
    .vgpr_spill_count: 0
    .wavefront_size: 32
  - .args:
      - .offset:         0
        .size:           112
        .value_kind:     by_value
    .group_segment_fixed_size: 28680
    .kernarg_segment_align: 8
    .kernarg_segment_size: 112
    .language:       OpenCL C
    .language_version:
      - 2
      - 0
    .max_flat_workgroup_size: 512
    .name:           _ZN7rocprim17ROCPRIM_400000_NS6detail17trampoline_kernelINS0_14default_configENS1_25partition_config_selectorILNS1_17partition_subalgoE8EmNS0_10empty_typeEbEEZZNS1_14partition_implILS5_8ELb0ES3_jPKmPS6_PKS6_NS0_5tupleIJPmS6_EEENSE_IJSB_SB_EEENS0_18inequality_wrapperIN6hipcub16HIPCUB_304000_NS8EqualityEEEPlJS6_EEE10hipError_tPvRmT3_T4_T5_T6_T7_T9_mT8_P12ihipStream_tbDpT10_ENKUlT_T0_E_clISt17integral_constantIbLb0EES17_EEDaS12_S13_EUlS12_E_NS1_11comp_targetILNS1_3genE0ELNS1_11target_archE4294967295ELNS1_3gpuE0ELNS1_3repE0EEENS1_30default_config_static_selectorELNS0_4arch9wavefront6targetE0EEEvT1_
    .private_segment_fixed_size: 0
    .sgpr_count:     26
    .sgpr_spill_count: 0
    .symbol:         _ZN7rocprim17ROCPRIM_400000_NS6detail17trampoline_kernelINS0_14default_configENS1_25partition_config_selectorILNS1_17partition_subalgoE8EmNS0_10empty_typeEbEEZZNS1_14partition_implILS5_8ELb0ES3_jPKmPS6_PKS6_NS0_5tupleIJPmS6_EEENSE_IJSB_SB_EEENS0_18inequality_wrapperIN6hipcub16HIPCUB_304000_NS8EqualityEEEPlJS6_EEE10hipError_tPvRmT3_T4_T5_T6_T7_T9_mT8_P12ihipStream_tbDpT10_ENKUlT_T0_E_clISt17integral_constantIbLb0EES17_EEDaS12_S13_EUlS12_E_NS1_11comp_targetILNS1_3genE0ELNS1_11target_archE4294967295ELNS1_3gpuE0ELNS1_3repE0EEENS1_30default_config_static_selectorELNS0_4arch9wavefront6targetE0EEEvT1_.kd
    .uniform_work_group_size: 1
    .uses_dynamic_stack: false
    .vgpr_count:     55
    .vgpr_spill_count: 0
    .wavefront_size: 32
  - .args:
      - .offset:         0
        .size:           112
        .value_kind:     by_value
    .group_segment_fixed_size: 0
    .kernarg_segment_align: 8
    .kernarg_segment_size: 112
    .language:       OpenCL C
    .language_version:
      - 2
      - 0
    .max_flat_workgroup_size: 512
    .name:           _ZN7rocprim17ROCPRIM_400000_NS6detail17trampoline_kernelINS0_14default_configENS1_25partition_config_selectorILNS1_17partition_subalgoE8EmNS0_10empty_typeEbEEZZNS1_14partition_implILS5_8ELb0ES3_jPKmPS6_PKS6_NS0_5tupleIJPmS6_EEENSE_IJSB_SB_EEENS0_18inequality_wrapperIN6hipcub16HIPCUB_304000_NS8EqualityEEEPlJS6_EEE10hipError_tPvRmT3_T4_T5_T6_T7_T9_mT8_P12ihipStream_tbDpT10_ENKUlT_T0_E_clISt17integral_constantIbLb0EES17_EEDaS12_S13_EUlS12_E_NS1_11comp_targetILNS1_3genE5ELNS1_11target_archE942ELNS1_3gpuE9ELNS1_3repE0EEENS1_30default_config_static_selectorELNS0_4arch9wavefront6targetE0EEEvT1_
    .private_segment_fixed_size: 0
    .sgpr_count:     0
    .sgpr_spill_count: 0
    .symbol:         _ZN7rocprim17ROCPRIM_400000_NS6detail17trampoline_kernelINS0_14default_configENS1_25partition_config_selectorILNS1_17partition_subalgoE8EmNS0_10empty_typeEbEEZZNS1_14partition_implILS5_8ELb0ES3_jPKmPS6_PKS6_NS0_5tupleIJPmS6_EEENSE_IJSB_SB_EEENS0_18inequality_wrapperIN6hipcub16HIPCUB_304000_NS8EqualityEEEPlJS6_EEE10hipError_tPvRmT3_T4_T5_T6_T7_T9_mT8_P12ihipStream_tbDpT10_ENKUlT_T0_E_clISt17integral_constantIbLb0EES17_EEDaS12_S13_EUlS12_E_NS1_11comp_targetILNS1_3genE5ELNS1_11target_archE942ELNS1_3gpuE9ELNS1_3repE0EEENS1_30default_config_static_selectorELNS0_4arch9wavefront6targetE0EEEvT1_.kd
    .uniform_work_group_size: 1
    .uses_dynamic_stack: false
    .vgpr_count:     0
    .vgpr_spill_count: 0
    .wavefront_size: 32
  - .args:
      - .offset:         0
        .size:           112
        .value_kind:     by_value
    .group_segment_fixed_size: 0
    .kernarg_segment_align: 8
    .kernarg_segment_size: 112
    .language:       OpenCL C
    .language_version:
      - 2
      - 0
    .max_flat_workgroup_size: 256
    .name:           _ZN7rocprim17ROCPRIM_400000_NS6detail17trampoline_kernelINS0_14default_configENS1_25partition_config_selectorILNS1_17partition_subalgoE8EmNS0_10empty_typeEbEEZZNS1_14partition_implILS5_8ELb0ES3_jPKmPS6_PKS6_NS0_5tupleIJPmS6_EEENSE_IJSB_SB_EEENS0_18inequality_wrapperIN6hipcub16HIPCUB_304000_NS8EqualityEEEPlJS6_EEE10hipError_tPvRmT3_T4_T5_T6_T7_T9_mT8_P12ihipStream_tbDpT10_ENKUlT_T0_E_clISt17integral_constantIbLb0EES17_EEDaS12_S13_EUlS12_E_NS1_11comp_targetILNS1_3genE4ELNS1_11target_archE910ELNS1_3gpuE8ELNS1_3repE0EEENS1_30default_config_static_selectorELNS0_4arch9wavefront6targetE0EEEvT1_
    .private_segment_fixed_size: 0
    .sgpr_count:     0
    .sgpr_spill_count: 0
    .symbol:         _ZN7rocprim17ROCPRIM_400000_NS6detail17trampoline_kernelINS0_14default_configENS1_25partition_config_selectorILNS1_17partition_subalgoE8EmNS0_10empty_typeEbEEZZNS1_14partition_implILS5_8ELb0ES3_jPKmPS6_PKS6_NS0_5tupleIJPmS6_EEENSE_IJSB_SB_EEENS0_18inequality_wrapperIN6hipcub16HIPCUB_304000_NS8EqualityEEEPlJS6_EEE10hipError_tPvRmT3_T4_T5_T6_T7_T9_mT8_P12ihipStream_tbDpT10_ENKUlT_T0_E_clISt17integral_constantIbLb0EES17_EEDaS12_S13_EUlS12_E_NS1_11comp_targetILNS1_3genE4ELNS1_11target_archE910ELNS1_3gpuE8ELNS1_3repE0EEENS1_30default_config_static_selectorELNS0_4arch9wavefront6targetE0EEEvT1_.kd
    .uniform_work_group_size: 1
    .uses_dynamic_stack: false
    .vgpr_count:     0
    .vgpr_spill_count: 0
    .wavefront_size: 32
  - .args:
      - .offset:         0
        .size:           112
        .value_kind:     by_value
    .group_segment_fixed_size: 0
    .kernarg_segment_align: 8
    .kernarg_segment_size: 112
    .language:       OpenCL C
    .language_version:
      - 2
      - 0
    .max_flat_workgroup_size: 512
    .name:           _ZN7rocprim17ROCPRIM_400000_NS6detail17trampoline_kernelINS0_14default_configENS1_25partition_config_selectorILNS1_17partition_subalgoE8EmNS0_10empty_typeEbEEZZNS1_14partition_implILS5_8ELb0ES3_jPKmPS6_PKS6_NS0_5tupleIJPmS6_EEENSE_IJSB_SB_EEENS0_18inequality_wrapperIN6hipcub16HIPCUB_304000_NS8EqualityEEEPlJS6_EEE10hipError_tPvRmT3_T4_T5_T6_T7_T9_mT8_P12ihipStream_tbDpT10_ENKUlT_T0_E_clISt17integral_constantIbLb0EES17_EEDaS12_S13_EUlS12_E_NS1_11comp_targetILNS1_3genE3ELNS1_11target_archE908ELNS1_3gpuE7ELNS1_3repE0EEENS1_30default_config_static_selectorELNS0_4arch9wavefront6targetE0EEEvT1_
    .private_segment_fixed_size: 0
    .sgpr_count:     0
    .sgpr_spill_count: 0
    .symbol:         _ZN7rocprim17ROCPRIM_400000_NS6detail17trampoline_kernelINS0_14default_configENS1_25partition_config_selectorILNS1_17partition_subalgoE8EmNS0_10empty_typeEbEEZZNS1_14partition_implILS5_8ELb0ES3_jPKmPS6_PKS6_NS0_5tupleIJPmS6_EEENSE_IJSB_SB_EEENS0_18inequality_wrapperIN6hipcub16HIPCUB_304000_NS8EqualityEEEPlJS6_EEE10hipError_tPvRmT3_T4_T5_T6_T7_T9_mT8_P12ihipStream_tbDpT10_ENKUlT_T0_E_clISt17integral_constantIbLb0EES17_EEDaS12_S13_EUlS12_E_NS1_11comp_targetILNS1_3genE3ELNS1_11target_archE908ELNS1_3gpuE7ELNS1_3repE0EEENS1_30default_config_static_selectorELNS0_4arch9wavefront6targetE0EEEvT1_.kd
    .uniform_work_group_size: 1
    .uses_dynamic_stack: false
    .vgpr_count:     0
    .vgpr_spill_count: 0
    .wavefront_size: 32
  - .args:
      - .offset:         0
        .size:           112
        .value_kind:     by_value
    .group_segment_fixed_size: 0
    .kernarg_segment_align: 8
    .kernarg_segment_size: 112
    .language:       OpenCL C
    .language_version:
      - 2
      - 0
    .max_flat_workgroup_size: 256
    .name:           _ZN7rocprim17ROCPRIM_400000_NS6detail17trampoline_kernelINS0_14default_configENS1_25partition_config_selectorILNS1_17partition_subalgoE8EmNS0_10empty_typeEbEEZZNS1_14partition_implILS5_8ELb0ES3_jPKmPS6_PKS6_NS0_5tupleIJPmS6_EEENSE_IJSB_SB_EEENS0_18inequality_wrapperIN6hipcub16HIPCUB_304000_NS8EqualityEEEPlJS6_EEE10hipError_tPvRmT3_T4_T5_T6_T7_T9_mT8_P12ihipStream_tbDpT10_ENKUlT_T0_E_clISt17integral_constantIbLb0EES17_EEDaS12_S13_EUlS12_E_NS1_11comp_targetILNS1_3genE2ELNS1_11target_archE906ELNS1_3gpuE6ELNS1_3repE0EEENS1_30default_config_static_selectorELNS0_4arch9wavefront6targetE0EEEvT1_
    .private_segment_fixed_size: 0
    .sgpr_count:     0
    .sgpr_spill_count: 0
    .symbol:         _ZN7rocprim17ROCPRIM_400000_NS6detail17trampoline_kernelINS0_14default_configENS1_25partition_config_selectorILNS1_17partition_subalgoE8EmNS0_10empty_typeEbEEZZNS1_14partition_implILS5_8ELb0ES3_jPKmPS6_PKS6_NS0_5tupleIJPmS6_EEENSE_IJSB_SB_EEENS0_18inequality_wrapperIN6hipcub16HIPCUB_304000_NS8EqualityEEEPlJS6_EEE10hipError_tPvRmT3_T4_T5_T6_T7_T9_mT8_P12ihipStream_tbDpT10_ENKUlT_T0_E_clISt17integral_constantIbLb0EES17_EEDaS12_S13_EUlS12_E_NS1_11comp_targetILNS1_3genE2ELNS1_11target_archE906ELNS1_3gpuE6ELNS1_3repE0EEENS1_30default_config_static_selectorELNS0_4arch9wavefront6targetE0EEEvT1_.kd
    .uniform_work_group_size: 1
    .uses_dynamic_stack: false
    .vgpr_count:     0
    .vgpr_spill_count: 0
    .wavefront_size: 32
  - .args:
      - .offset:         0
        .size:           112
        .value_kind:     by_value
    .group_segment_fixed_size: 0
    .kernarg_segment_align: 8
    .kernarg_segment_size: 112
    .language:       OpenCL C
    .language_version:
      - 2
      - 0
    .max_flat_workgroup_size: 384
    .name:           _ZN7rocprim17ROCPRIM_400000_NS6detail17trampoline_kernelINS0_14default_configENS1_25partition_config_selectorILNS1_17partition_subalgoE8EmNS0_10empty_typeEbEEZZNS1_14partition_implILS5_8ELb0ES3_jPKmPS6_PKS6_NS0_5tupleIJPmS6_EEENSE_IJSB_SB_EEENS0_18inequality_wrapperIN6hipcub16HIPCUB_304000_NS8EqualityEEEPlJS6_EEE10hipError_tPvRmT3_T4_T5_T6_T7_T9_mT8_P12ihipStream_tbDpT10_ENKUlT_T0_E_clISt17integral_constantIbLb0EES17_EEDaS12_S13_EUlS12_E_NS1_11comp_targetILNS1_3genE10ELNS1_11target_archE1200ELNS1_3gpuE4ELNS1_3repE0EEENS1_30default_config_static_selectorELNS0_4arch9wavefront6targetE0EEEvT1_
    .private_segment_fixed_size: 0
    .sgpr_count:     0
    .sgpr_spill_count: 0
    .symbol:         _ZN7rocprim17ROCPRIM_400000_NS6detail17trampoline_kernelINS0_14default_configENS1_25partition_config_selectorILNS1_17partition_subalgoE8EmNS0_10empty_typeEbEEZZNS1_14partition_implILS5_8ELb0ES3_jPKmPS6_PKS6_NS0_5tupleIJPmS6_EEENSE_IJSB_SB_EEENS0_18inequality_wrapperIN6hipcub16HIPCUB_304000_NS8EqualityEEEPlJS6_EEE10hipError_tPvRmT3_T4_T5_T6_T7_T9_mT8_P12ihipStream_tbDpT10_ENKUlT_T0_E_clISt17integral_constantIbLb0EES17_EEDaS12_S13_EUlS12_E_NS1_11comp_targetILNS1_3genE10ELNS1_11target_archE1200ELNS1_3gpuE4ELNS1_3repE0EEENS1_30default_config_static_selectorELNS0_4arch9wavefront6targetE0EEEvT1_.kd
    .uniform_work_group_size: 1
    .uses_dynamic_stack: false
    .vgpr_count:     0
    .vgpr_spill_count: 0
    .wavefront_size: 32
  - .args:
      - .offset:         0
        .size:           112
        .value_kind:     by_value
    .group_segment_fixed_size: 0
    .kernarg_segment_align: 8
    .kernarg_segment_size: 112
    .language:       OpenCL C
    .language_version:
      - 2
      - 0
    .max_flat_workgroup_size: 512
    .name:           _ZN7rocprim17ROCPRIM_400000_NS6detail17trampoline_kernelINS0_14default_configENS1_25partition_config_selectorILNS1_17partition_subalgoE8EmNS0_10empty_typeEbEEZZNS1_14partition_implILS5_8ELb0ES3_jPKmPS6_PKS6_NS0_5tupleIJPmS6_EEENSE_IJSB_SB_EEENS0_18inequality_wrapperIN6hipcub16HIPCUB_304000_NS8EqualityEEEPlJS6_EEE10hipError_tPvRmT3_T4_T5_T6_T7_T9_mT8_P12ihipStream_tbDpT10_ENKUlT_T0_E_clISt17integral_constantIbLb0EES17_EEDaS12_S13_EUlS12_E_NS1_11comp_targetILNS1_3genE9ELNS1_11target_archE1100ELNS1_3gpuE3ELNS1_3repE0EEENS1_30default_config_static_selectorELNS0_4arch9wavefront6targetE0EEEvT1_
    .private_segment_fixed_size: 0
    .sgpr_count:     0
    .sgpr_spill_count: 0
    .symbol:         _ZN7rocprim17ROCPRIM_400000_NS6detail17trampoline_kernelINS0_14default_configENS1_25partition_config_selectorILNS1_17partition_subalgoE8EmNS0_10empty_typeEbEEZZNS1_14partition_implILS5_8ELb0ES3_jPKmPS6_PKS6_NS0_5tupleIJPmS6_EEENSE_IJSB_SB_EEENS0_18inequality_wrapperIN6hipcub16HIPCUB_304000_NS8EqualityEEEPlJS6_EEE10hipError_tPvRmT3_T4_T5_T6_T7_T9_mT8_P12ihipStream_tbDpT10_ENKUlT_T0_E_clISt17integral_constantIbLb0EES17_EEDaS12_S13_EUlS12_E_NS1_11comp_targetILNS1_3genE9ELNS1_11target_archE1100ELNS1_3gpuE3ELNS1_3repE0EEENS1_30default_config_static_selectorELNS0_4arch9wavefront6targetE0EEEvT1_.kd
    .uniform_work_group_size: 1
    .uses_dynamic_stack: false
    .vgpr_count:     0
    .vgpr_spill_count: 0
    .wavefront_size: 32
  - .args:
      - .offset:         0
        .size:           112
        .value_kind:     by_value
    .group_segment_fixed_size: 0
    .kernarg_segment_align: 8
    .kernarg_segment_size: 112
    .language:       OpenCL C
    .language_version:
      - 2
      - 0
    .max_flat_workgroup_size: 512
    .name:           _ZN7rocprim17ROCPRIM_400000_NS6detail17trampoline_kernelINS0_14default_configENS1_25partition_config_selectorILNS1_17partition_subalgoE8EmNS0_10empty_typeEbEEZZNS1_14partition_implILS5_8ELb0ES3_jPKmPS6_PKS6_NS0_5tupleIJPmS6_EEENSE_IJSB_SB_EEENS0_18inequality_wrapperIN6hipcub16HIPCUB_304000_NS8EqualityEEEPlJS6_EEE10hipError_tPvRmT3_T4_T5_T6_T7_T9_mT8_P12ihipStream_tbDpT10_ENKUlT_T0_E_clISt17integral_constantIbLb0EES17_EEDaS12_S13_EUlS12_E_NS1_11comp_targetILNS1_3genE8ELNS1_11target_archE1030ELNS1_3gpuE2ELNS1_3repE0EEENS1_30default_config_static_selectorELNS0_4arch9wavefront6targetE0EEEvT1_
    .private_segment_fixed_size: 0
    .sgpr_count:     0
    .sgpr_spill_count: 0
    .symbol:         _ZN7rocprim17ROCPRIM_400000_NS6detail17trampoline_kernelINS0_14default_configENS1_25partition_config_selectorILNS1_17partition_subalgoE8EmNS0_10empty_typeEbEEZZNS1_14partition_implILS5_8ELb0ES3_jPKmPS6_PKS6_NS0_5tupleIJPmS6_EEENSE_IJSB_SB_EEENS0_18inequality_wrapperIN6hipcub16HIPCUB_304000_NS8EqualityEEEPlJS6_EEE10hipError_tPvRmT3_T4_T5_T6_T7_T9_mT8_P12ihipStream_tbDpT10_ENKUlT_T0_E_clISt17integral_constantIbLb0EES17_EEDaS12_S13_EUlS12_E_NS1_11comp_targetILNS1_3genE8ELNS1_11target_archE1030ELNS1_3gpuE2ELNS1_3repE0EEENS1_30default_config_static_selectorELNS0_4arch9wavefront6targetE0EEEvT1_.kd
    .uniform_work_group_size: 1
    .uses_dynamic_stack: false
    .vgpr_count:     0
    .vgpr_spill_count: 0
    .wavefront_size: 32
  - .args:
      - .offset:         0
        .size:           128
        .value_kind:     by_value
    .group_segment_fixed_size: 0
    .kernarg_segment_align: 8
    .kernarg_segment_size: 128
    .language:       OpenCL C
    .language_version:
      - 2
      - 0
    .max_flat_workgroup_size: 512
    .name:           _ZN7rocprim17ROCPRIM_400000_NS6detail17trampoline_kernelINS0_14default_configENS1_25partition_config_selectorILNS1_17partition_subalgoE8EmNS0_10empty_typeEbEEZZNS1_14partition_implILS5_8ELb0ES3_jPKmPS6_PKS6_NS0_5tupleIJPmS6_EEENSE_IJSB_SB_EEENS0_18inequality_wrapperIN6hipcub16HIPCUB_304000_NS8EqualityEEEPlJS6_EEE10hipError_tPvRmT3_T4_T5_T6_T7_T9_mT8_P12ihipStream_tbDpT10_ENKUlT_T0_E_clISt17integral_constantIbLb1EES17_EEDaS12_S13_EUlS12_E_NS1_11comp_targetILNS1_3genE0ELNS1_11target_archE4294967295ELNS1_3gpuE0ELNS1_3repE0EEENS1_30default_config_static_selectorELNS0_4arch9wavefront6targetE0EEEvT1_
    .private_segment_fixed_size: 0
    .sgpr_count:     0
    .sgpr_spill_count: 0
    .symbol:         _ZN7rocprim17ROCPRIM_400000_NS6detail17trampoline_kernelINS0_14default_configENS1_25partition_config_selectorILNS1_17partition_subalgoE8EmNS0_10empty_typeEbEEZZNS1_14partition_implILS5_8ELb0ES3_jPKmPS6_PKS6_NS0_5tupleIJPmS6_EEENSE_IJSB_SB_EEENS0_18inequality_wrapperIN6hipcub16HIPCUB_304000_NS8EqualityEEEPlJS6_EEE10hipError_tPvRmT3_T4_T5_T6_T7_T9_mT8_P12ihipStream_tbDpT10_ENKUlT_T0_E_clISt17integral_constantIbLb1EES17_EEDaS12_S13_EUlS12_E_NS1_11comp_targetILNS1_3genE0ELNS1_11target_archE4294967295ELNS1_3gpuE0ELNS1_3repE0EEENS1_30default_config_static_selectorELNS0_4arch9wavefront6targetE0EEEvT1_.kd
    .uniform_work_group_size: 1
    .uses_dynamic_stack: false
    .vgpr_count:     0
    .vgpr_spill_count: 0
    .wavefront_size: 32
  - .args:
      - .offset:         0
        .size:           128
        .value_kind:     by_value
    .group_segment_fixed_size: 0
    .kernarg_segment_align: 8
    .kernarg_segment_size: 128
    .language:       OpenCL C
    .language_version:
      - 2
      - 0
    .max_flat_workgroup_size: 512
    .name:           _ZN7rocprim17ROCPRIM_400000_NS6detail17trampoline_kernelINS0_14default_configENS1_25partition_config_selectorILNS1_17partition_subalgoE8EmNS0_10empty_typeEbEEZZNS1_14partition_implILS5_8ELb0ES3_jPKmPS6_PKS6_NS0_5tupleIJPmS6_EEENSE_IJSB_SB_EEENS0_18inequality_wrapperIN6hipcub16HIPCUB_304000_NS8EqualityEEEPlJS6_EEE10hipError_tPvRmT3_T4_T5_T6_T7_T9_mT8_P12ihipStream_tbDpT10_ENKUlT_T0_E_clISt17integral_constantIbLb1EES17_EEDaS12_S13_EUlS12_E_NS1_11comp_targetILNS1_3genE5ELNS1_11target_archE942ELNS1_3gpuE9ELNS1_3repE0EEENS1_30default_config_static_selectorELNS0_4arch9wavefront6targetE0EEEvT1_
    .private_segment_fixed_size: 0
    .sgpr_count:     0
    .sgpr_spill_count: 0
    .symbol:         _ZN7rocprim17ROCPRIM_400000_NS6detail17trampoline_kernelINS0_14default_configENS1_25partition_config_selectorILNS1_17partition_subalgoE8EmNS0_10empty_typeEbEEZZNS1_14partition_implILS5_8ELb0ES3_jPKmPS6_PKS6_NS0_5tupleIJPmS6_EEENSE_IJSB_SB_EEENS0_18inequality_wrapperIN6hipcub16HIPCUB_304000_NS8EqualityEEEPlJS6_EEE10hipError_tPvRmT3_T4_T5_T6_T7_T9_mT8_P12ihipStream_tbDpT10_ENKUlT_T0_E_clISt17integral_constantIbLb1EES17_EEDaS12_S13_EUlS12_E_NS1_11comp_targetILNS1_3genE5ELNS1_11target_archE942ELNS1_3gpuE9ELNS1_3repE0EEENS1_30default_config_static_selectorELNS0_4arch9wavefront6targetE0EEEvT1_.kd
    .uniform_work_group_size: 1
    .uses_dynamic_stack: false
    .vgpr_count:     0
    .vgpr_spill_count: 0
    .wavefront_size: 32
  - .args:
      - .offset:         0
        .size:           128
        .value_kind:     by_value
    .group_segment_fixed_size: 0
    .kernarg_segment_align: 8
    .kernarg_segment_size: 128
    .language:       OpenCL C
    .language_version:
      - 2
      - 0
    .max_flat_workgroup_size: 256
    .name:           _ZN7rocprim17ROCPRIM_400000_NS6detail17trampoline_kernelINS0_14default_configENS1_25partition_config_selectorILNS1_17partition_subalgoE8EmNS0_10empty_typeEbEEZZNS1_14partition_implILS5_8ELb0ES3_jPKmPS6_PKS6_NS0_5tupleIJPmS6_EEENSE_IJSB_SB_EEENS0_18inequality_wrapperIN6hipcub16HIPCUB_304000_NS8EqualityEEEPlJS6_EEE10hipError_tPvRmT3_T4_T5_T6_T7_T9_mT8_P12ihipStream_tbDpT10_ENKUlT_T0_E_clISt17integral_constantIbLb1EES17_EEDaS12_S13_EUlS12_E_NS1_11comp_targetILNS1_3genE4ELNS1_11target_archE910ELNS1_3gpuE8ELNS1_3repE0EEENS1_30default_config_static_selectorELNS0_4arch9wavefront6targetE0EEEvT1_
    .private_segment_fixed_size: 0
    .sgpr_count:     0
    .sgpr_spill_count: 0
    .symbol:         _ZN7rocprim17ROCPRIM_400000_NS6detail17trampoline_kernelINS0_14default_configENS1_25partition_config_selectorILNS1_17partition_subalgoE8EmNS0_10empty_typeEbEEZZNS1_14partition_implILS5_8ELb0ES3_jPKmPS6_PKS6_NS0_5tupleIJPmS6_EEENSE_IJSB_SB_EEENS0_18inequality_wrapperIN6hipcub16HIPCUB_304000_NS8EqualityEEEPlJS6_EEE10hipError_tPvRmT3_T4_T5_T6_T7_T9_mT8_P12ihipStream_tbDpT10_ENKUlT_T0_E_clISt17integral_constantIbLb1EES17_EEDaS12_S13_EUlS12_E_NS1_11comp_targetILNS1_3genE4ELNS1_11target_archE910ELNS1_3gpuE8ELNS1_3repE0EEENS1_30default_config_static_selectorELNS0_4arch9wavefront6targetE0EEEvT1_.kd
    .uniform_work_group_size: 1
    .uses_dynamic_stack: false
    .vgpr_count:     0
    .vgpr_spill_count: 0
    .wavefront_size: 32
  - .args:
      - .offset:         0
        .size:           128
        .value_kind:     by_value
    .group_segment_fixed_size: 0
    .kernarg_segment_align: 8
    .kernarg_segment_size: 128
    .language:       OpenCL C
    .language_version:
      - 2
      - 0
    .max_flat_workgroup_size: 512
    .name:           _ZN7rocprim17ROCPRIM_400000_NS6detail17trampoline_kernelINS0_14default_configENS1_25partition_config_selectorILNS1_17partition_subalgoE8EmNS0_10empty_typeEbEEZZNS1_14partition_implILS5_8ELb0ES3_jPKmPS6_PKS6_NS0_5tupleIJPmS6_EEENSE_IJSB_SB_EEENS0_18inequality_wrapperIN6hipcub16HIPCUB_304000_NS8EqualityEEEPlJS6_EEE10hipError_tPvRmT3_T4_T5_T6_T7_T9_mT8_P12ihipStream_tbDpT10_ENKUlT_T0_E_clISt17integral_constantIbLb1EES17_EEDaS12_S13_EUlS12_E_NS1_11comp_targetILNS1_3genE3ELNS1_11target_archE908ELNS1_3gpuE7ELNS1_3repE0EEENS1_30default_config_static_selectorELNS0_4arch9wavefront6targetE0EEEvT1_
    .private_segment_fixed_size: 0
    .sgpr_count:     0
    .sgpr_spill_count: 0
    .symbol:         _ZN7rocprim17ROCPRIM_400000_NS6detail17trampoline_kernelINS0_14default_configENS1_25partition_config_selectorILNS1_17partition_subalgoE8EmNS0_10empty_typeEbEEZZNS1_14partition_implILS5_8ELb0ES3_jPKmPS6_PKS6_NS0_5tupleIJPmS6_EEENSE_IJSB_SB_EEENS0_18inequality_wrapperIN6hipcub16HIPCUB_304000_NS8EqualityEEEPlJS6_EEE10hipError_tPvRmT3_T4_T5_T6_T7_T9_mT8_P12ihipStream_tbDpT10_ENKUlT_T0_E_clISt17integral_constantIbLb1EES17_EEDaS12_S13_EUlS12_E_NS1_11comp_targetILNS1_3genE3ELNS1_11target_archE908ELNS1_3gpuE7ELNS1_3repE0EEENS1_30default_config_static_selectorELNS0_4arch9wavefront6targetE0EEEvT1_.kd
    .uniform_work_group_size: 1
    .uses_dynamic_stack: false
    .vgpr_count:     0
    .vgpr_spill_count: 0
    .wavefront_size: 32
  - .args:
      - .offset:         0
        .size:           128
        .value_kind:     by_value
    .group_segment_fixed_size: 0
    .kernarg_segment_align: 8
    .kernarg_segment_size: 128
    .language:       OpenCL C
    .language_version:
      - 2
      - 0
    .max_flat_workgroup_size: 256
    .name:           _ZN7rocprim17ROCPRIM_400000_NS6detail17trampoline_kernelINS0_14default_configENS1_25partition_config_selectorILNS1_17partition_subalgoE8EmNS0_10empty_typeEbEEZZNS1_14partition_implILS5_8ELb0ES3_jPKmPS6_PKS6_NS0_5tupleIJPmS6_EEENSE_IJSB_SB_EEENS0_18inequality_wrapperIN6hipcub16HIPCUB_304000_NS8EqualityEEEPlJS6_EEE10hipError_tPvRmT3_T4_T5_T6_T7_T9_mT8_P12ihipStream_tbDpT10_ENKUlT_T0_E_clISt17integral_constantIbLb1EES17_EEDaS12_S13_EUlS12_E_NS1_11comp_targetILNS1_3genE2ELNS1_11target_archE906ELNS1_3gpuE6ELNS1_3repE0EEENS1_30default_config_static_selectorELNS0_4arch9wavefront6targetE0EEEvT1_
    .private_segment_fixed_size: 0
    .sgpr_count:     0
    .sgpr_spill_count: 0
    .symbol:         _ZN7rocprim17ROCPRIM_400000_NS6detail17trampoline_kernelINS0_14default_configENS1_25partition_config_selectorILNS1_17partition_subalgoE8EmNS0_10empty_typeEbEEZZNS1_14partition_implILS5_8ELb0ES3_jPKmPS6_PKS6_NS0_5tupleIJPmS6_EEENSE_IJSB_SB_EEENS0_18inequality_wrapperIN6hipcub16HIPCUB_304000_NS8EqualityEEEPlJS6_EEE10hipError_tPvRmT3_T4_T5_T6_T7_T9_mT8_P12ihipStream_tbDpT10_ENKUlT_T0_E_clISt17integral_constantIbLb1EES17_EEDaS12_S13_EUlS12_E_NS1_11comp_targetILNS1_3genE2ELNS1_11target_archE906ELNS1_3gpuE6ELNS1_3repE0EEENS1_30default_config_static_selectorELNS0_4arch9wavefront6targetE0EEEvT1_.kd
    .uniform_work_group_size: 1
    .uses_dynamic_stack: false
    .vgpr_count:     0
    .vgpr_spill_count: 0
    .wavefront_size: 32
  - .args:
      - .offset:         0
        .size:           128
        .value_kind:     by_value
    .group_segment_fixed_size: 0
    .kernarg_segment_align: 8
    .kernarg_segment_size: 128
    .language:       OpenCL C
    .language_version:
      - 2
      - 0
    .max_flat_workgroup_size: 384
    .name:           _ZN7rocprim17ROCPRIM_400000_NS6detail17trampoline_kernelINS0_14default_configENS1_25partition_config_selectorILNS1_17partition_subalgoE8EmNS0_10empty_typeEbEEZZNS1_14partition_implILS5_8ELb0ES3_jPKmPS6_PKS6_NS0_5tupleIJPmS6_EEENSE_IJSB_SB_EEENS0_18inequality_wrapperIN6hipcub16HIPCUB_304000_NS8EqualityEEEPlJS6_EEE10hipError_tPvRmT3_T4_T5_T6_T7_T9_mT8_P12ihipStream_tbDpT10_ENKUlT_T0_E_clISt17integral_constantIbLb1EES17_EEDaS12_S13_EUlS12_E_NS1_11comp_targetILNS1_3genE10ELNS1_11target_archE1200ELNS1_3gpuE4ELNS1_3repE0EEENS1_30default_config_static_selectorELNS0_4arch9wavefront6targetE0EEEvT1_
    .private_segment_fixed_size: 0
    .sgpr_count:     0
    .sgpr_spill_count: 0
    .symbol:         _ZN7rocprim17ROCPRIM_400000_NS6detail17trampoline_kernelINS0_14default_configENS1_25partition_config_selectorILNS1_17partition_subalgoE8EmNS0_10empty_typeEbEEZZNS1_14partition_implILS5_8ELb0ES3_jPKmPS6_PKS6_NS0_5tupleIJPmS6_EEENSE_IJSB_SB_EEENS0_18inequality_wrapperIN6hipcub16HIPCUB_304000_NS8EqualityEEEPlJS6_EEE10hipError_tPvRmT3_T4_T5_T6_T7_T9_mT8_P12ihipStream_tbDpT10_ENKUlT_T0_E_clISt17integral_constantIbLb1EES17_EEDaS12_S13_EUlS12_E_NS1_11comp_targetILNS1_3genE10ELNS1_11target_archE1200ELNS1_3gpuE4ELNS1_3repE0EEENS1_30default_config_static_selectorELNS0_4arch9wavefront6targetE0EEEvT1_.kd
    .uniform_work_group_size: 1
    .uses_dynamic_stack: false
    .vgpr_count:     0
    .vgpr_spill_count: 0
    .wavefront_size: 32
  - .args:
      - .offset:         0
        .size:           128
        .value_kind:     by_value
    .group_segment_fixed_size: 0
    .kernarg_segment_align: 8
    .kernarg_segment_size: 128
    .language:       OpenCL C
    .language_version:
      - 2
      - 0
    .max_flat_workgroup_size: 512
    .name:           _ZN7rocprim17ROCPRIM_400000_NS6detail17trampoline_kernelINS0_14default_configENS1_25partition_config_selectorILNS1_17partition_subalgoE8EmNS0_10empty_typeEbEEZZNS1_14partition_implILS5_8ELb0ES3_jPKmPS6_PKS6_NS0_5tupleIJPmS6_EEENSE_IJSB_SB_EEENS0_18inequality_wrapperIN6hipcub16HIPCUB_304000_NS8EqualityEEEPlJS6_EEE10hipError_tPvRmT3_T4_T5_T6_T7_T9_mT8_P12ihipStream_tbDpT10_ENKUlT_T0_E_clISt17integral_constantIbLb1EES17_EEDaS12_S13_EUlS12_E_NS1_11comp_targetILNS1_3genE9ELNS1_11target_archE1100ELNS1_3gpuE3ELNS1_3repE0EEENS1_30default_config_static_selectorELNS0_4arch9wavefront6targetE0EEEvT1_
    .private_segment_fixed_size: 0
    .sgpr_count:     0
    .sgpr_spill_count: 0
    .symbol:         _ZN7rocprim17ROCPRIM_400000_NS6detail17trampoline_kernelINS0_14default_configENS1_25partition_config_selectorILNS1_17partition_subalgoE8EmNS0_10empty_typeEbEEZZNS1_14partition_implILS5_8ELb0ES3_jPKmPS6_PKS6_NS0_5tupleIJPmS6_EEENSE_IJSB_SB_EEENS0_18inequality_wrapperIN6hipcub16HIPCUB_304000_NS8EqualityEEEPlJS6_EEE10hipError_tPvRmT3_T4_T5_T6_T7_T9_mT8_P12ihipStream_tbDpT10_ENKUlT_T0_E_clISt17integral_constantIbLb1EES17_EEDaS12_S13_EUlS12_E_NS1_11comp_targetILNS1_3genE9ELNS1_11target_archE1100ELNS1_3gpuE3ELNS1_3repE0EEENS1_30default_config_static_selectorELNS0_4arch9wavefront6targetE0EEEvT1_.kd
    .uniform_work_group_size: 1
    .uses_dynamic_stack: false
    .vgpr_count:     0
    .vgpr_spill_count: 0
    .wavefront_size: 32
  - .args:
      - .offset:         0
        .size:           128
        .value_kind:     by_value
    .group_segment_fixed_size: 0
    .kernarg_segment_align: 8
    .kernarg_segment_size: 128
    .language:       OpenCL C
    .language_version:
      - 2
      - 0
    .max_flat_workgroup_size: 512
    .name:           _ZN7rocprim17ROCPRIM_400000_NS6detail17trampoline_kernelINS0_14default_configENS1_25partition_config_selectorILNS1_17partition_subalgoE8EmNS0_10empty_typeEbEEZZNS1_14partition_implILS5_8ELb0ES3_jPKmPS6_PKS6_NS0_5tupleIJPmS6_EEENSE_IJSB_SB_EEENS0_18inequality_wrapperIN6hipcub16HIPCUB_304000_NS8EqualityEEEPlJS6_EEE10hipError_tPvRmT3_T4_T5_T6_T7_T9_mT8_P12ihipStream_tbDpT10_ENKUlT_T0_E_clISt17integral_constantIbLb1EES17_EEDaS12_S13_EUlS12_E_NS1_11comp_targetILNS1_3genE8ELNS1_11target_archE1030ELNS1_3gpuE2ELNS1_3repE0EEENS1_30default_config_static_selectorELNS0_4arch9wavefront6targetE0EEEvT1_
    .private_segment_fixed_size: 0
    .sgpr_count:     0
    .sgpr_spill_count: 0
    .symbol:         _ZN7rocprim17ROCPRIM_400000_NS6detail17trampoline_kernelINS0_14default_configENS1_25partition_config_selectorILNS1_17partition_subalgoE8EmNS0_10empty_typeEbEEZZNS1_14partition_implILS5_8ELb0ES3_jPKmPS6_PKS6_NS0_5tupleIJPmS6_EEENSE_IJSB_SB_EEENS0_18inequality_wrapperIN6hipcub16HIPCUB_304000_NS8EqualityEEEPlJS6_EEE10hipError_tPvRmT3_T4_T5_T6_T7_T9_mT8_P12ihipStream_tbDpT10_ENKUlT_T0_E_clISt17integral_constantIbLb1EES17_EEDaS12_S13_EUlS12_E_NS1_11comp_targetILNS1_3genE8ELNS1_11target_archE1030ELNS1_3gpuE2ELNS1_3repE0EEENS1_30default_config_static_selectorELNS0_4arch9wavefront6targetE0EEEvT1_.kd
    .uniform_work_group_size: 1
    .uses_dynamic_stack: false
    .vgpr_count:     0
    .vgpr_spill_count: 0
    .wavefront_size: 32
  - .args:
      - .offset:         0
        .size:           112
        .value_kind:     by_value
    .group_segment_fixed_size: 0
    .kernarg_segment_align: 8
    .kernarg_segment_size: 112
    .language:       OpenCL C
    .language_version:
      - 2
      - 0
    .max_flat_workgroup_size: 512
    .name:           _ZN7rocprim17ROCPRIM_400000_NS6detail17trampoline_kernelINS0_14default_configENS1_25partition_config_selectorILNS1_17partition_subalgoE8EmNS0_10empty_typeEbEEZZNS1_14partition_implILS5_8ELb0ES3_jPKmPS6_PKS6_NS0_5tupleIJPmS6_EEENSE_IJSB_SB_EEENS0_18inequality_wrapperIN6hipcub16HIPCUB_304000_NS8EqualityEEEPlJS6_EEE10hipError_tPvRmT3_T4_T5_T6_T7_T9_mT8_P12ihipStream_tbDpT10_ENKUlT_T0_E_clISt17integral_constantIbLb1EES16_IbLb0EEEEDaS12_S13_EUlS12_E_NS1_11comp_targetILNS1_3genE0ELNS1_11target_archE4294967295ELNS1_3gpuE0ELNS1_3repE0EEENS1_30default_config_static_selectorELNS0_4arch9wavefront6targetE0EEEvT1_
    .private_segment_fixed_size: 0
    .sgpr_count:     0
    .sgpr_spill_count: 0
    .symbol:         _ZN7rocprim17ROCPRIM_400000_NS6detail17trampoline_kernelINS0_14default_configENS1_25partition_config_selectorILNS1_17partition_subalgoE8EmNS0_10empty_typeEbEEZZNS1_14partition_implILS5_8ELb0ES3_jPKmPS6_PKS6_NS0_5tupleIJPmS6_EEENSE_IJSB_SB_EEENS0_18inequality_wrapperIN6hipcub16HIPCUB_304000_NS8EqualityEEEPlJS6_EEE10hipError_tPvRmT3_T4_T5_T6_T7_T9_mT8_P12ihipStream_tbDpT10_ENKUlT_T0_E_clISt17integral_constantIbLb1EES16_IbLb0EEEEDaS12_S13_EUlS12_E_NS1_11comp_targetILNS1_3genE0ELNS1_11target_archE4294967295ELNS1_3gpuE0ELNS1_3repE0EEENS1_30default_config_static_selectorELNS0_4arch9wavefront6targetE0EEEvT1_.kd
    .uniform_work_group_size: 1
    .uses_dynamic_stack: false
    .vgpr_count:     0
    .vgpr_spill_count: 0
    .wavefront_size: 32
  - .args:
      - .offset:         0
        .size:           112
        .value_kind:     by_value
    .group_segment_fixed_size: 0
    .kernarg_segment_align: 8
    .kernarg_segment_size: 112
    .language:       OpenCL C
    .language_version:
      - 2
      - 0
    .max_flat_workgroup_size: 512
    .name:           _ZN7rocprim17ROCPRIM_400000_NS6detail17trampoline_kernelINS0_14default_configENS1_25partition_config_selectorILNS1_17partition_subalgoE8EmNS0_10empty_typeEbEEZZNS1_14partition_implILS5_8ELb0ES3_jPKmPS6_PKS6_NS0_5tupleIJPmS6_EEENSE_IJSB_SB_EEENS0_18inequality_wrapperIN6hipcub16HIPCUB_304000_NS8EqualityEEEPlJS6_EEE10hipError_tPvRmT3_T4_T5_T6_T7_T9_mT8_P12ihipStream_tbDpT10_ENKUlT_T0_E_clISt17integral_constantIbLb1EES16_IbLb0EEEEDaS12_S13_EUlS12_E_NS1_11comp_targetILNS1_3genE5ELNS1_11target_archE942ELNS1_3gpuE9ELNS1_3repE0EEENS1_30default_config_static_selectorELNS0_4arch9wavefront6targetE0EEEvT1_
    .private_segment_fixed_size: 0
    .sgpr_count:     0
    .sgpr_spill_count: 0
    .symbol:         _ZN7rocprim17ROCPRIM_400000_NS6detail17trampoline_kernelINS0_14default_configENS1_25partition_config_selectorILNS1_17partition_subalgoE8EmNS0_10empty_typeEbEEZZNS1_14partition_implILS5_8ELb0ES3_jPKmPS6_PKS6_NS0_5tupleIJPmS6_EEENSE_IJSB_SB_EEENS0_18inequality_wrapperIN6hipcub16HIPCUB_304000_NS8EqualityEEEPlJS6_EEE10hipError_tPvRmT3_T4_T5_T6_T7_T9_mT8_P12ihipStream_tbDpT10_ENKUlT_T0_E_clISt17integral_constantIbLb1EES16_IbLb0EEEEDaS12_S13_EUlS12_E_NS1_11comp_targetILNS1_3genE5ELNS1_11target_archE942ELNS1_3gpuE9ELNS1_3repE0EEENS1_30default_config_static_selectorELNS0_4arch9wavefront6targetE0EEEvT1_.kd
    .uniform_work_group_size: 1
    .uses_dynamic_stack: false
    .vgpr_count:     0
    .vgpr_spill_count: 0
    .wavefront_size: 32
  - .args:
      - .offset:         0
        .size:           112
        .value_kind:     by_value
    .group_segment_fixed_size: 0
    .kernarg_segment_align: 8
    .kernarg_segment_size: 112
    .language:       OpenCL C
    .language_version:
      - 2
      - 0
    .max_flat_workgroup_size: 256
    .name:           _ZN7rocprim17ROCPRIM_400000_NS6detail17trampoline_kernelINS0_14default_configENS1_25partition_config_selectorILNS1_17partition_subalgoE8EmNS0_10empty_typeEbEEZZNS1_14partition_implILS5_8ELb0ES3_jPKmPS6_PKS6_NS0_5tupleIJPmS6_EEENSE_IJSB_SB_EEENS0_18inequality_wrapperIN6hipcub16HIPCUB_304000_NS8EqualityEEEPlJS6_EEE10hipError_tPvRmT3_T4_T5_T6_T7_T9_mT8_P12ihipStream_tbDpT10_ENKUlT_T0_E_clISt17integral_constantIbLb1EES16_IbLb0EEEEDaS12_S13_EUlS12_E_NS1_11comp_targetILNS1_3genE4ELNS1_11target_archE910ELNS1_3gpuE8ELNS1_3repE0EEENS1_30default_config_static_selectorELNS0_4arch9wavefront6targetE0EEEvT1_
    .private_segment_fixed_size: 0
    .sgpr_count:     0
    .sgpr_spill_count: 0
    .symbol:         _ZN7rocprim17ROCPRIM_400000_NS6detail17trampoline_kernelINS0_14default_configENS1_25partition_config_selectorILNS1_17partition_subalgoE8EmNS0_10empty_typeEbEEZZNS1_14partition_implILS5_8ELb0ES3_jPKmPS6_PKS6_NS0_5tupleIJPmS6_EEENSE_IJSB_SB_EEENS0_18inequality_wrapperIN6hipcub16HIPCUB_304000_NS8EqualityEEEPlJS6_EEE10hipError_tPvRmT3_T4_T5_T6_T7_T9_mT8_P12ihipStream_tbDpT10_ENKUlT_T0_E_clISt17integral_constantIbLb1EES16_IbLb0EEEEDaS12_S13_EUlS12_E_NS1_11comp_targetILNS1_3genE4ELNS1_11target_archE910ELNS1_3gpuE8ELNS1_3repE0EEENS1_30default_config_static_selectorELNS0_4arch9wavefront6targetE0EEEvT1_.kd
    .uniform_work_group_size: 1
    .uses_dynamic_stack: false
    .vgpr_count:     0
    .vgpr_spill_count: 0
    .wavefront_size: 32
  - .args:
      - .offset:         0
        .size:           112
        .value_kind:     by_value
    .group_segment_fixed_size: 0
    .kernarg_segment_align: 8
    .kernarg_segment_size: 112
    .language:       OpenCL C
    .language_version:
      - 2
      - 0
    .max_flat_workgroup_size: 512
    .name:           _ZN7rocprim17ROCPRIM_400000_NS6detail17trampoline_kernelINS0_14default_configENS1_25partition_config_selectorILNS1_17partition_subalgoE8EmNS0_10empty_typeEbEEZZNS1_14partition_implILS5_8ELb0ES3_jPKmPS6_PKS6_NS0_5tupleIJPmS6_EEENSE_IJSB_SB_EEENS0_18inequality_wrapperIN6hipcub16HIPCUB_304000_NS8EqualityEEEPlJS6_EEE10hipError_tPvRmT3_T4_T5_T6_T7_T9_mT8_P12ihipStream_tbDpT10_ENKUlT_T0_E_clISt17integral_constantIbLb1EES16_IbLb0EEEEDaS12_S13_EUlS12_E_NS1_11comp_targetILNS1_3genE3ELNS1_11target_archE908ELNS1_3gpuE7ELNS1_3repE0EEENS1_30default_config_static_selectorELNS0_4arch9wavefront6targetE0EEEvT1_
    .private_segment_fixed_size: 0
    .sgpr_count:     0
    .sgpr_spill_count: 0
    .symbol:         _ZN7rocprim17ROCPRIM_400000_NS6detail17trampoline_kernelINS0_14default_configENS1_25partition_config_selectorILNS1_17partition_subalgoE8EmNS0_10empty_typeEbEEZZNS1_14partition_implILS5_8ELb0ES3_jPKmPS6_PKS6_NS0_5tupleIJPmS6_EEENSE_IJSB_SB_EEENS0_18inequality_wrapperIN6hipcub16HIPCUB_304000_NS8EqualityEEEPlJS6_EEE10hipError_tPvRmT3_T4_T5_T6_T7_T9_mT8_P12ihipStream_tbDpT10_ENKUlT_T0_E_clISt17integral_constantIbLb1EES16_IbLb0EEEEDaS12_S13_EUlS12_E_NS1_11comp_targetILNS1_3genE3ELNS1_11target_archE908ELNS1_3gpuE7ELNS1_3repE0EEENS1_30default_config_static_selectorELNS0_4arch9wavefront6targetE0EEEvT1_.kd
    .uniform_work_group_size: 1
    .uses_dynamic_stack: false
    .vgpr_count:     0
    .vgpr_spill_count: 0
    .wavefront_size: 32
  - .args:
      - .offset:         0
        .size:           112
        .value_kind:     by_value
    .group_segment_fixed_size: 0
    .kernarg_segment_align: 8
    .kernarg_segment_size: 112
    .language:       OpenCL C
    .language_version:
      - 2
      - 0
    .max_flat_workgroup_size: 256
    .name:           _ZN7rocprim17ROCPRIM_400000_NS6detail17trampoline_kernelINS0_14default_configENS1_25partition_config_selectorILNS1_17partition_subalgoE8EmNS0_10empty_typeEbEEZZNS1_14partition_implILS5_8ELb0ES3_jPKmPS6_PKS6_NS0_5tupleIJPmS6_EEENSE_IJSB_SB_EEENS0_18inequality_wrapperIN6hipcub16HIPCUB_304000_NS8EqualityEEEPlJS6_EEE10hipError_tPvRmT3_T4_T5_T6_T7_T9_mT8_P12ihipStream_tbDpT10_ENKUlT_T0_E_clISt17integral_constantIbLb1EES16_IbLb0EEEEDaS12_S13_EUlS12_E_NS1_11comp_targetILNS1_3genE2ELNS1_11target_archE906ELNS1_3gpuE6ELNS1_3repE0EEENS1_30default_config_static_selectorELNS0_4arch9wavefront6targetE0EEEvT1_
    .private_segment_fixed_size: 0
    .sgpr_count:     0
    .sgpr_spill_count: 0
    .symbol:         _ZN7rocprim17ROCPRIM_400000_NS6detail17trampoline_kernelINS0_14default_configENS1_25partition_config_selectorILNS1_17partition_subalgoE8EmNS0_10empty_typeEbEEZZNS1_14partition_implILS5_8ELb0ES3_jPKmPS6_PKS6_NS0_5tupleIJPmS6_EEENSE_IJSB_SB_EEENS0_18inequality_wrapperIN6hipcub16HIPCUB_304000_NS8EqualityEEEPlJS6_EEE10hipError_tPvRmT3_T4_T5_T6_T7_T9_mT8_P12ihipStream_tbDpT10_ENKUlT_T0_E_clISt17integral_constantIbLb1EES16_IbLb0EEEEDaS12_S13_EUlS12_E_NS1_11comp_targetILNS1_3genE2ELNS1_11target_archE906ELNS1_3gpuE6ELNS1_3repE0EEENS1_30default_config_static_selectorELNS0_4arch9wavefront6targetE0EEEvT1_.kd
    .uniform_work_group_size: 1
    .uses_dynamic_stack: false
    .vgpr_count:     0
    .vgpr_spill_count: 0
    .wavefront_size: 32
  - .args:
      - .offset:         0
        .size:           112
        .value_kind:     by_value
    .group_segment_fixed_size: 0
    .kernarg_segment_align: 8
    .kernarg_segment_size: 112
    .language:       OpenCL C
    .language_version:
      - 2
      - 0
    .max_flat_workgroup_size: 384
    .name:           _ZN7rocprim17ROCPRIM_400000_NS6detail17trampoline_kernelINS0_14default_configENS1_25partition_config_selectorILNS1_17partition_subalgoE8EmNS0_10empty_typeEbEEZZNS1_14partition_implILS5_8ELb0ES3_jPKmPS6_PKS6_NS0_5tupleIJPmS6_EEENSE_IJSB_SB_EEENS0_18inequality_wrapperIN6hipcub16HIPCUB_304000_NS8EqualityEEEPlJS6_EEE10hipError_tPvRmT3_T4_T5_T6_T7_T9_mT8_P12ihipStream_tbDpT10_ENKUlT_T0_E_clISt17integral_constantIbLb1EES16_IbLb0EEEEDaS12_S13_EUlS12_E_NS1_11comp_targetILNS1_3genE10ELNS1_11target_archE1200ELNS1_3gpuE4ELNS1_3repE0EEENS1_30default_config_static_selectorELNS0_4arch9wavefront6targetE0EEEvT1_
    .private_segment_fixed_size: 0
    .sgpr_count:     0
    .sgpr_spill_count: 0
    .symbol:         _ZN7rocprim17ROCPRIM_400000_NS6detail17trampoline_kernelINS0_14default_configENS1_25partition_config_selectorILNS1_17partition_subalgoE8EmNS0_10empty_typeEbEEZZNS1_14partition_implILS5_8ELb0ES3_jPKmPS6_PKS6_NS0_5tupleIJPmS6_EEENSE_IJSB_SB_EEENS0_18inequality_wrapperIN6hipcub16HIPCUB_304000_NS8EqualityEEEPlJS6_EEE10hipError_tPvRmT3_T4_T5_T6_T7_T9_mT8_P12ihipStream_tbDpT10_ENKUlT_T0_E_clISt17integral_constantIbLb1EES16_IbLb0EEEEDaS12_S13_EUlS12_E_NS1_11comp_targetILNS1_3genE10ELNS1_11target_archE1200ELNS1_3gpuE4ELNS1_3repE0EEENS1_30default_config_static_selectorELNS0_4arch9wavefront6targetE0EEEvT1_.kd
    .uniform_work_group_size: 1
    .uses_dynamic_stack: false
    .vgpr_count:     0
    .vgpr_spill_count: 0
    .wavefront_size: 32
  - .args:
      - .offset:         0
        .size:           112
        .value_kind:     by_value
    .group_segment_fixed_size: 0
    .kernarg_segment_align: 8
    .kernarg_segment_size: 112
    .language:       OpenCL C
    .language_version:
      - 2
      - 0
    .max_flat_workgroup_size: 512
    .name:           _ZN7rocprim17ROCPRIM_400000_NS6detail17trampoline_kernelINS0_14default_configENS1_25partition_config_selectorILNS1_17partition_subalgoE8EmNS0_10empty_typeEbEEZZNS1_14partition_implILS5_8ELb0ES3_jPKmPS6_PKS6_NS0_5tupleIJPmS6_EEENSE_IJSB_SB_EEENS0_18inequality_wrapperIN6hipcub16HIPCUB_304000_NS8EqualityEEEPlJS6_EEE10hipError_tPvRmT3_T4_T5_T6_T7_T9_mT8_P12ihipStream_tbDpT10_ENKUlT_T0_E_clISt17integral_constantIbLb1EES16_IbLb0EEEEDaS12_S13_EUlS12_E_NS1_11comp_targetILNS1_3genE9ELNS1_11target_archE1100ELNS1_3gpuE3ELNS1_3repE0EEENS1_30default_config_static_selectorELNS0_4arch9wavefront6targetE0EEEvT1_
    .private_segment_fixed_size: 0
    .sgpr_count:     0
    .sgpr_spill_count: 0
    .symbol:         _ZN7rocprim17ROCPRIM_400000_NS6detail17trampoline_kernelINS0_14default_configENS1_25partition_config_selectorILNS1_17partition_subalgoE8EmNS0_10empty_typeEbEEZZNS1_14partition_implILS5_8ELb0ES3_jPKmPS6_PKS6_NS0_5tupleIJPmS6_EEENSE_IJSB_SB_EEENS0_18inequality_wrapperIN6hipcub16HIPCUB_304000_NS8EqualityEEEPlJS6_EEE10hipError_tPvRmT3_T4_T5_T6_T7_T9_mT8_P12ihipStream_tbDpT10_ENKUlT_T0_E_clISt17integral_constantIbLb1EES16_IbLb0EEEEDaS12_S13_EUlS12_E_NS1_11comp_targetILNS1_3genE9ELNS1_11target_archE1100ELNS1_3gpuE3ELNS1_3repE0EEENS1_30default_config_static_selectorELNS0_4arch9wavefront6targetE0EEEvT1_.kd
    .uniform_work_group_size: 1
    .uses_dynamic_stack: false
    .vgpr_count:     0
    .vgpr_spill_count: 0
    .wavefront_size: 32
  - .args:
      - .offset:         0
        .size:           112
        .value_kind:     by_value
    .group_segment_fixed_size: 0
    .kernarg_segment_align: 8
    .kernarg_segment_size: 112
    .language:       OpenCL C
    .language_version:
      - 2
      - 0
    .max_flat_workgroup_size: 512
    .name:           _ZN7rocprim17ROCPRIM_400000_NS6detail17trampoline_kernelINS0_14default_configENS1_25partition_config_selectorILNS1_17partition_subalgoE8EmNS0_10empty_typeEbEEZZNS1_14partition_implILS5_8ELb0ES3_jPKmPS6_PKS6_NS0_5tupleIJPmS6_EEENSE_IJSB_SB_EEENS0_18inequality_wrapperIN6hipcub16HIPCUB_304000_NS8EqualityEEEPlJS6_EEE10hipError_tPvRmT3_T4_T5_T6_T7_T9_mT8_P12ihipStream_tbDpT10_ENKUlT_T0_E_clISt17integral_constantIbLb1EES16_IbLb0EEEEDaS12_S13_EUlS12_E_NS1_11comp_targetILNS1_3genE8ELNS1_11target_archE1030ELNS1_3gpuE2ELNS1_3repE0EEENS1_30default_config_static_selectorELNS0_4arch9wavefront6targetE0EEEvT1_
    .private_segment_fixed_size: 0
    .sgpr_count:     0
    .sgpr_spill_count: 0
    .symbol:         _ZN7rocprim17ROCPRIM_400000_NS6detail17trampoline_kernelINS0_14default_configENS1_25partition_config_selectorILNS1_17partition_subalgoE8EmNS0_10empty_typeEbEEZZNS1_14partition_implILS5_8ELb0ES3_jPKmPS6_PKS6_NS0_5tupleIJPmS6_EEENSE_IJSB_SB_EEENS0_18inequality_wrapperIN6hipcub16HIPCUB_304000_NS8EqualityEEEPlJS6_EEE10hipError_tPvRmT3_T4_T5_T6_T7_T9_mT8_P12ihipStream_tbDpT10_ENKUlT_T0_E_clISt17integral_constantIbLb1EES16_IbLb0EEEEDaS12_S13_EUlS12_E_NS1_11comp_targetILNS1_3genE8ELNS1_11target_archE1030ELNS1_3gpuE2ELNS1_3repE0EEENS1_30default_config_static_selectorELNS0_4arch9wavefront6targetE0EEEvT1_.kd
    .uniform_work_group_size: 1
    .uses_dynamic_stack: false
    .vgpr_count:     0
    .vgpr_spill_count: 0
    .wavefront_size: 32
  - .args:
      - .offset:         0
        .size:           128
        .value_kind:     by_value
    .group_segment_fixed_size: 28680
    .kernarg_segment_align: 8
    .kernarg_segment_size: 128
    .language:       OpenCL C
    .language_version:
      - 2
      - 0
    .max_flat_workgroup_size: 512
    .name:           _ZN7rocprim17ROCPRIM_400000_NS6detail17trampoline_kernelINS0_14default_configENS1_25partition_config_selectorILNS1_17partition_subalgoE8EmNS0_10empty_typeEbEEZZNS1_14partition_implILS5_8ELb0ES3_jPKmPS6_PKS6_NS0_5tupleIJPmS6_EEENSE_IJSB_SB_EEENS0_18inequality_wrapperIN6hipcub16HIPCUB_304000_NS8EqualityEEEPlJS6_EEE10hipError_tPvRmT3_T4_T5_T6_T7_T9_mT8_P12ihipStream_tbDpT10_ENKUlT_T0_E_clISt17integral_constantIbLb0EES16_IbLb1EEEEDaS12_S13_EUlS12_E_NS1_11comp_targetILNS1_3genE0ELNS1_11target_archE4294967295ELNS1_3gpuE0ELNS1_3repE0EEENS1_30default_config_static_selectorELNS0_4arch9wavefront6targetE0EEEvT1_
    .private_segment_fixed_size: 0
    .sgpr_count:     24
    .sgpr_spill_count: 0
    .symbol:         _ZN7rocprim17ROCPRIM_400000_NS6detail17trampoline_kernelINS0_14default_configENS1_25partition_config_selectorILNS1_17partition_subalgoE8EmNS0_10empty_typeEbEEZZNS1_14partition_implILS5_8ELb0ES3_jPKmPS6_PKS6_NS0_5tupleIJPmS6_EEENSE_IJSB_SB_EEENS0_18inequality_wrapperIN6hipcub16HIPCUB_304000_NS8EqualityEEEPlJS6_EEE10hipError_tPvRmT3_T4_T5_T6_T7_T9_mT8_P12ihipStream_tbDpT10_ENKUlT_T0_E_clISt17integral_constantIbLb0EES16_IbLb1EEEEDaS12_S13_EUlS12_E_NS1_11comp_targetILNS1_3genE0ELNS1_11target_archE4294967295ELNS1_3gpuE0ELNS1_3repE0EEENS1_30default_config_static_selectorELNS0_4arch9wavefront6targetE0EEEvT1_.kd
    .uniform_work_group_size: 1
    .uses_dynamic_stack: false
    .vgpr_count:     56
    .vgpr_spill_count: 0
    .wavefront_size: 32
  - .args:
      - .offset:         0
        .size:           128
        .value_kind:     by_value
    .group_segment_fixed_size: 0
    .kernarg_segment_align: 8
    .kernarg_segment_size: 128
    .language:       OpenCL C
    .language_version:
      - 2
      - 0
    .max_flat_workgroup_size: 512
    .name:           _ZN7rocprim17ROCPRIM_400000_NS6detail17trampoline_kernelINS0_14default_configENS1_25partition_config_selectorILNS1_17partition_subalgoE8EmNS0_10empty_typeEbEEZZNS1_14partition_implILS5_8ELb0ES3_jPKmPS6_PKS6_NS0_5tupleIJPmS6_EEENSE_IJSB_SB_EEENS0_18inequality_wrapperIN6hipcub16HIPCUB_304000_NS8EqualityEEEPlJS6_EEE10hipError_tPvRmT3_T4_T5_T6_T7_T9_mT8_P12ihipStream_tbDpT10_ENKUlT_T0_E_clISt17integral_constantIbLb0EES16_IbLb1EEEEDaS12_S13_EUlS12_E_NS1_11comp_targetILNS1_3genE5ELNS1_11target_archE942ELNS1_3gpuE9ELNS1_3repE0EEENS1_30default_config_static_selectorELNS0_4arch9wavefront6targetE0EEEvT1_
    .private_segment_fixed_size: 0
    .sgpr_count:     0
    .sgpr_spill_count: 0
    .symbol:         _ZN7rocprim17ROCPRIM_400000_NS6detail17trampoline_kernelINS0_14default_configENS1_25partition_config_selectorILNS1_17partition_subalgoE8EmNS0_10empty_typeEbEEZZNS1_14partition_implILS5_8ELb0ES3_jPKmPS6_PKS6_NS0_5tupleIJPmS6_EEENSE_IJSB_SB_EEENS0_18inequality_wrapperIN6hipcub16HIPCUB_304000_NS8EqualityEEEPlJS6_EEE10hipError_tPvRmT3_T4_T5_T6_T7_T9_mT8_P12ihipStream_tbDpT10_ENKUlT_T0_E_clISt17integral_constantIbLb0EES16_IbLb1EEEEDaS12_S13_EUlS12_E_NS1_11comp_targetILNS1_3genE5ELNS1_11target_archE942ELNS1_3gpuE9ELNS1_3repE0EEENS1_30default_config_static_selectorELNS0_4arch9wavefront6targetE0EEEvT1_.kd
    .uniform_work_group_size: 1
    .uses_dynamic_stack: false
    .vgpr_count:     0
    .vgpr_spill_count: 0
    .wavefront_size: 32
  - .args:
      - .offset:         0
        .size:           128
        .value_kind:     by_value
    .group_segment_fixed_size: 0
    .kernarg_segment_align: 8
    .kernarg_segment_size: 128
    .language:       OpenCL C
    .language_version:
      - 2
      - 0
    .max_flat_workgroup_size: 256
    .name:           _ZN7rocprim17ROCPRIM_400000_NS6detail17trampoline_kernelINS0_14default_configENS1_25partition_config_selectorILNS1_17partition_subalgoE8EmNS0_10empty_typeEbEEZZNS1_14partition_implILS5_8ELb0ES3_jPKmPS6_PKS6_NS0_5tupleIJPmS6_EEENSE_IJSB_SB_EEENS0_18inequality_wrapperIN6hipcub16HIPCUB_304000_NS8EqualityEEEPlJS6_EEE10hipError_tPvRmT3_T4_T5_T6_T7_T9_mT8_P12ihipStream_tbDpT10_ENKUlT_T0_E_clISt17integral_constantIbLb0EES16_IbLb1EEEEDaS12_S13_EUlS12_E_NS1_11comp_targetILNS1_3genE4ELNS1_11target_archE910ELNS1_3gpuE8ELNS1_3repE0EEENS1_30default_config_static_selectorELNS0_4arch9wavefront6targetE0EEEvT1_
    .private_segment_fixed_size: 0
    .sgpr_count:     0
    .sgpr_spill_count: 0
    .symbol:         _ZN7rocprim17ROCPRIM_400000_NS6detail17trampoline_kernelINS0_14default_configENS1_25partition_config_selectorILNS1_17partition_subalgoE8EmNS0_10empty_typeEbEEZZNS1_14partition_implILS5_8ELb0ES3_jPKmPS6_PKS6_NS0_5tupleIJPmS6_EEENSE_IJSB_SB_EEENS0_18inequality_wrapperIN6hipcub16HIPCUB_304000_NS8EqualityEEEPlJS6_EEE10hipError_tPvRmT3_T4_T5_T6_T7_T9_mT8_P12ihipStream_tbDpT10_ENKUlT_T0_E_clISt17integral_constantIbLb0EES16_IbLb1EEEEDaS12_S13_EUlS12_E_NS1_11comp_targetILNS1_3genE4ELNS1_11target_archE910ELNS1_3gpuE8ELNS1_3repE0EEENS1_30default_config_static_selectorELNS0_4arch9wavefront6targetE0EEEvT1_.kd
    .uniform_work_group_size: 1
    .uses_dynamic_stack: false
    .vgpr_count:     0
    .vgpr_spill_count: 0
    .wavefront_size: 32
  - .args:
      - .offset:         0
        .size:           128
        .value_kind:     by_value
    .group_segment_fixed_size: 0
    .kernarg_segment_align: 8
    .kernarg_segment_size: 128
    .language:       OpenCL C
    .language_version:
      - 2
      - 0
    .max_flat_workgroup_size: 512
    .name:           _ZN7rocprim17ROCPRIM_400000_NS6detail17trampoline_kernelINS0_14default_configENS1_25partition_config_selectorILNS1_17partition_subalgoE8EmNS0_10empty_typeEbEEZZNS1_14partition_implILS5_8ELb0ES3_jPKmPS6_PKS6_NS0_5tupleIJPmS6_EEENSE_IJSB_SB_EEENS0_18inequality_wrapperIN6hipcub16HIPCUB_304000_NS8EqualityEEEPlJS6_EEE10hipError_tPvRmT3_T4_T5_T6_T7_T9_mT8_P12ihipStream_tbDpT10_ENKUlT_T0_E_clISt17integral_constantIbLb0EES16_IbLb1EEEEDaS12_S13_EUlS12_E_NS1_11comp_targetILNS1_3genE3ELNS1_11target_archE908ELNS1_3gpuE7ELNS1_3repE0EEENS1_30default_config_static_selectorELNS0_4arch9wavefront6targetE0EEEvT1_
    .private_segment_fixed_size: 0
    .sgpr_count:     0
    .sgpr_spill_count: 0
    .symbol:         _ZN7rocprim17ROCPRIM_400000_NS6detail17trampoline_kernelINS0_14default_configENS1_25partition_config_selectorILNS1_17partition_subalgoE8EmNS0_10empty_typeEbEEZZNS1_14partition_implILS5_8ELb0ES3_jPKmPS6_PKS6_NS0_5tupleIJPmS6_EEENSE_IJSB_SB_EEENS0_18inequality_wrapperIN6hipcub16HIPCUB_304000_NS8EqualityEEEPlJS6_EEE10hipError_tPvRmT3_T4_T5_T6_T7_T9_mT8_P12ihipStream_tbDpT10_ENKUlT_T0_E_clISt17integral_constantIbLb0EES16_IbLb1EEEEDaS12_S13_EUlS12_E_NS1_11comp_targetILNS1_3genE3ELNS1_11target_archE908ELNS1_3gpuE7ELNS1_3repE0EEENS1_30default_config_static_selectorELNS0_4arch9wavefront6targetE0EEEvT1_.kd
    .uniform_work_group_size: 1
    .uses_dynamic_stack: false
    .vgpr_count:     0
    .vgpr_spill_count: 0
    .wavefront_size: 32
  - .args:
      - .offset:         0
        .size:           128
        .value_kind:     by_value
    .group_segment_fixed_size: 0
    .kernarg_segment_align: 8
    .kernarg_segment_size: 128
    .language:       OpenCL C
    .language_version:
      - 2
      - 0
    .max_flat_workgroup_size: 256
    .name:           _ZN7rocprim17ROCPRIM_400000_NS6detail17trampoline_kernelINS0_14default_configENS1_25partition_config_selectorILNS1_17partition_subalgoE8EmNS0_10empty_typeEbEEZZNS1_14partition_implILS5_8ELb0ES3_jPKmPS6_PKS6_NS0_5tupleIJPmS6_EEENSE_IJSB_SB_EEENS0_18inequality_wrapperIN6hipcub16HIPCUB_304000_NS8EqualityEEEPlJS6_EEE10hipError_tPvRmT3_T4_T5_T6_T7_T9_mT8_P12ihipStream_tbDpT10_ENKUlT_T0_E_clISt17integral_constantIbLb0EES16_IbLb1EEEEDaS12_S13_EUlS12_E_NS1_11comp_targetILNS1_3genE2ELNS1_11target_archE906ELNS1_3gpuE6ELNS1_3repE0EEENS1_30default_config_static_selectorELNS0_4arch9wavefront6targetE0EEEvT1_
    .private_segment_fixed_size: 0
    .sgpr_count:     0
    .sgpr_spill_count: 0
    .symbol:         _ZN7rocprim17ROCPRIM_400000_NS6detail17trampoline_kernelINS0_14default_configENS1_25partition_config_selectorILNS1_17partition_subalgoE8EmNS0_10empty_typeEbEEZZNS1_14partition_implILS5_8ELb0ES3_jPKmPS6_PKS6_NS0_5tupleIJPmS6_EEENSE_IJSB_SB_EEENS0_18inequality_wrapperIN6hipcub16HIPCUB_304000_NS8EqualityEEEPlJS6_EEE10hipError_tPvRmT3_T4_T5_T6_T7_T9_mT8_P12ihipStream_tbDpT10_ENKUlT_T0_E_clISt17integral_constantIbLb0EES16_IbLb1EEEEDaS12_S13_EUlS12_E_NS1_11comp_targetILNS1_3genE2ELNS1_11target_archE906ELNS1_3gpuE6ELNS1_3repE0EEENS1_30default_config_static_selectorELNS0_4arch9wavefront6targetE0EEEvT1_.kd
    .uniform_work_group_size: 1
    .uses_dynamic_stack: false
    .vgpr_count:     0
    .vgpr_spill_count: 0
    .wavefront_size: 32
  - .args:
      - .offset:         0
        .size:           128
        .value_kind:     by_value
    .group_segment_fixed_size: 0
    .kernarg_segment_align: 8
    .kernarg_segment_size: 128
    .language:       OpenCL C
    .language_version:
      - 2
      - 0
    .max_flat_workgroup_size: 384
    .name:           _ZN7rocprim17ROCPRIM_400000_NS6detail17trampoline_kernelINS0_14default_configENS1_25partition_config_selectorILNS1_17partition_subalgoE8EmNS0_10empty_typeEbEEZZNS1_14partition_implILS5_8ELb0ES3_jPKmPS6_PKS6_NS0_5tupleIJPmS6_EEENSE_IJSB_SB_EEENS0_18inequality_wrapperIN6hipcub16HIPCUB_304000_NS8EqualityEEEPlJS6_EEE10hipError_tPvRmT3_T4_T5_T6_T7_T9_mT8_P12ihipStream_tbDpT10_ENKUlT_T0_E_clISt17integral_constantIbLb0EES16_IbLb1EEEEDaS12_S13_EUlS12_E_NS1_11comp_targetILNS1_3genE10ELNS1_11target_archE1200ELNS1_3gpuE4ELNS1_3repE0EEENS1_30default_config_static_selectorELNS0_4arch9wavefront6targetE0EEEvT1_
    .private_segment_fixed_size: 0
    .sgpr_count:     0
    .sgpr_spill_count: 0
    .symbol:         _ZN7rocprim17ROCPRIM_400000_NS6detail17trampoline_kernelINS0_14default_configENS1_25partition_config_selectorILNS1_17partition_subalgoE8EmNS0_10empty_typeEbEEZZNS1_14partition_implILS5_8ELb0ES3_jPKmPS6_PKS6_NS0_5tupleIJPmS6_EEENSE_IJSB_SB_EEENS0_18inequality_wrapperIN6hipcub16HIPCUB_304000_NS8EqualityEEEPlJS6_EEE10hipError_tPvRmT3_T4_T5_T6_T7_T9_mT8_P12ihipStream_tbDpT10_ENKUlT_T0_E_clISt17integral_constantIbLb0EES16_IbLb1EEEEDaS12_S13_EUlS12_E_NS1_11comp_targetILNS1_3genE10ELNS1_11target_archE1200ELNS1_3gpuE4ELNS1_3repE0EEENS1_30default_config_static_selectorELNS0_4arch9wavefront6targetE0EEEvT1_.kd
    .uniform_work_group_size: 1
    .uses_dynamic_stack: false
    .vgpr_count:     0
    .vgpr_spill_count: 0
    .wavefront_size: 32
  - .args:
      - .offset:         0
        .size:           128
        .value_kind:     by_value
    .group_segment_fixed_size: 0
    .kernarg_segment_align: 8
    .kernarg_segment_size: 128
    .language:       OpenCL C
    .language_version:
      - 2
      - 0
    .max_flat_workgroup_size: 512
    .name:           _ZN7rocprim17ROCPRIM_400000_NS6detail17trampoline_kernelINS0_14default_configENS1_25partition_config_selectorILNS1_17partition_subalgoE8EmNS0_10empty_typeEbEEZZNS1_14partition_implILS5_8ELb0ES3_jPKmPS6_PKS6_NS0_5tupleIJPmS6_EEENSE_IJSB_SB_EEENS0_18inequality_wrapperIN6hipcub16HIPCUB_304000_NS8EqualityEEEPlJS6_EEE10hipError_tPvRmT3_T4_T5_T6_T7_T9_mT8_P12ihipStream_tbDpT10_ENKUlT_T0_E_clISt17integral_constantIbLb0EES16_IbLb1EEEEDaS12_S13_EUlS12_E_NS1_11comp_targetILNS1_3genE9ELNS1_11target_archE1100ELNS1_3gpuE3ELNS1_3repE0EEENS1_30default_config_static_selectorELNS0_4arch9wavefront6targetE0EEEvT1_
    .private_segment_fixed_size: 0
    .sgpr_count:     0
    .sgpr_spill_count: 0
    .symbol:         _ZN7rocprim17ROCPRIM_400000_NS6detail17trampoline_kernelINS0_14default_configENS1_25partition_config_selectorILNS1_17partition_subalgoE8EmNS0_10empty_typeEbEEZZNS1_14partition_implILS5_8ELb0ES3_jPKmPS6_PKS6_NS0_5tupleIJPmS6_EEENSE_IJSB_SB_EEENS0_18inequality_wrapperIN6hipcub16HIPCUB_304000_NS8EqualityEEEPlJS6_EEE10hipError_tPvRmT3_T4_T5_T6_T7_T9_mT8_P12ihipStream_tbDpT10_ENKUlT_T0_E_clISt17integral_constantIbLb0EES16_IbLb1EEEEDaS12_S13_EUlS12_E_NS1_11comp_targetILNS1_3genE9ELNS1_11target_archE1100ELNS1_3gpuE3ELNS1_3repE0EEENS1_30default_config_static_selectorELNS0_4arch9wavefront6targetE0EEEvT1_.kd
    .uniform_work_group_size: 1
    .uses_dynamic_stack: false
    .vgpr_count:     0
    .vgpr_spill_count: 0
    .wavefront_size: 32
  - .args:
      - .offset:         0
        .size:           128
        .value_kind:     by_value
    .group_segment_fixed_size: 0
    .kernarg_segment_align: 8
    .kernarg_segment_size: 128
    .language:       OpenCL C
    .language_version:
      - 2
      - 0
    .max_flat_workgroup_size: 512
    .name:           _ZN7rocprim17ROCPRIM_400000_NS6detail17trampoline_kernelINS0_14default_configENS1_25partition_config_selectorILNS1_17partition_subalgoE8EmNS0_10empty_typeEbEEZZNS1_14partition_implILS5_8ELb0ES3_jPKmPS6_PKS6_NS0_5tupleIJPmS6_EEENSE_IJSB_SB_EEENS0_18inequality_wrapperIN6hipcub16HIPCUB_304000_NS8EqualityEEEPlJS6_EEE10hipError_tPvRmT3_T4_T5_T6_T7_T9_mT8_P12ihipStream_tbDpT10_ENKUlT_T0_E_clISt17integral_constantIbLb0EES16_IbLb1EEEEDaS12_S13_EUlS12_E_NS1_11comp_targetILNS1_3genE8ELNS1_11target_archE1030ELNS1_3gpuE2ELNS1_3repE0EEENS1_30default_config_static_selectorELNS0_4arch9wavefront6targetE0EEEvT1_
    .private_segment_fixed_size: 0
    .sgpr_count:     0
    .sgpr_spill_count: 0
    .symbol:         _ZN7rocprim17ROCPRIM_400000_NS6detail17trampoline_kernelINS0_14default_configENS1_25partition_config_selectorILNS1_17partition_subalgoE8EmNS0_10empty_typeEbEEZZNS1_14partition_implILS5_8ELb0ES3_jPKmPS6_PKS6_NS0_5tupleIJPmS6_EEENSE_IJSB_SB_EEENS0_18inequality_wrapperIN6hipcub16HIPCUB_304000_NS8EqualityEEEPlJS6_EEE10hipError_tPvRmT3_T4_T5_T6_T7_T9_mT8_P12ihipStream_tbDpT10_ENKUlT_T0_E_clISt17integral_constantIbLb0EES16_IbLb1EEEEDaS12_S13_EUlS12_E_NS1_11comp_targetILNS1_3genE8ELNS1_11target_archE1030ELNS1_3gpuE2ELNS1_3repE0EEENS1_30default_config_static_selectorELNS0_4arch9wavefront6targetE0EEEvT1_.kd
    .uniform_work_group_size: 1
    .uses_dynamic_stack: false
    .vgpr_count:     0
    .vgpr_spill_count: 0
    .wavefront_size: 32
  - .args:
      - .offset:         0
        .size:           128
        .value_kind:     by_value
    .group_segment_fixed_size: 30720
    .kernarg_segment_align: 8
    .kernarg_segment_size: 128
    .language:       OpenCL C
    .language_version:
      - 2
      - 0
    .max_flat_workgroup_size: 256
    .name:           _ZN7rocprim17ROCPRIM_400000_NS6detail17trampoline_kernelINS0_14default_configENS1_33run_length_encode_config_selectorImjNS0_4plusIjEEEEZZNS1_33reduce_by_key_impl_wrapped_configILNS1_25lookback_scan_determinismE0ES3_S7_PKmNS0_17constant_iteratorIjlEEPmPlSF_S6_NS0_8equal_toImEEEE10hipError_tPvRmT2_T3_mT4_T5_T6_T7_T8_P12ihipStream_tbENKUlT_T0_E_clISt17integral_constantIbLb0EESZ_EEDaSU_SV_EUlSU_E_NS1_11comp_targetILNS1_3genE0ELNS1_11target_archE4294967295ELNS1_3gpuE0ELNS1_3repE0EEENS1_30default_config_static_selectorELNS0_4arch9wavefront6targetE0EEEvT1_
    .private_segment_fixed_size: 0
    .sgpr_count:     42
    .sgpr_spill_count: 0
    .symbol:         _ZN7rocprim17ROCPRIM_400000_NS6detail17trampoline_kernelINS0_14default_configENS1_33run_length_encode_config_selectorImjNS0_4plusIjEEEEZZNS1_33reduce_by_key_impl_wrapped_configILNS1_25lookback_scan_determinismE0ES3_S7_PKmNS0_17constant_iteratorIjlEEPmPlSF_S6_NS0_8equal_toImEEEE10hipError_tPvRmT2_T3_mT4_T5_T6_T7_T8_P12ihipStream_tbENKUlT_T0_E_clISt17integral_constantIbLb0EESZ_EEDaSU_SV_EUlSU_E_NS1_11comp_targetILNS1_3genE0ELNS1_11target_archE4294967295ELNS1_3gpuE0ELNS1_3repE0EEENS1_30default_config_static_selectorELNS0_4arch9wavefront6targetE0EEEvT1_.kd
    .uniform_work_group_size: 1
    .uses_dynamic_stack: false
    .vgpr_count:     101
    .vgpr_spill_count: 0
    .wavefront_size: 32
  - .args:
      - .offset:         0
        .size:           128
        .value_kind:     by_value
    .group_segment_fixed_size: 0
    .kernarg_segment_align: 8
    .kernarg_segment_size: 128
    .language:       OpenCL C
    .language_version:
      - 2
      - 0
    .max_flat_workgroup_size: 512
    .name:           _ZN7rocprim17ROCPRIM_400000_NS6detail17trampoline_kernelINS0_14default_configENS1_33run_length_encode_config_selectorImjNS0_4plusIjEEEEZZNS1_33reduce_by_key_impl_wrapped_configILNS1_25lookback_scan_determinismE0ES3_S7_PKmNS0_17constant_iteratorIjlEEPmPlSF_S6_NS0_8equal_toImEEEE10hipError_tPvRmT2_T3_mT4_T5_T6_T7_T8_P12ihipStream_tbENKUlT_T0_E_clISt17integral_constantIbLb0EESZ_EEDaSU_SV_EUlSU_E_NS1_11comp_targetILNS1_3genE5ELNS1_11target_archE942ELNS1_3gpuE9ELNS1_3repE0EEENS1_30default_config_static_selectorELNS0_4arch9wavefront6targetE0EEEvT1_
    .private_segment_fixed_size: 0
    .sgpr_count:     0
    .sgpr_spill_count: 0
    .symbol:         _ZN7rocprim17ROCPRIM_400000_NS6detail17trampoline_kernelINS0_14default_configENS1_33run_length_encode_config_selectorImjNS0_4plusIjEEEEZZNS1_33reduce_by_key_impl_wrapped_configILNS1_25lookback_scan_determinismE0ES3_S7_PKmNS0_17constant_iteratorIjlEEPmPlSF_S6_NS0_8equal_toImEEEE10hipError_tPvRmT2_T3_mT4_T5_T6_T7_T8_P12ihipStream_tbENKUlT_T0_E_clISt17integral_constantIbLb0EESZ_EEDaSU_SV_EUlSU_E_NS1_11comp_targetILNS1_3genE5ELNS1_11target_archE942ELNS1_3gpuE9ELNS1_3repE0EEENS1_30default_config_static_selectorELNS0_4arch9wavefront6targetE0EEEvT1_.kd
    .uniform_work_group_size: 1
    .uses_dynamic_stack: false
    .vgpr_count:     0
    .vgpr_spill_count: 0
    .wavefront_size: 32
  - .args:
      - .offset:         0
        .size:           128
        .value_kind:     by_value
    .group_segment_fixed_size: 0
    .kernarg_segment_align: 8
    .kernarg_segment_size: 128
    .language:       OpenCL C
    .language_version:
      - 2
      - 0
    .max_flat_workgroup_size: 256
    .name:           _ZN7rocprim17ROCPRIM_400000_NS6detail17trampoline_kernelINS0_14default_configENS1_33run_length_encode_config_selectorImjNS0_4plusIjEEEEZZNS1_33reduce_by_key_impl_wrapped_configILNS1_25lookback_scan_determinismE0ES3_S7_PKmNS0_17constant_iteratorIjlEEPmPlSF_S6_NS0_8equal_toImEEEE10hipError_tPvRmT2_T3_mT4_T5_T6_T7_T8_P12ihipStream_tbENKUlT_T0_E_clISt17integral_constantIbLb0EESZ_EEDaSU_SV_EUlSU_E_NS1_11comp_targetILNS1_3genE4ELNS1_11target_archE910ELNS1_3gpuE8ELNS1_3repE0EEENS1_30default_config_static_selectorELNS0_4arch9wavefront6targetE0EEEvT1_
    .private_segment_fixed_size: 0
    .sgpr_count:     0
    .sgpr_spill_count: 0
    .symbol:         _ZN7rocprim17ROCPRIM_400000_NS6detail17trampoline_kernelINS0_14default_configENS1_33run_length_encode_config_selectorImjNS0_4plusIjEEEEZZNS1_33reduce_by_key_impl_wrapped_configILNS1_25lookback_scan_determinismE0ES3_S7_PKmNS0_17constant_iteratorIjlEEPmPlSF_S6_NS0_8equal_toImEEEE10hipError_tPvRmT2_T3_mT4_T5_T6_T7_T8_P12ihipStream_tbENKUlT_T0_E_clISt17integral_constantIbLb0EESZ_EEDaSU_SV_EUlSU_E_NS1_11comp_targetILNS1_3genE4ELNS1_11target_archE910ELNS1_3gpuE8ELNS1_3repE0EEENS1_30default_config_static_selectorELNS0_4arch9wavefront6targetE0EEEvT1_.kd
    .uniform_work_group_size: 1
    .uses_dynamic_stack: false
    .vgpr_count:     0
    .vgpr_spill_count: 0
    .wavefront_size: 32
  - .args:
      - .offset:         0
        .size:           128
        .value_kind:     by_value
    .group_segment_fixed_size: 0
    .kernarg_segment_align: 8
    .kernarg_segment_size: 128
    .language:       OpenCL C
    .language_version:
      - 2
      - 0
    .max_flat_workgroup_size: 256
    .name:           _ZN7rocprim17ROCPRIM_400000_NS6detail17trampoline_kernelINS0_14default_configENS1_33run_length_encode_config_selectorImjNS0_4plusIjEEEEZZNS1_33reduce_by_key_impl_wrapped_configILNS1_25lookback_scan_determinismE0ES3_S7_PKmNS0_17constant_iteratorIjlEEPmPlSF_S6_NS0_8equal_toImEEEE10hipError_tPvRmT2_T3_mT4_T5_T6_T7_T8_P12ihipStream_tbENKUlT_T0_E_clISt17integral_constantIbLb0EESZ_EEDaSU_SV_EUlSU_E_NS1_11comp_targetILNS1_3genE3ELNS1_11target_archE908ELNS1_3gpuE7ELNS1_3repE0EEENS1_30default_config_static_selectorELNS0_4arch9wavefront6targetE0EEEvT1_
    .private_segment_fixed_size: 0
    .sgpr_count:     0
    .sgpr_spill_count: 0
    .symbol:         _ZN7rocprim17ROCPRIM_400000_NS6detail17trampoline_kernelINS0_14default_configENS1_33run_length_encode_config_selectorImjNS0_4plusIjEEEEZZNS1_33reduce_by_key_impl_wrapped_configILNS1_25lookback_scan_determinismE0ES3_S7_PKmNS0_17constant_iteratorIjlEEPmPlSF_S6_NS0_8equal_toImEEEE10hipError_tPvRmT2_T3_mT4_T5_T6_T7_T8_P12ihipStream_tbENKUlT_T0_E_clISt17integral_constantIbLb0EESZ_EEDaSU_SV_EUlSU_E_NS1_11comp_targetILNS1_3genE3ELNS1_11target_archE908ELNS1_3gpuE7ELNS1_3repE0EEENS1_30default_config_static_selectorELNS0_4arch9wavefront6targetE0EEEvT1_.kd
    .uniform_work_group_size: 1
    .uses_dynamic_stack: false
    .vgpr_count:     0
    .vgpr_spill_count: 0
    .wavefront_size: 32
  - .args:
      - .offset:         0
        .size:           128
        .value_kind:     by_value
    .group_segment_fixed_size: 0
    .kernarg_segment_align: 8
    .kernarg_segment_size: 128
    .language:       OpenCL C
    .language_version:
      - 2
      - 0
    .max_flat_workgroup_size: 256
    .name:           _ZN7rocprim17ROCPRIM_400000_NS6detail17trampoline_kernelINS0_14default_configENS1_33run_length_encode_config_selectorImjNS0_4plusIjEEEEZZNS1_33reduce_by_key_impl_wrapped_configILNS1_25lookback_scan_determinismE0ES3_S7_PKmNS0_17constant_iteratorIjlEEPmPlSF_S6_NS0_8equal_toImEEEE10hipError_tPvRmT2_T3_mT4_T5_T6_T7_T8_P12ihipStream_tbENKUlT_T0_E_clISt17integral_constantIbLb0EESZ_EEDaSU_SV_EUlSU_E_NS1_11comp_targetILNS1_3genE2ELNS1_11target_archE906ELNS1_3gpuE6ELNS1_3repE0EEENS1_30default_config_static_selectorELNS0_4arch9wavefront6targetE0EEEvT1_
    .private_segment_fixed_size: 0
    .sgpr_count:     0
    .sgpr_spill_count: 0
    .symbol:         _ZN7rocprim17ROCPRIM_400000_NS6detail17trampoline_kernelINS0_14default_configENS1_33run_length_encode_config_selectorImjNS0_4plusIjEEEEZZNS1_33reduce_by_key_impl_wrapped_configILNS1_25lookback_scan_determinismE0ES3_S7_PKmNS0_17constant_iteratorIjlEEPmPlSF_S6_NS0_8equal_toImEEEE10hipError_tPvRmT2_T3_mT4_T5_T6_T7_T8_P12ihipStream_tbENKUlT_T0_E_clISt17integral_constantIbLb0EESZ_EEDaSU_SV_EUlSU_E_NS1_11comp_targetILNS1_3genE2ELNS1_11target_archE906ELNS1_3gpuE6ELNS1_3repE0EEENS1_30default_config_static_selectorELNS0_4arch9wavefront6targetE0EEEvT1_.kd
    .uniform_work_group_size: 1
    .uses_dynamic_stack: false
    .vgpr_count:     0
    .vgpr_spill_count: 0
    .wavefront_size: 32
  - .args:
      - .offset:         0
        .size:           128
        .value_kind:     by_value
    .group_segment_fixed_size: 0
    .kernarg_segment_align: 8
    .kernarg_segment_size: 128
    .language:       OpenCL C
    .language_version:
      - 2
      - 0
    .max_flat_workgroup_size: 512
    .name:           _ZN7rocprim17ROCPRIM_400000_NS6detail17trampoline_kernelINS0_14default_configENS1_33run_length_encode_config_selectorImjNS0_4plusIjEEEEZZNS1_33reduce_by_key_impl_wrapped_configILNS1_25lookback_scan_determinismE0ES3_S7_PKmNS0_17constant_iteratorIjlEEPmPlSF_S6_NS0_8equal_toImEEEE10hipError_tPvRmT2_T3_mT4_T5_T6_T7_T8_P12ihipStream_tbENKUlT_T0_E_clISt17integral_constantIbLb0EESZ_EEDaSU_SV_EUlSU_E_NS1_11comp_targetILNS1_3genE10ELNS1_11target_archE1201ELNS1_3gpuE5ELNS1_3repE0EEENS1_30default_config_static_selectorELNS0_4arch9wavefront6targetE0EEEvT1_
    .private_segment_fixed_size: 0
    .sgpr_count:     0
    .sgpr_spill_count: 0
    .symbol:         _ZN7rocprim17ROCPRIM_400000_NS6detail17trampoline_kernelINS0_14default_configENS1_33run_length_encode_config_selectorImjNS0_4plusIjEEEEZZNS1_33reduce_by_key_impl_wrapped_configILNS1_25lookback_scan_determinismE0ES3_S7_PKmNS0_17constant_iteratorIjlEEPmPlSF_S6_NS0_8equal_toImEEEE10hipError_tPvRmT2_T3_mT4_T5_T6_T7_T8_P12ihipStream_tbENKUlT_T0_E_clISt17integral_constantIbLb0EESZ_EEDaSU_SV_EUlSU_E_NS1_11comp_targetILNS1_3genE10ELNS1_11target_archE1201ELNS1_3gpuE5ELNS1_3repE0EEENS1_30default_config_static_selectorELNS0_4arch9wavefront6targetE0EEEvT1_.kd
    .uniform_work_group_size: 1
    .uses_dynamic_stack: false
    .vgpr_count:     0
    .vgpr_spill_count: 0
    .wavefront_size: 32
  - .args:
      - .offset:         0
        .size:           128
        .value_kind:     by_value
    .group_segment_fixed_size: 0
    .kernarg_segment_align: 8
    .kernarg_segment_size: 128
    .language:       OpenCL C
    .language_version:
      - 2
      - 0
    .max_flat_workgroup_size: 512
    .name:           _ZN7rocprim17ROCPRIM_400000_NS6detail17trampoline_kernelINS0_14default_configENS1_33run_length_encode_config_selectorImjNS0_4plusIjEEEEZZNS1_33reduce_by_key_impl_wrapped_configILNS1_25lookback_scan_determinismE0ES3_S7_PKmNS0_17constant_iteratorIjlEEPmPlSF_S6_NS0_8equal_toImEEEE10hipError_tPvRmT2_T3_mT4_T5_T6_T7_T8_P12ihipStream_tbENKUlT_T0_E_clISt17integral_constantIbLb0EESZ_EEDaSU_SV_EUlSU_E_NS1_11comp_targetILNS1_3genE10ELNS1_11target_archE1200ELNS1_3gpuE4ELNS1_3repE0EEENS1_30default_config_static_selectorELNS0_4arch9wavefront6targetE0EEEvT1_
    .private_segment_fixed_size: 0
    .sgpr_count:     0
    .sgpr_spill_count: 0
    .symbol:         _ZN7rocprim17ROCPRIM_400000_NS6detail17trampoline_kernelINS0_14default_configENS1_33run_length_encode_config_selectorImjNS0_4plusIjEEEEZZNS1_33reduce_by_key_impl_wrapped_configILNS1_25lookback_scan_determinismE0ES3_S7_PKmNS0_17constant_iteratorIjlEEPmPlSF_S6_NS0_8equal_toImEEEE10hipError_tPvRmT2_T3_mT4_T5_T6_T7_T8_P12ihipStream_tbENKUlT_T0_E_clISt17integral_constantIbLb0EESZ_EEDaSU_SV_EUlSU_E_NS1_11comp_targetILNS1_3genE10ELNS1_11target_archE1200ELNS1_3gpuE4ELNS1_3repE0EEENS1_30default_config_static_selectorELNS0_4arch9wavefront6targetE0EEEvT1_.kd
    .uniform_work_group_size: 1
    .uses_dynamic_stack: false
    .vgpr_count:     0
    .vgpr_spill_count: 0
    .wavefront_size: 32
  - .args:
      - .offset:         0
        .size:           128
        .value_kind:     by_value
    .group_segment_fixed_size: 0
    .kernarg_segment_align: 8
    .kernarg_segment_size: 128
    .language:       OpenCL C
    .language_version:
      - 2
      - 0
    .max_flat_workgroup_size: 512
    .name:           _ZN7rocprim17ROCPRIM_400000_NS6detail17trampoline_kernelINS0_14default_configENS1_33run_length_encode_config_selectorImjNS0_4plusIjEEEEZZNS1_33reduce_by_key_impl_wrapped_configILNS1_25lookback_scan_determinismE0ES3_S7_PKmNS0_17constant_iteratorIjlEEPmPlSF_S6_NS0_8equal_toImEEEE10hipError_tPvRmT2_T3_mT4_T5_T6_T7_T8_P12ihipStream_tbENKUlT_T0_E_clISt17integral_constantIbLb0EESZ_EEDaSU_SV_EUlSU_E_NS1_11comp_targetILNS1_3genE9ELNS1_11target_archE1100ELNS1_3gpuE3ELNS1_3repE0EEENS1_30default_config_static_selectorELNS0_4arch9wavefront6targetE0EEEvT1_
    .private_segment_fixed_size: 0
    .sgpr_count:     0
    .sgpr_spill_count: 0
    .symbol:         _ZN7rocprim17ROCPRIM_400000_NS6detail17trampoline_kernelINS0_14default_configENS1_33run_length_encode_config_selectorImjNS0_4plusIjEEEEZZNS1_33reduce_by_key_impl_wrapped_configILNS1_25lookback_scan_determinismE0ES3_S7_PKmNS0_17constant_iteratorIjlEEPmPlSF_S6_NS0_8equal_toImEEEE10hipError_tPvRmT2_T3_mT4_T5_T6_T7_T8_P12ihipStream_tbENKUlT_T0_E_clISt17integral_constantIbLb0EESZ_EEDaSU_SV_EUlSU_E_NS1_11comp_targetILNS1_3genE9ELNS1_11target_archE1100ELNS1_3gpuE3ELNS1_3repE0EEENS1_30default_config_static_selectorELNS0_4arch9wavefront6targetE0EEEvT1_.kd
    .uniform_work_group_size: 1
    .uses_dynamic_stack: false
    .vgpr_count:     0
    .vgpr_spill_count: 0
    .wavefront_size: 32
  - .args:
      - .offset:         0
        .size:           128
        .value_kind:     by_value
    .group_segment_fixed_size: 0
    .kernarg_segment_align: 8
    .kernarg_segment_size: 128
    .language:       OpenCL C
    .language_version:
      - 2
      - 0
    .max_flat_workgroup_size: 512
    .name:           _ZN7rocprim17ROCPRIM_400000_NS6detail17trampoline_kernelINS0_14default_configENS1_33run_length_encode_config_selectorImjNS0_4plusIjEEEEZZNS1_33reduce_by_key_impl_wrapped_configILNS1_25lookback_scan_determinismE0ES3_S7_PKmNS0_17constant_iteratorIjlEEPmPlSF_S6_NS0_8equal_toImEEEE10hipError_tPvRmT2_T3_mT4_T5_T6_T7_T8_P12ihipStream_tbENKUlT_T0_E_clISt17integral_constantIbLb0EESZ_EEDaSU_SV_EUlSU_E_NS1_11comp_targetILNS1_3genE8ELNS1_11target_archE1030ELNS1_3gpuE2ELNS1_3repE0EEENS1_30default_config_static_selectorELNS0_4arch9wavefront6targetE0EEEvT1_
    .private_segment_fixed_size: 0
    .sgpr_count:     0
    .sgpr_spill_count: 0
    .symbol:         _ZN7rocprim17ROCPRIM_400000_NS6detail17trampoline_kernelINS0_14default_configENS1_33run_length_encode_config_selectorImjNS0_4plusIjEEEEZZNS1_33reduce_by_key_impl_wrapped_configILNS1_25lookback_scan_determinismE0ES3_S7_PKmNS0_17constant_iteratorIjlEEPmPlSF_S6_NS0_8equal_toImEEEE10hipError_tPvRmT2_T3_mT4_T5_T6_T7_T8_P12ihipStream_tbENKUlT_T0_E_clISt17integral_constantIbLb0EESZ_EEDaSU_SV_EUlSU_E_NS1_11comp_targetILNS1_3genE8ELNS1_11target_archE1030ELNS1_3gpuE2ELNS1_3repE0EEENS1_30default_config_static_selectorELNS0_4arch9wavefront6targetE0EEEvT1_.kd
    .uniform_work_group_size: 1
    .uses_dynamic_stack: false
    .vgpr_count:     0
    .vgpr_spill_count: 0
    .wavefront_size: 32
  - .args:
      - .offset:         0
        .size:           128
        .value_kind:     by_value
    .group_segment_fixed_size: 0
    .kernarg_segment_align: 8
    .kernarg_segment_size: 128
    .language:       OpenCL C
    .language_version:
      - 2
      - 0
    .max_flat_workgroup_size: 256
    .name:           _ZN7rocprim17ROCPRIM_400000_NS6detail17trampoline_kernelINS0_14default_configENS1_33run_length_encode_config_selectorImjNS0_4plusIjEEEEZZNS1_33reduce_by_key_impl_wrapped_configILNS1_25lookback_scan_determinismE0ES3_S7_PKmNS0_17constant_iteratorIjlEEPmPlSF_S6_NS0_8equal_toImEEEE10hipError_tPvRmT2_T3_mT4_T5_T6_T7_T8_P12ihipStream_tbENKUlT_T0_E_clISt17integral_constantIbLb1EESZ_EEDaSU_SV_EUlSU_E_NS1_11comp_targetILNS1_3genE0ELNS1_11target_archE4294967295ELNS1_3gpuE0ELNS1_3repE0EEENS1_30default_config_static_selectorELNS0_4arch9wavefront6targetE0EEEvT1_
    .private_segment_fixed_size: 0
    .sgpr_count:     0
    .sgpr_spill_count: 0
    .symbol:         _ZN7rocprim17ROCPRIM_400000_NS6detail17trampoline_kernelINS0_14default_configENS1_33run_length_encode_config_selectorImjNS0_4plusIjEEEEZZNS1_33reduce_by_key_impl_wrapped_configILNS1_25lookback_scan_determinismE0ES3_S7_PKmNS0_17constant_iteratorIjlEEPmPlSF_S6_NS0_8equal_toImEEEE10hipError_tPvRmT2_T3_mT4_T5_T6_T7_T8_P12ihipStream_tbENKUlT_T0_E_clISt17integral_constantIbLb1EESZ_EEDaSU_SV_EUlSU_E_NS1_11comp_targetILNS1_3genE0ELNS1_11target_archE4294967295ELNS1_3gpuE0ELNS1_3repE0EEENS1_30default_config_static_selectorELNS0_4arch9wavefront6targetE0EEEvT1_.kd
    .uniform_work_group_size: 1
    .uses_dynamic_stack: false
    .vgpr_count:     0
    .vgpr_spill_count: 0
    .wavefront_size: 32
  - .args:
      - .offset:         0
        .size:           128
        .value_kind:     by_value
    .group_segment_fixed_size: 0
    .kernarg_segment_align: 8
    .kernarg_segment_size: 128
    .language:       OpenCL C
    .language_version:
      - 2
      - 0
    .max_flat_workgroup_size: 512
    .name:           _ZN7rocprim17ROCPRIM_400000_NS6detail17trampoline_kernelINS0_14default_configENS1_33run_length_encode_config_selectorImjNS0_4plusIjEEEEZZNS1_33reduce_by_key_impl_wrapped_configILNS1_25lookback_scan_determinismE0ES3_S7_PKmNS0_17constant_iteratorIjlEEPmPlSF_S6_NS0_8equal_toImEEEE10hipError_tPvRmT2_T3_mT4_T5_T6_T7_T8_P12ihipStream_tbENKUlT_T0_E_clISt17integral_constantIbLb1EESZ_EEDaSU_SV_EUlSU_E_NS1_11comp_targetILNS1_3genE5ELNS1_11target_archE942ELNS1_3gpuE9ELNS1_3repE0EEENS1_30default_config_static_selectorELNS0_4arch9wavefront6targetE0EEEvT1_
    .private_segment_fixed_size: 0
    .sgpr_count:     0
    .sgpr_spill_count: 0
    .symbol:         _ZN7rocprim17ROCPRIM_400000_NS6detail17trampoline_kernelINS0_14default_configENS1_33run_length_encode_config_selectorImjNS0_4plusIjEEEEZZNS1_33reduce_by_key_impl_wrapped_configILNS1_25lookback_scan_determinismE0ES3_S7_PKmNS0_17constant_iteratorIjlEEPmPlSF_S6_NS0_8equal_toImEEEE10hipError_tPvRmT2_T3_mT4_T5_T6_T7_T8_P12ihipStream_tbENKUlT_T0_E_clISt17integral_constantIbLb1EESZ_EEDaSU_SV_EUlSU_E_NS1_11comp_targetILNS1_3genE5ELNS1_11target_archE942ELNS1_3gpuE9ELNS1_3repE0EEENS1_30default_config_static_selectorELNS0_4arch9wavefront6targetE0EEEvT1_.kd
    .uniform_work_group_size: 1
    .uses_dynamic_stack: false
    .vgpr_count:     0
    .vgpr_spill_count: 0
    .wavefront_size: 32
  - .args:
      - .offset:         0
        .size:           128
        .value_kind:     by_value
    .group_segment_fixed_size: 0
    .kernarg_segment_align: 8
    .kernarg_segment_size: 128
    .language:       OpenCL C
    .language_version:
      - 2
      - 0
    .max_flat_workgroup_size: 256
    .name:           _ZN7rocprim17ROCPRIM_400000_NS6detail17trampoline_kernelINS0_14default_configENS1_33run_length_encode_config_selectorImjNS0_4plusIjEEEEZZNS1_33reduce_by_key_impl_wrapped_configILNS1_25lookback_scan_determinismE0ES3_S7_PKmNS0_17constant_iteratorIjlEEPmPlSF_S6_NS0_8equal_toImEEEE10hipError_tPvRmT2_T3_mT4_T5_T6_T7_T8_P12ihipStream_tbENKUlT_T0_E_clISt17integral_constantIbLb1EESZ_EEDaSU_SV_EUlSU_E_NS1_11comp_targetILNS1_3genE4ELNS1_11target_archE910ELNS1_3gpuE8ELNS1_3repE0EEENS1_30default_config_static_selectorELNS0_4arch9wavefront6targetE0EEEvT1_
    .private_segment_fixed_size: 0
    .sgpr_count:     0
    .sgpr_spill_count: 0
    .symbol:         _ZN7rocprim17ROCPRIM_400000_NS6detail17trampoline_kernelINS0_14default_configENS1_33run_length_encode_config_selectorImjNS0_4plusIjEEEEZZNS1_33reduce_by_key_impl_wrapped_configILNS1_25lookback_scan_determinismE0ES3_S7_PKmNS0_17constant_iteratorIjlEEPmPlSF_S6_NS0_8equal_toImEEEE10hipError_tPvRmT2_T3_mT4_T5_T6_T7_T8_P12ihipStream_tbENKUlT_T0_E_clISt17integral_constantIbLb1EESZ_EEDaSU_SV_EUlSU_E_NS1_11comp_targetILNS1_3genE4ELNS1_11target_archE910ELNS1_3gpuE8ELNS1_3repE0EEENS1_30default_config_static_selectorELNS0_4arch9wavefront6targetE0EEEvT1_.kd
    .uniform_work_group_size: 1
    .uses_dynamic_stack: false
    .vgpr_count:     0
    .vgpr_spill_count: 0
    .wavefront_size: 32
  - .args:
      - .offset:         0
        .size:           128
        .value_kind:     by_value
    .group_segment_fixed_size: 0
    .kernarg_segment_align: 8
    .kernarg_segment_size: 128
    .language:       OpenCL C
    .language_version:
      - 2
      - 0
    .max_flat_workgroup_size: 256
    .name:           _ZN7rocprim17ROCPRIM_400000_NS6detail17trampoline_kernelINS0_14default_configENS1_33run_length_encode_config_selectorImjNS0_4plusIjEEEEZZNS1_33reduce_by_key_impl_wrapped_configILNS1_25lookback_scan_determinismE0ES3_S7_PKmNS0_17constant_iteratorIjlEEPmPlSF_S6_NS0_8equal_toImEEEE10hipError_tPvRmT2_T3_mT4_T5_T6_T7_T8_P12ihipStream_tbENKUlT_T0_E_clISt17integral_constantIbLb1EESZ_EEDaSU_SV_EUlSU_E_NS1_11comp_targetILNS1_3genE3ELNS1_11target_archE908ELNS1_3gpuE7ELNS1_3repE0EEENS1_30default_config_static_selectorELNS0_4arch9wavefront6targetE0EEEvT1_
    .private_segment_fixed_size: 0
    .sgpr_count:     0
    .sgpr_spill_count: 0
    .symbol:         _ZN7rocprim17ROCPRIM_400000_NS6detail17trampoline_kernelINS0_14default_configENS1_33run_length_encode_config_selectorImjNS0_4plusIjEEEEZZNS1_33reduce_by_key_impl_wrapped_configILNS1_25lookback_scan_determinismE0ES3_S7_PKmNS0_17constant_iteratorIjlEEPmPlSF_S6_NS0_8equal_toImEEEE10hipError_tPvRmT2_T3_mT4_T5_T6_T7_T8_P12ihipStream_tbENKUlT_T0_E_clISt17integral_constantIbLb1EESZ_EEDaSU_SV_EUlSU_E_NS1_11comp_targetILNS1_3genE3ELNS1_11target_archE908ELNS1_3gpuE7ELNS1_3repE0EEENS1_30default_config_static_selectorELNS0_4arch9wavefront6targetE0EEEvT1_.kd
    .uniform_work_group_size: 1
    .uses_dynamic_stack: false
    .vgpr_count:     0
    .vgpr_spill_count: 0
    .wavefront_size: 32
  - .args:
      - .offset:         0
        .size:           128
        .value_kind:     by_value
    .group_segment_fixed_size: 0
    .kernarg_segment_align: 8
    .kernarg_segment_size: 128
    .language:       OpenCL C
    .language_version:
      - 2
      - 0
    .max_flat_workgroup_size: 256
    .name:           _ZN7rocprim17ROCPRIM_400000_NS6detail17trampoline_kernelINS0_14default_configENS1_33run_length_encode_config_selectorImjNS0_4plusIjEEEEZZNS1_33reduce_by_key_impl_wrapped_configILNS1_25lookback_scan_determinismE0ES3_S7_PKmNS0_17constant_iteratorIjlEEPmPlSF_S6_NS0_8equal_toImEEEE10hipError_tPvRmT2_T3_mT4_T5_T6_T7_T8_P12ihipStream_tbENKUlT_T0_E_clISt17integral_constantIbLb1EESZ_EEDaSU_SV_EUlSU_E_NS1_11comp_targetILNS1_3genE2ELNS1_11target_archE906ELNS1_3gpuE6ELNS1_3repE0EEENS1_30default_config_static_selectorELNS0_4arch9wavefront6targetE0EEEvT1_
    .private_segment_fixed_size: 0
    .sgpr_count:     0
    .sgpr_spill_count: 0
    .symbol:         _ZN7rocprim17ROCPRIM_400000_NS6detail17trampoline_kernelINS0_14default_configENS1_33run_length_encode_config_selectorImjNS0_4plusIjEEEEZZNS1_33reduce_by_key_impl_wrapped_configILNS1_25lookback_scan_determinismE0ES3_S7_PKmNS0_17constant_iteratorIjlEEPmPlSF_S6_NS0_8equal_toImEEEE10hipError_tPvRmT2_T3_mT4_T5_T6_T7_T8_P12ihipStream_tbENKUlT_T0_E_clISt17integral_constantIbLb1EESZ_EEDaSU_SV_EUlSU_E_NS1_11comp_targetILNS1_3genE2ELNS1_11target_archE906ELNS1_3gpuE6ELNS1_3repE0EEENS1_30default_config_static_selectorELNS0_4arch9wavefront6targetE0EEEvT1_.kd
    .uniform_work_group_size: 1
    .uses_dynamic_stack: false
    .vgpr_count:     0
    .vgpr_spill_count: 0
    .wavefront_size: 32
  - .args:
      - .offset:         0
        .size:           128
        .value_kind:     by_value
    .group_segment_fixed_size: 0
    .kernarg_segment_align: 8
    .kernarg_segment_size: 128
    .language:       OpenCL C
    .language_version:
      - 2
      - 0
    .max_flat_workgroup_size: 512
    .name:           _ZN7rocprim17ROCPRIM_400000_NS6detail17trampoline_kernelINS0_14default_configENS1_33run_length_encode_config_selectorImjNS0_4plusIjEEEEZZNS1_33reduce_by_key_impl_wrapped_configILNS1_25lookback_scan_determinismE0ES3_S7_PKmNS0_17constant_iteratorIjlEEPmPlSF_S6_NS0_8equal_toImEEEE10hipError_tPvRmT2_T3_mT4_T5_T6_T7_T8_P12ihipStream_tbENKUlT_T0_E_clISt17integral_constantIbLb1EESZ_EEDaSU_SV_EUlSU_E_NS1_11comp_targetILNS1_3genE10ELNS1_11target_archE1201ELNS1_3gpuE5ELNS1_3repE0EEENS1_30default_config_static_selectorELNS0_4arch9wavefront6targetE0EEEvT1_
    .private_segment_fixed_size: 0
    .sgpr_count:     0
    .sgpr_spill_count: 0
    .symbol:         _ZN7rocprim17ROCPRIM_400000_NS6detail17trampoline_kernelINS0_14default_configENS1_33run_length_encode_config_selectorImjNS0_4plusIjEEEEZZNS1_33reduce_by_key_impl_wrapped_configILNS1_25lookback_scan_determinismE0ES3_S7_PKmNS0_17constant_iteratorIjlEEPmPlSF_S6_NS0_8equal_toImEEEE10hipError_tPvRmT2_T3_mT4_T5_T6_T7_T8_P12ihipStream_tbENKUlT_T0_E_clISt17integral_constantIbLb1EESZ_EEDaSU_SV_EUlSU_E_NS1_11comp_targetILNS1_3genE10ELNS1_11target_archE1201ELNS1_3gpuE5ELNS1_3repE0EEENS1_30default_config_static_selectorELNS0_4arch9wavefront6targetE0EEEvT1_.kd
    .uniform_work_group_size: 1
    .uses_dynamic_stack: false
    .vgpr_count:     0
    .vgpr_spill_count: 0
    .wavefront_size: 32
  - .args:
      - .offset:         0
        .size:           128
        .value_kind:     by_value
    .group_segment_fixed_size: 0
    .kernarg_segment_align: 8
    .kernarg_segment_size: 128
    .language:       OpenCL C
    .language_version:
      - 2
      - 0
    .max_flat_workgroup_size: 512
    .name:           _ZN7rocprim17ROCPRIM_400000_NS6detail17trampoline_kernelINS0_14default_configENS1_33run_length_encode_config_selectorImjNS0_4plusIjEEEEZZNS1_33reduce_by_key_impl_wrapped_configILNS1_25lookback_scan_determinismE0ES3_S7_PKmNS0_17constant_iteratorIjlEEPmPlSF_S6_NS0_8equal_toImEEEE10hipError_tPvRmT2_T3_mT4_T5_T6_T7_T8_P12ihipStream_tbENKUlT_T0_E_clISt17integral_constantIbLb1EESZ_EEDaSU_SV_EUlSU_E_NS1_11comp_targetILNS1_3genE10ELNS1_11target_archE1200ELNS1_3gpuE4ELNS1_3repE0EEENS1_30default_config_static_selectorELNS0_4arch9wavefront6targetE0EEEvT1_
    .private_segment_fixed_size: 0
    .sgpr_count:     0
    .sgpr_spill_count: 0
    .symbol:         _ZN7rocprim17ROCPRIM_400000_NS6detail17trampoline_kernelINS0_14default_configENS1_33run_length_encode_config_selectorImjNS0_4plusIjEEEEZZNS1_33reduce_by_key_impl_wrapped_configILNS1_25lookback_scan_determinismE0ES3_S7_PKmNS0_17constant_iteratorIjlEEPmPlSF_S6_NS0_8equal_toImEEEE10hipError_tPvRmT2_T3_mT4_T5_T6_T7_T8_P12ihipStream_tbENKUlT_T0_E_clISt17integral_constantIbLb1EESZ_EEDaSU_SV_EUlSU_E_NS1_11comp_targetILNS1_3genE10ELNS1_11target_archE1200ELNS1_3gpuE4ELNS1_3repE0EEENS1_30default_config_static_selectorELNS0_4arch9wavefront6targetE0EEEvT1_.kd
    .uniform_work_group_size: 1
    .uses_dynamic_stack: false
    .vgpr_count:     0
    .vgpr_spill_count: 0
    .wavefront_size: 32
  - .args:
      - .offset:         0
        .size:           128
        .value_kind:     by_value
    .group_segment_fixed_size: 0
    .kernarg_segment_align: 8
    .kernarg_segment_size: 128
    .language:       OpenCL C
    .language_version:
      - 2
      - 0
    .max_flat_workgroup_size: 512
    .name:           _ZN7rocprim17ROCPRIM_400000_NS6detail17trampoline_kernelINS0_14default_configENS1_33run_length_encode_config_selectorImjNS0_4plusIjEEEEZZNS1_33reduce_by_key_impl_wrapped_configILNS1_25lookback_scan_determinismE0ES3_S7_PKmNS0_17constant_iteratorIjlEEPmPlSF_S6_NS0_8equal_toImEEEE10hipError_tPvRmT2_T3_mT4_T5_T6_T7_T8_P12ihipStream_tbENKUlT_T0_E_clISt17integral_constantIbLb1EESZ_EEDaSU_SV_EUlSU_E_NS1_11comp_targetILNS1_3genE9ELNS1_11target_archE1100ELNS1_3gpuE3ELNS1_3repE0EEENS1_30default_config_static_selectorELNS0_4arch9wavefront6targetE0EEEvT1_
    .private_segment_fixed_size: 0
    .sgpr_count:     0
    .sgpr_spill_count: 0
    .symbol:         _ZN7rocprim17ROCPRIM_400000_NS6detail17trampoline_kernelINS0_14default_configENS1_33run_length_encode_config_selectorImjNS0_4plusIjEEEEZZNS1_33reduce_by_key_impl_wrapped_configILNS1_25lookback_scan_determinismE0ES3_S7_PKmNS0_17constant_iteratorIjlEEPmPlSF_S6_NS0_8equal_toImEEEE10hipError_tPvRmT2_T3_mT4_T5_T6_T7_T8_P12ihipStream_tbENKUlT_T0_E_clISt17integral_constantIbLb1EESZ_EEDaSU_SV_EUlSU_E_NS1_11comp_targetILNS1_3genE9ELNS1_11target_archE1100ELNS1_3gpuE3ELNS1_3repE0EEENS1_30default_config_static_selectorELNS0_4arch9wavefront6targetE0EEEvT1_.kd
    .uniform_work_group_size: 1
    .uses_dynamic_stack: false
    .vgpr_count:     0
    .vgpr_spill_count: 0
    .wavefront_size: 32
  - .args:
      - .offset:         0
        .size:           128
        .value_kind:     by_value
    .group_segment_fixed_size: 0
    .kernarg_segment_align: 8
    .kernarg_segment_size: 128
    .language:       OpenCL C
    .language_version:
      - 2
      - 0
    .max_flat_workgroup_size: 512
    .name:           _ZN7rocprim17ROCPRIM_400000_NS6detail17trampoline_kernelINS0_14default_configENS1_33run_length_encode_config_selectorImjNS0_4plusIjEEEEZZNS1_33reduce_by_key_impl_wrapped_configILNS1_25lookback_scan_determinismE0ES3_S7_PKmNS0_17constant_iteratorIjlEEPmPlSF_S6_NS0_8equal_toImEEEE10hipError_tPvRmT2_T3_mT4_T5_T6_T7_T8_P12ihipStream_tbENKUlT_T0_E_clISt17integral_constantIbLb1EESZ_EEDaSU_SV_EUlSU_E_NS1_11comp_targetILNS1_3genE8ELNS1_11target_archE1030ELNS1_3gpuE2ELNS1_3repE0EEENS1_30default_config_static_selectorELNS0_4arch9wavefront6targetE0EEEvT1_
    .private_segment_fixed_size: 0
    .sgpr_count:     0
    .sgpr_spill_count: 0
    .symbol:         _ZN7rocprim17ROCPRIM_400000_NS6detail17trampoline_kernelINS0_14default_configENS1_33run_length_encode_config_selectorImjNS0_4plusIjEEEEZZNS1_33reduce_by_key_impl_wrapped_configILNS1_25lookback_scan_determinismE0ES3_S7_PKmNS0_17constant_iteratorIjlEEPmPlSF_S6_NS0_8equal_toImEEEE10hipError_tPvRmT2_T3_mT4_T5_T6_T7_T8_P12ihipStream_tbENKUlT_T0_E_clISt17integral_constantIbLb1EESZ_EEDaSU_SV_EUlSU_E_NS1_11comp_targetILNS1_3genE8ELNS1_11target_archE1030ELNS1_3gpuE2ELNS1_3repE0EEENS1_30default_config_static_selectorELNS0_4arch9wavefront6targetE0EEEvT1_.kd
    .uniform_work_group_size: 1
    .uses_dynamic_stack: false
    .vgpr_count:     0
    .vgpr_spill_count: 0
    .wavefront_size: 32
  - .args:
      - .offset:         0
        .size:           128
        .value_kind:     by_value
    .group_segment_fixed_size: 0
    .kernarg_segment_align: 8
    .kernarg_segment_size: 128
    .language:       OpenCL C
    .language_version:
      - 2
      - 0
    .max_flat_workgroup_size: 256
    .name:           _ZN7rocprim17ROCPRIM_400000_NS6detail17trampoline_kernelINS0_14default_configENS1_33run_length_encode_config_selectorImjNS0_4plusIjEEEEZZNS1_33reduce_by_key_impl_wrapped_configILNS1_25lookback_scan_determinismE0ES3_S7_PKmNS0_17constant_iteratorIjlEEPmPlSF_S6_NS0_8equal_toImEEEE10hipError_tPvRmT2_T3_mT4_T5_T6_T7_T8_P12ihipStream_tbENKUlT_T0_E_clISt17integral_constantIbLb1EESY_IbLb0EEEEDaSU_SV_EUlSU_E_NS1_11comp_targetILNS1_3genE0ELNS1_11target_archE4294967295ELNS1_3gpuE0ELNS1_3repE0EEENS1_30default_config_static_selectorELNS0_4arch9wavefront6targetE0EEEvT1_
    .private_segment_fixed_size: 0
    .sgpr_count:     0
    .sgpr_spill_count: 0
    .symbol:         _ZN7rocprim17ROCPRIM_400000_NS6detail17trampoline_kernelINS0_14default_configENS1_33run_length_encode_config_selectorImjNS0_4plusIjEEEEZZNS1_33reduce_by_key_impl_wrapped_configILNS1_25lookback_scan_determinismE0ES3_S7_PKmNS0_17constant_iteratorIjlEEPmPlSF_S6_NS0_8equal_toImEEEE10hipError_tPvRmT2_T3_mT4_T5_T6_T7_T8_P12ihipStream_tbENKUlT_T0_E_clISt17integral_constantIbLb1EESY_IbLb0EEEEDaSU_SV_EUlSU_E_NS1_11comp_targetILNS1_3genE0ELNS1_11target_archE4294967295ELNS1_3gpuE0ELNS1_3repE0EEENS1_30default_config_static_selectorELNS0_4arch9wavefront6targetE0EEEvT1_.kd
    .uniform_work_group_size: 1
    .uses_dynamic_stack: false
    .vgpr_count:     0
    .vgpr_spill_count: 0
    .wavefront_size: 32
  - .args:
      - .offset:         0
        .size:           128
        .value_kind:     by_value
    .group_segment_fixed_size: 0
    .kernarg_segment_align: 8
    .kernarg_segment_size: 128
    .language:       OpenCL C
    .language_version:
      - 2
      - 0
    .max_flat_workgroup_size: 512
    .name:           _ZN7rocprim17ROCPRIM_400000_NS6detail17trampoline_kernelINS0_14default_configENS1_33run_length_encode_config_selectorImjNS0_4plusIjEEEEZZNS1_33reduce_by_key_impl_wrapped_configILNS1_25lookback_scan_determinismE0ES3_S7_PKmNS0_17constant_iteratorIjlEEPmPlSF_S6_NS0_8equal_toImEEEE10hipError_tPvRmT2_T3_mT4_T5_T6_T7_T8_P12ihipStream_tbENKUlT_T0_E_clISt17integral_constantIbLb1EESY_IbLb0EEEEDaSU_SV_EUlSU_E_NS1_11comp_targetILNS1_3genE5ELNS1_11target_archE942ELNS1_3gpuE9ELNS1_3repE0EEENS1_30default_config_static_selectorELNS0_4arch9wavefront6targetE0EEEvT1_
    .private_segment_fixed_size: 0
    .sgpr_count:     0
    .sgpr_spill_count: 0
    .symbol:         _ZN7rocprim17ROCPRIM_400000_NS6detail17trampoline_kernelINS0_14default_configENS1_33run_length_encode_config_selectorImjNS0_4plusIjEEEEZZNS1_33reduce_by_key_impl_wrapped_configILNS1_25lookback_scan_determinismE0ES3_S7_PKmNS0_17constant_iteratorIjlEEPmPlSF_S6_NS0_8equal_toImEEEE10hipError_tPvRmT2_T3_mT4_T5_T6_T7_T8_P12ihipStream_tbENKUlT_T0_E_clISt17integral_constantIbLb1EESY_IbLb0EEEEDaSU_SV_EUlSU_E_NS1_11comp_targetILNS1_3genE5ELNS1_11target_archE942ELNS1_3gpuE9ELNS1_3repE0EEENS1_30default_config_static_selectorELNS0_4arch9wavefront6targetE0EEEvT1_.kd
    .uniform_work_group_size: 1
    .uses_dynamic_stack: false
    .vgpr_count:     0
    .vgpr_spill_count: 0
    .wavefront_size: 32
  - .args:
      - .offset:         0
        .size:           128
        .value_kind:     by_value
    .group_segment_fixed_size: 0
    .kernarg_segment_align: 8
    .kernarg_segment_size: 128
    .language:       OpenCL C
    .language_version:
      - 2
      - 0
    .max_flat_workgroup_size: 256
    .name:           _ZN7rocprim17ROCPRIM_400000_NS6detail17trampoline_kernelINS0_14default_configENS1_33run_length_encode_config_selectorImjNS0_4plusIjEEEEZZNS1_33reduce_by_key_impl_wrapped_configILNS1_25lookback_scan_determinismE0ES3_S7_PKmNS0_17constant_iteratorIjlEEPmPlSF_S6_NS0_8equal_toImEEEE10hipError_tPvRmT2_T3_mT4_T5_T6_T7_T8_P12ihipStream_tbENKUlT_T0_E_clISt17integral_constantIbLb1EESY_IbLb0EEEEDaSU_SV_EUlSU_E_NS1_11comp_targetILNS1_3genE4ELNS1_11target_archE910ELNS1_3gpuE8ELNS1_3repE0EEENS1_30default_config_static_selectorELNS0_4arch9wavefront6targetE0EEEvT1_
    .private_segment_fixed_size: 0
    .sgpr_count:     0
    .sgpr_spill_count: 0
    .symbol:         _ZN7rocprim17ROCPRIM_400000_NS6detail17trampoline_kernelINS0_14default_configENS1_33run_length_encode_config_selectorImjNS0_4plusIjEEEEZZNS1_33reduce_by_key_impl_wrapped_configILNS1_25lookback_scan_determinismE0ES3_S7_PKmNS0_17constant_iteratorIjlEEPmPlSF_S6_NS0_8equal_toImEEEE10hipError_tPvRmT2_T3_mT4_T5_T6_T7_T8_P12ihipStream_tbENKUlT_T0_E_clISt17integral_constantIbLb1EESY_IbLb0EEEEDaSU_SV_EUlSU_E_NS1_11comp_targetILNS1_3genE4ELNS1_11target_archE910ELNS1_3gpuE8ELNS1_3repE0EEENS1_30default_config_static_selectorELNS0_4arch9wavefront6targetE0EEEvT1_.kd
    .uniform_work_group_size: 1
    .uses_dynamic_stack: false
    .vgpr_count:     0
    .vgpr_spill_count: 0
    .wavefront_size: 32
  - .args:
      - .offset:         0
        .size:           128
        .value_kind:     by_value
    .group_segment_fixed_size: 0
    .kernarg_segment_align: 8
    .kernarg_segment_size: 128
    .language:       OpenCL C
    .language_version:
      - 2
      - 0
    .max_flat_workgroup_size: 256
    .name:           _ZN7rocprim17ROCPRIM_400000_NS6detail17trampoline_kernelINS0_14default_configENS1_33run_length_encode_config_selectorImjNS0_4plusIjEEEEZZNS1_33reduce_by_key_impl_wrapped_configILNS1_25lookback_scan_determinismE0ES3_S7_PKmNS0_17constant_iteratorIjlEEPmPlSF_S6_NS0_8equal_toImEEEE10hipError_tPvRmT2_T3_mT4_T5_T6_T7_T8_P12ihipStream_tbENKUlT_T0_E_clISt17integral_constantIbLb1EESY_IbLb0EEEEDaSU_SV_EUlSU_E_NS1_11comp_targetILNS1_3genE3ELNS1_11target_archE908ELNS1_3gpuE7ELNS1_3repE0EEENS1_30default_config_static_selectorELNS0_4arch9wavefront6targetE0EEEvT1_
    .private_segment_fixed_size: 0
    .sgpr_count:     0
    .sgpr_spill_count: 0
    .symbol:         _ZN7rocprim17ROCPRIM_400000_NS6detail17trampoline_kernelINS0_14default_configENS1_33run_length_encode_config_selectorImjNS0_4plusIjEEEEZZNS1_33reduce_by_key_impl_wrapped_configILNS1_25lookback_scan_determinismE0ES3_S7_PKmNS0_17constant_iteratorIjlEEPmPlSF_S6_NS0_8equal_toImEEEE10hipError_tPvRmT2_T3_mT4_T5_T6_T7_T8_P12ihipStream_tbENKUlT_T0_E_clISt17integral_constantIbLb1EESY_IbLb0EEEEDaSU_SV_EUlSU_E_NS1_11comp_targetILNS1_3genE3ELNS1_11target_archE908ELNS1_3gpuE7ELNS1_3repE0EEENS1_30default_config_static_selectorELNS0_4arch9wavefront6targetE0EEEvT1_.kd
    .uniform_work_group_size: 1
    .uses_dynamic_stack: false
    .vgpr_count:     0
    .vgpr_spill_count: 0
    .wavefront_size: 32
  - .args:
      - .offset:         0
        .size:           128
        .value_kind:     by_value
    .group_segment_fixed_size: 0
    .kernarg_segment_align: 8
    .kernarg_segment_size: 128
    .language:       OpenCL C
    .language_version:
      - 2
      - 0
    .max_flat_workgroup_size: 256
    .name:           _ZN7rocprim17ROCPRIM_400000_NS6detail17trampoline_kernelINS0_14default_configENS1_33run_length_encode_config_selectorImjNS0_4plusIjEEEEZZNS1_33reduce_by_key_impl_wrapped_configILNS1_25lookback_scan_determinismE0ES3_S7_PKmNS0_17constant_iteratorIjlEEPmPlSF_S6_NS0_8equal_toImEEEE10hipError_tPvRmT2_T3_mT4_T5_T6_T7_T8_P12ihipStream_tbENKUlT_T0_E_clISt17integral_constantIbLb1EESY_IbLb0EEEEDaSU_SV_EUlSU_E_NS1_11comp_targetILNS1_3genE2ELNS1_11target_archE906ELNS1_3gpuE6ELNS1_3repE0EEENS1_30default_config_static_selectorELNS0_4arch9wavefront6targetE0EEEvT1_
    .private_segment_fixed_size: 0
    .sgpr_count:     0
    .sgpr_spill_count: 0
    .symbol:         _ZN7rocprim17ROCPRIM_400000_NS6detail17trampoline_kernelINS0_14default_configENS1_33run_length_encode_config_selectorImjNS0_4plusIjEEEEZZNS1_33reduce_by_key_impl_wrapped_configILNS1_25lookback_scan_determinismE0ES3_S7_PKmNS0_17constant_iteratorIjlEEPmPlSF_S6_NS0_8equal_toImEEEE10hipError_tPvRmT2_T3_mT4_T5_T6_T7_T8_P12ihipStream_tbENKUlT_T0_E_clISt17integral_constantIbLb1EESY_IbLb0EEEEDaSU_SV_EUlSU_E_NS1_11comp_targetILNS1_3genE2ELNS1_11target_archE906ELNS1_3gpuE6ELNS1_3repE0EEENS1_30default_config_static_selectorELNS0_4arch9wavefront6targetE0EEEvT1_.kd
    .uniform_work_group_size: 1
    .uses_dynamic_stack: false
    .vgpr_count:     0
    .vgpr_spill_count: 0
    .wavefront_size: 32
  - .args:
      - .offset:         0
        .size:           128
        .value_kind:     by_value
    .group_segment_fixed_size: 0
    .kernarg_segment_align: 8
    .kernarg_segment_size: 128
    .language:       OpenCL C
    .language_version:
      - 2
      - 0
    .max_flat_workgroup_size: 512
    .name:           _ZN7rocprim17ROCPRIM_400000_NS6detail17trampoline_kernelINS0_14default_configENS1_33run_length_encode_config_selectorImjNS0_4plusIjEEEEZZNS1_33reduce_by_key_impl_wrapped_configILNS1_25lookback_scan_determinismE0ES3_S7_PKmNS0_17constant_iteratorIjlEEPmPlSF_S6_NS0_8equal_toImEEEE10hipError_tPvRmT2_T3_mT4_T5_T6_T7_T8_P12ihipStream_tbENKUlT_T0_E_clISt17integral_constantIbLb1EESY_IbLb0EEEEDaSU_SV_EUlSU_E_NS1_11comp_targetILNS1_3genE10ELNS1_11target_archE1201ELNS1_3gpuE5ELNS1_3repE0EEENS1_30default_config_static_selectorELNS0_4arch9wavefront6targetE0EEEvT1_
    .private_segment_fixed_size: 0
    .sgpr_count:     0
    .sgpr_spill_count: 0
    .symbol:         _ZN7rocprim17ROCPRIM_400000_NS6detail17trampoline_kernelINS0_14default_configENS1_33run_length_encode_config_selectorImjNS0_4plusIjEEEEZZNS1_33reduce_by_key_impl_wrapped_configILNS1_25lookback_scan_determinismE0ES3_S7_PKmNS0_17constant_iteratorIjlEEPmPlSF_S6_NS0_8equal_toImEEEE10hipError_tPvRmT2_T3_mT4_T5_T6_T7_T8_P12ihipStream_tbENKUlT_T0_E_clISt17integral_constantIbLb1EESY_IbLb0EEEEDaSU_SV_EUlSU_E_NS1_11comp_targetILNS1_3genE10ELNS1_11target_archE1201ELNS1_3gpuE5ELNS1_3repE0EEENS1_30default_config_static_selectorELNS0_4arch9wavefront6targetE0EEEvT1_.kd
    .uniform_work_group_size: 1
    .uses_dynamic_stack: false
    .vgpr_count:     0
    .vgpr_spill_count: 0
    .wavefront_size: 32
  - .args:
      - .offset:         0
        .size:           128
        .value_kind:     by_value
    .group_segment_fixed_size: 0
    .kernarg_segment_align: 8
    .kernarg_segment_size: 128
    .language:       OpenCL C
    .language_version:
      - 2
      - 0
    .max_flat_workgroup_size: 512
    .name:           _ZN7rocprim17ROCPRIM_400000_NS6detail17trampoline_kernelINS0_14default_configENS1_33run_length_encode_config_selectorImjNS0_4plusIjEEEEZZNS1_33reduce_by_key_impl_wrapped_configILNS1_25lookback_scan_determinismE0ES3_S7_PKmNS0_17constant_iteratorIjlEEPmPlSF_S6_NS0_8equal_toImEEEE10hipError_tPvRmT2_T3_mT4_T5_T6_T7_T8_P12ihipStream_tbENKUlT_T0_E_clISt17integral_constantIbLb1EESY_IbLb0EEEEDaSU_SV_EUlSU_E_NS1_11comp_targetILNS1_3genE10ELNS1_11target_archE1200ELNS1_3gpuE4ELNS1_3repE0EEENS1_30default_config_static_selectorELNS0_4arch9wavefront6targetE0EEEvT1_
    .private_segment_fixed_size: 0
    .sgpr_count:     0
    .sgpr_spill_count: 0
    .symbol:         _ZN7rocprim17ROCPRIM_400000_NS6detail17trampoline_kernelINS0_14default_configENS1_33run_length_encode_config_selectorImjNS0_4plusIjEEEEZZNS1_33reduce_by_key_impl_wrapped_configILNS1_25lookback_scan_determinismE0ES3_S7_PKmNS0_17constant_iteratorIjlEEPmPlSF_S6_NS0_8equal_toImEEEE10hipError_tPvRmT2_T3_mT4_T5_T6_T7_T8_P12ihipStream_tbENKUlT_T0_E_clISt17integral_constantIbLb1EESY_IbLb0EEEEDaSU_SV_EUlSU_E_NS1_11comp_targetILNS1_3genE10ELNS1_11target_archE1200ELNS1_3gpuE4ELNS1_3repE0EEENS1_30default_config_static_selectorELNS0_4arch9wavefront6targetE0EEEvT1_.kd
    .uniform_work_group_size: 1
    .uses_dynamic_stack: false
    .vgpr_count:     0
    .vgpr_spill_count: 0
    .wavefront_size: 32
  - .args:
      - .offset:         0
        .size:           128
        .value_kind:     by_value
    .group_segment_fixed_size: 0
    .kernarg_segment_align: 8
    .kernarg_segment_size: 128
    .language:       OpenCL C
    .language_version:
      - 2
      - 0
    .max_flat_workgroup_size: 512
    .name:           _ZN7rocprim17ROCPRIM_400000_NS6detail17trampoline_kernelINS0_14default_configENS1_33run_length_encode_config_selectorImjNS0_4plusIjEEEEZZNS1_33reduce_by_key_impl_wrapped_configILNS1_25lookback_scan_determinismE0ES3_S7_PKmNS0_17constant_iteratorIjlEEPmPlSF_S6_NS0_8equal_toImEEEE10hipError_tPvRmT2_T3_mT4_T5_T6_T7_T8_P12ihipStream_tbENKUlT_T0_E_clISt17integral_constantIbLb1EESY_IbLb0EEEEDaSU_SV_EUlSU_E_NS1_11comp_targetILNS1_3genE9ELNS1_11target_archE1100ELNS1_3gpuE3ELNS1_3repE0EEENS1_30default_config_static_selectorELNS0_4arch9wavefront6targetE0EEEvT1_
    .private_segment_fixed_size: 0
    .sgpr_count:     0
    .sgpr_spill_count: 0
    .symbol:         _ZN7rocprim17ROCPRIM_400000_NS6detail17trampoline_kernelINS0_14default_configENS1_33run_length_encode_config_selectorImjNS0_4plusIjEEEEZZNS1_33reduce_by_key_impl_wrapped_configILNS1_25lookback_scan_determinismE0ES3_S7_PKmNS0_17constant_iteratorIjlEEPmPlSF_S6_NS0_8equal_toImEEEE10hipError_tPvRmT2_T3_mT4_T5_T6_T7_T8_P12ihipStream_tbENKUlT_T0_E_clISt17integral_constantIbLb1EESY_IbLb0EEEEDaSU_SV_EUlSU_E_NS1_11comp_targetILNS1_3genE9ELNS1_11target_archE1100ELNS1_3gpuE3ELNS1_3repE0EEENS1_30default_config_static_selectorELNS0_4arch9wavefront6targetE0EEEvT1_.kd
    .uniform_work_group_size: 1
    .uses_dynamic_stack: false
    .vgpr_count:     0
    .vgpr_spill_count: 0
    .wavefront_size: 32
  - .args:
      - .offset:         0
        .size:           128
        .value_kind:     by_value
    .group_segment_fixed_size: 0
    .kernarg_segment_align: 8
    .kernarg_segment_size: 128
    .language:       OpenCL C
    .language_version:
      - 2
      - 0
    .max_flat_workgroup_size: 512
    .name:           _ZN7rocprim17ROCPRIM_400000_NS6detail17trampoline_kernelINS0_14default_configENS1_33run_length_encode_config_selectorImjNS0_4plusIjEEEEZZNS1_33reduce_by_key_impl_wrapped_configILNS1_25lookback_scan_determinismE0ES3_S7_PKmNS0_17constant_iteratorIjlEEPmPlSF_S6_NS0_8equal_toImEEEE10hipError_tPvRmT2_T3_mT4_T5_T6_T7_T8_P12ihipStream_tbENKUlT_T0_E_clISt17integral_constantIbLb1EESY_IbLb0EEEEDaSU_SV_EUlSU_E_NS1_11comp_targetILNS1_3genE8ELNS1_11target_archE1030ELNS1_3gpuE2ELNS1_3repE0EEENS1_30default_config_static_selectorELNS0_4arch9wavefront6targetE0EEEvT1_
    .private_segment_fixed_size: 0
    .sgpr_count:     0
    .sgpr_spill_count: 0
    .symbol:         _ZN7rocprim17ROCPRIM_400000_NS6detail17trampoline_kernelINS0_14default_configENS1_33run_length_encode_config_selectorImjNS0_4plusIjEEEEZZNS1_33reduce_by_key_impl_wrapped_configILNS1_25lookback_scan_determinismE0ES3_S7_PKmNS0_17constant_iteratorIjlEEPmPlSF_S6_NS0_8equal_toImEEEE10hipError_tPvRmT2_T3_mT4_T5_T6_T7_T8_P12ihipStream_tbENKUlT_T0_E_clISt17integral_constantIbLb1EESY_IbLb0EEEEDaSU_SV_EUlSU_E_NS1_11comp_targetILNS1_3genE8ELNS1_11target_archE1030ELNS1_3gpuE2ELNS1_3repE0EEENS1_30default_config_static_selectorELNS0_4arch9wavefront6targetE0EEEvT1_.kd
    .uniform_work_group_size: 1
    .uses_dynamic_stack: false
    .vgpr_count:     0
    .vgpr_spill_count: 0
    .wavefront_size: 32
  - .args:
      - .offset:         0
        .size:           128
        .value_kind:     by_value
    .group_segment_fixed_size: 30720
    .kernarg_segment_align: 8
    .kernarg_segment_size: 128
    .language:       OpenCL C
    .language_version:
      - 2
      - 0
    .max_flat_workgroup_size: 256
    .name:           _ZN7rocprim17ROCPRIM_400000_NS6detail17trampoline_kernelINS0_14default_configENS1_33run_length_encode_config_selectorImjNS0_4plusIjEEEEZZNS1_33reduce_by_key_impl_wrapped_configILNS1_25lookback_scan_determinismE0ES3_S7_PKmNS0_17constant_iteratorIjlEEPmPlSF_S6_NS0_8equal_toImEEEE10hipError_tPvRmT2_T3_mT4_T5_T6_T7_T8_P12ihipStream_tbENKUlT_T0_E_clISt17integral_constantIbLb0EESY_IbLb1EEEEDaSU_SV_EUlSU_E_NS1_11comp_targetILNS1_3genE0ELNS1_11target_archE4294967295ELNS1_3gpuE0ELNS1_3repE0EEENS1_30default_config_static_selectorELNS0_4arch9wavefront6targetE0EEEvT1_
    .private_segment_fixed_size: 0
    .sgpr_count:     48
    .sgpr_spill_count: 0
    .symbol:         _ZN7rocprim17ROCPRIM_400000_NS6detail17trampoline_kernelINS0_14default_configENS1_33run_length_encode_config_selectorImjNS0_4plusIjEEEEZZNS1_33reduce_by_key_impl_wrapped_configILNS1_25lookback_scan_determinismE0ES3_S7_PKmNS0_17constant_iteratorIjlEEPmPlSF_S6_NS0_8equal_toImEEEE10hipError_tPvRmT2_T3_mT4_T5_T6_T7_T8_P12ihipStream_tbENKUlT_T0_E_clISt17integral_constantIbLb0EESY_IbLb1EEEEDaSU_SV_EUlSU_E_NS1_11comp_targetILNS1_3genE0ELNS1_11target_archE4294967295ELNS1_3gpuE0ELNS1_3repE0EEENS1_30default_config_static_selectorELNS0_4arch9wavefront6targetE0EEEvT1_.kd
    .uniform_work_group_size: 1
    .uses_dynamic_stack: false
    .vgpr_count:     101
    .vgpr_spill_count: 0
    .wavefront_size: 32
  - .args:
      - .offset:         0
        .size:           128
        .value_kind:     by_value
    .group_segment_fixed_size: 0
    .kernarg_segment_align: 8
    .kernarg_segment_size: 128
    .language:       OpenCL C
    .language_version:
      - 2
      - 0
    .max_flat_workgroup_size: 512
    .name:           _ZN7rocprim17ROCPRIM_400000_NS6detail17trampoline_kernelINS0_14default_configENS1_33run_length_encode_config_selectorImjNS0_4plusIjEEEEZZNS1_33reduce_by_key_impl_wrapped_configILNS1_25lookback_scan_determinismE0ES3_S7_PKmNS0_17constant_iteratorIjlEEPmPlSF_S6_NS0_8equal_toImEEEE10hipError_tPvRmT2_T3_mT4_T5_T6_T7_T8_P12ihipStream_tbENKUlT_T0_E_clISt17integral_constantIbLb0EESY_IbLb1EEEEDaSU_SV_EUlSU_E_NS1_11comp_targetILNS1_3genE5ELNS1_11target_archE942ELNS1_3gpuE9ELNS1_3repE0EEENS1_30default_config_static_selectorELNS0_4arch9wavefront6targetE0EEEvT1_
    .private_segment_fixed_size: 0
    .sgpr_count:     0
    .sgpr_spill_count: 0
    .symbol:         _ZN7rocprim17ROCPRIM_400000_NS6detail17trampoline_kernelINS0_14default_configENS1_33run_length_encode_config_selectorImjNS0_4plusIjEEEEZZNS1_33reduce_by_key_impl_wrapped_configILNS1_25lookback_scan_determinismE0ES3_S7_PKmNS0_17constant_iteratorIjlEEPmPlSF_S6_NS0_8equal_toImEEEE10hipError_tPvRmT2_T3_mT4_T5_T6_T7_T8_P12ihipStream_tbENKUlT_T0_E_clISt17integral_constantIbLb0EESY_IbLb1EEEEDaSU_SV_EUlSU_E_NS1_11comp_targetILNS1_3genE5ELNS1_11target_archE942ELNS1_3gpuE9ELNS1_3repE0EEENS1_30default_config_static_selectorELNS0_4arch9wavefront6targetE0EEEvT1_.kd
    .uniform_work_group_size: 1
    .uses_dynamic_stack: false
    .vgpr_count:     0
    .vgpr_spill_count: 0
    .wavefront_size: 32
  - .args:
      - .offset:         0
        .size:           128
        .value_kind:     by_value
    .group_segment_fixed_size: 0
    .kernarg_segment_align: 8
    .kernarg_segment_size: 128
    .language:       OpenCL C
    .language_version:
      - 2
      - 0
    .max_flat_workgroup_size: 256
    .name:           _ZN7rocprim17ROCPRIM_400000_NS6detail17trampoline_kernelINS0_14default_configENS1_33run_length_encode_config_selectorImjNS0_4plusIjEEEEZZNS1_33reduce_by_key_impl_wrapped_configILNS1_25lookback_scan_determinismE0ES3_S7_PKmNS0_17constant_iteratorIjlEEPmPlSF_S6_NS0_8equal_toImEEEE10hipError_tPvRmT2_T3_mT4_T5_T6_T7_T8_P12ihipStream_tbENKUlT_T0_E_clISt17integral_constantIbLb0EESY_IbLb1EEEEDaSU_SV_EUlSU_E_NS1_11comp_targetILNS1_3genE4ELNS1_11target_archE910ELNS1_3gpuE8ELNS1_3repE0EEENS1_30default_config_static_selectorELNS0_4arch9wavefront6targetE0EEEvT1_
    .private_segment_fixed_size: 0
    .sgpr_count:     0
    .sgpr_spill_count: 0
    .symbol:         _ZN7rocprim17ROCPRIM_400000_NS6detail17trampoline_kernelINS0_14default_configENS1_33run_length_encode_config_selectorImjNS0_4plusIjEEEEZZNS1_33reduce_by_key_impl_wrapped_configILNS1_25lookback_scan_determinismE0ES3_S7_PKmNS0_17constant_iteratorIjlEEPmPlSF_S6_NS0_8equal_toImEEEE10hipError_tPvRmT2_T3_mT4_T5_T6_T7_T8_P12ihipStream_tbENKUlT_T0_E_clISt17integral_constantIbLb0EESY_IbLb1EEEEDaSU_SV_EUlSU_E_NS1_11comp_targetILNS1_3genE4ELNS1_11target_archE910ELNS1_3gpuE8ELNS1_3repE0EEENS1_30default_config_static_selectorELNS0_4arch9wavefront6targetE0EEEvT1_.kd
    .uniform_work_group_size: 1
    .uses_dynamic_stack: false
    .vgpr_count:     0
    .vgpr_spill_count: 0
    .wavefront_size: 32
  - .args:
      - .offset:         0
        .size:           128
        .value_kind:     by_value
    .group_segment_fixed_size: 0
    .kernarg_segment_align: 8
    .kernarg_segment_size: 128
    .language:       OpenCL C
    .language_version:
      - 2
      - 0
    .max_flat_workgroup_size: 256
    .name:           _ZN7rocprim17ROCPRIM_400000_NS6detail17trampoline_kernelINS0_14default_configENS1_33run_length_encode_config_selectorImjNS0_4plusIjEEEEZZNS1_33reduce_by_key_impl_wrapped_configILNS1_25lookback_scan_determinismE0ES3_S7_PKmNS0_17constant_iteratorIjlEEPmPlSF_S6_NS0_8equal_toImEEEE10hipError_tPvRmT2_T3_mT4_T5_T6_T7_T8_P12ihipStream_tbENKUlT_T0_E_clISt17integral_constantIbLb0EESY_IbLb1EEEEDaSU_SV_EUlSU_E_NS1_11comp_targetILNS1_3genE3ELNS1_11target_archE908ELNS1_3gpuE7ELNS1_3repE0EEENS1_30default_config_static_selectorELNS0_4arch9wavefront6targetE0EEEvT1_
    .private_segment_fixed_size: 0
    .sgpr_count:     0
    .sgpr_spill_count: 0
    .symbol:         _ZN7rocprim17ROCPRIM_400000_NS6detail17trampoline_kernelINS0_14default_configENS1_33run_length_encode_config_selectorImjNS0_4plusIjEEEEZZNS1_33reduce_by_key_impl_wrapped_configILNS1_25lookback_scan_determinismE0ES3_S7_PKmNS0_17constant_iteratorIjlEEPmPlSF_S6_NS0_8equal_toImEEEE10hipError_tPvRmT2_T3_mT4_T5_T6_T7_T8_P12ihipStream_tbENKUlT_T0_E_clISt17integral_constantIbLb0EESY_IbLb1EEEEDaSU_SV_EUlSU_E_NS1_11comp_targetILNS1_3genE3ELNS1_11target_archE908ELNS1_3gpuE7ELNS1_3repE0EEENS1_30default_config_static_selectorELNS0_4arch9wavefront6targetE0EEEvT1_.kd
    .uniform_work_group_size: 1
    .uses_dynamic_stack: false
    .vgpr_count:     0
    .vgpr_spill_count: 0
    .wavefront_size: 32
  - .args:
      - .offset:         0
        .size:           128
        .value_kind:     by_value
    .group_segment_fixed_size: 0
    .kernarg_segment_align: 8
    .kernarg_segment_size: 128
    .language:       OpenCL C
    .language_version:
      - 2
      - 0
    .max_flat_workgroup_size: 256
    .name:           _ZN7rocprim17ROCPRIM_400000_NS6detail17trampoline_kernelINS0_14default_configENS1_33run_length_encode_config_selectorImjNS0_4plusIjEEEEZZNS1_33reduce_by_key_impl_wrapped_configILNS1_25lookback_scan_determinismE0ES3_S7_PKmNS0_17constant_iteratorIjlEEPmPlSF_S6_NS0_8equal_toImEEEE10hipError_tPvRmT2_T3_mT4_T5_T6_T7_T8_P12ihipStream_tbENKUlT_T0_E_clISt17integral_constantIbLb0EESY_IbLb1EEEEDaSU_SV_EUlSU_E_NS1_11comp_targetILNS1_3genE2ELNS1_11target_archE906ELNS1_3gpuE6ELNS1_3repE0EEENS1_30default_config_static_selectorELNS0_4arch9wavefront6targetE0EEEvT1_
    .private_segment_fixed_size: 0
    .sgpr_count:     0
    .sgpr_spill_count: 0
    .symbol:         _ZN7rocprim17ROCPRIM_400000_NS6detail17trampoline_kernelINS0_14default_configENS1_33run_length_encode_config_selectorImjNS0_4plusIjEEEEZZNS1_33reduce_by_key_impl_wrapped_configILNS1_25lookback_scan_determinismE0ES3_S7_PKmNS0_17constant_iteratorIjlEEPmPlSF_S6_NS0_8equal_toImEEEE10hipError_tPvRmT2_T3_mT4_T5_T6_T7_T8_P12ihipStream_tbENKUlT_T0_E_clISt17integral_constantIbLb0EESY_IbLb1EEEEDaSU_SV_EUlSU_E_NS1_11comp_targetILNS1_3genE2ELNS1_11target_archE906ELNS1_3gpuE6ELNS1_3repE0EEENS1_30default_config_static_selectorELNS0_4arch9wavefront6targetE0EEEvT1_.kd
    .uniform_work_group_size: 1
    .uses_dynamic_stack: false
    .vgpr_count:     0
    .vgpr_spill_count: 0
    .wavefront_size: 32
  - .args:
      - .offset:         0
        .size:           128
        .value_kind:     by_value
    .group_segment_fixed_size: 0
    .kernarg_segment_align: 8
    .kernarg_segment_size: 128
    .language:       OpenCL C
    .language_version:
      - 2
      - 0
    .max_flat_workgroup_size: 512
    .name:           _ZN7rocprim17ROCPRIM_400000_NS6detail17trampoline_kernelINS0_14default_configENS1_33run_length_encode_config_selectorImjNS0_4plusIjEEEEZZNS1_33reduce_by_key_impl_wrapped_configILNS1_25lookback_scan_determinismE0ES3_S7_PKmNS0_17constant_iteratorIjlEEPmPlSF_S6_NS0_8equal_toImEEEE10hipError_tPvRmT2_T3_mT4_T5_T6_T7_T8_P12ihipStream_tbENKUlT_T0_E_clISt17integral_constantIbLb0EESY_IbLb1EEEEDaSU_SV_EUlSU_E_NS1_11comp_targetILNS1_3genE10ELNS1_11target_archE1201ELNS1_3gpuE5ELNS1_3repE0EEENS1_30default_config_static_selectorELNS0_4arch9wavefront6targetE0EEEvT1_
    .private_segment_fixed_size: 0
    .sgpr_count:     0
    .sgpr_spill_count: 0
    .symbol:         _ZN7rocprim17ROCPRIM_400000_NS6detail17trampoline_kernelINS0_14default_configENS1_33run_length_encode_config_selectorImjNS0_4plusIjEEEEZZNS1_33reduce_by_key_impl_wrapped_configILNS1_25lookback_scan_determinismE0ES3_S7_PKmNS0_17constant_iteratorIjlEEPmPlSF_S6_NS0_8equal_toImEEEE10hipError_tPvRmT2_T3_mT4_T5_T6_T7_T8_P12ihipStream_tbENKUlT_T0_E_clISt17integral_constantIbLb0EESY_IbLb1EEEEDaSU_SV_EUlSU_E_NS1_11comp_targetILNS1_3genE10ELNS1_11target_archE1201ELNS1_3gpuE5ELNS1_3repE0EEENS1_30default_config_static_selectorELNS0_4arch9wavefront6targetE0EEEvT1_.kd
    .uniform_work_group_size: 1
    .uses_dynamic_stack: false
    .vgpr_count:     0
    .vgpr_spill_count: 0
    .wavefront_size: 32
  - .args:
      - .offset:         0
        .size:           128
        .value_kind:     by_value
    .group_segment_fixed_size: 0
    .kernarg_segment_align: 8
    .kernarg_segment_size: 128
    .language:       OpenCL C
    .language_version:
      - 2
      - 0
    .max_flat_workgroup_size: 512
    .name:           _ZN7rocprim17ROCPRIM_400000_NS6detail17trampoline_kernelINS0_14default_configENS1_33run_length_encode_config_selectorImjNS0_4plusIjEEEEZZNS1_33reduce_by_key_impl_wrapped_configILNS1_25lookback_scan_determinismE0ES3_S7_PKmNS0_17constant_iteratorIjlEEPmPlSF_S6_NS0_8equal_toImEEEE10hipError_tPvRmT2_T3_mT4_T5_T6_T7_T8_P12ihipStream_tbENKUlT_T0_E_clISt17integral_constantIbLb0EESY_IbLb1EEEEDaSU_SV_EUlSU_E_NS1_11comp_targetILNS1_3genE10ELNS1_11target_archE1200ELNS1_3gpuE4ELNS1_3repE0EEENS1_30default_config_static_selectorELNS0_4arch9wavefront6targetE0EEEvT1_
    .private_segment_fixed_size: 0
    .sgpr_count:     0
    .sgpr_spill_count: 0
    .symbol:         _ZN7rocprim17ROCPRIM_400000_NS6detail17trampoline_kernelINS0_14default_configENS1_33run_length_encode_config_selectorImjNS0_4plusIjEEEEZZNS1_33reduce_by_key_impl_wrapped_configILNS1_25lookback_scan_determinismE0ES3_S7_PKmNS0_17constant_iteratorIjlEEPmPlSF_S6_NS0_8equal_toImEEEE10hipError_tPvRmT2_T3_mT4_T5_T6_T7_T8_P12ihipStream_tbENKUlT_T0_E_clISt17integral_constantIbLb0EESY_IbLb1EEEEDaSU_SV_EUlSU_E_NS1_11comp_targetILNS1_3genE10ELNS1_11target_archE1200ELNS1_3gpuE4ELNS1_3repE0EEENS1_30default_config_static_selectorELNS0_4arch9wavefront6targetE0EEEvT1_.kd
    .uniform_work_group_size: 1
    .uses_dynamic_stack: false
    .vgpr_count:     0
    .vgpr_spill_count: 0
    .wavefront_size: 32
  - .args:
      - .offset:         0
        .size:           128
        .value_kind:     by_value
    .group_segment_fixed_size: 0
    .kernarg_segment_align: 8
    .kernarg_segment_size: 128
    .language:       OpenCL C
    .language_version:
      - 2
      - 0
    .max_flat_workgroup_size: 512
    .name:           _ZN7rocprim17ROCPRIM_400000_NS6detail17trampoline_kernelINS0_14default_configENS1_33run_length_encode_config_selectorImjNS0_4plusIjEEEEZZNS1_33reduce_by_key_impl_wrapped_configILNS1_25lookback_scan_determinismE0ES3_S7_PKmNS0_17constant_iteratorIjlEEPmPlSF_S6_NS0_8equal_toImEEEE10hipError_tPvRmT2_T3_mT4_T5_T6_T7_T8_P12ihipStream_tbENKUlT_T0_E_clISt17integral_constantIbLb0EESY_IbLb1EEEEDaSU_SV_EUlSU_E_NS1_11comp_targetILNS1_3genE9ELNS1_11target_archE1100ELNS1_3gpuE3ELNS1_3repE0EEENS1_30default_config_static_selectorELNS0_4arch9wavefront6targetE0EEEvT1_
    .private_segment_fixed_size: 0
    .sgpr_count:     0
    .sgpr_spill_count: 0
    .symbol:         _ZN7rocprim17ROCPRIM_400000_NS6detail17trampoline_kernelINS0_14default_configENS1_33run_length_encode_config_selectorImjNS0_4plusIjEEEEZZNS1_33reduce_by_key_impl_wrapped_configILNS1_25lookback_scan_determinismE0ES3_S7_PKmNS0_17constant_iteratorIjlEEPmPlSF_S6_NS0_8equal_toImEEEE10hipError_tPvRmT2_T3_mT4_T5_T6_T7_T8_P12ihipStream_tbENKUlT_T0_E_clISt17integral_constantIbLb0EESY_IbLb1EEEEDaSU_SV_EUlSU_E_NS1_11comp_targetILNS1_3genE9ELNS1_11target_archE1100ELNS1_3gpuE3ELNS1_3repE0EEENS1_30default_config_static_selectorELNS0_4arch9wavefront6targetE0EEEvT1_.kd
    .uniform_work_group_size: 1
    .uses_dynamic_stack: false
    .vgpr_count:     0
    .vgpr_spill_count: 0
    .wavefront_size: 32
  - .args:
      - .offset:         0
        .size:           128
        .value_kind:     by_value
    .group_segment_fixed_size: 0
    .kernarg_segment_align: 8
    .kernarg_segment_size: 128
    .language:       OpenCL C
    .language_version:
      - 2
      - 0
    .max_flat_workgroup_size: 512
    .name:           _ZN7rocprim17ROCPRIM_400000_NS6detail17trampoline_kernelINS0_14default_configENS1_33run_length_encode_config_selectorImjNS0_4plusIjEEEEZZNS1_33reduce_by_key_impl_wrapped_configILNS1_25lookback_scan_determinismE0ES3_S7_PKmNS0_17constant_iteratorIjlEEPmPlSF_S6_NS0_8equal_toImEEEE10hipError_tPvRmT2_T3_mT4_T5_T6_T7_T8_P12ihipStream_tbENKUlT_T0_E_clISt17integral_constantIbLb0EESY_IbLb1EEEEDaSU_SV_EUlSU_E_NS1_11comp_targetILNS1_3genE8ELNS1_11target_archE1030ELNS1_3gpuE2ELNS1_3repE0EEENS1_30default_config_static_selectorELNS0_4arch9wavefront6targetE0EEEvT1_
    .private_segment_fixed_size: 0
    .sgpr_count:     0
    .sgpr_spill_count: 0
    .symbol:         _ZN7rocprim17ROCPRIM_400000_NS6detail17trampoline_kernelINS0_14default_configENS1_33run_length_encode_config_selectorImjNS0_4plusIjEEEEZZNS1_33reduce_by_key_impl_wrapped_configILNS1_25lookback_scan_determinismE0ES3_S7_PKmNS0_17constant_iteratorIjlEEPmPlSF_S6_NS0_8equal_toImEEEE10hipError_tPvRmT2_T3_mT4_T5_T6_T7_T8_P12ihipStream_tbENKUlT_T0_E_clISt17integral_constantIbLb0EESY_IbLb1EEEEDaSU_SV_EUlSU_E_NS1_11comp_targetILNS1_3genE8ELNS1_11target_archE1030ELNS1_3gpuE2ELNS1_3repE0EEENS1_30default_config_static_selectorELNS0_4arch9wavefront6targetE0EEEvT1_.kd
    .uniform_work_group_size: 1
    .uses_dynamic_stack: false
    .vgpr_count:     0
    .vgpr_spill_count: 0
    .wavefront_size: 32
  - .args:
      - .offset:         0
        .size:           8
        .value_kind:     by_value
      - .address_space:  global
        .offset:         8
        .size:           8
        .value_kind:     global_buffer
      - .address_space:  global
        .offset:         16
        .size:           8
        .value_kind:     global_buffer
      - .offset:         24
        .size:           4
        .value_kind:     hidden_block_count_x
      - .offset:         28
        .size:           4
        .value_kind:     hidden_block_count_y
      - .offset:         32
        .size:           4
        .value_kind:     hidden_block_count_z
      - .offset:         36
        .size:           2
        .value_kind:     hidden_group_size_x
      - .offset:         38
        .size:           2
        .value_kind:     hidden_group_size_y
      - .offset:         40
        .size:           2
        .value_kind:     hidden_group_size_z
      - .offset:         42
        .size:           2
        .value_kind:     hidden_remainder_x
      - .offset:         44
        .size:           2
        .value_kind:     hidden_remainder_y
      - .offset:         46
        .size:           2
        .value_kind:     hidden_remainder_z
      - .offset:         64
        .size:           8
        .value_kind:     hidden_global_offset_x
      - .offset:         72
        .size:           8
        .value_kind:     hidden_global_offset_y
      - .offset:         80
        .size:           8
        .value_kind:     hidden_global_offset_z
      - .offset:         88
        .size:           2
        .value_kind:     hidden_grid_dims
    .group_segment_fixed_size: 0
    .kernarg_segment_align: 8
    .kernarg_segment_size: 280
    .language:       OpenCL C
    .language_version:
      - 2
      - 0
    .max_flat_workgroup_size: 1024
    .name:           _ZN2at6native8internal12_GLOBAL__N_126adjacent_difference_kernelIPKtEEvlT_Pi
    .private_segment_fixed_size: 0
    .sgpr_count:     20
    .sgpr_spill_count: 0
    .symbol:         _ZN2at6native8internal12_GLOBAL__N_126adjacent_difference_kernelIPKtEEvlT_Pi.kd
    .uniform_work_group_size: 1
    .uses_dynamic_stack: false
    .vgpr_count:     10
    .vgpr_spill_count: 0
    .wavefront_size: 32
  - .args:
      - .offset:         0
        .size:           112
        .value_kind:     by_value
    .group_segment_fixed_size: 15368
    .kernarg_segment_align: 8
    .kernarg_segment_size: 112
    .language:       OpenCL C
    .language_version:
      - 2
      - 0
    .max_flat_workgroup_size: 256
    .name:           _ZN7rocprim17ROCPRIM_400000_NS6detail17trampoline_kernelINS0_14default_configENS1_25partition_config_selectorILNS1_17partition_subalgoE8EtNS0_10empty_typeEbEEZZNS1_14partition_implILS5_8ELb0ES3_jPKtPS6_PKS6_NS0_5tupleIJPtS6_EEENSE_IJSB_SB_EEENS0_18inequality_wrapperIN6hipcub16HIPCUB_304000_NS8EqualityEEEPlJS6_EEE10hipError_tPvRmT3_T4_T5_T6_T7_T9_mT8_P12ihipStream_tbDpT10_ENKUlT_T0_E_clISt17integral_constantIbLb0EES17_EEDaS12_S13_EUlS12_E_NS1_11comp_targetILNS1_3genE0ELNS1_11target_archE4294967295ELNS1_3gpuE0ELNS1_3repE0EEENS1_30default_config_static_selectorELNS0_4arch9wavefront6targetE0EEEvT1_
    .private_segment_fixed_size: 0
    .sgpr_count:     51
    .sgpr_spill_count: 0
    .symbol:         _ZN7rocprim17ROCPRIM_400000_NS6detail17trampoline_kernelINS0_14default_configENS1_25partition_config_selectorILNS1_17partition_subalgoE8EtNS0_10empty_typeEbEEZZNS1_14partition_implILS5_8ELb0ES3_jPKtPS6_PKS6_NS0_5tupleIJPtS6_EEENSE_IJSB_SB_EEENS0_18inequality_wrapperIN6hipcub16HIPCUB_304000_NS8EqualityEEEPlJS6_EEE10hipError_tPvRmT3_T4_T5_T6_T7_T9_mT8_P12ihipStream_tbDpT10_ENKUlT_T0_E_clISt17integral_constantIbLb0EES17_EEDaS12_S13_EUlS12_E_NS1_11comp_targetILNS1_3genE0ELNS1_11target_archE4294967295ELNS1_3gpuE0ELNS1_3repE0EEENS1_30default_config_static_selectorELNS0_4arch9wavefront6targetE0EEEvT1_.kd
    .uniform_work_group_size: 1
    .uses_dynamic_stack: false
    .vgpr_count:     115
    .vgpr_spill_count: 0
    .wavefront_size: 32
  - .args:
      - .offset:         0
        .size:           112
        .value_kind:     by_value
    .group_segment_fixed_size: 0
    .kernarg_segment_align: 8
    .kernarg_segment_size: 112
    .language:       OpenCL C
    .language_version:
      - 2
      - 0
    .max_flat_workgroup_size: 512
    .name:           _ZN7rocprim17ROCPRIM_400000_NS6detail17trampoline_kernelINS0_14default_configENS1_25partition_config_selectorILNS1_17partition_subalgoE8EtNS0_10empty_typeEbEEZZNS1_14partition_implILS5_8ELb0ES3_jPKtPS6_PKS6_NS0_5tupleIJPtS6_EEENSE_IJSB_SB_EEENS0_18inequality_wrapperIN6hipcub16HIPCUB_304000_NS8EqualityEEEPlJS6_EEE10hipError_tPvRmT3_T4_T5_T6_T7_T9_mT8_P12ihipStream_tbDpT10_ENKUlT_T0_E_clISt17integral_constantIbLb0EES17_EEDaS12_S13_EUlS12_E_NS1_11comp_targetILNS1_3genE5ELNS1_11target_archE942ELNS1_3gpuE9ELNS1_3repE0EEENS1_30default_config_static_selectorELNS0_4arch9wavefront6targetE0EEEvT1_
    .private_segment_fixed_size: 0
    .sgpr_count:     0
    .sgpr_spill_count: 0
    .symbol:         _ZN7rocprim17ROCPRIM_400000_NS6detail17trampoline_kernelINS0_14default_configENS1_25partition_config_selectorILNS1_17partition_subalgoE8EtNS0_10empty_typeEbEEZZNS1_14partition_implILS5_8ELb0ES3_jPKtPS6_PKS6_NS0_5tupleIJPtS6_EEENSE_IJSB_SB_EEENS0_18inequality_wrapperIN6hipcub16HIPCUB_304000_NS8EqualityEEEPlJS6_EEE10hipError_tPvRmT3_T4_T5_T6_T7_T9_mT8_P12ihipStream_tbDpT10_ENKUlT_T0_E_clISt17integral_constantIbLb0EES17_EEDaS12_S13_EUlS12_E_NS1_11comp_targetILNS1_3genE5ELNS1_11target_archE942ELNS1_3gpuE9ELNS1_3repE0EEENS1_30default_config_static_selectorELNS0_4arch9wavefront6targetE0EEEvT1_.kd
    .uniform_work_group_size: 1
    .uses_dynamic_stack: false
    .vgpr_count:     0
    .vgpr_spill_count: 0
    .wavefront_size: 32
  - .args:
      - .offset:         0
        .size:           112
        .value_kind:     by_value
    .group_segment_fixed_size: 0
    .kernarg_segment_align: 8
    .kernarg_segment_size: 112
    .language:       OpenCL C
    .language_version:
      - 2
      - 0
    .max_flat_workgroup_size: 256
    .name:           _ZN7rocprim17ROCPRIM_400000_NS6detail17trampoline_kernelINS0_14default_configENS1_25partition_config_selectorILNS1_17partition_subalgoE8EtNS0_10empty_typeEbEEZZNS1_14partition_implILS5_8ELb0ES3_jPKtPS6_PKS6_NS0_5tupleIJPtS6_EEENSE_IJSB_SB_EEENS0_18inequality_wrapperIN6hipcub16HIPCUB_304000_NS8EqualityEEEPlJS6_EEE10hipError_tPvRmT3_T4_T5_T6_T7_T9_mT8_P12ihipStream_tbDpT10_ENKUlT_T0_E_clISt17integral_constantIbLb0EES17_EEDaS12_S13_EUlS12_E_NS1_11comp_targetILNS1_3genE4ELNS1_11target_archE910ELNS1_3gpuE8ELNS1_3repE0EEENS1_30default_config_static_selectorELNS0_4arch9wavefront6targetE0EEEvT1_
    .private_segment_fixed_size: 0
    .sgpr_count:     0
    .sgpr_spill_count: 0
    .symbol:         _ZN7rocprim17ROCPRIM_400000_NS6detail17trampoline_kernelINS0_14default_configENS1_25partition_config_selectorILNS1_17partition_subalgoE8EtNS0_10empty_typeEbEEZZNS1_14partition_implILS5_8ELb0ES3_jPKtPS6_PKS6_NS0_5tupleIJPtS6_EEENSE_IJSB_SB_EEENS0_18inequality_wrapperIN6hipcub16HIPCUB_304000_NS8EqualityEEEPlJS6_EEE10hipError_tPvRmT3_T4_T5_T6_T7_T9_mT8_P12ihipStream_tbDpT10_ENKUlT_T0_E_clISt17integral_constantIbLb0EES17_EEDaS12_S13_EUlS12_E_NS1_11comp_targetILNS1_3genE4ELNS1_11target_archE910ELNS1_3gpuE8ELNS1_3repE0EEENS1_30default_config_static_selectorELNS0_4arch9wavefront6targetE0EEEvT1_.kd
    .uniform_work_group_size: 1
    .uses_dynamic_stack: false
    .vgpr_count:     0
    .vgpr_spill_count: 0
    .wavefront_size: 32
  - .args:
      - .offset:         0
        .size:           112
        .value_kind:     by_value
    .group_segment_fixed_size: 0
    .kernarg_segment_align: 8
    .kernarg_segment_size: 112
    .language:       OpenCL C
    .language_version:
      - 2
      - 0
    .max_flat_workgroup_size: 256
    .name:           _ZN7rocprim17ROCPRIM_400000_NS6detail17trampoline_kernelINS0_14default_configENS1_25partition_config_selectorILNS1_17partition_subalgoE8EtNS0_10empty_typeEbEEZZNS1_14partition_implILS5_8ELb0ES3_jPKtPS6_PKS6_NS0_5tupleIJPtS6_EEENSE_IJSB_SB_EEENS0_18inequality_wrapperIN6hipcub16HIPCUB_304000_NS8EqualityEEEPlJS6_EEE10hipError_tPvRmT3_T4_T5_T6_T7_T9_mT8_P12ihipStream_tbDpT10_ENKUlT_T0_E_clISt17integral_constantIbLb0EES17_EEDaS12_S13_EUlS12_E_NS1_11comp_targetILNS1_3genE3ELNS1_11target_archE908ELNS1_3gpuE7ELNS1_3repE0EEENS1_30default_config_static_selectorELNS0_4arch9wavefront6targetE0EEEvT1_
    .private_segment_fixed_size: 0
    .sgpr_count:     0
    .sgpr_spill_count: 0
    .symbol:         _ZN7rocprim17ROCPRIM_400000_NS6detail17trampoline_kernelINS0_14default_configENS1_25partition_config_selectorILNS1_17partition_subalgoE8EtNS0_10empty_typeEbEEZZNS1_14partition_implILS5_8ELb0ES3_jPKtPS6_PKS6_NS0_5tupleIJPtS6_EEENSE_IJSB_SB_EEENS0_18inequality_wrapperIN6hipcub16HIPCUB_304000_NS8EqualityEEEPlJS6_EEE10hipError_tPvRmT3_T4_T5_T6_T7_T9_mT8_P12ihipStream_tbDpT10_ENKUlT_T0_E_clISt17integral_constantIbLb0EES17_EEDaS12_S13_EUlS12_E_NS1_11comp_targetILNS1_3genE3ELNS1_11target_archE908ELNS1_3gpuE7ELNS1_3repE0EEENS1_30default_config_static_selectorELNS0_4arch9wavefront6targetE0EEEvT1_.kd
    .uniform_work_group_size: 1
    .uses_dynamic_stack: false
    .vgpr_count:     0
    .vgpr_spill_count: 0
    .wavefront_size: 32
  - .args:
      - .offset:         0
        .size:           112
        .value_kind:     by_value
    .group_segment_fixed_size: 0
    .kernarg_segment_align: 8
    .kernarg_segment_size: 112
    .language:       OpenCL C
    .language_version:
      - 2
      - 0
    .max_flat_workgroup_size: 192
    .name:           _ZN7rocprim17ROCPRIM_400000_NS6detail17trampoline_kernelINS0_14default_configENS1_25partition_config_selectorILNS1_17partition_subalgoE8EtNS0_10empty_typeEbEEZZNS1_14partition_implILS5_8ELb0ES3_jPKtPS6_PKS6_NS0_5tupleIJPtS6_EEENSE_IJSB_SB_EEENS0_18inequality_wrapperIN6hipcub16HIPCUB_304000_NS8EqualityEEEPlJS6_EEE10hipError_tPvRmT3_T4_T5_T6_T7_T9_mT8_P12ihipStream_tbDpT10_ENKUlT_T0_E_clISt17integral_constantIbLb0EES17_EEDaS12_S13_EUlS12_E_NS1_11comp_targetILNS1_3genE2ELNS1_11target_archE906ELNS1_3gpuE6ELNS1_3repE0EEENS1_30default_config_static_selectorELNS0_4arch9wavefront6targetE0EEEvT1_
    .private_segment_fixed_size: 0
    .sgpr_count:     0
    .sgpr_spill_count: 0
    .symbol:         _ZN7rocprim17ROCPRIM_400000_NS6detail17trampoline_kernelINS0_14default_configENS1_25partition_config_selectorILNS1_17partition_subalgoE8EtNS0_10empty_typeEbEEZZNS1_14partition_implILS5_8ELb0ES3_jPKtPS6_PKS6_NS0_5tupleIJPtS6_EEENSE_IJSB_SB_EEENS0_18inequality_wrapperIN6hipcub16HIPCUB_304000_NS8EqualityEEEPlJS6_EEE10hipError_tPvRmT3_T4_T5_T6_T7_T9_mT8_P12ihipStream_tbDpT10_ENKUlT_T0_E_clISt17integral_constantIbLb0EES17_EEDaS12_S13_EUlS12_E_NS1_11comp_targetILNS1_3genE2ELNS1_11target_archE906ELNS1_3gpuE6ELNS1_3repE0EEENS1_30default_config_static_selectorELNS0_4arch9wavefront6targetE0EEEvT1_.kd
    .uniform_work_group_size: 1
    .uses_dynamic_stack: false
    .vgpr_count:     0
    .vgpr_spill_count: 0
    .wavefront_size: 32
  - .args:
      - .offset:         0
        .size:           112
        .value_kind:     by_value
    .group_segment_fixed_size: 0
    .kernarg_segment_align: 8
    .kernarg_segment_size: 112
    .language:       OpenCL C
    .language_version:
      - 2
      - 0
    .max_flat_workgroup_size: 256
    .name:           _ZN7rocprim17ROCPRIM_400000_NS6detail17trampoline_kernelINS0_14default_configENS1_25partition_config_selectorILNS1_17partition_subalgoE8EtNS0_10empty_typeEbEEZZNS1_14partition_implILS5_8ELb0ES3_jPKtPS6_PKS6_NS0_5tupleIJPtS6_EEENSE_IJSB_SB_EEENS0_18inequality_wrapperIN6hipcub16HIPCUB_304000_NS8EqualityEEEPlJS6_EEE10hipError_tPvRmT3_T4_T5_T6_T7_T9_mT8_P12ihipStream_tbDpT10_ENKUlT_T0_E_clISt17integral_constantIbLb0EES17_EEDaS12_S13_EUlS12_E_NS1_11comp_targetILNS1_3genE10ELNS1_11target_archE1200ELNS1_3gpuE4ELNS1_3repE0EEENS1_30default_config_static_selectorELNS0_4arch9wavefront6targetE0EEEvT1_
    .private_segment_fixed_size: 0
    .sgpr_count:     0
    .sgpr_spill_count: 0
    .symbol:         _ZN7rocprim17ROCPRIM_400000_NS6detail17trampoline_kernelINS0_14default_configENS1_25partition_config_selectorILNS1_17partition_subalgoE8EtNS0_10empty_typeEbEEZZNS1_14partition_implILS5_8ELb0ES3_jPKtPS6_PKS6_NS0_5tupleIJPtS6_EEENSE_IJSB_SB_EEENS0_18inequality_wrapperIN6hipcub16HIPCUB_304000_NS8EqualityEEEPlJS6_EEE10hipError_tPvRmT3_T4_T5_T6_T7_T9_mT8_P12ihipStream_tbDpT10_ENKUlT_T0_E_clISt17integral_constantIbLb0EES17_EEDaS12_S13_EUlS12_E_NS1_11comp_targetILNS1_3genE10ELNS1_11target_archE1200ELNS1_3gpuE4ELNS1_3repE0EEENS1_30default_config_static_selectorELNS0_4arch9wavefront6targetE0EEEvT1_.kd
    .uniform_work_group_size: 1
    .uses_dynamic_stack: false
    .vgpr_count:     0
    .vgpr_spill_count: 0
    .wavefront_size: 32
  - .args:
      - .offset:         0
        .size:           112
        .value_kind:     by_value
    .group_segment_fixed_size: 0
    .kernarg_segment_align: 8
    .kernarg_segment_size: 112
    .language:       OpenCL C
    .language_version:
      - 2
      - 0
    .max_flat_workgroup_size: 128
    .name:           _ZN7rocprim17ROCPRIM_400000_NS6detail17trampoline_kernelINS0_14default_configENS1_25partition_config_selectorILNS1_17partition_subalgoE8EtNS0_10empty_typeEbEEZZNS1_14partition_implILS5_8ELb0ES3_jPKtPS6_PKS6_NS0_5tupleIJPtS6_EEENSE_IJSB_SB_EEENS0_18inequality_wrapperIN6hipcub16HIPCUB_304000_NS8EqualityEEEPlJS6_EEE10hipError_tPvRmT3_T4_T5_T6_T7_T9_mT8_P12ihipStream_tbDpT10_ENKUlT_T0_E_clISt17integral_constantIbLb0EES17_EEDaS12_S13_EUlS12_E_NS1_11comp_targetILNS1_3genE9ELNS1_11target_archE1100ELNS1_3gpuE3ELNS1_3repE0EEENS1_30default_config_static_selectorELNS0_4arch9wavefront6targetE0EEEvT1_
    .private_segment_fixed_size: 0
    .sgpr_count:     0
    .sgpr_spill_count: 0
    .symbol:         _ZN7rocprim17ROCPRIM_400000_NS6detail17trampoline_kernelINS0_14default_configENS1_25partition_config_selectorILNS1_17partition_subalgoE8EtNS0_10empty_typeEbEEZZNS1_14partition_implILS5_8ELb0ES3_jPKtPS6_PKS6_NS0_5tupleIJPtS6_EEENSE_IJSB_SB_EEENS0_18inequality_wrapperIN6hipcub16HIPCUB_304000_NS8EqualityEEEPlJS6_EEE10hipError_tPvRmT3_T4_T5_T6_T7_T9_mT8_P12ihipStream_tbDpT10_ENKUlT_T0_E_clISt17integral_constantIbLb0EES17_EEDaS12_S13_EUlS12_E_NS1_11comp_targetILNS1_3genE9ELNS1_11target_archE1100ELNS1_3gpuE3ELNS1_3repE0EEENS1_30default_config_static_selectorELNS0_4arch9wavefront6targetE0EEEvT1_.kd
    .uniform_work_group_size: 1
    .uses_dynamic_stack: false
    .vgpr_count:     0
    .vgpr_spill_count: 0
    .wavefront_size: 32
  - .args:
      - .offset:         0
        .size:           112
        .value_kind:     by_value
    .group_segment_fixed_size: 0
    .kernarg_segment_align: 8
    .kernarg_segment_size: 112
    .language:       OpenCL C
    .language_version:
      - 2
      - 0
    .max_flat_workgroup_size: 384
    .name:           _ZN7rocprim17ROCPRIM_400000_NS6detail17trampoline_kernelINS0_14default_configENS1_25partition_config_selectorILNS1_17partition_subalgoE8EtNS0_10empty_typeEbEEZZNS1_14partition_implILS5_8ELb0ES3_jPKtPS6_PKS6_NS0_5tupleIJPtS6_EEENSE_IJSB_SB_EEENS0_18inequality_wrapperIN6hipcub16HIPCUB_304000_NS8EqualityEEEPlJS6_EEE10hipError_tPvRmT3_T4_T5_T6_T7_T9_mT8_P12ihipStream_tbDpT10_ENKUlT_T0_E_clISt17integral_constantIbLb0EES17_EEDaS12_S13_EUlS12_E_NS1_11comp_targetILNS1_3genE8ELNS1_11target_archE1030ELNS1_3gpuE2ELNS1_3repE0EEENS1_30default_config_static_selectorELNS0_4arch9wavefront6targetE0EEEvT1_
    .private_segment_fixed_size: 0
    .sgpr_count:     0
    .sgpr_spill_count: 0
    .symbol:         _ZN7rocprim17ROCPRIM_400000_NS6detail17trampoline_kernelINS0_14default_configENS1_25partition_config_selectorILNS1_17partition_subalgoE8EtNS0_10empty_typeEbEEZZNS1_14partition_implILS5_8ELb0ES3_jPKtPS6_PKS6_NS0_5tupleIJPtS6_EEENSE_IJSB_SB_EEENS0_18inequality_wrapperIN6hipcub16HIPCUB_304000_NS8EqualityEEEPlJS6_EEE10hipError_tPvRmT3_T4_T5_T6_T7_T9_mT8_P12ihipStream_tbDpT10_ENKUlT_T0_E_clISt17integral_constantIbLb0EES17_EEDaS12_S13_EUlS12_E_NS1_11comp_targetILNS1_3genE8ELNS1_11target_archE1030ELNS1_3gpuE2ELNS1_3repE0EEENS1_30default_config_static_selectorELNS0_4arch9wavefront6targetE0EEEvT1_.kd
    .uniform_work_group_size: 1
    .uses_dynamic_stack: false
    .vgpr_count:     0
    .vgpr_spill_count: 0
    .wavefront_size: 32
  - .args:
      - .offset:         0
        .size:           128
        .value_kind:     by_value
    .group_segment_fixed_size: 0
    .kernarg_segment_align: 8
    .kernarg_segment_size: 128
    .language:       OpenCL C
    .language_version:
      - 2
      - 0
    .max_flat_workgroup_size: 256
    .name:           _ZN7rocprim17ROCPRIM_400000_NS6detail17trampoline_kernelINS0_14default_configENS1_25partition_config_selectorILNS1_17partition_subalgoE8EtNS0_10empty_typeEbEEZZNS1_14partition_implILS5_8ELb0ES3_jPKtPS6_PKS6_NS0_5tupleIJPtS6_EEENSE_IJSB_SB_EEENS0_18inequality_wrapperIN6hipcub16HIPCUB_304000_NS8EqualityEEEPlJS6_EEE10hipError_tPvRmT3_T4_T5_T6_T7_T9_mT8_P12ihipStream_tbDpT10_ENKUlT_T0_E_clISt17integral_constantIbLb1EES17_EEDaS12_S13_EUlS12_E_NS1_11comp_targetILNS1_3genE0ELNS1_11target_archE4294967295ELNS1_3gpuE0ELNS1_3repE0EEENS1_30default_config_static_selectorELNS0_4arch9wavefront6targetE0EEEvT1_
    .private_segment_fixed_size: 0
    .sgpr_count:     0
    .sgpr_spill_count: 0
    .symbol:         _ZN7rocprim17ROCPRIM_400000_NS6detail17trampoline_kernelINS0_14default_configENS1_25partition_config_selectorILNS1_17partition_subalgoE8EtNS0_10empty_typeEbEEZZNS1_14partition_implILS5_8ELb0ES3_jPKtPS6_PKS6_NS0_5tupleIJPtS6_EEENSE_IJSB_SB_EEENS0_18inequality_wrapperIN6hipcub16HIPCUB_304000_NS8EqualityEEEPlJS6_EEE10hipError_tPvRmT3_T4_T5_T6_T7_T9_mT8_P12ihipStream_tbDpT10_ENKUlT_T0_E_clISt17integral_constantIbLb1EES17_EEDaS12_S13_EUlS12_E_NS1_11comp_targetILNS1_3genE0ELNS1_11target_archE4294967295ELNS1_3gpuE0ELNS1_3repE0EEENS1_30default_config_static_selectorELNS0_4arch9wavefront6targetE0EEEvT1_.kd
    .uniform_work_group_size: 1
    .uses_dynamic_stack: false
    .vgpr_count:     0
    .vgpr_spill_count: 0
    .wavefront_size: 32
  - .args:
      - .offset:         0
        .size:           128
        .value_kind:     by_value
    .group_segment_fixed_size: 0
    .kernarg_segment_align: 8
    .kernarg_segment_size: 128
    .language:       OpenCL C
    .language_version:
      - 2
      - 0
    .max_flat_workgroup_size: 512
    .name:           _ZN7rocprim17ROCPRIM_400000_NS6detail17trampoline_kernelINS0_14default_configENS1_25partition_config_selectorILNS1_17partition_subalgoE8EtNS0_10empty_typeEbEEZZNS1_14partition_implILS5_8ELb0ES3_jPKtPS6_PKS6_NS0_5tupleIJPtS6_EEENSE_IJSB_SB_EEENS0_18inequality_wrapperIN6hipcub16HIPCUB_304000_NS8EqualityEEEPlJS6_EEE10hipError_tPvRmT3_T4_T5_T6_T7_T9_mT8_P12ihipStream_tbDpT10_ENKUlT_T0_E_clISt17integral_constantIbLb1EES17_EEDaS12_S13_EUlS12_E_NS1_11comp_targetILNS1_3genE5ELNS1_11target_archE942ELNS1_3gpuE9ELNS1_3repE0EEENS1_30default_config_static_selectorELNS0_4arch9wavefront6targetE0EEEvT1_
    .private_segment_fixed_size: 0
    .sgpr_count:     0
    .sgpr_spill_count: 0
    .symbol:         _ZN7rocprim17ROCPRIM_400000_NS6detail17trampoline_kernelINS0_14default_configENS1_25partition_config_selectorILNS1_17partition_subalgoE8EtNS0_10empty_typeEbEEZZNS1_14partition_implILS5_8ELb0ES3_jPKtPS6_PKS6_NS0_5tupleIJPtS6_EEENSE_IJSB_SB_EEENS0_18inequality_wrapperIN6hipcub16HIPCUB_304000_NS8EqualityEEEPlJS6_EEE10hipError_tPvRmT3_T4_T5_T6_T7_T9_mT8_P12ihipStream_tbDpT10_ENKUlT_T0_E_clISt17integral_constantIbLb1EES17_EEDaS12_S13_EUlS12_E_NS1_11comp_targetILNS1_3genE5ELNS1_11target_archE942ELNS1_3gpuE9ELNS1_3repE0EEENS1_30default_config_static_selectorELNS0_4arch9wavefront6targetE0EEEvT1_.kd
    .uniform_work_group_size: 1
    .uses_dynamic_stack: false
    .vgpr_count:     0
    .vgpr_spill_count: 0
    .wavefront_size: 32
  - .args:
      - .offset:         0
        .size:           128
        .value_kind:     by_value
    .group_segment_fixed_size: 0
    .kernarg_segment_align: 8
    .kernarg_segment_size: 128
    .language:       OpenCL C
    .language_version:
      - 2
      - 0
    .max_flat_workgroup_size: 256
    .name:           _ZN7rocprim17ROCPRIM_400000_NS6detail17trampoline_kernelINS0_14default_configENS1_25partition_config_selectorILNS1_17partition_subalgoE8EtNS0_10empty_typeEbEEZZNS1_14partition_implILS5_8ELb0ES3_jPKtPS6_PKS6_NS0_5tupleIJPtS6_EEENSE_IJSB_SB_EEENS0_18inequality_wrapperIN6hipcub16HIPCUB_304000_NS8EqualityEEEPlJS6_EEE10hipError_tPvRmT3_T4_T5_T6_T7_T9_mT8_P12ihipStream_tbDpT10_ENKUlT_T0_E_clISt17integral_constantIbLb1EES17_EEDaS12_S13_EUlS12_E_NS1_11comp_targetILNS1_3genE4ELNS1_11target_archE910ELNS1_3gpuE8ELNS1_3repE0EEENS1_30default_config_static_selectorELNS0_4arch9wavefront6targetE0EEEvT1_
    .private_segment_fixed_size: 0
    .sgpr_count:     0
    .sgpr_spill_count: 0
    .symbol:         _ZN7rocprim17ROCPRIM_400000_NS6detail17trampoline_kernelINS0_14default_configENS1_25partition_config_selectorILNS1_17partition_subalgoE8EtNS0_10empty_typeEbEEZZNS1_14partition_implILS5_8ELb0ES3_jPKtPS6_PKS6_NS0_5tupleIJPtS6_EEENSE_IJSB_SB_EEENS0_18inequality_wrapperIN6hipcub16HIPCUB_304000_NS8EqualityEEEPlJS6_EEE10hipError_tPvRmT3_T4_T5_T6_T7_T9_mT8_P12ihipStream_tbDpT10_ENKUlT_T0_E_clISt17integral_constantIbLb1EES17_EEDaS12_S13_EUlS12_E_NS1_11comp_targetILNS1_3genE4ELNS1_11target_archE910ELNS1_3gpuE8ELNS1_3repE0EEENS1_30default_config_static_selectorELNS0_4arch9wavefront6targetE0EEEvT1_.kd
    .uniform_work_group_size: 1
    .uses_dynamic_stack: false
    .vgpr_count:     0
    .vgpr_spill_count: 0
    .wavefront_size: 32
  - .args:
      - .offset:         0
        .size:           128
        .value_kind:     by_value
    .group_segment_fixed_size: 0
    .kernarg_segment_align: 8
    .kernarg_segment_size: 128
    .language:       OpenCL C
    .language_version:
      - 2
      - 0
    .max_flat_workgroup_size: 256
    .name:           _ZN7rocprim17ROCPRIM_400000_NS6detail17trampoline_kernelINS0_14default_configENS1_25partition_config_selectorILNS1_17partition_subalgoE8EtNS0_10empty_typeEbEEZZNS1_14partition_implILS5_8ELb0ES3_jPKtPS6_PKS6_NS0_5tupleIJPtS6_EEENSE_IJSB_SB_EEENS0_18inequality_wrapperIN6hipcub16HIPCUB_304000_NS8EqualityEEEPlJS6_EEE10hipError_tPvRmT3_T4_T5_T6_T7_T9_mT8_P12ihipStream_tbDpT10_ENKUlT_T0_E_clISt17integral_constantIbLb1EES17_EEDaS12_S13_EUlS12_E_NS1_11comp_targetILNS1_3genE3ELNS1_11target_archE908ELNS1_3gpuE7ELNS1_3repE0EEENS1_30default_config_static_selectorELNS0_4arch9wavefront6targetE0EEEvT1_
    .private_segment_fixed_size: 0
    .sgpr_count:     0
    .sgpr_spill_count: 0
    .symbol:         _ZN7rocprim17ROCPRIM_400000_NS6detail17trampoline_kernelINS0_14default_configENS1_25partition_config_selectorILNS1_17partition_subalgoE8EtNS0_10empty_typeEbEEZZNS1_14partition_implILS5_8ELb0ES3_jPKtPS6_PKS6_NS0_5tupleIJPtS6_EEENSE_IJSB_SB_EEENS0_18inequality_wrapperIN6hipcub16HIPCUB_304000_NS8EqualityEEEPlJS6_EEE10hipError_tPvRmT3_T4_T5_T6_T7_T9_mT8_P12ihipStream_tbDpT10_ENKUlT_T0_E_clISt17integral_constantIbLb1EES17_EEDaS12_S13_EUlS12_E_NS1_11comp_targetILNS1_3genE3ELNS1_11target_archE908ELNS1_3gpuE7ELNS1_3repE0EEENS1_30default_config_static_selectorELNS0_4arch9wavefront6targetE0EEEvT1_.kd
    .uniform_work_group_size: 1
    .uses_dynamic_stack: false
    .vgpr_count:     0
    .vgpr_spill_count: 0
    .wavefront_size: 32
  - .args:
      - .offset:         0
        .size:           128
        .value_kind:     by_value
    .group_segment_fixed_size: 0
    .kernarg_segment_align: 8
    .kernarg_segment_size: 128
    .language:       OpenCL C
    .language_version:
      - 2
      - 0
    .max_flat_workgroup_size: 192
    .name:           _ZN7rocprim17ROCPRIM_400000_NS6detail17trampoline_kernelINS0_14default_configENS1_25partition_config_selectorILNS1_17partition_subalgoE8EtNS0_10empty_typeEbEEZZNS1_14partition_implILS5_8ELb0ES3_jPKtPS6_PKS6_NS0_5tupleIJPtS6_EEENSE_IJSB_SB_EEENS0_18inequality_wrapperIN6hipcub16HIPCUB_304000_NS8EqualityEEEPlJS6_EEE10hipError_tPvRmT3_T4_T5_T6_T7_T9_mT8_P12ihipStream_tbDpT10_ENKUlT_T0_E_clISt17integral_constantIbLb1EES17_EEDaS12_S13_EUlS12_E_NS1_11comp_targetILNS1_3genE2ELNS1_11target_archE906ELNS1_3gpuE6ELNS1_3repE0EEENS1_30default_config_static_selectorELNS0_4arch9wavefront6targetE0EEEvT1_
    .private_segment_fixed_size: 0
    .sgpr_count:     0
    .sgpr_spill_count: 0
    .symbol:         _ZN7rocprim17ROCPRIM_400000_NS6detail17trampoline_kernelINS0_14default_configENS1_25partition_config_selectorILNS1_17partition_subalgoE8EtNS0_10empty_typeEbEEZZNS1_14partition_implILS5_8ELb0ES3_jPKtPS6_PKS6_NS0_5tupleIJPtS6_EEENSE_IJSB_SB_EEENS0_18inequality_wrapperIN6hipcub16HIPCUB_304000_NS8EqualityEEEPlJS6_EEE10hipError_tPvRmT3_T4_T5_T6_T7_T9_mT8_P12ihipStream_tbDpT10_ENKUlT_T0_E_clISt17integral_constantIbLb1EES17_EEDaS12_S13_EUlS12_E_NS1_11comp_targetILNS1_3genE2ELNS1_11target_archE906ELNS1_3gpuE6ELNS1_3repE0EEENS1_30default_config_static_selectorELNS0_4arch9wavefront6targetE0EEEvT1_.kd
    .uniform_work_group_size: 1
    .uses_dynamic_stack: false
    .vgpr_count:     0
    .vgpr_spill_count: 0
    .wavefront_size: 32
  - .args:
      - .offset:         0
        .size:           128
        .value_kind:     by_value
    .group_segment_fixed_size: 0
    .kernarg_segment_align: 8
    .kernarg_segment_size: 128
    .language:       OpenCL C
    .language_version:
      - 2
      - 0
    .max_flat_workgroup_size: 256
    .name:           _ZN7rocprim17ROCPRIM_400000_NS6detail17trampoline_kernelINS0_14default_configENS1_25partition_config_selectorILNS1_17partition_subalgoE8EtNS0_10empty_typeEbEEZZNS1_14partition_implILS5_8ELb0ES3_jPKtPS6_PKS6_NS0_5tupleIJPtS6_EEENSE_IJSB_SB_EEENS0_18inequality_wrapperIN6hipcub16HIPCUB_304000_NS8EqualityEEEPlJS6_EEE10hipError_tPvRmT3_T4_T5_T6_T7_T9_mT8_P12ihipStream_tbDpT10_ENKUlT_T0_E_clISt17integral_constantIbLb1EES17_EEDaS12_S13_EUlS12_E_NS1_11comp_targetILNS1_3genE10ELNS1_11target_archE1200ELNS1_3gpuE4ELNS1_3repE0EEENS1_30default_config_static_selectorELNS0_4arch9wavefront6targetE0EEEvT1_
    .private_segment_fixed_size: 0
    .sgpr_count:     0
    .sgpr_spill_count: 0
    .symbol:         _ZN7rocprim17ROCPRIM_400000_NS6detail17trampoline_kernelINS0_14default_configENS1_25partition_config_selectorILNS1_17partition_subalgoE8EtNS0_10empty_typeEbEEZZNS1_14partition_implILS5_8ELb0ES3_jPKtPS6_PKS6_NS0_5tupleIJPtS6_EEENSE_IJSB_SB_EEENS0_18inequality_wrapperIN6hipcub16HIPCUB_304000_NS8EqualityEEEPlJS6_EEE10hipError_tPvRmT3_T4_T5_T6_T7_T9_mT8_P12ihipStream_tbDpT10_ENKUlT_T0_E_clISt17integral_constantIbLb1EES17_EEDaS12_S13_EUlS12_E_NS1_11comp_targetILNS1_3genE10ELNS1_11target_archE1200ELNS1_3gpuE4ELNS1_3repE0EEENS1_30default_config_static_selectorELNS0_4arch9wavefront6targetE0EEEvT1_.kd
    .uniform_work_group_size: 1
    .uses_dynamic_stack: false
    .vgpr_count:     0
    .vgpr_spill_count: 0
    .wavefront_size: 32
  - .args:
      - .offset:         0
        .size:           128
        .value_kind:     by_value
    .group_segment_fixed_size: 0
    .kernarg_segment_align: 8
    .kernarg_segment_size: 128
    .language:       OpenCL C
    .language_version:
      - 2
      - 0
    .max_flat_workgroup_size: 128
    .name:           _ZN7rocprim17ROCPRIM_400000_NS6detail17trampoline_kernelINS0_14default_configENS1_25partition_config_selectorILNS1_17partition_subalgoE8EtNS0_10empty_typeEbEEZZNS1_14partition_implILS5_8ELb0ES3_jPKtPS6_PKS6_NS0_5tupleIJPtS6_EEENSE_IJSB_SB_EEENS0_18inequality_wrapperIN6hipcub16HIPCUB_304000_NS8EqualityEEEPlJS6_EEE10hipError_tPvRmT3_T4_T5_T6_T7_T9_mT8_P12ihipStream_tbDpT10_ENKUlT_T0_E_clISt17integral_constantIbLb1EES17_EEDaS12_S13_EUlS12_E_NS1_11comp_targetILNS1_3genE9ELNS1_11target_archE1100ELNS1_3gpuE3ELNS1_3repE0EEENS1_30default_config_static_selectorELNS0_4arch9wavefront6targetE0EEEvT1_
    .private_segment_fixed_size: 0
    .sgpr_count:     0
    .sgpr_spill_count: 0
    .symbol:         _ZN7rocprim17ROCPRIM_400000_NS6detail17trampoline_kernelINS0_14default_configENS1_25partition_config_selectorILNS1_17partition_subalgoE8EtNS0_10empty_typeEbEEZZNS1_14partition_implILS5_8ELb0ES3_jPKtPS6_PKS6_NS0_5tupleIJPtS6_EEENSE_IJSB_SB_EEENS0_18inequality_wrapperIN6hipcub16HIPCUB_304000_NS8EqualityEEEPlJS6_EEE10hipError_tPvRmT3_T4_T5_T6_T7_T9_mT8_P12ihipStream_tbDpT10_ENKUlT_T0_E_clISt17integral_constantIbLb1EES17_EEDaS12_S13_EUlS12_E_NS1_11comp_targetILNS1_3genE9ELNS1_11target_archE1100ELNS1_3gpuE3ELNS1_3repE0EEENS1_30default_config_static_selectorELNS0_4arch9wavefront6targetE0EEEvT1_.kd
    .uniform_work_group_size: 1
    .uses_dynamic_stack: false
    .vgpr_count:     0
    .vgpr_spill_count: 0
    .wavefront_size: 32
  - .args:
      - .offset:         0
        .size:           128
        .value_kind:     by_value
    .group_segment_fixed_size: 0
    .kernarg_segment_align: 8
    .kernarg_segment_size: 128
    .language:       OpenCL C
    .language_version:
      - 2
      - 0
    .max_flat_workgroup_size: 384
    .name:           _ZN7rocprim17ROCPRIM_400000_NS6detail17trampoline_kernelINS0_14default_configENS1_25partition_config_selectorILNS1_17partition_subalgoE8EtNS0_10empty_typeEbEEZZNS1_14partition_implILS5_8ELb0ES3_jPKtPS6_PKS6_NS0_5tupleIJPtS6_EEENSE_IJSB_SB_EEENS0_18inequality_wrapperIN6hipcub16HIPCUB_304000_NS8EqualityEEEPlJS6_EEE10hipError_tPvRmT3_T4_T5_T6_T7_T9_mT8_P12ihipStream_tbDpT10_ENKUlT_T0_E_clISt17integral_constantIbLb1EES17_EEDaS12_S13_EUlS12_E_NS1_11comp_targetILNS1_3genE8ELNS1_11target_archE1030ELNS1_3gpuE2ELNS1_3repE0EEENS1_30default_config_static_selectorELNS0_4arch9wavefront6targetE0EEEvT1_
    .private_segment_fixed_size: 0
    .sgpr_count:     0
    .sgpr_spill_count: 0
    .symbol:         _ZN7rocprim17ROCPRIM_400000_NS6detail17trampoline_kernelINS0_14default_configENS1_25partition_config_selectorILNS1_17partition_subalgoE8EtNS0_10empty_typeEbEEZZNS1_14partition_implILS5_8ELb0ES3_jPKtPS6_PKS6_NS0_5tupleIJPtS6_EEENSE_IJSB_SB_EEENS0_18inequality_wrapperIN6hipcub16HIPCUB_304000_NS8EqualityEEEPlJS6_EEE10hipError_tPvRmT3_T4_T5_T6_T7_T9_mT8_P12ihipStream_tbDpT10_ENKUlT_T0_E_clISt17integral_constantIbLb1EES17_EEDaS12_S13_EUlS12_E_NS1_11comp_targetILNS1_3genE8ELNS1_11target_archE1030ELNS1_3gpuE2ELNS1_3repE0EEENS1_30default_config_static_selectorELNS0_4arch9wavefront6targetE0EEEvT1_.kd
    .uniform_work_group_size: 1
    .uses_dynamic_stack: false
    .vgpr_count:     0
    .vgpr_spill_count: 0
    .wavefront_size: 32
  - .args:
      - .offset:         0
        .size:           112
        .value_kind:     by_value
    .group_segment_fixed_size: 0
    .kernarg_segment_align: 8
    .kernarg_segment_size: 112
    .language:       OpenCL C
    .language_version:
      - 2
      - 0
    .max_flat_workgroup_size: 256
    .name:           _ZN7rocprim17ROCPRIM_400000_NS6detail17trampoline_kernelINS0_14default_configENS1_25partition_config_selectorILNS1_17partition_subalgoE8EtNS0_10empty_typeEbEEZZNS1_14partition_implILS5_8ELb0ES3_jPKtPS6_PKS6_NS0_5tupleIJPtS6_EEENSE_IJSB_SB_EEENS0_18inequality_wrapperIN6hipcub16HIPCUB_304000_NS8EqualityEEEPlJS6_EEE10hipError_tPvRmT3_T4_T5_T6_T7_T9_mT8_P12ihipStream_tbDpT10_ENKUlT_T0_E_clISt17integral_constantIbLb1EES16_IbLb0EEEEDaS12_S13_EUlS12_E_NS1_11comp_targetILNS1_3genE0ELNS1_11target_archE4294967295ELNS1_3gpuE0ELNS1_3repE0EEENS1_30default_config_static_selectorELNS0_4arch9wavefront6targetE0EEEvT1_
    .private_segment_fixed_size: 0
    .sgpr_count:     0
    .sgpr_spill_count: 0
    .symbol:         _ZN7rocprim17ROCPRIM_400000_NS6detail17trampoline_kernelINS0_14default_configENS1_25partition_config_selectorILNS1_17partition_subalgoE8EtNS0_10empty_typeEbEEZZNS1_14partition_implILS5_8ELb0ES3_jPKtPS6_PKS6_NS0_5tupleIJPtS6_EEENSE_IJSB_SB_EEENS0_18inequality_wrapperIN6hipcub16HIPCUB_304000_NS8EqualityEEEPlJS6_EEE10hipError_tPvRmT3_T4_T5_T6_T7_T9_mT8_P12ihipStream_tbDpT10_ENKUlT_T0_E_clISt17integral_constantIbLb1EES16_IbLb0EEEEDaS12_S13_EUlS12_E_NS1_11comp_targetILNS1_3genE0ELNS1_11target_archE4294967295ELNS1_3gpuE0ELNS1_3repE0EEENS1_30default_config_static_selectorELNS0_4arch9wavefront6targetE0EEEvT1_.kd
    .uniform_work_group_size: 1
    .uses_dynamic_stack: false
    .vgpr_count:     0
    .vgpr_spill_count: 0
    .wavefront_size: 32
  - .args:
      - .offset:         0
        .size:           112
        .value_kind:     by_value
    .group_segment_fixed_size: 0
    .kernarg_segment_align: 8
    .kernarg_segment_size: 112
    .language:       OpenCL C
    .language_version:
      - 2
      - 0
    .max_flat_workgroup_size: 512
    .name:           _ZN7rocprim17ROCPRIM_400000_NS6detail17trampoline_kernelINS0_14default_configENS1_25partition_config_selectorILNS1_17partition_subalgoE8EtNS0_10empty_typeEbEEZZNS1_14partition_implILS5_8ELb0ES3_jPKtPS6_PKS6_NS0_5tupleIJPtS6_EEENSE_IJSB_SB_EEENS0_18inequality_wrapperIN6hipcub16HIPCUB_304000_NS8EqualityEEEPlJS6_EEE10hipError_tPvRmT3_T4_T5_T6_T7_T9_mT8_P12ihipStream_tbDpT10_ENKUlT_T0_E_clISt17integral_constantIbLb1EES16_IbLb0EEEEDaS12_S13_EUlS12_E_NS1_11comp_targetILNS1_3genE5ELNS1_11target_archE942ELNS1_3gpuE9ELNS1_3repE0EEENS1_30default_config_static_selectorELNS0_4arch9wavefront6targetE0EEEvT1_
    .private_segment_fixed_size: 0
    .sgpr_count:     0
    .sgpr_spill_count: 0
    .symbol:         _ZN7rocprim17ROCPRIM_400000_NS6detail17trampoline_kernelINS0_14default_configENS1_25partition_config_selectorILNS1_17partition_subalgoE8EtNS0_10empty_typeEbEEZZNS1_14partition_implILS5_8ELb0ES3_jPKtPS6_PKS6_NS0_5tupleIJPtS6_EEENSE_IJSB_SB_EEENS0_18inequality_wrapperIN6hipcub16HIPCUB_304000_NS8EqualityEEEPlJS6_EEE10hipError_tPvRmT3_T4_T5_T6_T7_T9_mT8_P12ihipStream_tbDpT10_ENKUlT_T0_E_clISt17integral_constantIbLb1EES16_IbLb0EEEEDaS12_S13_EUlS12_E_NS1_11comp_targetILNS1_3genE5ELNS1_11target_archE942ELNS1_3gpuE9ELNS1_3repE0EEENS1_30default_config_static_selectorELNS0_4arch9wavefront6targetE0EEEvT1_.kd
    .uniform_work_group_size: 1
    .uses_dynamic_stack: false
    .vgpr_count:     0
    .vgpr_spill_count: 0
    .wavefront_size: 32
  - .args:
      - .offset:         0
        .size:           112
        .value_kind:     by_value
    .group_segment_fixed_size: 0
    .kernarg_segment_align: 8
    .kernarg_segment_size: 112
    .language:       OpenCL C
    .language_version:
      - 2
      - 0
    .max_flat_workgroup_size: 256
    .name:           _ZN7rocprim17ROCPRIM_400000_NS6detail17trampoline_kernelINS0_14default_configENS1_25partition_config_selectorILNS1_17partition_subalgoE8EtNS0_10empty_typeEbEEZZNS1_14partition_implILS5_8ELb0ES3_jPKtPS6_PKS6_NS0_5tupleIJPtS6_EEENSE_IJSB_SB_EEENS0_18inequality_wrapperIN6hipcub16HIPCUB_304000_NS8EqualityEEEPlJS6_EEE10hipError_tPvRmT3_T4_T5_T6_T7_T9_mT8_P12ihipStream_tbDpT10_ENKUlT_T0_E_clISt17integral_constantIbLb1EES16_IbLb0EEEEDaS12_S13_EUlS12_E_NS1_11comp_targetILNS1_3genE4ELNS1_11target_archE910ELNS1_3gpuE8ELNS1_3repE0EEENS1_30default_config_static_selectorELNS0_4arch9wavefront6targetE0EEEvT1_
    .private_segment_fixed_size: 0
    .sgpr_count:     0
    .sgpr_spill_count: 0
    .symbol:         _ZN7rocprim17ROCPRIM_400000_NS6detail17trampoline_kernelINS0_14default_configENS1_25partition_config_selectorILNS1_17partition_subalgoE8EtNS0_10empty_typeEbEEZZNS1_14partition_implILS5_8ELb0ES3_jPKtPS6_PKS6_NS0_5tupleIJPtS6_EEENSE_IJSB_SB_EEENS0_18inequality_wrapperIN6hipcub16HIPCUB_304000_NS8EqualityEEEPlJS6_EEE10hipError_tPvRmT3_T4_T5_T6_T7_T9_mT8_P12ihipStream_tbDpT10_ENKUlT_T0_E_clISt17integral_constantIbLb1EES16_IbLb0EEEEDaS12_S13_EUlS12_E_NS1_11comp_targetILNS1_3genE4ELNS1_11target_archE910ELNS1_3gpuE8ELNS1_3repE0EEENS1_30default_config_static_selectorELNS0_4arch9wavefront6targetE0EEEvT1_.kd
    .uniform_work_group_size: 1
    .uses_dynamic_stack: false
    .vgpr_count:     0
    .vgpr_spill_count: 0
    .wavefront_size: 32
  - .args:
      - .offset:         0
        .size:           112
        .value_kind:     by_value
    .group_segment_fixed_size: 0
    .kernarg_segment_align: 8
    .kernarg_segment_size: 112
    .language:       OpenCL C
    .language_version:
      - 2
      - 0
    .max_flat_workgroup_size: 256
    .name:           _ZN7rocprim17ROCPRIM_400000_NS6detail17trampoline_kernelINS0_14default_configENS1_25partition_config_selectorILNS1_17partition_subalgoE8EtNS0_10empty_typeEbEEZZNS1_14partition_implILS5_8ELb0ES3_jPKtPS6_PKS6_NS0_5tupleIJPtS6_EEENSE_IJSB_SB_EEENS0_18inequality_wrapperIN6hipcub16HIPCUB_304000_NS8EqualityEEEPlJS6_EEE10hipError_tPvRmT3_T4_T5_T6_T7_T9_mT8_P12ihipStream_tbDpT10_ENKUlT_T0_E_clISt17integral_constantIbLb1EES16_IbLb0EEEEDaS12_S13_EUlS12_E_NS1_11comp_targetILNS1_3genE3ELNS1_11target_archE908ELNS1_3gpuE7ELNS1_3repE0EEENS1_30default_config_static_selectorELNS0_4arch9wavefront6targetE0EEEvT1_
    .private_segment_fixed_size: 0
    .sgpr_count:     0
    .sgpr_spill_count: 0
    .symbol:         _ZN7rocprim17ROCPRIM_400000_NS6detail17trampoline_kernelINS0_14default_configENS1_25partition_config_selectorILNS1_17partition_subalgoE8EtNS0_10empty_typeEbEEZZNS1_14partition_implILS5_8ELb0ES3_jPKtPS6_PKS6_NS0_5tupleIJPtS6_EEENSE_IJSB_SB_EEENS0_18inequality_wrapperIN6hipcub16HIPCUB_304000_NS8EqualityEEEPlJS6_EEE10hipError_tPvRmT3_T4_T5_T6_T7_T9_mT8_P12ihipStream_tbDpT10_ENKUlT_T0_E_clISt17integral_constantIbLb1EES16_IbLb0EEEEDaS12_S13_EUlS12_E_NS1_11comp_targetILNS1_3genE3ELNS1_11target_archE908ELNS1_3gpuE7ELNS1_3repE0EEENS1_30default_config_static_selectorELNS0_4arch9wavefront6targetE0EEEvT1_.kd
    .uniform_work_group_size: 1
    .uses_dynamic_stack: false
    .vgpr_count:     0
    .vgpr_spill_count: 0
    .wavefront_size: 32
  - .args:
      - .offset:         0
        .size:           112
        .value_kind:     by_value
    .group_segment_fixed_size: 0
    .kernarg_segment_align: 8
    .kernarg_segment_size: 112
    .language:       OpenCL C
    .language_version:
      - 2
      - 0
    .max_flat_workgroup_size: 192
    .name:           _ZN7rocprim17ROCPRIM_400000_NS6detail17trampoline_kernelINS0_14default_configENS1_25partition_config_selectorILNS1_17partition_subalgoE8EtNS0_10empty_typeEbEEZZNS1_14partition_implILS5_8ELb0ES3_jPKtPS6_PKS6_NS0_5tupleIJPtS6_EEENSE_IJSB_SB_EEENS0_18inequality_wrapperIN6hipcub16HIPCUB_304000_NS8EqualityEEEPlJS6_EEE10hipError_tPvRmT3_T4_T5_T6_T7_T9_mT8_P12ihipStream_tbDpT10_ENKUlT_T0_E_clISt17integral_constantIbLb1EES16_IbLb0EEEEDaS12_S13_EUlS12_E_NS1_11comp_targetILNS1_3genE2ELNS1_11target_archE906ELNS1_3gpuE6ELNS1_3repE0EEENS1_30default_config_static_selectorELNS0_4arch9wavefront6targetE0EEEvT1_
    .private_segment_fixed_size: 0
    .sgpr_count:     0
    .sgpr_spill_count: 0
    .symbol:         _ZN7rocprim17ROCPRIM_400000_NS6detail17trampoline_kernelINS0_14default_configENS1_25partition_config_selectorILNS1_17partition_subalgoE8EtNS0_10empty_typeEbEEZZNS1_14partition_implILS5_8ELb0ES3_jPKtPS6_PKS6_NS0_5tupleIJPtS6_EEENSE_IJSB_SB_EEENS0_18inequality_wrapperIN6hipcub16HIPCUB_304000_NS8EqualityEEEPlJS6_EEE10hipError_tPvRmT3_T4_T5_T6_T7_T9_mT8_P12ihipStream_tbDpT10_ENKUlT_T0_E_clISt17integral_constantIbLb1EES16_IbLb0EEEEDaS12_S13_EUlS12_E_NS1_11comp_targetILNS1_3genE2ELNS1_11target_archE906ELNS1_3gpuE6ELNS1_3repE0EEENS1_30default_config_static_selectorELNS0_4arch9wavefront6targetE0EEEvT1_.kd
    .uniform_work_group_size: 1
    .uses_dynamic_stack: false
    .vgpr_count:     0
    .vgpr_spill_count: 0
    .wavefront_size: 32
  - .args:
      - .offset:         0
        .size:           112
        .value_kind:     by_value
    .group_segment_fixed_size: 0
    .kernarg_segment_align: 8
    .kernarg_segment_size: 112
    .language:       OpenCL C
    .language_version:
      - 2
      - 0
    .max_flat_workgroup_size: 256
    .name:           _ZN7rocprim17ROCPRIM_400000_NS6detail17trampoline_kernelINS0_14default_configENS1_25partition_config_selectorILNS1_17partition_subalgoE8EtNS0_10empty_typeEbEEZZNS1_14partition_implILS5_8ELb0ES3_jPKtPS6_PKS6_NS0_5tupleIJPtS6_EEENSE_IJSB_SB_EEENS0_18inequality_wrapperIN6hipcub16HIPCUB_304000_NS8EqualityEEEPlJS6_EEE10hipError_tPvRmT3_T4_T5_T6_T7_T9_mT8_P12ihipStream_tbDpT10_ENKUlT_T0_E_clISt17integral_constantIbLb1EES16_IbLb0EEEEDaS12_S13_EUlS12_E_NS1_11comp_targetILNS1_3genE10ELNS1_11target_archE1200ELNS1_3gpuE4ELNS1_3repE0EEENS1_30default_config_static_selectorELNS0_4arch9wavefront6targetE0EEEvT1_
    .private_segment_fixed_size: 0
    .sgpr_count:     0
    .sgpr_spill_count: 0
    .symbol:         _ZN7rocprim17ROCPRIM_400000_NS6detail17trampoline_kernelINS0_14default_configENS1_25partition_config_selectorILNS1_17partition_subalgoE8EtNS0_10empty_typeEbEEZZNS1_14partition_implILS5_8ELb0ES3_jPKtPS6_PKS6_NS0_5tupleIJPtS6_EEENSE_IJSB_SB_EEENS0_18inequality_wrapperIN6hipcub16HIPCUB_304000_NS8EqualityEEEPlJS6_EEE10hipError_tPvRmT3_T4_T5_T6_T7_T9_mT8_P12ihipStream_tbDpT10_ENKUlT_T0_E_clISt17integral_constantIbLb1EES16_IbLb0EEEEDaS12_S13_EUlS12_E_NS1_11comp_targetILNS1_3genE10ELNS1_11target_archE1200ELNS1_3gpuE4ELNS1_3repE0EEENS1_30default_config_static_selectorELNS0_4arch9wavefront6targetE0EEEvT1_.kd
    .uniform_work_group_size: 1
    .uses_dynamic_stack: false
    .vgpr_count:     0
    .vgpr_spill_count: 0
    .wavefront_size: 32
  - .args:
      - .offset:         0
        .size:           112
        .value_kind:     by_value
    .group_segment_fixed_size: 0
    .kernarg_segment_align: 8
    .kernarg_segment_size: 112
    .language:       OpenCL C
    .language_version:
      - 2
      - 0
    .max_flat_workgroup_size: 128
    .name:           _ZN7rocprim17ROCPRIM_400000_NS6detail17trampoline_kernelINS0_14default_configENS1_25partition_config_selectorILNS1_17partition_subalgoE8EtNS0_10empty_typeEbEEZZNS1_14partition_implILS5_8ELb0ES3_jPKtPS6_PKS6_NS0_5tupleIJPtS6_EEENSE_IJSB_SB_EEENS0_18inequality_wrapperIN6hipcub16HIPCUB_304000_NS8EqualityEEEPlJS6_EEE10hipError_tPvRmT3_T4_T5_T6_T7_T9_mT8_P12ihipStream_tbDpT10_ENKUlT_T0_E_clISt17integral_constantIbLb1EES16_IbLb0EEEEDaS12_S13_EUlS12_E_NS1_11comp_targetILNS1_3genE9ELNS1_11target_archE1100ELNS1_3gpuE3ELNS1_3repE0EEENS1_30default_config_static_selectorELNS0_4arch9wavefront6targetE0EEEvT1_
    .private_segment_fixed_size: 0
    .sgpr_count:     0
    .sgpr_spill_count: 0
    .symbol:         _ZN7rocprim17ROCPRIM_400000_NS6detail17trampoline_kernelINS0_14default_configENS1_25partition_config_selectorILNS1_17partition_subalgoE8EtNS0_10empty_typeEbEEZZNS1_14partition_implILS5_8ELb0ES3_jPKtPS6_PKS6_NS0_5tupleIJPtS6_EEENSE_IJSB_SB_EEENS0_18inequality_wrapperIN6hipcub16HIPCUB_304000_NS8EqualityEEEPlJS6_EEE10hipError_tPvRmT3_T4_T5_T6_T7_T9_mT8_P12ihipStream_tbDpT10_ENKUlT_T0_E_clISt17integral_constantIbLb1EES16_IbLb0EEEEDaS12_S13_EUlS12_E_NS1_11comp_targetILNS1_3genE9ELNS1_11target_archE1100ELNS1_3gpuE3ELNS1_3repE0EEENS1_30default_config_static_selectorELNS0_4arch9wavefront6targetE0EEEvT1_.kd
    .uniform_work_group_size: 1
    .uses_dynamic_stack: false
    .vgpr_count:     0
    .vgpr_spill_count: 0
    .wavefront_size: 32
  - .args:
      - .offset:         0
        .size:           112
        .value_kind:     by_value
    .group_segment_fixed_size: 0
    .kernarg_segment_align: 8
    .kernarg_segment_size: 112
    .language:       OpenCL C
    .language_version:
      - 2
      - 0
    .max_flat_workgroup_size: 384
    .name:           _ZN7rocprim17ROCPRIM_400000_NS6detail17trampoline_kernelINS0_14default_configENS1_25partition_config_selectorILNS1_17partition_subalgoE8EtNS0_10empty_typeEbEEZZNS1_14partition_implILS5_8ELb0ES3_jPKtPS6_PKS6_NS0_5tupleIJPtS6_EEENSE_IJSB_SB_EEENS0_18inequality_wrapperIN6hipcub16HIPCUB_304000_NS8EqualityEEEPlJS6_EEE10hipError_tPvRmT3_T4_T5_T6_T7_T9_mT8_P12ihipStream_tbDpT10_ENKUlT_T0_E_clISt17integral_constantIbLb1EES16_IbLb0EEEEDaS12_S13_EUlS12_E_NS1_11comp_targetILNS1_3genE8ELNS1_11target_archE1030ELNS1_3gpuE2ELNS1_3repE0EEENS1_30default_config_static_selectorELNS0_4arch9wavefront6targetE0EEEvT1_
    .private_segment_fixed_size: 0
    .sgpr_count:     0
    .sgpr_spill_count: 0
    .symbol:         _ZN7rocprim17ROCPRIM_400000_NS6detail17trampoline_kernelINS0_14default_configENS1_25partition_config_selectorILNS1_17partition_subalgoE8EtNS0_10empty_typeEbEEZZNS1_14partition_implILS5_8ELb0ES3_jPKtPS6_PKS6_NS0_5tupleIJPtS6_EEENSE_IJSB_SB_EEENS0_18inequality_wrapperIN6hipcub16HIPCUB_304000_NS8EqualityEEEPlJS6_EEE10hipError_tPvRmT3_T4_T5_T6_T7_T9_mT8_P12ihipStream_tbDpT10_ENKUlT_T0_E_clISt17integral_constantIbLb1EES16_IbLb0EEEEDaS12_S13_EUlS12_E_NS1_11comp_targetILNS1_3genE8ELNS1_11target_archE1030ELNS1_3gpuE2ELNS1_3repE0EEENS1_30default_config_static_selectorELNS0_4arch9wavefront6targetE0EEEvT1_.kd
    .uniform_work_group_size: 1
    .uses_dynamic_stack: false
    .vgpr_count:     0
    .vgpr_spill_count: 0
    .wavefront_size: 32
  - .args:
      - .offset:         0
        .size:           128
        .value_kind:     by_value
    .group_segment_fixed_size: 15368
    .kernarg_segment_align: 8
    .kernarg_segment_size: 128
    .language:       OpenCL C
    .language_version:
      - 2
      - 0
    .max_flat_workgroup_size: 256
    .name:           _ZN7rocprim17ROCPRIM_400000_NS6detail17trampoline_kernelINS0_14default_configENS1_25partition_config_selectorILNS1_17partition_subalgoE8EtNS0_10empty_typeEbEEZZNS1_14partition_implILS5_8ELb0ES3_jPKtPS6_PKS6_NS0_5tupleIJPtS6_EEENSE_IJSB_SB_EEENS0_18inequality_wrapperIN6hipcub16HIPCUB_304000_NS8EqualityEEEPlJS6_EEE10hipError_tPvRmT3_T4_T5_T6_T7_T9_mT8_P12ihipStream_tbDpT10_ENKUlT_T0_E_clISt17integral_constantIbLb0EES16_IbLb1EEEEDaS12_S13_EUlS12_E_NS1_11comp_targetILNS1_3genE0ELNS1_11target_archE4294967295ELNS1_3gpuE0ELNS1_3repE0EEENS1_30default_config_static_selectorELNS0_4arch9wavefront6targetE0EEEvT1_
    .private_segment_fixed_size: 0
    .sgpr_count:     53
    .sgpr_spill_count: 0
    .symbol:         _ZN7rocprim17ROCPRIM_400000_NS6detail17trampoline_kernelINS0_14default_configENS1_25partition_config_selectorILNS1_17partition_subalgoE8EtNS0_10empty_typeEbEEZZNS1_14partition_implILS5_8ELb0ES3_jPKtPS6_PKS6_NS0_5tupleIJPtS6_EEENSE_IJSB_SB_EEENS0_18inequality_wrapperIN6hipcub16HIPCUB_304000_NS8EqualityEEEPlJS6_EEE10hipError_tPvRmT3_T4_T5_T6_T7_T9_mT8_P12ihipStream_tbDpT10_ENKUlT_T0_E_clISt17integral_constantIbLb0EES16_IbLb1EEEEDaS12_S13_EUlS12_E_NS1_11comp_targetILNS1_3genE0ELNS1_11target_archE4294967295ELNS1_3gpuE0ELNS1_3repE0EEENS1_30default_config_static_selectorELNS0_4arch9wavefront6targetE0EEEvT1_.kd
    .uniform_work_group_size: 1
    .uses_dynamic_stack: false
    .vgpr_count:     116
    .vgpr_spill_count: 0
    .wavefront_size: 32
  - .args:
      - .offset:         0
        .size:           128
        .value_kind:     by_value
    .group_segment_fixed_size: 0
    .kernarg_segment_align: 8
    .kernarg_segment_size: 128
    .language:       OpenCL C
    .language_version:
      - 2
      - 0
    .max_flat_workgroup_size: 512
    .name:           _ZN7rocprim17ROCPRIM_400000_NS6detail17trampoline_kernelINS0_14default_configENS1_25partition_config_selectorILNS1_17partition_subalgoE8EtNS0_10empty_typeEbEEZZNS1_14partition_implILS5_8ELb0ES3_jPKtPS6_PKS6_NS0_5tupleIJPtS6_EEENSE_IJSB_SB_EEENS0_18inequality_wrapperIN6hipcub16HIPCUB_304000_NS8EqualityEEEPlJS6_EEE10hipError_tPvRmT3_T4_T5_T6_T7_T9_mT8_P12ihipStream_tbDpT10_ENKUlT_T0_E_clISt17integral_constantIbLb0EES16_IbLb1EEEEDaS12_S13_EUlS12_E_NS1_11comp_targetILNS1_3genE5ELNS1_11target_archE942ELNS1_3gpuE9ELNS1_3repE0EEENS1_30default_config_static_selectorELNS0_4arch9wavefront6targetE0EEEvT1_
    .private_segment_fixed_size: 0
    .sgpr_count:     0
    .sgpr_spill_count: 0
    .symbol:         _ZN7rocprim17ROCPRIM_400000_NS6detail17trampoline_kernelINS0_14default_configENS1_25partition_config_selectorILNS1_17partition_subalgoE8EtNS0_10empty_typeEbEEZZNS1_14partition_implILS5_8ELb0ES3_jPKtPS6_PKS6_NS0_5tupleIJPtS6_EEENSE_IJSB_SB_EEENS0_18inequality_wrapperIN6hipcub16HIPCUB_304000_NS8EqualityEEEPlJS6_EEE10hipError_tPvRmT3_T4_T5_T6_T7_T9_mT8_P12ihipStream_tbDpT10_ENKUlT_T0_E_clISt17integral_constantIbLb0EES16_IbLb1EEEEDaS12_S13_EUlS12_E_NS1_11comp_targetILNS1_3genE5ELNS1_11target_archE942ELNS1_3gpuE9ELNS1_3repE0EEENS1_30default_config_static_selectorELNS0_4arch9wavefront6targetE0EEEvT1_.kd
    .uniform_work_group_size: 1
    .uses_dynamic_stack: false
    .vgpr_count:     0
    .vgpr_spill_count: 0
    .wavefront_size: 32
  - .args:
      - .offset:         0
        .size:           128
        .value_kind:     by_value
    .group_segment_fixed_size: 0
    .kernarg_segment_align: 8
    .kernarg_segment_size: 128
    .language:       OpenCL C
    .language_version:
      - 2
      - 0
    .max_flat_workgroup_size: 256
    .name:           _ZN7rocprim17ROCPRIM_400000_NS6detail17trampoline_kernelINS0_14default_configENS1_25partition_config_selectorILNS1_17partition_subalgoE8EtNS0_10empty_typeEbEEZZNS1_14partition_implILS5_8ELb0ES3_jPKtPS6_PKS6_NS0_5tupleIJPtS6_EEENSE_IJSB_SB_EEENS0_18inequality_wrapperIN6hipcub16HIPCUB_304000_NS8EqualityEEEPlJS6_EEE10hipError_tPvRmT3_T4_T5_T6_T7_T9_mT8_P12ihipStream_tbDpT10_ENKUlT_T0_E_clISt17integral_constantIbLb0EES16_IbLb1EEEEDaS12_S13_EUlS12_E_NS1_11comp_targetILNS1_3genE4ELNS1_11target_archE910ELNS1_3gpuE8ELNS1_3repE0EEENS1_30default_config_static_selectorELNS0_4arch9wavefront6targetE0EEEvT1_
    .private_segment_fixed_size: 0
    .sgpr_count:     0
    .sgpr_spill_count: 0
    .symbol:         _ZN7rocprim17ROCPRIM_400000_NS6detail17trampoline_kernelINS0_14default_configENS1_25partition_config_selectorILNS1_17partition_subalgoE8EtNS0_10empty_typeEbEEZZNS1_14partition_implILS5_8ELb0ES3_jPKtPS6_PKS6_NS0_5tupleIJPtS6_EEENSE_IJSB_SB_EEENS0_18inequality_wrapperIN6hipcub16HIPCUB_304000_NS8EqualityEEEPlJS6_EEE10hipError_tPvRmT3_T4_T5_T6_T7_T9_mT8_P12ihipStream_tbDpT10_ENKUlT_T0_E_clISt17integral_constantIbLb0EES16_IbLb1EEEEDaS12_S13_EUlS12_E_NS1_11comp_targetILNS1_3genE4ELNS1_11target_archE910ELNS1_3gpuE8ELNS1_3repE0EEENS1_30default_config_static_selectorELNS0_4arch9wavefront6targetE0EEEvT1_.kd
    .uniform_work_group_size: 1
    .uses_dynamic_stack: false
    .vgpr_count:     0
    .vgpr_spill_count: 0
    .wavefront_size: 32
  - .args:
      - .offset:         0
        .size:           128
        .value_kind:     by_value
    .group_segment_fixed_size: 0
    .kernarg_segment_align: 8
    .kernarg_segment_size: 128
    .language:       OpenCL C
    .language_version:
      - 2
      - 0
    .max_flat_workgroup_size: 256
    .name:           _ZN7rocprim17ROCPRIM_400000_NS6detail17trampoline_kernelINS0_14default_configENS1_25partition_config_selectorILNS1_17partition_subalgoE8EtNS0_10empty_typeEbEEZZNS1_14partition_implILS5_8ELb0ES3_jPKtPS6_PKS6_NS0_5tupleIJPtS6_EEENSE_IJSB_SB_EEENS0_18inequality_wrapperIN6hipcub16HIPCUB_304000_NS8EqualityEEEPlJS6_EEE10hipError_tPvRmT3_T4_T5_T6_T7_T9_mT8_P12ihipStream_tbDpT10_ENKUlT_T0_E_clISt17integral_constantIbLb0EES16_IbLb1EEEEDaS12_S13_EUlS12_E_NS1_11comp_targetILNS1_3genE3ELNS1_11target_archE908ELNS1_3gpuE7ELNS1_3repE0EEENS1_30default_config_static_selectorELNS0_4arch9wavefront6targetE0EEEvT1_
    .private_segment_fixed_size: 0
    .sgpr_count:     0
    .sgpr_spill_count: 0
    .symbol:         _ZN7rocprim17ROCPRIM_400000_NS6detail17trampoline_kernelINS0_14default_configENS1_25partition_config_selectorILNS1_17partition_subalgoE8EtNS0_10empty_typeEbEEZZNS1_14partition_implILS5_8ELb0ES3_jPKtPS6_PKS6_NS0_5tupleIJPtS6_EEENSE_IJSB_SB_EEENS0_18inequality_wrapperIN6hipcub16HIPCUB_304000_NS8EqualityEEEPlJS6_EEE10hipError_tPvRmT3_T4_T5_T6_T7_T9_mT8_P12ihipStream_tbDpT10_ENKUlT_T0_E_clISt17integral_constantIbLb0EES16_IbLb1EEEEDaS12_S13_EUlS12_E_NS1_11comp_targetILNS1_3genE3ELNS1_11target_archE908ELNS1_3gpuE7ELNS1_3repE0EEENS1_30default_config_static_selectorELNS0_4arch9wavefront6targetE0EEEvT1_.kd
    .uniform_work_group_size: 1
    .uses_dynamic_stack: false
    .vgpr_count:     0
    .vgpr_spill_count: 0
    .wavefront_size: 32
  - .args:
      - .offset:         0
        .size:           128
        .value_kind:     by_value
    .group_segment_fixed_size: 0
    .kernarg_segment_align: 8
    .kernarg_segment_size: 128
    .language:       OpenCL C
    .language_version:
      - 2
      - 0
    .max_flat_workgroup_size: 192
    .name:           _ZN7rocprim17ROCPRIM_400000_NS6detail17trampoline_kernelINS0_14default_configENS1_25partition_config_selectorILNS1_17partition_subalgoE8EtNS0_10empty_typeEbEEZZNS1_14partition_implILS5_8ELb0ES3_jPKtPS6_PKS6_NS0_5tupleIJPtS6_EEENSE_IJSB_SB_EEENS0_18inequality_wrapperIN6hipcub16HIPCUB_304000_NS8EqualityEEEPlJS6_EEE10hipError_tPvRmT3_T4_T5_T6_T7_T9_mT8_P12ihipStream_tbDpT10_ENKUlT_T0_E_clISt17integral_constantIbLb0EES16_IbLb1EEEEDaS12_S13_EUlS12_E_NS1_11comp_targetILNS1_3genE2ELNS1_11target_archE906ELNS1_3gpuE6ELNS1_3repE0EEENS1_30default_config_static_selectorELNS0_4arch9wavefront6targetE0EEEvT1_
    .private_segment_fixed_size: 0
    .sgpr_count:     0
    .sgpr_spill_count: 0
    .symbol:         _ZN7rocprim17ROCPRIM_400000_NS6detail17trampoline_kernelINS0_14default_configENS1_25partition_config_selectorILNS1_17partition_subalgoE8EtNS0_10empty_typeEbEEZZNS1_14partition_implILS5_8ELb0ES3_jPKtPS6_PKS6_NS0_5tupleIJPtS6_EEENSE_IJSB_SB_EEENS0_18inequality_wrapperIN6hipcub16HIPCUB_304000_NS8EqualityEEEPlJS6_EEE10hipError_tPvRmT3_T4_T5_T6_T7_T9_mT8_P12ihipStream_tbDpT10_ENKUlT_T0_E_clISt17integral_constantIbLb0EES16_IbLb1EEEEDaS12_S13_EUlS12_E_NS1_11comp_targetILNS1_3genE2ELNS1_11target_archE906ELNS1_3gpuE6ELNS1_3repE0EEENS1_30default_config_static_selectorELNS0_4arch9wavefront6targetE0EEEvT1_.kd
    .uniform_work_group_size: 1
    .uses_dynamic_stack: false
    .vgpr_count:     0
    .vgpr_spill_count: 0
    .wavefront_size: 32
  - .args:
      - .offset:         0
        .size:           128
        .value_kind:     by_value
    .group_segment_fixed_size: 0
    .kernarg_segment_align: 8
    .kernarg_segment_size: 128
    .language:       OpenCL C
    .language_version:
      - 2
      - 0
    .max_flat_workgroup_size: 256
    .name:           _ZN7rocprim17ROCPRIM_400000_NS6detail17trampoline_kernelINS0_14default_configENS1_25partition_config_selectorILNS1_17partition_subalgoE8EtNS0_10empty_typeEbEEZZNS1_14partition_implILS5_8ELb0ES3_jPKtPS6_PKS6_NS0_5tupleIJPtS6_EEENSE_IJSB_SB_EEENS0_18inequality_wrapperIN6hipcub16HIPCUB_304000_NS8EqualityEEEPlJS6_EEE10hipError_tPvRmT3_T4_T5_T6_T7_T9_mT8_P12ihipStream_tbDpT10_ENKUlT_T0_E_clISt17integral_constantIbLb0EES16_IbLb1EEEEDaS12_S13_EUlS12_E_NS1_11comp_targetILNS1_3genE10ELNS1_11target_archE1200ELNS1_3gpuE4ELNS1_3repE0EEENS1_30default_config_static_selectorELNS0_4arch9wavefront6targetE0EEEvT1_
    .private_segment_fixed_size: 0
    .sgpr_count:     0
    .sgpr_spill_count: 0
    .symbol:         _ZN7rocprim17ROCPRIM_400000_NS6detail17trampoline_kernelINS0_14default_configENS1_25partition_config_selectorILNS1_17partition_subalgoE8EtNS0_10empty_typeEbEEZZNS1_14partition_implILS5_8ELb0ES3_jPKtPS6_PKS6_NS0_5tupleIJPtS6_EEENSE_IJSB_SB_EEENS0_18inequality_wrapperIN6hipcub16HIPCUB_304000_NS8EqualityEEEPlJS6_EEE10hipError_tPvRmT3_T4_T5_T6_T7_T9_mT8_P12ihipStream_tbDpT10_ENKUlT_T0_E_clISt17integral_constantIbLb0EES16_IbLb1EEEEDaS12_S13_EUlS12_E_NS1_11comp_targetILNS1_3genE10ELNS1_11target_archE1200ELNS1_3gpuE4ELNS1_3repE0EEENS1_30default_config_static_selectorELNS0_4arch9wavefront6targetE0EEEvT1_.kd
    .uniform_work_group_size: 1
    .uses_dynamic_stack: false
    .vgpr_count:     0
    .vgpr_spill_count: 0
    .wavefront_size: 32
  - .args:
      - .offset:         0
        .size:           128
        .value_kind:     by_value
    .group_segment_fixed_size: 0
    .kernarg_segment_align: 8
    .kernarg_segment_size: 128
    .language:       OpenCL C
    .language_version:
      - 2
      - 0
    .max_flat_workgroup_size: 128
    .name:           _ZN7rocprim17ROCPRIM_400000_NS6detail17trampoline_kernelINS0_14default_configENS1_25partition_config_selectorILNS1_17partition_subalgoE8EtNS0_10empty_typeEbEEZZNS1_14partition_implILS5_8ELb0ES3_jPKtPS6_PKS6_NS0_5tupleIJPtS6_EEENSE_IJSB_SB_EEENS0_18inequality_wrapperIN6hipcub16HIPCUB_304000_NS8EqualityEEEPlJS6_EEE10hipError_tPvRmT3_T4_T5_T6_T7_T9_mT8_P12ihipStream_tbDpT10_ENKUlT_T0_E_clISt17integral_constantIbLb0EES16_IbLb1EEEEDaS12_S13_EUlS12_E_NS1_11comp_targetILNS1_3genE9ELNS1_11target_archE1100ELNS1_3gpuE3ELNS1_3repE0EEENS1_30default_config_static_selectorELNS0_4arch9wavefront6targetE0EEEvT1_
    .private_segment_fixed_size: 0
    .sgpr_count:     0
    .sgpr_spill_count: 0
    .symbol:         _ZN7rocprim17ROCPRIM_400000_NS6detail17trampoline_kernelINS0_14default_configENS1_25partition_config_selectorILNS1_17partition_subalgoE8EtNS0_10empty_typeEbEEZZNS1_14partition_implILS5_8ELb0ES3_jPKtPS6_PKS6_NS0_5tupleIJPtS6_EEENSE_IJSB_SB_EEENS0_18inequality_wrapperIN6hipcub16HIPCUB_304000_NS8EqualityEEEPlJS6_EEE10hipError_tPvRmT3_T4_T5_T6_T7_T9_mT8_P12ihipStream_tbDpT10_ENKUlT_T0_E_clISt17integral_constantIbLb0EES16_IbLb1EEEEDaS12_S13_EUlS12_E_NS1_11comp_targetILNS1_3genE9ELNS1_11target_archE1100ELNS1_3gpuE3ELNS1_3repE0EEENS1_30default_config_static_selectorELNS0_4arch9wavefront6targetE0EEEvT1_.kd
    .uniform_work_group_size: 1
    .uses_dynamic_stack: false
    .vgpr_count:     0
    .vgpr_spill_count: 0
    .wavefront_size: 32
  - .args:
      - .offset:         0
        .size:           128
        .value_kind:     by_value
    .group_segment_fixed_size: 0
    .kernarg_segment_align: 8
    .kernarg_segment_size: 128
    .language:       OpenCL C
    .language_version:
      - 2
      - 0
    .max_flat_workgroup_size: 384
    .name:           _ZN7rocprim17ROCPRIM_400000_NS6detail17trampoline_kernelINS0_14default_configENS1_25partition_config_selectorILNS1_17partition_subalgoE8EtNS0_10empty_typeEbEEZZNS1_14partition_implILS5_8ELb0ES3_jPKtPS6_PKS6_NS0_5tupleIJPtS6_EEENSE_IJSB_SB_EEENS0_18inequality_wrapperIN6hipcub16HIPCUB_304000_NS8EqualityEEEPlJS6_EEE10hipError_tPvRmT3_T4_T5_T6_T7_T9_mT8_P12ihipStream_tbDpT10_ENKUlT_T0_E_clISt17integral_constantIbLb0EES16_IbLb1EEEEDaS12_S13_EUlS12_E_NS1_11comp_targetILNS1_3genE8ELNS1_11target_archE1030ELNS1_3gpuE2ELNS1_3repE0EEENS1_30default_config_static_selectorELNS0_4arch9wavefront6targetE0EEEvT1_
    .private_segment_fixed_size: 0
    .sgpr_count:     0
    .sgpr_spill_count: 0
    .symbol:         _ZN7rocprim17ROCPRIM_400000_NS6detail17trampoline_kernelINS0_14default_configENS1_25partition_config_selectorILNS1_17partition_subalgoE8EtNS0_10empty_typeEbEEZZNS1_14partition_implILS5_8ELb0ES3_jPKtPS6_PKS6_NS0_5tupleIJPtS6_EEENSE_IJSB_SB_EEENS0_18inequality_wrapperIN6hipcub16HIPCUB_304000_NS8EqualityEEEPlJS6_EEE10hipError_tPvRmT3_T4_T5_T6_T7_T9_mT8_P12ihipStream_tbDpT10_ENKUlT_T0_E_clISt17integral_constantIbLb0EES16_IbLb1EEEEDaS12_S13_EUlS12_E_NS1_11comp_targetILNS1_3genE8ELNS1_11target_archE1030ELNS1_3gpuE2ELNS1_3repE0EEENS1_30default_config_static_selectorELNS0_4arch9wavefront6targetE0EEEvT1_.kd
    .uniform_work_group_size: 1
    .uses_dynamic_stack: false
    .vgpr_count:     0
    .vgpr_spill_count: 0
    .wavefront_size: 32
  - .args:
      - .offset:         0
        .size:           128
        .value_kind:     by_value
    .group_segment_fixed_size: 20480
    .kernarg_segment_align: 8
    .kernarg_segment_size: 128
    .language:       OpenCL C
    .language_version:
      - 2
      - 0
    .max_flat_workgroup_size: 512
    .name:           _ZN7rocprim17ROCPRIM_400000_NS6detail17trampoline_kernelINS0_14default_configENS1_33run_length_encode_config_selectorItjNS0_4plusIjEEEEZZNS1_33reduce_by_key_impl_wrapped_configILNS1_25lookback_scan_determinismE0ES3_S7_PKtNS0_17constant_iteratorIjlEEPtPlSF_S6_NS0_8equal_toItEEEE10hipError_tPvRmT2_T3_mT4_T5_T6_T7_T8_P12ihipStream_tbENKUlT_T0_E_clISt17integral_constantIbLb0EESZ_EEDaSU_SV_EUlSU_E_NS1_11comp_targetILNS1_3genE0ELNS1_11target_archE4294967295ELNS1_3gpuE0ELNS1_3repE0EEENS1_30default_config_static_selectorELNS0_4arch9wavefront6targetE0EEEvT1_
    .private_segment_fixed_size: 0
    .sgpr_count:     36
    .sgpr_spill_count: 0
    .symbol:         _ZN7rocprim17ROCPRIM_400000_NS6detail17trampoline_kernelINS0_14default_configENS1_33run_length_encode_config_selectorItjNS0_4plusIjEEEEZZNS1_33reduce_by_key_impl_wrapped_configILNS1_25lookback_scan_determinismE0ES3_S7_PKtNS0_17constant_iteratorIjlEEPtPlSF_S6_NS0_8equal_toItEEEE10hipError_tPvRmT2_T3_mT4_T5_T6_T7_T8_P12ihipStream_tbENKUlT_T0_E_clISt17integral_constantIbLb0EESZ_EEDaSU_SV_EUlSU_E_NS1_11comp_targetILNS1_3genE0ELNS1_11target_archE4294967295ELNS1_3gpuE0ELNS1_3repE0EEENS1_30default_config_static_selectorELNS0_4arch9wavefront6targetE0EEEvT1_.kd
    .uniform_work_group_size: 1
    .uses_dynamic_stack: false
    .vgpr_count:     96
    .vgpr_spill_count: 0
    .wavefront_size: 32
  - .args:
      - .offset:         0
        .size:           128
        .value_kind:     by_value
    .group_segment_fixed_size: 0
    .kernarg_segment_align: 8
    .kernarg_segment_size: 128
    .language:       OpenCL C
    .language_version:
      - 2
      - 0
    .max_flat_workgroup_size: 512
    .name:           _ZN7rocprim17ROCPRIM_400000_NS6detail17trampoline_kernelINS0_14default_configENS1_33run_length_encode_config_selectorItjNS0_4plusIjEEEEZZNS1_33reduce_by_key_impl_wrapped_configILNS1_25lookback_scan_determinismE0ES3_S7_PKtNS0_17constant_iteratorIjlEEPtPlSF_S6_NS0_8equal_toItEEEE10hipError_tPvRmT2_T3_mT4_T5_T6_T7_T8_P12ihipStream_tbENKUlT_T0_E_clISt17integral_constantIbLb0EESZ_EEDaSU_SV_EUlSU_E_NS1_11comp_targetILNS1_3genE5ELNS1_11target_archE942ELNS1_3gpuE9ELNS1_3repE0EEENS1_30default_config_static_selectorELNS0_4arch9wavefront6targetE0EEEvT1_
    .private_segment_fixed_size: 0
    .sgpr_count:     0
    .sgpr_spill_count: 0
    .symbol:         _ZN7rocprim17ROCPRIM_400000_NS6detail17trampoline_kernelINS0_14default_configENS1_33run_length_encode_config_selectorItjNS0_4plusIjEEEEZZNS1_33reduce_by_key_impl_wrapped_configILNS1_25lookback_scan_determinismE0ES3_S7_PKtNS0_17constant_iteratorIjlEEPtPlSF_S6_NS0_8equal_toItEEEE10hipError_tPvRmT2_T3_mT4_T5_T6_T7_T8_P12ihipStream_tbENKUlT_T0_E_clISt17integral_constantIbLb0EESZ_EEDaSU_SV_EUlSU_E_NS1_11comp_targetILNS1_3genE5ELNS1_11target_archE942ELNS1_3gpuE9ELNS1_3repE0EEENS1_30default_config_static_selectorELNS0_4arch9wavefront6targetE0EEEvT1_.kd
    .uniform_work_group_size: 1
    .uses_dynamic_stack: false
    .vgpr_count:     0
    .vgpr_spill_count: 0
    .wavefront_size: 32
  - .args:
      - .offset:         0
        .size:           128
        .value_kind:     by_value
    .group_segment_fixed_size: 0
    .kernarg_segment_align: 8
    .kernarg_segment_size: 128
    .language:       OpenCL C
    .language_version:
      - 2
      - 0
    .max_flat_workgroup_size: 192
    .name:           _ZN7rocprim17ROCPRIM_400000_NS6detail17trampoline_kernelINS0_14default_configENS1_33run_length_encode_config_selectorItjNS0_4plusIjEEEEZZNS1_33reduce_by_key_impl_wrapped_configILNS1_25lookback_scan_determinismE0ES3_S7_PKtNS0_17constant_iteratorIjlEEPtPlSF_S6_NS0_8equal_toItEEEE10hipError_tPvRmT2_T3_mT4_T5_T6_T7_T8_P12ihipStream_tbENKUlT_T0_E_clISt17integral_constantIbLb0EESZ_EEDaSU_SV_EUlSU_E_NS1_11comp_targetILNS1_3genE4ELNS1_11target_archE910ELNS1_3gpuE8ELNS1_3repE0EEENS1_30default_config_static_selectorELNS0_4arch9wavefront6targetE0EEEvT1_
    .private_segment_fixed_size: 0
    .sgpr_count:     0
    .sgpr_spill_count: 0
    .symbol:         _ZN7rocprim17ROCPRIM_400000_NS6detail17trampoline_kernelINS0_14default_configENS1_33run_length_encode_config_selectorItjNS0_4plusIjEEEEZZNS1_33reduce_by_key_impl_wrapped_configILNS1_25lookback_scan_determinismE0ES3_S7_PKtNS0_17constant_iteratorIjlEEPtPlSF_S6_NS0_8equal_toItEEEE10hipError_tPvRmT2_T3_mT4_T5_T6_T7_T8_P12ihipStream_tbENKUlT_T0_E_clISt17integral_constantIbLb0EESZ_EEDaSU_SV_EUlSU_E_NS1_11comp_targetILNS1_3genE4ELNS1_11target_archE910ELNS1_3gpuE8ELNS1_3repE0EEENS1_30default_config_static_selectorELNS0_4arch9wavefront6targetE0EEEvT1_.kd
    .uniform_work_group_size: 1
    .uses_dynamic_stack: false
    .vgpr_count:     0
    .vgpr_spill_count: 0
    .wavefront_size: 32
  - .args:
      - .offset:         0
        .size:           128
        .value_kind:     by_value
    .group_segment_fixed_size: 0
    .kernarg_segment_align: 8
    .kernarg_segment_size: 128
    .language:       OpenCL C
    .language_version:
      - 2
      - 0
    .max_flat_workgroup_size: 512
    .name:           _ZN7rocprim17ROCPRIM_400000_NS6detail17trampoline_kernelINS0_14default_configENS1_33run_length_encode_config_selectorItjNS0_4plusIjEEEEZZNS1_33reduce_by_key_impl_wrapped_configILNS1_25lookback_scan_determinismE0ES3_S7_PKtNS0_17constant_iteratorIjlEEPtPlSF_S6_NS0_8equal_toItEEEE10hipError_tPvRmT2_T3_mT4_T5_T6_T7_T8_P12ihipStream_tbENKUlT_T0_E_clISt17integral_constantIbLb0EESZ_EEDaSU_SV_EUlSU_E_NS1_11comp_targetILNS1_3genE3ELNS1_11target_archE908ELNS1_3gpuE7ELNS1_3repE0EEENS1_30default_config_static_selectorELNS0_4arch9wavefront6targetE0EEEvT1_
    .private_segment_fixed_size: 0
    .sgpr_count:     0
    .sgpr_spill_count: 0
    .symbol:         _ZN7rocprim17ROCPRIM_400000_NS6detail17trampoline_kernelINS0_14default_configENS1_33run_length_encode_config_selectorItjNS0_4plusIjEEEEZZNS1_33reduce_by_key_impl_wrapped_configILNS1_25lookback_scan_determinismE0ES3_S7_PKtNS0_17constant_iteratorIjlEEPtPlSF_S6_NS0_8equal_toItEEEE10hipError_tPvRmT2_T3_mT4_T5_T6_T7_T8_P12ihipStream_tbENKUlT_T0_E_clISt17integral_constantIbLb0EESZ_EEDaSU_SV_EUlSU_E_NS1_11comp_targetILNS1_3genE3ELNS1_11target_archE908ELNS1_3gpuE7ELNS1_3repE0EEENS1_30default_config_static_selectorELNS0_4arch9wavefront6targetE0EEEvT1_.kd
    .uniform_work_group_size: 1
    .uses_dynamic_stack: false
    .vgpr_count:     0
    .vgpr_spill_count: 0
    .wavefront_size: 32
  - .args:
      - .offset:         0
        .size:           128
        .value_kind:     by_value
    .group_segment_fixed_size: 0
    .kernarg_segment_align: 8
    .kernarg_segment_size: 128
    .language:       OpenCL C
    .language_version:
      - 2
      - 0
    .max_flat_workgroup_size: 256
    .name:           _ZN7rocprim17ROCPRIM_400000_NS6detail17trampoline_kernelINS0_14default_configENS1_33run_length_encode_config_selectorItjNS0_4plusIjEEEEZZNS1_33reduce_by_key_impl_wrapped_configILNS1_25lookback_scan_determinismE0ES3_S7_PKtNS0_17constant_iteratorIjlEEPtPlSF_S6_NS0_8equal_toItEEEE10hipError_tPvRmT2_T3_mT4_T5_T6_T7_T8_P12ihipStream_tbENKUlT_T0_E_clISt17integral_constantIbLb0EESZ_EEDaSU_SV_EUlSU_E_NS1_11comp_targetILNS1_3genE2ELNS1_11target_archE906ELNS1_3gpuE6ELNS1_3repE0EEENS1_30default_config_static_selectorELNS0_4arch9wavefront6targetE0EEEvT1_
    .private_segment_fixed_size: 0
    .sgpr_count:     0
    .sgpr_spill_count: 0
    .symbol:         _ZN7rocprim17ROCPRIM_400000_NS6detail17trampoline_kernelINS0_14default_configENS1_33run_length_encode_config_selectorItjNS0_4plusIjEEEEZZNS1_33reduce_by_key_impl_wrapped_configILNS1_25lookback_scan_determinismE0ES3_S7_PKtNS0_17constant_iteratorIjlEEPtPlSF_S6_NS0_8equal_toItEEEE10hipError_tPvRmT2_T3_mT4_T5_T6_T7_T8_P12ihipStream_tbENKUlT_T0_E_clISt17integral_constantIbLb0EESZ_EEDaSU_SV_EUlSU_E_NS1_11comp_targetILNS1_3genE2ELNS1_11target_archE906ELNS1_3gpuE6ELNS1_3repE0EEENS1_30default_config_static_selectorELNS0_4arch9wavefront6targetE0EEEvT1_.kd
    .uniform_work_group_size: 1
    .uses_dynamic_stack: false
    .vgpr_count:     0
    .vgpr_spill_count: 0
    .wavefront_size: 32
  - .args:
      - .offset:         0
        .size:           128
        .value_kind:     by_value
    .group_segment_fixed_size: 0
    .kernarg_segment_align: 8
    .kernarg_segment_size: 128
    .language:       OpenCL C
    .language_version:
      - 2
      - 0
    .max_flat_workgroup_size: 512
    .name:           _ZN7rocprim17ROCPRIM_400000_NS6detail17trampoline_kernelINS0_14default_configENS1_33run_length_encode_config_selectorItjNS0_4plusIjEEEEZZNS1_33reduce_by_key_impl_wrapped_configILNS1_25lookback_scan_determinismE0ES3_S7_PKtNS0_17constant_iteratorIjlEEPtPlSF_S6_NS0_8equal_toItEEEE10hipError_tPvRmT2_T3_mT4_T5_T6_T7_T8_P12ihipStream_tbENKUlT_T0_E_clISt17integral_constantIbLb0EESZ_EEDaSU_SV_EUlSU_E_NS1_11comp_targetILNS1_3genE10ELNS1_11target_archE1201ELNS1_3gpuE5ELNS1_3repE0EEENS1_30default_config_static_selectorELNS0_4arch9wavefront6targetE0EEEvT1_
    .private_segment_fixed_size: 0
    .sgpr_count:     0
    .sgpr_spill_count: 0
    .symbol:         _ZN7rocprim17ROCPRIM_400000_NS6detail17trampoline_kernelINS0_14default_configENS1_33run_length_encode_config_selectorItjNS0_4plusIjEEEEZZNS1_33reduce_by_key_impl_wrapped_configILNS1_25lookback_scan_determinismE0ES3_S7_PKtNS0_17constant_iteratorIjlEEPtPlSF_S6_NS0_8equal_toItEEEE10hipError_tPvRmT2_T3_mT4_T5_T6_T7_T8_P12ihipStream_tbENKUlT_T0_E_clISt17integral_constantIbLb0EESZ_EEDaSU_SV_EUlSU_E_NS1_11comp_targetILNS1_3genE10ELNS1_11target_archE1201ELNS1_3gpuE5ELNS1_3repE0EEENS1_30default_config_static_selectorELNS0_4arch9wavefront6targetE0EEEvT1_.kd
    .uniform_work_group_size: 1
    .uses_dynamic_stack: false
    .vgpr_count:     0
    .vgpr_spill_count: 0
    .wavefront_size: 32
  - .args:
      - .offset:         0
        .size:           128
        .value_kind:     by_value
    .group_segment_fixed_size: 0
    .kernarg_segment_align: 8
    .kernarg_segment_size: 128
    .language:       OpenCL C
    .language_version:
      - 2
      - 0
    .max_flat_workgroup_size: 384
    .name:           _ZN7rocprim17ROCPRIM_400000_NS6detail17trampoline_kernelINS0_14default_configENS1_33run_length_encode_config_selectorItjNS0_4plusIjEEEEZZNS1_33reduce_by_key_impl_wrapped_configILNS1_25lookback_scan_determinismE0ES3_S7_PKtNS0_17constant_iteratorIjlEEPtPlSF_S6_NS0_8equal_toItEEEE10hipError_tPvRmT2_T3_mT4_T5_T6_T7_T8_P12ihipStream_tbENKUlT_T0_E_clISt17integral_constantIbLb0EESZ_EEDaSU_SV_EUlSU_E_NS1_11comp_targetILNS1_3genE10ELNS1_11target_archE1200ELNS1_3gpuE4ELNS1_3repE0EEENS1_30default_config_static_selectorELNS0_4arch9wavefront6targetE0EEEvT1_
    .private_segment_fixed_size: 0
    .sgpr_count:     0
    .sgpr_spill_count: 0
    .symbol:         _ZN7rocprim17ROCPRIM_400000_NS6detail17trampoline_kernelINS0_14default_configENS1_33run_length_encode_config_selectorItjNS0_4plusIjEEEEZZNS1_33reduce_by_key_impl_wrapped_configILNS1_25lookback_scan_determinismE0ES3_S7_PKtNS0_17constant_iteratorIjlEEPtPlSF_S6_NS0_8equal_toItEEEE10hipError_tPvRmT2_T3_mT4_T5_T6_T7_T8_P12ihipStream_tbENKUlT_T0_E_clISt17integral_constantIbLb0EESZ_EEDaSU_SV_EUlSU_E_NS1_11comp_targetILNS1_3genE10ELNS1_11target_archE1200ELNS1_3gpuE4ELNS1_3repE0EEENS1_30default_config_static_selectorELNS0_4arch9wavefront6targetE0EEEvT1_.kd
    .uniform_work_group_size: 1
    .uses_dynamic_stack: false
    .vgpr_count:     0
    .vgpr_spill_count: 0
    .wavefront_size: 32
  - .args:
      - .offset:         0
        .size:           128
        .value_kind:     by_value
    .group_segment_fixed_size: 0
    .kernarg_segment_align: 8
    .kernarg_segment_size: 128
    .language:       OpenCL C
    .language_version:
      - 2
      - 0
    .max_flat_workgroup_size: 512
    .name:           _ZN7rocprim17ROCPRIM_400000_NS6detail17trampoline_kernelINS0_14default_configENS1_33run_length_encode_config_selectorItjNS0_4plusIjEEEEZZNS1_33reduce_by_key_impl_wrapped_configILNS1_25lookback_scan_determinismE0ES3_S7_PKtNS0_17constant_iteratorIjlEEPtPlSF_S6_NS0_8equal_toItEEEE10hipError_tPvRmT2_T3_mT4_T5_T6_T7_T8_P12ihipStream_tbENKUlT_T0_E_clISt17integral_constantIbLb0EESZ_EEDaSU_SV_EUlSU_E_NS1_11comp_targetILNS1_3genE9ELNS1_11target_archE1100ELNS1_3gpuE3ELNS1_3repE0EEENS1_30default_config_static_selectorELNS0_4arch9wavefront6targetE0EEEvT1_
    .private_segment_fixed_size: 0
    .sgpr_count:     0
    .sgpr_spill_count: 0
    .symbol:         _ZN7rocprim17ROCPRIM_400000_NS6detail17trampoline_kernelINS0_14default_configENS1_33run_length_encode_config_selectorItjNS0_4plusIjEEEEZZNS1_33reduce_by_key_impl_wrapped_configILNS1_25lookback_scan_determinismE0ES3_S7_PKtNS0_17constant_iteratorIjlEEPtPlSF_S6_NS0_8equal_toItEEEE10hipError_tPvRmT2_T3_mT4_T5_T6_T7_T8_P12ihipStream_tbENKUlT_T0_E_clISt17integral_constantIbLb0EESZ_EEDaSU_SV_EUlSU_E_NS1_11comp_targetILNS1_3genE9ELNS1_11target_archE1100ELNS1_3gpuE3ELNS1_3repE0EEENS1_30default_config_static_selectorELNS0_4arch9wavefront6targetE0EEEvT1_.kd
    .uniform_work_group_size: 1
    .uses_dynamic_stack: false
    .vgpr_count:     0
    .vgpr_spill_count: 0
    .wavefront_size: 32
  - .args:
      - .offset:         0
        .size:           128
        .value_kind:     by_value
    .group_segment_fixed_size: 0
    .kernarg_segment_align: 8
    .kernarg_segment_size: 128
    .language:       OpenCL C
    .language_version:
      - 2
      - 0
    .max_flat_workgroup_size: 384
    .name:           _ZN7rocprim17ROCPRIM_400000_NS6detail17trampoline_kernelINS0_14default_configENS1_33run_length_encode_config_selectorItjNS0_4plusIjEEEEZZNS1_33reduce_by_key_impl_wrapped_configILNS1_25lookback_scan_determinismE0ES3_S7_PKtNS0_17constant_iteratorIjlEEPtPlSF_S6_NS0_8equal_toItEEEE10hipError_tPvRmT2_T3_mT4_T5_T6_T7_T8_P12ihipStream_tbENKUlT_T0_E_clISt17integral_constantIbLb0EESZ_EEDaSU_SV_EUlSU_E_NS1_11comp_targetILNS1_3genE8ELNS1_11target_archE1030ELNS1_3gpuE2ELNS1_3repE0EEENS1_30default_config_static_selectorELNS0_4arch9wavefront6targetE0EEEvT1_
    .private_segment_fixed_size: 0
    .sgpr_count:     0
    .sgpr_spill_count: 0
    .symbol:         _ZN7rocprim17ROCPRIM_400000_NS6detail17trampoline_kernelINS0_14default_configENS1_33run_length_encode_config_selectorItjNS0_4plusIjEEEEZZNS1_33reduce_by_key_impl_wrapped_configILNS1_25lookback_scan_determinismE0ES3_S7_PKtNS0_17constant_iteratorIjlEEPtPlSF_S6_NS0_8equal_toItEEEE10hipError_tPvRmT2_T3_mT4_T5_T6_T7_T8_P12ihipStream_tbENKUlT_T0_E_clISt17integral_constantIbLb0EESZ_EEDaSU_SV_EUlSU_E_NS1_11comp_targetILNS1_3genE8ELNS1_11target_archE1030ELNS1_3gpuE2ELNS1_3repE0EEENS1_30default_config_static_selectorELNS0_4arch9wavefront6targetE0EEEvT1_.kd
    .uniform_work_group_size: 1
    .uses_dynamic_stack: false
    .vgpr_count:     0
    .vgpr_spill_count: 0
    .wavefront_size: 32
  - .args:
      - .offset:         0
        .size:           128
        .value_kind:     by_value
    .group_segment_fixed_size: 0
    .kernarg_segment_align: 8
    .kernarg_segment_size: 128
    .language:       OpenCL C
    .language_version:
      - 2
      - 0
    .max_flat_workgroup_size: 512
    .name:           _ZN7rocprim17ROCPRIM_400000_NS6detail17trampoline_kernelINS0_14default_configENS1_33run_length_encode_config_selectorItjNS0_4plusIjEEEEZZNS1_33reduce_by_key_impl_wrapped_configILNS1_25lookback_scan_determinismE0ES3_S7_PKtNS0_17constant_iteratorIjlEEPtPlSF_S6_NS0_8equal_toItEEEE10hipError_tPvRmT2_T3_mT4_T5_T6_T7_T8_P12ihipStream_tbENKUlT_T0_E_clISt17integral_constantIbLb1EESZ_EEDaSU_SV_EUlSU_E_NS1_11comp_targetILNS1_3genE0ELNS1_11target_archE4294967295ELNS1_3gpuE0ELNS1_3repE0EEENS1_30default_config_static_selectorELNS0_4arch9wavefront6targetE0EEEvT1_
    .private_segment_fixed_size: 0
    .sgpr_count:     0
    .sgpr_spill_count: 0
    .symbol:         _ZN7rocprim17ROCPRIM_400000_NS6detail17trampoline_kernelINS0_14default_configENS1_33run_length_encode_config_selectorItjNS0_4plusIjEEEEZZNS1_33reduce_by_key_impl_wrapped_configILNS1_25lookback_scan_determinismE0ES3_S7_PKtNS0_17constant_iteratorIjlEEPtPlSF_S6_NS0_8equal_toItEEEE10hipError_tPvRmT2_T3_mT4_T5_T6_T7_T8_P12ihipStream_tbENKUlT_T0_E_clISt17integral_constantIbLb1EESZ_EEDaSU_SV_EUlSU_E_NS1_11comp_targetILNS1_3genE0ELNS1_11target_archE4294967295ELNS1_3gpuE0ELNS1_3repE0EEENS1_30default_config_static_selectorELNS0_4arch9wavefront6targetE0EEEvT1_.kd
    .uniform_work_group_size: 1
    .uses_dynamic_stack: false
    .vgpr_count:     0
    .vgpr_spill_count: 0
    .wavefront_size: 32
  - .args:
      - .offset:         0
        .size:           128
        .value_kind:     by_value
    .group_segment_fixed_size: 0
    .kernarg_segment_align: 8
    .kernarg_segment_size: 128
    .language:       OpenCL C
    .language_version:
      - 2
      - 0
    .max_flat_workgroup_size: 512
    .name:           _ZN7rocprim17ROCPRIM_400000_NS6detail17trampoline_kernelINS0_14default_configENS1_33run_length_encode_config_selectorItjNS0_4plusIjEEEEZZNS1_33reduce_by_key_impl_wrapped_configILNS1_25lookback_scan_determinismE0ES3_S7_PKtNS0_17constant_iteratorIjlEEPtPlSF_S6_NS0_8equal_toItEEEE10hipError_tPvRmT2_T3_mT4_T5_T6_T7_T8_P12ihipStream_tbENKUlT_T0_E_clISt17integral_constantIbLb1EESZ_EEDaSU_SV_EUlSU_E_NS1_11comp_targetILNS1_3genE5ELNS1_11target_archE942ELNS1_3gpuE9ELNS1_3repE0EEENS1_30default_config_static_selectorELNS0_4arch9wavefront6targetE0EEEvT1_
    .private_segment_fixed_size: 0
    .sgpr_count:     0
    .sgpr_spill_count: 0
    .symbol:         _ZN7rocprim17ROCPRIM_400000_NS6detail17trampoline_kernelINS0_14default_configENS1_33run_length_encode_config_selectorItjNS0_4plusIjEEEEZZNS1_33reduce_by_key_impl_wrapped_configILNS1_25lookback_scan_determinismE0ES3_S7_PKtNS0_17constant_iteratorIjlEEPtPlSF_S6_NS0_8equal_toItEEEE10hipError_tPvRmT2_T3_mT4_T5_T6_T7_T8_P12ihipStream_tbENKUlT_T0_E_clISt17integral_constantIbLb1EESZ_EEDaSU_SV_EUlSU_E_NS1_11comp_targetILNS1_3genE5ELNS1_11target_archE942ELNS1_3gpuE9ELNS1_3repE0EEENS1_30default_config_static_selectorELNS0_4arch9wavefront6targetE0EEEvT1_.kd
    .uniform_work_group_size: 1
    .uses_dynamic_stack: false
    .vgpr_count:     0
    .vgpr_spill_count: 0
    .wavefront_size: 32
  - .args:
      - .offset:         0
        .size:           128
        .value_kind:     by_value
    .group_segment_fixed_size: 0
    .kernarg_segment_align: 8
    .kernarg_segment_size: 128
    .language:       OpenCL C
    .language_version:
      - 2
      - 0
    .max_flat_workgroup_size: 192
    .name:           _ZN7rocprim17ROCPRIM_400000_NS6detail17trampoline_kernelINS0_14default_configENS1_33run_length_encode_config_selectorItjNS0_4plusIjEEEEZZNS1_33reduce_by_key_impl_wrapped_configILNS1_25lookback_scan_determinismE0ES3_S7_PKtNS0_17constant_iteratorIjlEEPtPlSF_S6_NS0_8equal_toItEEEE10hipError_tPvRmT2_T3_mT4_T5_T6_T7_T8_P12ihipStream_tbENKUlT_T0_E_clISt17integral_constantIbLb1EESZ_EEDaSU_SV_EUlSU_E_NS1_11comp_targetILNS1_3genE4ELNS1_11target_archE910ELNS1_3gpuE8ELNS1_3repE0EEENS1_30default_config_static_selectorELNS0_4arch9wavefront6targetE0EEEvT1_
    .private_segment_fixed_size: 0
    .sgpr_count:     0
    .sgpr_spill_count: 0
    .symbol:         _ZN7rocprim17ROCPRIM_400000_NS6detail17trampoline_kernelINS0_14default_configENS1_33run_length_encode_config_selectorItjNS0_4plusIjEEEEZZNS1_33reduce_by_key_impl_wrapped_configILNS1_25lookback_scan_determinismE0ES3_S7_PKtNS0_17constant_iteratorIjlEEPtPlSF_S6_NS0_8equal_toItEEEE10hipError_tPvRmT2_T3_mT4_T5_T6_T7_T8_P12ihipStream_tbENKUlT_T0_E_clISt17integral_constantIbLb1EESZ_EEDaSU_SV_EUlSU_E_NS1_11comp_targetILNS1_3genE4ELNS1_11target_archE910ELNS1_3gpuE8ELNS1_3repE0EEENS1_30default_config_static_selectorELNS0_4arch9wavefront6targetE0EEEvT1_.kd
    .uniform_work_group_size: 1
    .uses_dynamic_stack: false
    .vgpr_count:     0
    .vgpr_spill_count: 0
    .wavefront_size: 32
  - .args:
      - .offset:         0
        .size:           128
        .value_kind:     by_value
    .group_segment_fixed_size: 0
    .kernarg_segment_align: 8
    .kernarg_segment_size: 128
    .language:       OpenCL C
    .language_version:
      - 2
      - 0
    .max_flat_workgroup_size: 512
    .name:           _ZN7rocprim17ROCPRIM_400000_NS6detail17trampoline_kernelINS0_14default_configENS1_33run_length_encode_config_selectorItjNS0_4plusIjEEEEZZNS1_33reduce_by_key_impl_wrapped_configILNS1_25lookback_scan_determinismE0ES3_S7_PKtNS0_17constant_iteratorIjlEEPtPlSF_S6_NS0_8equal_toItEEEE10hipError_tPvRmT2_T3_mT4_T5_T6_T7_T8_P12ihipStream_tbENKUlT_T0_E_clISt17integral_constantIbLb1EESZ_EEDaSU_SV_EUlSU_E_NS1_11comp_targetILNS1_3genE3ELNS1_11target_archE908ELNS1_3gpuE7ELNS1_3repE0EEENS1_30default_config_static_selectorELNS0_4arch9wavefront6targetE0EEEvT1_
    .private_segment_fixed_size: 0
    .sgpr_count:     0
    .sgpr_spill_count: 0
    .symbol:         _ZN7rocprim17ROCPRIM_400000_NS6detail17trampoline_kernelINS0_14default_configENS1_33run_length_encode_config_selectorItjNS0_4plusIjEEEEZZNS1_33reduce_by_key_impl_wrapped_configILNS1_25lookback_scan_determinismE0ES3_S7_PKtNS0_17constant_iteratorIjlEEPtPlSF_S6_NS0_8equal_toItEEEE10hipError_tPvRmT2_T3_mT4_T5_T6_T7_T8_P12ihipStream_tbENKUlT_T0_E_clISt17integral_constantIbLb1EESZ_EEDaSU_SV_EUlSU_E_NS1_11comp_targetILNS1_3genE3ELNS1_11target_archE908ELNS1_3gpuE7ELNS1_3repE0EEENS1_30default_config_static_selectorELNS0_4arch9wavefront6targetE0EEEvT1_.kd
    .uniform_work_group_size: 1
    .uses_dynamic_stack: false
    .vgpr_count:     0
    .vgpr_spill_count: 0
    .wavefront_size: 32
  - .args:
      - .offset:         0
        .size:           128
        .value_kind:     by_value
    .group_segment_fixed_size: 0
    .kernarg_segment_align: 8
    .kernarg_segment_size: 128
    .language:       OpenCL C
    .language_version:
      - 2
      - 0
    .max_flat_workgroup_size: 256
    .name:           _ZN7rocprim17ROCPRIM_400000_NS6detail17trampoline_kernelINS0_14default_configENS1_33run_length_encode_config_selectorItjNS0_4plusIjEEEEZZNS1_33reduce_by_key_impl_wrapped_configILNS1_25lookback_scan_determinismE0ES3_S7_PKtNS0_17constant_iteratorIjlEEPtPlSF_S6_NS0_8equal_toItEEEE10hipError_tPvRmT2_T3_mT4_T5_T6_T7_T8_P12ihipStream_tbENKUlT_T0_E_clISt17integral_constantIbLb1EESZ_EEDaSU_SV_EUlSU_E_NS1_11comp_targetILNS1_3genE2ELNS1_11target_archE906ELNS1_3gpuE6ELNS1_3repE0EEENS1_30default_config_static_selectorELNS0_4arch9wavefront6targetE0EEEvT1_
    .private_segment_fixed_size: 0
    .sgpr_count:     0
    .sgpr_spill_count: 0
    .symbol:         _ZN7rocprim17ROCPRIM_400000_NS6detail17trampoline_kernelINS0_14default_configENS1_33run_length_encode_config_selectorItjNS0_4plusIjEEEEZZNS1_33reduce_by_key_impl_wrapped_configILNS1_25lookback_scan_determinismE0ES3_S7_PKtNS0_17constant_iteratorIjlEEPtPlSF_S6_NS0_8equal_toItEEEE10hipError_tPvRmT2_T3_mT4_T5_T6_T7_T8_P12ihipStream_tbENKUlT_T0_E_clISt17integral_constantIbLb1EESZ_EEDaSU_SV_EUlSU_E_NS1_11comp_targetILNS1_3genE2ELNS1_11target_archE906ELNS1_3gpuE6ELNS1_3repE0EEENS1_30default_config_static_selectorELNS0_4arch9wavefront6targetE0EEEvT1_.kd
    .uniform_work_group_size: 1
    .uses_dynamic_stack: false
    .vgpr_count:     0
    .vgpr_spill_count: 0
    .wavefront_size: 32
  - .args:
      - .offset:         0
        .size:           128
        .value_kind:     by_value
    .group_segment_fixed_size: 0
    .kernarg_segment_align: 8
    .kernarg_segment_size: 128
    .language:       OpenCL C
    .language_version:
      - 2
      - 0
    .max_flat_workgroup_size: 512
    .name:           _ZN7rocprim17ROCPRIM_400000_NS6detail17trampoline_kernelINS0_14default_configENS1_33run_length_encode_config_selectorItjNS0_4plusIjEEEEZZNS1_33reduce_by_key_impl_wrapped_configILNS1_25lookback_scan_determinismE0ES3_S7_PKtNS0_17constant_iteratorIjlEEPtPlSF_S6_NS0_8equal_toItEEEE10hipError_tPvRmT2_T3_mT4_T5_T6_T7_T8_P12ihipStream_tbENKUlT_T0_E_clISt17integral_constantIbLb1EESZ_EEDaSU_SV_EUlSU_E_NS1_11comp_targetILNS1_3genE10ELNS1_11target_archE1201ELNS1_3gpuE5ELNS1_3repE0EEENS1_30default_config_static_selectorELNS0_4arch9wavefront6targetE0EEEvT1_
    .private_segment_fixed_size: 0
    .sgpr_count:     0
    .sgpr_spill_count: 0
    .symbol:         _ZN7rocprim17ROCPRIM_400000_NS6detail17trampoline_kernelINS0_14default_configENS1_33run_length_encode_config_selectorItjNS0_4plusIjEEEEZZNS1_33reduce_by_key_impl_wrapped_configILNS1_25lookback_scan_determinismE0ES3_S7_PKtNS0_17constant_iteratorIjlEEPtPlSF_S6_NS0_8equal_toItEEEE10hipError_tPvRmT2_T3_mT4_T5_T6_T7_T8_P12ihipStream_tbENKUlT_T0_E_clISt17integral_constantIbLb1EESZ_EEDaSU_SV_EUlSU_E_NS1_11comp_targetILNS1_3genE10ELNS1_11target_archE1201ELNS1_3gpuE5ELNS1_3repE0EEENS1_30default_config_static_selectorELNS0_4arch9wavefront6targetE0EEEvT1_.kd
    .uniform_work_group_size: 1
    .uses_dynamic_stack: false
    .vgpr_count:     0
    .vgpr_spill_count: 0
    .wavefront_size: 32
  - .args:
      - .offset:         0
        .size:           128
        .value_kind:     by_value
    .group_segment_fixed_size: 0
    .kernarg_segment_align: 8
    .kernarg_segment_size: 128
    .language:       OpenCL C
    .language_version:
      - 2
      - 0
    .max_flat_workgroup_size: 384
    .name:           _ZN7rocprim17ROCPRIM_400000_NS6detail17trampoline_kernelINS0_14default_configENS1_33run_length_encode_config_selectorItjNS0_4plusIjEEEEZZNS1_33reduce_by_key_impl_wrapped_configILNS1_25lookback_scan_determinismE0ES3_S7_PKtNS0_17constant_iteratorIjlEEPtPlSF_S6_NS0_8equal_toItEEEE10hipError_tPvRmT2_T3_mT4_T5_T6_T7_T8_P12ihipStream_tbENKUlT_T0_E_clISt17integral_constantIbLb1EESZ_EEDaSU_SV_EUlSU_E_NS1_11comp_targetILNS1_3genE10ELNS1_11target_archE1200ELNS1_3gpuE4ELNS1_3repE0EEENS1_30default_config_static_selectorELNS0_4arch9wavefront6targetE0EEEvT1_
    .private_segment_fixed_size: 0
    .sgpr_count:     0
    .sgpr_spill_count: 0
    .symbol:         _ZN7rocprim17ROCPRIM_400000_NS6detail17trampoline_kernelINS0_14default_configENS1_33run_length_encode_config_selectorItjNS0_4plusIjEEEEZZNS1_33reduce_by_key_impl_wrapped_configILNS1_25lookback_scan_determinismE0ES3_S7_PKtNS0_17constant_iteratorIjlEEPtPlSF_S6_NS0_8equal_toItEEEE10hipError_tPvRmT2_T3_mT4_T5_T6_T7_T8_P12ihipStream_tbENKUlT_T0_E_clISt17integral_constantIbLb1EESZ_EEDaSU_SV_EUlSU_E_NS1_11comp_targetILNS1_3genE10ELNS1_11target_archE1200ELNS1_3gpuE4ELNS1_3repE0EEENS1_30default_config_static_selectorELNS0_4arch9wavefront6targetE0EEEvT1_.kd
    .uniform_work_group_size: 1
    .uses_dynamic_stack: false
    .vgpr_count:     0
    .vgpr_spill_count: 0
    .wavefront_size: 32
  - .args:
      - .offset:         0
        .size:           128
        .value_kind:     by_value
    .group_segment_fixed_size: 0
    .kernarg_segment_align: 8
    .kernarg_segment_size: 128
    .language:       OpenCL C
    .language_version:
      - 2
      - 0
    .max_flat_workgroup_size: 512
    .name:           _ZN7rocprim17ROCPRIM_400000_NS6detail17trampoline_kernelINS0_14default_configENS1_33run_length_encode_config_selectorItjNS0_4plusIjEEEEZZNS1_33reduce_by_key_impl_wrapped_configILNS1_25lookback_scan_determinismE0ES3_S7_PKtNS0_17constant_iteratorIjlEEPtPlSF_S6_NS0_8equal_toItEEEE10hipError_tPvRmT2_T3_mT4_T5_T6_T7_T8_P12ihipStream_tbENKUlT_T0_E_clISt17integral_constantIbLb1EESZ_EEDaSU_SV_EUlSU_E_NS1_11comp_targetILNS1_3genE9ELNS1_11target_archE1100ELNS1_3gpuE3ELNS1_3repE0EEENS1_30default_config_static_selectorELNS0_4arch9wavefront6targetE0EEEvT1_
    .private_segment_fixed_size: 0
    .sgpr_count:     0
    .sgpr_spill_count: 0
    .symbol:         _ZN7rocprim17ROCPRIM_400000_NS6detail17trampoline_kernelINS0_14default_configENS1_33run_length_encode_config_selectorItjNS0_4plusIjEEEEZZNS1_33reduce_by_key_impl_wrapped_configILNS1_25lookback_scan_determinismE0ES3_S7_PKtNS0_17constant_iteratorIjlEEPtPlSF_S6_NS0_8equal_toItEEEE10hipError_tPvRmT2_T3_mT4_T5_T6_T7_T8_P12ihipStream_tbENKUlT_T0_E_clISt17integral_constantIbLb1EESZ_EEDaSU_SV_EUlSU_E_NS1_11comp_targetILNS1_3genE9ELNS1_11target_archE1100ELNS1_3gpuE3ELNS1_3repE0EEENS1_30default_config_static_selectorELNS0_4arch9wavefront6targetE0EEEvT1_.kd
    .uniform_work_group_size: 1
    .uses_dynamic_stack: false
    .vgpr_count:     0
    .vgpr_spill_count: 0
    .wavefront_size: 32
  - .args:
      - .offset:         0
        .size:           128
        .value_kind:     by_value
    .group_segment_fixed_size: 0
    .kernarg_segment_align: 8
    .kernarg_segment_size: 128
    .language:       OpenCL C
    .language_version:
      - 2
      - 0
    .max_flat_workgroup_size: 384
    .name:           _ZN7rocprim17ROCPRIM_400000_NS6detail17trampoline_kernelINS0_14default_configENS1_33run_length_encode_config_selectorItjNS0_4plusIjEEEEZZNS1_33reduce_by_key_impl_wrapped_configILNS1_25lookback_scan_determinismE0ES3_S7_PKtNS0_17constant_iteratorIjlEEPtPlSF_S6_NS0_8equal_toItEEEE10hipError_tPvRmT2_T3_mT4_T5_T6_T7_T8_P12ihipStream_tbENKUlT_T0_E_clISt17integral_constantIbLb1EESZ_EEDaSU_SV_EUlSU_E_NS1_11comp_targetILNS1_3genE8ELNS1_11target_archE1030ELNS1_3gpuE2ELNS1_3repE0EEENS1_30default_config_static_selectorELNS0_4arch9wavefront6targetE0EEEvT1_
    .private_segment_fixed_size: 0
    .sgpr_count:     0
    .sgpr_spill_count: 0
    .symbol:         _ZN7rocprim17ROCPRIM_400000_NS6detail17trampoline_kernelINS0_14default_configENS1_33run_length_encode_config_selectorItjNS0_4plusIjEEEEZZNS1_33reduce_by_key_impl_wrapped_configILNS1_25lookback_scan_determinismE0ES3_S7_PKtNS0_17constant_iteratorIjlEEPtPlSF_S6_NS0_8equal_toItEEEE10hipError_tPvRmT2_T3_mT4_T5_T6_T7_T8_P12ihipStream_tbENKUlT_T0_E_clISt17integral_constantIbLb1EESZ_EEDaSU_SV_EUlSU_E_NS1_11comp_targetILNS1_3genE8ELNS1_11target_archE1030ELNS1_3gpuE2ELNS1_3repE0EEENS1_30default_config_static_selectorELNS0_4arch9wavefront6targetE0EEEvT1_.kd
    .uniform_work_group_size: 1
    .uses_dynamic_stack: false
    .vgpr_count:     0
    .vgpr_spill_count: 0
    .wavefront_size: 32
  - .args:
      - .offset:         0
        .size:           128
        .value_kind:     by_value
    .group_segment_fixed_size: 0
    .kernarg_segment_align: 8
    .kernarg_segment_size: 128
    .language:       OpenCL C
    .language_version:
      - 2
      - 0
    .max_flat_workgroup_size: 512
    .name:           _ZN7rocprim17ROCPRIM_400000_NS6detail17trampoline_kernelINS0_14default_configENS1_33run_length_encode_config_selectorItjNS0_4plusIjEEEEZZNS1_33reduce_by_key_impl_wrapped_configILNS1_25lookback_scan_determinismE0ES3_S7_PKtNS0_17constant_iteratorIjlEEPtPlSF_S6_NS0_8equal_toItEEEE10hipError_tPvRmT2_T3_mT4_T5_T6_T7_T8_P12ihipStream_tbENKUlT_T0_E_clISt17integral_constantIbLb1EESY_IbLb0EEEEDaSU_SV_EUlSU_E_NS1_11comp_targetILNS1_3genE0ELNS1_11target_archE4294967295ELNS1_3gpuE0ELNS1_3repE0EEENS1_30default_config_static_selectorELNS0_4arch9wavefront6targetE0EEEvT1_
    .private_segment_fixed_size: 0
    .sgpr_count:     0
    .sgpr_spill_count: 0
    .symbol:         _ZN7rocprim17ROCPRIM_400000_NS6detail17trampoline_kernelINS0_14default_configENS1_33run_length_encode_config_selectorItjNS0_4plusIjEEEEZZNS1_33reduce_by_key_impl_wrapped_configILNS1_25lookback_scan_determinismE0ES3_S7_PKtNS0_17constant_iteratorIjlEEPtPlSF_S6_NS0_8equal_toItEEEE10hipError_tPvRmT2_T3_mT4_T5_T6_T7_T8_P12ihipStream_tbENKUlT_T0_E_clISt17integral_constantIbLb1EESY_IbLb0EEEEDaSU_SV_EUlSU_E_NS1_11comp_targetILNS1_3genE0ELNS1_11target_archE4294967295ELNS1_3gpuE0ELNS1_3repE0EEENS1_30default_config_static_selectorELNS0_4arch9wavefront6targetE0EEEvT1_.kd
    .uniform_work_group_size: 1
    .uses_dynamic_stack: false
    .vgpr_count:     0
    .vgpr_spill_count: 0
    .wavefront_size: 32
  - .args:
      - .offset:         0
        .size:           128
        .value_kind:     by_value
    .group_segment_fixed_size: 0
    .kernarg_segment_align: 8
    .kernarg_segment_size: 128
    .language:       OpenCL C
    .language_version:
      - 2
      - 0
    .max_flat_workgroup_size: 512
    .name:           _ZN7rocprim17ROCPRIM_400000_NS6detail17trampoline_kernelINS0_14default_configENS1_33run_length_encode_config_selectorItjNS0_4plusIjEEEEZZNS1_33reduce_by_key_impl_wrapped_configILNS1_25lookback_scan_determinismE0ES3_S7_PKtNS0_17constant_iteratorIjlEEPtPlSF_S6_NS0_8equal_toItEEEE10hipError_tPvRmT2_T3_mT4_T5_T6_T7_T8_P12ihipStream_tbENKUlT_T0_E_clISt17integral_constantIbLb1EESY_IbLb0EEEEDaSU_SV_EUlSU_E_NS1_11comp_targetILNS1_3genE5ELNS1_11target_archE942ELNS1_3gpuE9ELNS1_3repE0EEENS1_30default_config_static_selectorELNS0_4arch9wavefront6targetE0EEEvT1_
    .private_segment_fixed_size: 0
    .sgpr_count:     0
    .sgpr_spill_count: 0
    .symbol:         _ZN7rocprim17ROCPRIM_400000_NS6detail17trampoline_kernelINS0_14default_configENS1_33run_length_encode_config_selectorItjNS0_4plusIjEEEEZZNS1_33reduce_by_key_impl_wrapped_configILNS1_25lookback_scan_determinismE0ES3_S7_PKtNS0_17constant_iteratorIjlEEPtPlSF_S6_NS0_8equal_toItEEEE10hipError_tPvRmT2_T3_mT4_T5_T6_T7_T8_P12ihipStream_tbENKUlT_T0_E_clISt17integral_constantIbLb1EESY_IbLb0EEEEDaSU_SV_EUlSU_E_NS1_11comp_targetILNS1_3genE5ELNS1_11target_archE942ELNS1_3gpuE9ELNS1_3repE0EEENS1_30default_config_static_selectorELNS0_4arch9wavefront6targetE0EEEvT1_.kd
    .uniform_work_group_size: 1
    .uses_dynamic_stack: false
    .vgpr_count:     0
    .vgpr_spill_count: 0
    .wavefront_size: 32
  - .args:
      - .offset:         0
        .size:           128
        .value_kind:     by_value
    .group_segment_fixed_size: 0
    .kernarg_segment_align: 8
    .kernarg_segment_size: 128
    .language:       OpenCL C
    .language_version:
      - 2
      - 0
    .max_flat_workgroup_size: 192
    .name:           _ZN7rocprim17ROCPRIM_400000_NS6detail17trampoline_kernelINS0_14default_configENS1_33run_length_encode_config_selectorItjNS0_4plusIjEEEEZZNS1_33reduce_by_key_impl_wrapped_configILNS1_25lookback_scan_determinismE0ES3_S7_PKtNS0_17constant_iteratorIjlEEPtPlSF_S6_NS0_8equal_toItEEEE10hipError_tPvRmT2_T3_mT4_T5_T6_T7_T8_P12ihipStream_tbENKUlT_T0_E_clISt17integral_constantIbLb1EESY_IbLb0EEEEDaSU_SV_EUlSU_E_NS1_11comp_targetILNS1_3genE4ELNS1_11target_archE910ELNS1_3gpuE8ELNS1_3repE0EEENS1_30default_config_static_selectorELNS0_4arch9wavefront6targetE0EEEvT1_
    .private_segment_fixed_size: 0
    .sgpr_count:     0
    .sgpr_spill_count: 0
    .symbol:         _ZN7rocprim17ROCPRIM_400000_NS6detail17trampoline_kernelINS0_14default_configENS1_33run_length_encode_config_selectorItjNS0_4plusIjEEEEZZNS1_33reduce_by_key_impl_wrapped_configILNS1_25lookback_scan_determinismE0ES3_S7_PKtNS0_17constant_iteratorIjlEEPtPlSF_S6_NS0_8equal_toItEEEE10hipError_tPvRmT2_T3_mT4_T5_T6_T7_T8_P12ihipStream_tbENKUlT_T0_E_clISt17integral_constantIbLb1EESY_IbLb0EEEEDaSU_SV_EUlSU_E_NS1_11comp_targetILNS1_3genE4ELNS1_11target_archE910ELNS1_3gpuE8ELNS1_3repE0EEENS1_30default_config_static_selectorELNS0_4arch9wavefront6targetE0EEEvT1_.kd
    .uniform_work_group_size: 1
    .uses_dynamic_stack: false
    .vgpr_count:     0
    .vgpr_spill_count: 0
    .wavefront_size: 32
  - .args:
      - .offset:         0
        .size:           128
        .value_kind:     by_value
    .group_segment_fixed_size: 0
    .kernarg_segment_align: 8
    .kernarg_segment_size: 128
    .language:       OpenCL C
    .language_version:
      - 2
      - 0
    .max_flat_workgroup_size: 512
    .name:           _ZN7rocprim17ROCPRIM_400000_NS6detail17trampoline_kernelINS0_14default_configENS1_33run_length_encode_config_selectorItjNS0_4plusIjEEEEZZNS1_33reduce_by_key_impl_wrapped_configILNS1_25lookback_scan_determinismE0ES3_S7_PKtNS0_17constant_iteratorIjlEEPtPlSF_S6_NS0_8equal_toItEEEE10hipError_tPvRmT2_T3_mT4_T5_T6_T7_T8_P12ihipStream_tbENKUlT_T0_E_clISt17integral_constantIbLb1EESY_IbLb0EEEEDaSU_SV_EUlSU_E_NS1_11comp_targetILNS1_3genE3ELNS1_11target_archE908ELNS1_3gpuE7ELNS1_3repE0EEENS1_30default_config_static_selectorELNS0_4arch9wavefront6targetE0EEEvT1_
    .private_segment_fixed_size: 0
    .sgpr_count:     0
    .sgpr_spill_count: 0
    .symbol:         _ZN7rocprim17ROCPRIM_400000_NS6detail17trampoline_kernelINS0_14default_configENS1_33run_length_encode_config_selectorItjNS0_4plusIjEEEEZZNS1_33reduce_by_key_impl_wrapped_configILNS1_25lookback_scan_determinismE0ES3_S7_PKtNS0_17constant_iteratorIjlEEPtPlSF_S6_NS0_8equal_toItEEEE10hipError_tPvRmT2_T3_mT4_T5_T6_T7_T8_P12ihipStream_tbENKUlT_T0_E_clISt17integral_constantIbLb1EESY_IbLb0EEEEDaSU_SV_EUlSU_E_NS1_11comp_targetILNS1_3genE3ELNS1_11target_archE908ELNS1_3gpuE7ELNS1_3repE0EEENS1_30default_config_static_selectorELNS0_4arch9wavefront6targetE0EEEvT1_.kd
    .uniform_work_group_size: 1
    .uses_dynamic_stack: false
    .vgpr_count:     0
    .vgpr_spill_count: 0
    .wavefront_size: 32
  - .args:
      - .offset:         0
        .size:           128
        .value_kind:     by_value
    .group_segment_fixed_size: 0
    .kernarg_segment_align: 8
    .kernarg_segment_size: 128
    .language:       OpenCL C
    .language_version:
      - 2
      - 0
    .max_flat_workgroup_size: 256
    .name:           _ZN7rocprim17ROCPRIM_400000_NS6detail17trampoline_kernelINS0_14default_configENS1_33run_length_encode_config_selectorItjNS0_4plusIjEEEEZZNS1_33reduce_by_key_impl_wrapped_configILNS1_25lookback_scan_determinismE0ES3_S7_PKtNS0_17constant_iteratorIjlEEPtPlSF_S6_NS0_8equal_toItEEEE10hipError_tPvRmT2_T3_mT4_T5_T6_T7_T8_P12ihipStream_tbENKUlT_T0_E_clISt17integral_constantIbLb1EESY_IbLb0EEEEDaSU_SV_EUlSU_E_NS1_11comp_targetILNS1_3genE2ELNS1_11target_archE906ELNS1_3gpuE6ELNS1_3repE0EEENS1_30default_config_static_selectorELNS0_4arch9wavefront6targetE0EEEvT1_
    .private_segment_fixed_size: 0
    .sgpr_count:     0
    .sgpr_spill_count: 0
    .symbol:         _ZN7rocprim17ROCPRIM_400000_NS6detail17trampoline_kernelINS0_14default_configENS1_33run_length_encode_config_selectorItjNS0_4plusIjEEEEZZNS1_33reduce_by_key_impl_wrapped_configILNS1_25lookback_scan_determinismE0ES3_S7_PKtNS0_17constant_iteratorIjlEEPtPlSF_S6_NS0_8equal_toItEEEE10hipError_tPvRmT2_T3_mT4_T5_T6_T7_T8_P12ihipStream_tbENKUlT_T0_E_clISt17integral_constantIbLb1EESY_IbLb0EEEEDaSU_SV_EUlSU_E_NS1_11comp_targetILNS1_3genE2ELNS1_11target_archE906ELNS1_3gpuE6ELNS1_3repE0EEENS1_30default_config_static_selectorELNS0_4arch9wavefront6targetE0EEEvT1_.kd
    .uniform_work_group_size: 1
    .uses_dynamic_stack: false
    .vgpr_count:     0
    .vgpr_spill_count: 0
    .wavefront_size: 32
  - .args:
      - .offset:         0
        .size:           128
        .value_kind:     by_value
    .group_segment_fixed_size: 0
    .kernarg_segment_align: 8
    .kernarg_segment_size: 128
    .language:       OpenCL C
    .language_version:
      - 2
      - 0
    .max_flat_workgroup_size: 512
    .name:           _ZN7rocprim17ROCPRIM_400000_NS6detail17trampoline_kernelINS0_14default_configENS1_33run_length_encode_config_selectorItjNS0_4plusIjEEEEZZNS1_33reduce_by_key_impl_wrapped_configILNS1_25lookback_scan_determinismE0ES3_S7_PKtNS0_17constant_iteratorIjlEEPtPlSF_S6_NS0_8equal_toItEEEE10hipError_tPvRmT2_T3_mT4_T5_T6_T7_T8_P12ihipStream_tbENKUlT_T0_E_clISt17integral_constantIbLb1EESY_IbLb0EEEEDaSU_SV_EUlSU_E_NS1_11comp_targetILNS1_3genE10ELNS1_11target_archE1201ELNS1_3gpuE5ELNS1_3repE0EEENS1_30default_config_static_selectorELNS0_4arch9wavefront6targetE0EEEvT1_
    .private_segment_fixed_size: 0
    .sgpr_count:     0
    .sgpr_spill_count: 0
    .symbol:         _ZN7rocprim17ROCPRIM_400000_NS6detail17trampoline_kernelINS0_14default_configENS1_33run_length_encode_config_selectorItjNS0_4plusIjEEEEZZNS1_33reduce_by_key_impl_wrapped_configILNS1_25lookback_scan_determinismE0ES3_S7_PKtNS0_17constant_iteratorIjlEEPtPlSF_S6_NS0_8equal_toItEEEE10hipError_tPvRmT2_T3_mT4_T5_T6_T7_T8_P12ihipStream_tbENKUlT_T0_E_clISt17integral_constantIbLb1EESY_IbLb0EEEEDaSU_SV_EUlSU_E_NS1_11comp_targetILNS1_3genE10ELNS1_11target_archE1201ELNS1_3gpuE5ELNS1_3repE0EEENS1_30default_config_static_selectorELNS0_4arch9wavefront6targetE0EEEvT1_.kd
    .uniform_work_group_size: 1
    .uses_dynamic_stack: false
    .vgpr_count:     0
    .vgpr_spill_count: 0
    .wavefront_size: 32
  - .args:
      - .offset:         0
        .size:           128
        .value_kind:     by_value
    .group_segment_fixed_size: 0
    .kernarg_segment_align: 8
    .kernarg_segment_size: 128
    .language:       OpenCL C
    .language_version:
      - 2
      - 0
    .max_flat_workgroup_size: 384
    .name:           _ZN7rocprim17ROCPRIM_400000_NS6detail17trampoline_kernelINS0_14default_configENS1_33run_length_encode_config_selectorItjNS0_4plusIjEEEEZZNS1_33reduce_by_key_impl_wrapped_configILNS1_25lookback_scan_determinismE0ES3_S7_PKtNS0_17constant_iteratorIjlEEPtPlSF_S6_NS0_8equal_toItEEEE10hipError_tPvRmT2_T3_mT4_T5_T6_T7_T8_P12ihipStream_tbENKUlT_T0_E_clISt17integral_constantIbLb1EESY_IbLb0EEEEDaSU_SV_EUlSU_E_NS1_11comp_targetILNS1_3genE10ELNS1_11target_archE1200ELNS1_3gpuE4ELNS1_3repE0EEENS1_30default_config_static_selectorELNS0_4arch9wavefront6targetE0EEEvT1_
    .private_segment_fixed_size: 0
    .sgpr_count:     0
    .sgpr_spill_count: 0
    .symbol:         _ZN7rocprim17ROCPRIM_400000_NS6detail17trampoline_kernelINS0_14default_configENS1_33run_length_encode_config_selectorItjNS0_4plusIjEEEEZZNS1_33reduce_by_key_impl_wrapped_configILNS1_25lookback_scan_determinismE0ES3_S7_PKtNS0_17constant_iteratorIjlEEPtPlSF_S6_NS0_8equal_toItEEEE10hipError_tPvRmT2_T3_mT4_T5_T6_T7_T8_P12ihipStream_tbENKUlT_T0_E_clISt17integral_constantIbLb1EESY_IbLb0EEEEDaSU_SV_EUlSU_E_NS1_11comp_targetILNS1_3genE10ELNS1_11target_archE1200ELNS1_3gpuE4ELNS1_3repE0EEENS1_30default_config_static_selectorELNS0_4arch9wavefront6targetE0EEEvT1_.kd
    .uniform_work_group_size: 1
    .uses_dynamic_stack: false
    .vgpr_count:     0
    .vgpr_spill_count: 0
    .wavefront_size: 32
  - .args:
      - .offset:         0
        .size:           128
        .value_kind:     by_value
    .group_segment_fixed_size: 0
    .kernarg_segment_align: 8
    .kernarg_segment_size: 128
    .language:       OpenCL C
    .language_version:
      - 2
      - 0
    .max_flat_workgroup_size: 512
    .name:           _ZN7rocprim17ROCPRIM_400000_NS6detail17trampoline_kernelINS0_14default_configENS1_33run_length_encode_config_selectorItjNS0_4plusIjEEEEZZNS1_33reduce_by_key_impl_wrapped_configILNS1_25lookback_scan_determinismE0ES3_S7_PKtNS0_17constant_iteratorIjlEEPtPlSF_S6_NS0_8equal_toItEEEE10hipError_tPvRmT2_T3_mT4_T5_T6_T7_T8_P12ihipStream_tbENKUlT_T0_E_clISt17integral_constantIbLb1EESY_IbLb0EEEEDaSU_SV_EUlSU_E_NS1_11comp_targetILNS1_3genE9ELNS1_11target_archE1100ELNS1_3gpuE3ELNS1_3repE0EEENS1_30default_config_static_selectorELNS0_4arch9wavefront6targetE0EEEvT1_
    .private_segment_fixed_size: 0
    .sgpr_count:     0
    .sgpr_spill_count: 0
    .symbol:         _ZN7rocprim17ROCPRIM_400000_NS6detail17trampoline_kernelINS0_14default_configENS1_33run_length_encode_config_selectorItjNS0_4plusIjEEEEZZNS1_33reduce_by_key_impl_wrapped_configILNS1_25lookback_scan_determinismE0ES3_S7_PKtNS0_17constant_iteratorIjlEEPtPlSF_S6_NS0_8equal_toItEEEE10hipError_tPvRmT2_T3_mT4_T5_T6_T7_T8_P12ihipStream_tbENKUlT_T0_E_clISt17integral_constantIbLb1EESY_IbLb0EEEEDaSU_SV_EUlSU_E_NS1_11comp_targetILNS1_3genE9ELNS1_11target_archE1100ELNS1_3gpuE3ELNS1_3repE0EEENS1_30default_config_static_selectorELNS0_4arch9wavefront6targetE0EEEvT1_.kd
    .uniform_work_group_size: 1
    .uses_dynamic_stack: false
    .vgpr_count:     0
    .vgpr_spill_count: 0
    .wavefront_size: 32
  - .args:
      - .offset:         0
        .size:           128
        .value_kind:     by_value
    .group_segment_fixed_size: 0
    .kernarg_segment_align: 8
    .kernarg_segment_size: 128
    .language:       OpenCL C
    .language_version:
      - 2
      - 0
    .max_flat_workgroup_size: 384
    .name:           _ZN7rocprim17ROCPRIM_400000_NS6detail17trampoline_kernelINS0_14default_configENS1_33run_length_encode_config_selectorItjNS0_4plusIjEEEEZZNS1_33reduce_by_key_impl_wrapped_configILNS1_25lookback_scan_determinismE0ES3_S7_PKtNS0_17constant_iteratorIjlEEPtPlSF_S6_NS0_8equal_toItEEEE10hipError_tPvRmT2_T3_mT4_T5_T6_T7_T8_P12ihipStream_tbENKUlT_T0_E_clISt17integral_constantIbLb1EESY_IbLb0EEEEDaSU_SV_EUlSU_E_NS1_11comp_targetILNS1_3genE8ELNS1_11target_archE1030ELNS1_3gpuE2ELNS1_3repE0EEENS1_30default_config_static_selectorELNS0_4arch9wavefront6targetE0EEEvT1_
    .private_segment_fixed_size: 0
    .sgpr_count:     0
    .sgpr_spill_count: 0
    .symbol:         _ZN7rocprim17ROCPRIM_400000_NS6detail17trampoline_kernelINS0_14default_configENS1_33run_length_encode_config_selectorItjNS0_4plusIjEEEEZZNS1_33reduce_by_key_impl_wrapped_configILNS1_25lookback_scan_determinismE0ES3_S7_PKtNS0_17constant_iteratorIjlEEPtPlSF_S6_NS0_8equal_toItEEEE10hipError_tPvRmT2_T3_mT4_T5_T6_T7_T8_P12ihipStream_tbENKUlT_T0_E_clISt17integral_constantIbLb1EESY_IbLb0EEEEDaSU_SV_EUlSU_E_NS1_11comp_targetILNS1_3genE8ELNS1_11target_archE1030ELNS1_3gpuE2ELNS1_3repE0EEENS1_30default_config_static_selectorELNS0_4arch9wavefront6targetE0EEEvT1_.kd
    .uniform_work_group_size: 1
    .uses_dynamic_stack: false
    .vgpr_count:     0
    .vgpr_spill_count: 0
    .wavefront_size: 32
  - .args:
      - .offset:         0
        .size:           128
        .value_kind:     by_value
    .group_segment_fixed_size: 20480
    .kernarg_segment_align: 8
    .kernarg_segment_size: 128
    .language:       OpenCL C
    .language_version:
      - 2
      - 0
    .max_flat_workgroup_size: 512
    .name:           _ZN7rocprim17ROCPRIM_400000_NS6detail17trampoline_kernelINS0_14default_configENS1_33run_length_encode_config_selectorItjNS0_4plusIjEEEEZZNS1_33reduce_by_key_impl_wrapped_configILNS1_25lookback_scan_determinismE0ES3_S7_PKtNS0_17constant_iteratorIjlEEPtPlSF_S6_NS0_8equal_toItEEEE10hipError_tPvRmT2_T3_mT4_T5_T6_T7_T8_P12ihipStream_tbENKUlT_T0_E_clISt17integral_constantIbLb0EESY_IbLb1EEEEDaSU_SV_EUlSU_E_NS1_11comp_targetILNS1_3genE0ELNS1_11target_archE4294967295ELNS1_3gpuE0ELNS1_3repE0EEENS1_30default_config_static_selectorELNS0_4arch9wavefront6targetE0EEEvT1_
    .private_segment_fixed_size: 0
    .sgpr_count:     41
    .sgpr_spill_count: 0
    .symbol:         _ZN7rocprim17ROCPRIM_400000_NS6detail17trampoline_kernelINS0_14default_configENS1_33run_length_encode_config_selectorItjNS0_4plusIjEEEEZZNS1_33reduce_by_key_impl_wrapped_configILNS1_25lookback_scan_determinismE0ES3_S7_PKtNS0_17constant_iteratorIjlEEPtPlSF_S6_NS0_8equal_toItEEEE10hipError_tPvRmT2_T3_mT4_T5_T6_T7_T8_P12ihipStream_tbENKUlT_T0_E_clISt17integral_constantIbLb0EESY_IbLb1EEEEDaSU_SV_EUlSU_E_NS1_11comp_targetILNS1_3genE0ELNS1_11target_archE4294967295ELNS1_3gpuE0ELNS1_3repE0EEENS1_30default_config_static_selectorELNS0_4arch9wavefront6targetE0EEEvT1_.kd
    .uniform_work_group_size: 1
    .uses_dynamic_stack: false
    .vgpr_count:     96
    .vgpr_spill_count: 0
    .wavefront_size: 32
  - .args:
      - .offset:         0
        .size:           128
        .value_kind:     by_value
    .group_segment_fixed_size: 0
    .kernarg_segment_align: 8
    .kernarg_segment_size: 128
    .language:       OpenCL C
    .language_version:
      - 2
      - 0
    .max_flat_workgroup_size: 512
    .name:           _ZN7rocprim17ROCPRIM_400000_NS6detail17trampoline_kernelINS0_14default_configENS1_33run_length_encode_config_selectorItjNS0_4plusIjEEEEZZNS1_33reduce_by_key_impl_wrapped_configILNS1_25lookback_scan_determinismE0ES3_S7_PKtNS0_17constant_iteratorIjlEEPtPlSF_S6_NS0_8equal_toItEEEE10hipError_tPvRmT2_T3_mT4_T5_T6_T7_T8_P12ihipStream_tbENKUlT_T0_E_clISt17integral_constantIbLb0EESY_IbLb1EEEEDaSU_SV_EUlSU_E_NS1_11comp_targetILNS1_3genE5ELNS1_11target_archE942ELNS1_3gpuE9ELNS1_3repE0EEENS1_30default_config_static_selectorELNS0_4arch9wavefront6targetE0EEEvT1_
    .private_segment_fixed_size: 0
    .sgpr_count:     0
    .sgpr_spill_count: 0
    .symbol:         _ZN7rocprim17ROCPRIM_400000_NS6detail17trampoline_kernelINS0_14default_configENS1_33run_length_encode_config_selectorItjNS0_4plusIjEEEEZZNS1_33reduce_by_key_impl_wrapped_configILNS1_25lookback_scan_determinismE0ES3_S7_PKtNS0_17constant_iteratorIjlEEPtPlSF_S6_NS0_8equal_toItEEEE10hipError_tPvRmT2_T3_mT4_T5_T6_T7_T8_P12ihipStream_tbENKUlT_T0_E_clISt17integral_constantIbLb0EESY_IbLb1EEEEDaSU_SV_EUlSU_E_NS1_11comp_targetILNS1_3genE5ELNS1_11target_archE942ELNS1_3gpuE9ELNS1_3repE0EEENS1_30default_config_static_selectorELNS0_4arch9wavefront6targetE0EEEvT1_.kd
    .uniform_work_group_size: 1
    .uses_dynamic_stack: false
    .vgpr_count:     0
    .vgpr_spill_count: 0
    .wavefront_size: 32
  - .args:
      - .offset:         0
        .size:           128
        .value_kind:     by_value
    .group_segment_fixed_size: 0
    .kernarg_segment_align: 8
    .kernarg_segment_size: 128
    .language:       OpenCL C
    .language_version:
      - 2
      - 0
    .max_flat_workgroup_size: 192
    .name:           _ZN7rocprim17ROCPRIM_400000_NS6detail17trampoline_kernelINS0_14default_configENS1_33run_length_encode_config_selectorItjNS0_4plusIjEEEEZZNS1_33reduce_by_key_impl_wrapped_configILNS1_25lookback_scan_determinismE0ES3_S7_PKtNS0_17constant_iteratorIjlEEPtPlSF_S6_NS0_8equal_toItEEEE10hipError_tPvRmT2_T3_mT4_T5_T6_T7_T8_P12ihipStream_tbENKUlT_T0_E_clISt17integral_constantIbLb0EESY_IbLb1EEEEDaSU_SV_EUlSU_E_NS1_11comp_targetILNS1_3genE4ELNS1_11target_archE910ELNS1_3gpuE8ELNS1_3repE0EEENS1_30default_config_static_selectorELNS0_4arch9wavefront6targetE0EEEvT1_
    .private_segment_fixed_size: 0
    .sgpr_count:     0
    .sgpr_spill_count: 0
    .symbol:         _ZN7rocprim17ROCPRIM_400000_NS6detail17trampoline_kernelINS0_14default_configENS1_33run_length_encode_config_selectorItjNS0_4plusIjEEEEZZNS1_33reduce_by_key_impl_wrapped_configILNS1_25lookback_scan_determinismE0ES3_S7_PKtNS0_17constant_iteratorIjlEEPtPlSF_S6_NS0_8equal_toItEEEE10hipError_tPvRmT2_T3_mT4_T5_T6_T7_T8_P12ihipStream_tbENKUlT_T0_E_clISt17integral_constantIbLb0EESY_IbLb1EEEEDaSU_SV_EUlSU_E_NS1_11comp_targetILNS1_3genE4ELNS1_11target_archE910ELNS1_3gpuE8ELNS1_3repE0EEENS1_30default_config_static_selectorELNS0_4arch9wavefront6targetE0EEEvT1_.kd
    .uniform_work_group_size: 1
    .uses_dynamic_stack: false
    .vgpr_count:     0
    .vgpr_spill_count: 0
    .wavefront_size: 32
  - .args:
      - .offset:         0
        .size:           128
        .value_kind:     by_value
    .group_segment_fixed_size: 0
    .kernarg_segment_align: 8
    .kernarg_segment_size: 128
    .language:       OpenCL C
    .language_version:
      - 2
      - 0
    .max_flat_workgroup_size: 512
    .name:           _ZN7rocprim17ROCPRIM_400000_NS6detail17trampoline_kernelINS0_14default_configENS1_33run_length_encode_config_selectorItjNS0_4plusIjEEEEZZNS1_33reduce_by_key_impl_wrapped_configILNS1_25lookback_scan_determinismE0ES3_S7_PKtNS0_17constant_iteratorIjlEEPtPlSF_S6_NS0_8equal_toItEEEE10hipError_tPvRmT2_T3_mT4_T5_T6_T7_T8_P12ihipStream_tbENKUlT_T0_E_clISt17integral_constantIbLb0EESY_IbLb1EEEEDaSU_SV_EUlSU_E_NS1_11comp_targetILNS1_3genE3ELNS1_11target_archE908ELNS1_3gpuE7ELNS1_3repE0EEENS1_30default_config_static_selectorELNS0_4arch9wavefront6targetE0EEEvT1_
    .private_segment_fixed_size: 0
    .sgpr_count:     0
    .sgpr_spill_count: 0
    .symbol:         _ZN7rocprim17ROCPRIM_400000_NS6detail17trampoline_kernelINS0_14default_configENS1_33run_length_encode_config_selectorItjNS0_4plusIjEEEEZZNS1_33reduce_by_key_impl_wrapped_configILNS1_25lookback_scan_determinismE0ES3_S7_PKtNS0_17constant_iteratorIjlEEPtPlSF_S6_NS0_8equal_toItEEEE10hipError_tPvRmT2_T3_mT4_T5_T6_T7_T8_P12ihipStream_tbENKUlT_T0_E_clISt17integral_constantIbLb0EESY_IbLb1EEEEDaSU_SV_EUlSU_E_NS1_11comp_targetILNS1_3genE3ELNS1_11target_archE908ELNS1_3gpuE7ELNS1_3repE0EEENS1_30default_config_static_selectorELNS0_4arch9wavefront6targetE0EEEvT1_.kd
    .uniform_work_group_size: 1
    .uses_dynamic_stack: false
    .vgpr_count:     0
    .vgpr_spill_count: 0
    .wavefront_size: 32
  - .args:
      - .offset:         0
        .size:           128
        .value_kind:     by_value
    .group_segment_fixed_size: 0
    .kernarg_segment_align: 8
    .kernarg_segment_size: 128
    .language:       OpenCL C
    .language_version:
      - 2
      - 0
    .max_flat_workgroup_size: 256
    .name:           _ZN7rocprim17ROCPRIM_400000_NS6detail17trampoline_kernelINS0_14default_configENS1_33run_length_encode_config_selectorItjNS0_4plusIjEEEEZZNS1_33reduce_by_key_impl_wrapped_configILNS1_25lookback_scan_determinismE0ES3_S7_PKtNS0_17constant_iteratorIjlEEPtPlSF_S6_NS0_8equal_toItEEEE10hipError_tPvRmT2_T3_mT4_T5_T6_T7_T8_P12ihipStream_tbENKUlT_T0_E_clISt17integral_constantIbLb0EESY_IbLb1EEEEDaSU_SV_EUlSU_E_NS1_11comp_targetILNS1_3genE2ELNS1_11target_archE906ELNS1_3gpuE6ELNS1_3repE0EEENS1_30default_config_static_selectorELNS0_4arch9wavefront6targetE0EEEvT1_
    .private_segment_fixed_size: 0
    .sgpr_count:     0
    .sgpr_spill_count: 0
    .symbol:         _ZN7rocprim17ROCPRIM_400000_NS6detail17trampoline_kernelINS0_14default_configENS1_33run_length_encode_config_selectorItjNS0_4plusIjEEEEZZNS1_33reduce_by_key_impl_wrapped_configILNS1_25lookback_scan_determinismE0ES3_S7_PKtNS0_17constant_iteratorIjlEEPtPlSF_S6_NS0_8equal_toItEEEE10hipError_tPvRmT2_T3_mT4_T5_T6_T7_T8_P12ihipStream_tbENKUlT_T0_E_clISt17integral_constantIbLb0EESY_IbLb1EEEEDaSU_SV_EUlSU_E_NS1_11comp_targetILNS1_3genE2ELNS1_11target_archE906ELNS1_3gpuE6ELNS1_3repE0EEENS1_30default_config_static_selectorELNS0_4arch9wavefront6targetE0EEEvT1_.kd
    .uniform_work_group_size: 1
    .uses_dynamic_stack: false
    .vgpr_count:     0
    .vgpr_spill_count: 0
    .wavefront_size: 32
  - .args:
      - .offset:         0
        .size:           128
        .value_kind:     by_value
    .group_segment_fixed_size: 0
    .kernarg_segment_align: 8
    .kernarg_segment_size: 128
    .language:       OpenCL C
    .language_version:
      - 2
      - 0
    .max_flat_workgroup_size: 512
    .name:           _ZN7rocprim17ROCPRIM_400000_NS6detail17trampoline_kernelINS0_14default_configENS1_33run_length_encode_config_selectorItjNS0_4plusIjEEEEZZNS1_33reduce_by_key_impl_wrapped_configILNS1_25lookback_scan_determinismE0ES3_S7_PKtNS0_17constant_iteratorIjlEEPtPlSF_S6_NS0_8equal_toItEEEE10hipError_tPvRmT2_T3_mT4_T5_T6_T7_T8_P12ihipStream_tbENKUlT_T0_E_clISt17integral_constantIbLb0EESY_IbLb1EEEEDaSU_SV_EUlSU_E_NS1_11comp_targetILNS1_3genE10ELNS1_11target_archE1201ELNS1_3gpuE5ELNS1_3repE0EEENS1_30default_config_static_selectorELNS0_4arch9wavefront6targetE0EEEvT1_
    .private_segment_fixed_size: 0
    .sgpr_count:     0
    .sgpr_spill_count: 0
    .symbol:         _ZN7rocprim17ROCPRIM_400000_NS6detail17trampoline_kernelINS0_14default_configENS1_33run_length_encode_config_selectorItjNS0_4plusIjEEEEZZNS1_33reduce_by_key_impl_wrapped_configILNS1_25lookback_scan_determinismE0ES3_S7_PKtNS0_17constant_iteratorIjlEEPtPlSF_S6_NS0_8equal_toItEEEE10hipError_tPvRmT2_T3_mT4_T5_T6_T7_T8_P12ihipStream_tbENKUlT_T0_E_clISt17integral_constantIbLb0EESY_IbLb1EEEEDaSU_SV_EUlSU_E_NS1_11comp_targetILNS1_3genE10ELNS1_11target_archE1201ELNS1_3gpuE5ELNS1_3repE0EEENS1_30default_config_static_selectorELNS0_4arch9wavefront6targetE0EEEvT1_.kd
    .uniform_work_group_size: 1
    .uses_dynamic_stack: false
    .vgpr_count:     0
    .vgpr_spill_count: 0
    .wavefront_size: 32
  - .args:
      - .offset:         0
        .size:           128
        .value_kind:     by_value
    .group_segment_fixed_size: 0
    .kernarg_segment_align: 8
    .kernarg_segment_size: 128
    .language:       OpenCL C
    .language_version:
      - 2
      - 0
    .max_flat_workgroup_size: 384
    .name:           _ZN7rocprim17ROCPRIM_400000_NS6detail17trampoline_kernelINS0_14default_configENS1_33run_length_encode_config_selectorItjNS0_4plusIjEEEEZZNS1_33reduce_by_key_impl_wrapped_configILNS1_25lookback_scan_determinismE0ES3_S7_PKtNS0_17constant_iteratorIjlEEPtPlSF_S6_NS0_8equal_toItEEEE10hipError_tPvRmT2_T3_mT4_T5_T6_T7_T8_P12ihipStream_tbENKUlT_T0_E_clISt17integral_constantIbLb0EESY_IbLb1EEEEDaSU_SV_EUlSU_E_NS1_11comp_targetILNS1_3genE10ELNS1_11target_archE1200ELNS1_3gpuE4ELNS1_3repE0EEENS1_30default_config_static_selectorELNS0_4arch9wavefront6targetE0EEEvT1_
    .private_segment_fixed_size: 0
    .sgpr_count:     0
    .sgpr_spill_count: 0
    .symbol:         _ZN7rocprim17ROCPRIM_400000_NS6detail17trampoline_kernelINS0_14default_configENS1_33run_length_encode_config_selectorItjNS0_4plusIjEEEEZZNS1_33reduce_by_key_impl_wrapped_configILNS1_25lookback_scan_determinismE0ES3_S7_PKtNS0_17constant_iteratorIjlEEPtPlSF_S6_NS0_8equal_toItEEEE10hipError_tPvRmT2_T3_mT4_T5_T6_T7_T8_P12ihipStream_tbENKUlT_T0_E_clISt17integral_constantIbLb0EESY_IbLb1EEEEDaSU_SV_EUlSU_E_NS1_11comp_targetILNS1_3genE10ELNS1_11target_archE1200ELNS1_3gpuE4ELNS1_3repE0EEENS1_30default_config_static_selectorELNS0_4arch9wavefront6targetE0EEEvT1_.kd
    .uniform_work_group_size: 1
    .uses_dynamic_stack: false
    .vgpr_count:     0
    .vgpr_spill_count: 0
    .wavefront_size: 32
  - .args:
      - .offset:         0
        .size:           128
        .value_kind:     by_value
    .group_segment_fixed_size: 0
    .kernarg_segment_align: 8
    .kernarg_segment_size: 128
    .language:       OpenCL C
    .language_version:
      - 2
      - 0
    .max_flat_workgroup_size: 512
    .name:           _ZN7rocprim17ROCPRIM_400000_NS6detail17trampoline_kernelINS0_14default_configENS1_33run_length_encode_config_selectorItjNS0_4plusIjEEEEZZNS1_33reduce_by_key_impl_wrapped_configILNS1_25lookback_scan_determinismE0ES3_S7_PKtNS0_17constant_iteratorIjlEEPtPlSF_S6_NS0_8equal_toItEEEE10hipError_tPvRmT2_T3_mT4_T5_T6_T7_T8_P12ihipStream_tbENKUlT_T0_E_clISt17integral_constantIbLb0EESY_IbLb1EEEEDaSU_SV_EUlSU_E_NS1_11comp_targetILNS1_3genE9ELNS1_11target_archE1100ELNS1_3gpuE3ELNS1_3repE0EEENS1_30default_config_static_selectorELNS0_4arch9wavefront6targetE0EEEvT1_
    .private_segment_fixed_size: 0
    .sgpr_count:     0
    .sgpr_spill_count: 0
    .symbol:         _ZN7rocprim17ROCPRIM_400000_NS6detail17trampoline_kernelINS0_14default_configENS1_33run_length_encode_config_selectorItjNS0_4plusIjEEEEZZNS1_33reduce_by_key_impl_wrapped_configILNS1_25lookback_scan_determinismE0ES3_S7_PKtNS0_17constant_iteratorIjlEEPtPlSF_S6_NS0_8equal_toItEEEE10hipError_tPvRmT2_T3_mT4_T5_T6_T7_T8_P12ihipStream_tbENKUlT_T0_E_clISt17integral_constantIbLb0EESY_IbLb1EEEEDaSU_SV_EUlSU_E_NS1_11comp_targetILNS1_3genE9ELNS1_11target_archE1100ELNS1_3gpuE3ELNS1_3repE0EEENS1_30default_config_static_selectorELNS0_4arch9wavefront6targetE0EEEvT1_.kd
    .uniform_work_group_size: 1
    .uses_dynamic_stack: false
    .vgpr_count:     0
    .vgpr_spill_count: 0
    .wavefront_size: 32
  - .args:
      - .offset:         0
        .size:           128
        .value_kind:     by_value
    .group_segment_fixed_size: 0
    .kernarg_segment_align: 8
    .kernarg_segment_size: 128
    .language:       OpenCL C
    .language_version:
      - 2
      - 0
    .max_flat_workgroup_size: 384
    .name:           _ZN7rocprim17ROCPRIM_400000_NS6detail17trampoline_kernelINS0_14default_configENS1_33run_length_encode_config_selectorItjNS0_4plusIjEEEEZZNS1_33reduce_by_key_impl_wrapped_configILNS1_25lookback_scan_determinismE0ES3_S7_PKtNS0_17constant_iteratorIjlEEPtPlSF_S6_NS0_8equal_toItEEEE10hipError_tPvRmT2_T3_mT4_T5_T6_T7_T8_P12ihipStream_tbENKUlT_T0_E_clISt17integral_constantIbLb0EESY_IbLb1EEEEDaSU_SV_EUlSU_E_NS1_11comp_targetILNS1_3genE8ELNS1_11target_archE1030ELNS1_3gpuE2ELNS1_3repE0EEENS1_30default_config_static_selectorELNS0_4arch9wavefront6targetE0EEEvT1_
    .private_segment_fixed_size: 0
    .sgpr_count:     0
    .sgpr_spill_count: 0
    .symbol:         _ZN7rocprim17ROCPRIM_400000_NS6detail17trampoline_kernelINS0_14default_configENS1_33run_length_encode_config_selectorItjNS0_4plusIjEEEEZZNS1_33reduce_by_key_impl_wrapped_configILNS1_25lookback_scan_determinismE0ES3_S7_PKtNS0_17constant_iteratorIjlEEPtPlSF_S6_NS0_8equal_toItEEEE10hipError_tPvRmT2_T3_mT4_T5_T6_T7_T8_P12ihipStream_tbENKUlT_T0_E_clISt17integral_constantIbLb0EESY_IbLb1EEEEDaSU_SV_EUlSU_E_NS1_11comp_targetILNS1_3genE8ELNS1_11target_archE1030ELNS1_3gpuE2ELNS1_3repE0EEENS1_30default_config_static_selectorELNS0_4arch9wavefront6targetE0EEEvT1_.kd
    .uniform_work_group_size: 1
    .uses_dynamic_stack: false
    .vgpr_count:     0
    .vgpr_spill_count: 0
    .wavefront_size: 32
  - .args:
      - .offset:         0
        .size:           8
        .value_kind:     by_value
      - .address_space:  global
        .offset:         8
        .size:           8
        .value_kind:     global_buffer
      - .address_space:  global
        .offset:         16
        .size:           8
        .value_kind:     global_buffer
      - .offset:         24
        .size:           4
        .value_kind:     hidden_block_count_x
      - .offset:         28
        .size:           4
        .value_kind:     hidden_block_count_y
      - .offset:         32
        .size:           4
        .value_kind:     hidden_block_count_z
      - .offset:         36
        .size:           2
        .value_kind:     hidden_group_size_x
      - .offset:         38
        .size:           2
        .value_kind:     hidden_group_size_y
      - .offset:         40
        .size:           2
        .value_kind:     hidden_group_size_z
      - .offset:         42
        .size:           2
        .value_kind:     hidden_remainder_x
      - .offset:         44
        .size:           2
        .value_kind:     hidden_remainder_y
      - .offset:         46
        .size:           2
        .value_kind:     hidden_remainder_z
      - .offset:         64
        .size:           8
        .value_kind:     hidden_global_offset_x
      - .offset:         72
        .size:           8
        .value_kind:     hidden_global_offset_y
      - .offset:         80
        .size:           8
        .value_kind:     hidden_global_offset_z
      - .offset:         88
        .size:           2
        .value_kind:     hidden_grid_dims
    .group_segment_fixed_size: 0
    .kernarg_segment_align: 8
    .kernarg_segment_size: 280
    .language:       OpenCL C
    .language_version:
      - 2
      - 0
    .max_flat_workgroup_size: 1024
    .name:           _ZN2at6native8internal12_GLOBAL__N_126adjacent_difference_kernelIPKN3c108BFloat16EEEvlT_Pi
    .private_segment_fixed_size: 0
    .sgpr_count:     20
    .sgpr_spill_count: 0
    .symbol:         _ZN2at6native8internal12_GLOBAL__N_126adjacent_difference_kernelIPKN3c108BFloat16EEEvlT_Pi.kd
    .uniform_work_group_size: 1
    .uses_dynamic_stack: false
    .vgpr_count:     10
    .vgpr_spill_count: 0
    .wavefront_size: 32
  - .args:
      - .offset:         0
        .size:           112
        .value_kind:     by_value
    .group_segment_fixed_size: 15368
    .kernarg_segment_align: 8
    .kernarg_segment_size: 112
    .language:       OpenCL C
    .language_version:
      - 2
      - 0
    .max_flat_workgroup_size: 256
    .name:           _ZN7rocprim17ROCPRIM_400000_NS6detail17trampoline_kernelINS0_14default_configENS1_25partition_config_selectorILNS1_17partition_subalgoE8EN3c108BFloat16ENS0_10empty_typeEbEEZZNS1_14partition_implILS5_8ELb0ES3_jPKS7_PS8_PKS8_NS0_5tupleIJPS7_S8_EEENSG_IJSD_SD_EEENS0_18inequality_wrapperIN6hipcub16HIPCUB_304000_NS8EqualityEEEPlJS8_EEE10hipError_tPvRmT3_T4_T5_T6_T7_T9_mT8_P12ihipStream_tbDpT10_ENKUlT_T0_E_clISt17integral_constantIbLb0EES19_EEDaS14_S15_EUlS14_E_NS1_11comp_targetILNS1_3genE0ELNS1_11target_archE4294967295ELNS1_3gpuE0ELNS1_3repE0EEENS1_30default_config_static_selectorELNS0_4arch9wavefront6targetE0EEEvT1_
    .private_segment_fixed_size: 0
    .sgpr_count:     51
    .sgpr_spill_count: 0
    .symbol:         _ZN7rocprim17ROCPRIM_400000_NS6detail17trampoline_kernelINS0_14default_configENS1_25partition_config_selectorILNS1_17partition_subalgoE8EN3c108BFloat16ENS0_10empty_typeEbEEZZNS1_14partition_implILS5_8ELb0ES3_jPKS7_PS8_PKS8_NS0_5tupleIJPS7_S8_EEENSG_IJSD_SD_EEENS0_18inequality_wrapperIN6hipcub16HIPCUB_304000_NS8EqualityEEEPlJS8_EEE10hipError_tPvRmT3_T4_T5_T6_T7_T9_mT8_P12ihipStream_tbDpT10_ENKUlT_T0_E_clISt17integral_constantIbLb0EES19_EEDaS14_S15_EUlS14_E_NS1_11comp_targetILNS1_3genE0ELNS1_11target_archE4294967295ELNS1_3gpuE0ELNS1_3repE0EEENS1_30default_config_static_selectorELNS0_4arch9wavefront6targetE0EEEvT1_.kd
    .uniform_work_group_size: 1
    .uses_dynamic_stack: false
    .vgpr_count:     114
    .vgpr_spill_count: 0
    .wavefront_size: 32
  - .args:
      - .offset:         0
        .size:           112
        .value_kind:     by_value
    .group_segment_fixed_size: 0
    .kernarg_segment_align: 8
    .kernarg_segment_size: 112
    .language:       OpenCL C
    .language_version:
      - 2
      - 0
    .max_flat_workgroup_size: 512
    .name:           _ZN7rocprim17ROCPRIM_400000_NS6detail17trampoline_kernelINS0_14default_configENS1_25partition_config_selectorILNS1_17partition_subalgoE8EN3c108BFloat16ENS0_10empty_typeEbEEZZNS1_14partition_implILS5_8ELb0ES3_jPKS7_PS8_PKS8_NS0_5tupleIJPS7_S8_EEENSG_IJSD_SD_EEENS0_18inequality_wrapperIN6hipcub16HIPCUB_304000_NS8EqualityEEEPlJS8_EEE10hipError_tPvRmT3_T4_T5_T6_T7_T9_mT8_P12ihipStream_tbDpT10_ENKUlT_T0_E_clISt17integral_constantIbLb0EES19_EEDaS14_S15_EUlS14_E_NS1_11comp_targetILNS1_3genE5ELNS1_11target_archE942ELNS1_3gpuE9ELNS1_3repE0EEENS1_30default_config_static_selectorELNS0_4arch9wavefront6targetE0EEEvT1_
    .private_segment_fixed_size: 0
    .sgpr_count:     0
    .sgpr_spill_count: 0
    .symbol:         _ZN7rocprim17ROCPRIM_400000_NS6detail17trampoline_kernelINS0_14default_configENS1_25partition_config_selectorILNS1_17partition_subalgoE8EN3c108BFloat16ENS0_10empty_typeEbEEZZNS1_14partition_implILS5_8ELb0ES3_jPKS7_PS8_PKS8_NS0_5tupleIJPS7_S8_EEENSG_IJSD_SD_EEENS0_18inequality_wrapperIN6hipcub16HIPCUB_304000_NS8EqualityEEEPlJS8_EEE10hipError_tPvRmT3_T4_T5_T6_T7_T9_mT8_P12ihipStream_tbDpT10_ENKUlT_T0_E_clISt17integral_constantIbLb0EES19_EEDaS14_S15_EUlS14_E_NS1_11comp_targetILNS1_3genE5ELNS1_11target_archE942ELNS1_3gpuE9ELNS1_3repE0EEENS1_30default_config_static_selectorELNS0_4arch9wavefront6targetE0EEEvT1_.kd
    .uniform_work_group_size: 1
    .uses_dynamic_stack: false
    .vgpr_count:     0
    .vgpr_spill_count: 0
    .wavefront_size: 32
  - .args:
      - .offset:         0
        .size:           112
        .value_kind:     by_value
    .group_segment_fixed_size: 0
    .kernarg_segment_align: 8
    .kernarg_segment_size: 112
    .language:       OpenCL C
    .language_version:
      - 2
      - 0
    .max_flat_workgroup_size: 256
    .name:           _ZN7rocprim17ROCPRIM_400000_NS6detail17trampoline_kernelINS0_14default_configENS1_25partition_config_selectorILNS1_17partition_subalgoE8EN3c108BFloat16ENS0_10empty_typeEbEEZZNS1_14partition_implILS5_8ELb0ES3_jPKS7_PS8_PKS8_NS0_5tupleIJPS7_S8_EEENSG_IJSD_SD_EEENS0_18inequality_wrapperIN6hipcub16HIPCUB_304000_NS8EqualityEEEPlJS8_EEE10hipError_tPvRmT3_T4_T5_T6_T7_T9_mT8_P12ihipStream_tbDpT10_ENKUlT_T0_E_clISt17integral_constantIbLb0EES19_EEDaS14_S15_EUlS14_E_NS1_11comp_targetILNS1_3genE4ELNS1_11target_archE910ELNS1_3gpuE8ELNS1_3repE0EEENS1_30default_config_static_selectorELNS0_4arch9wavefront6targetE0EEEvT1_
    .private_segment_fixed_size: 0
    .sgpr_count:     0
    .sgpr_spill_count: 0
    .symbol:         _ZN7rocprim17ROCPRIM_400000_NS6detail17trampoline_kernelINS0_14default_configENS1_25partition_config_selectorILNS1_17partition_subalgoE8EN3c108BFloat16ENS0_10empty_typeEbEEZZNS1_14partition_implILS5_8ELb0ES3_jPKS7_PS8_PKS8_NS0_5tupleIJPS7_S8_EEENSG_IJSD_SD_EEENS0_18inequality_wrapperIN6hipcub16HIPCUB_304000_NS8EqualityEEEPlJS8_EEE10hipError_tPvRmT3_T4_T5_T6_T7_T9_mT8_P12ihipStream_tbDpT10_ENKUlT_T0_E_clISt17integral_constantIbLb0EES19_EEDaS14_S15_EUlS14_E_NS1_11comp_targetILNS1_3genE4ELNS1_11target_archE910ELNS1_3gpuE8ELNS1_3repE0EEENS1_30default_config_static_selectorELNS0_4arch9wavefront6targetE0EEEvT1_.kd
    .uniform_work_group_size: 1
    .uses_dynamic_stack: false
    .vgpr_count:     0
    .vgpr_spill_count: 0
    .wavefront_size: 32
  - .args:
      - .offset:         0
        .size:           112
        .value_kind:     by_value
    .group_segment_fixed_size: 0
    .kernarg_segment_align: 8
    .kernarg_segment_size: 112
    .language:       OpenCL C
    .language_version:
      - 2
      - 0
    .max_flat_workgroup_size: 256
    .name:           _ZN7rocprim17ROCPRIM_400000_NS6detail17trampoline_kernelINS0_14default_configENS1_25partition_config_selectorILNS1_17partition_subalgoE8EN3c108BFloat16ENS0_10empty_typeEbEEZZNS1_14partition_implILS5_8ELb0ES3_jPKS7_PS8_PKS8_NS0_5tupleIJPS7_S8_EEENSG_IJSD_SD_EEENS0_18inequality_wrapperIN6hipcub16HIPCUB_304000_NS8EqualityEEEPlJS8_EEE10hipError_tPvRmT3_T4_T5_T6_T7_T9_mT8_P12ihipStream_tbDpT10_ENKUlT_T0_E_clISt17integral_constantIbLb0EES19_EEDaS14_S15_EUlS14_E_NS1_11comp_targetILNS1_3genE3ELNS1_11target_archE908ELNS1_3gpuE7ELNS1_3repE0EEENS1_30default_config_static_selectorELNS0_4arch9wavefront6targetE0EEEvT1_
    .private_segment_fixed_size: 0
    .sgpr_count:     0
    .sgpr_spill_count: 0
    .symbol:         _ZN7rocprim17ROCPRIM_400000_NS6detail17trampoline_kernelINS0_14default_configENS1_25partition_config_selectorILNS1_17partition_subalgoE8EN3c108BFloat16ENS0_10empty_typeEbEEZZNS1_14partition_implILS5_8ELb0ES3_jPKS7_PS8_PKS8_NS0_5tupleIJPS7_S8_EEENSG_IJSD_SD_EEENS0_18inequality_wrapperIN6hipcub16HIPCUB_304000_NS8EqualityEEEPlJS8_EEE10hipError_tPvRmT3_T4_T5_T6_T7_T9_mT8_P12ihipStream_tbDpT10_ENKUlT_T0_E_clISt17integral_constantIbLb0EES19_EEDaS14_S15_EUlS14_E_NS1_11comp_targetILNS1_3genE3ELNS1_11target_archE908ELNS1_3gpuE7ELNS1_3repE0EEENS1_30default_config_static_selectorELNS0_4arch9wavefront6targetE0EEEvT1_.kd
    .uniform_work_group_size: 1
    .uses_dynamic_stack: false
    .vgpr_count:     0
    .vgpr_spill_count: 0
    .wavefront_size: 32
  - .args:
      - .offset:         0
        .size:           112
        .value_kind:     by_value
    .group_segment_fixed_size: 0
    .kernarg_segment_align: 8
    .kernarg_segment_size: 112
    .language:       OpenCL C
    .language_version:
      - 2
      - 0
    .max_flat_workgroup_size: 192
    .name:           _ZN7rocprim17ROCPRIM_400000_NS6detail17trampoline_kernelINS0_14default_configENS1_25partition_config_selectorILNS1_17partition_subalgoE8EN3c108BFloat16ENS0_10empty_typeEbEEZZNS1_14partition_implILS5_8ELb0ES3_jPKS7_PS8_PKS8_NS0_5tupleIJPS7_S8_EEENSG_IJSD_SD_EEENS0_18inequality_wrapperIN6hipcub16HIPCUB_304000_NS8EqualityEEEPlJS8_EEE10hipError_tPvRmT3_T4_T5_T6_T7_T9_mT8_P12ihipStream_tbDpT10_ENKUlT_T0_E_clISt17integral_constantIbLb0EES19_EEDaS14_S15_EUlS14_E_NS1_11comp_targetILNS1_3genE2ELNS1_11target_archE906ELNS1_3gpuE6ELNS1_3repE0EEENS1_30default_config_static_selectorELNS0_4arch9wavefront6targetE0EEEvT1_
    .private_segment_fixed_size: 0
    .sgpr_count:     0
    .sgpr_spill_count: 0
    .symbol:         _ZN7rocprim17ROCPRIM_400000_NS6detail17trampoline_kernelINS0_14default_configENS1_25partition_config_selectorILNS1_17partition_subalgoE8EN3c108BFloat16ENS0_10empty_typeEbEEZZNS1_14partition_implILS5_8ELb0ES3_jPKS7_PS8_PKS8_NS0_5tupleIJPS7_S8_EEENSG_IJSD_SD_EEENS0_18inequality_wrapperIN6hipcub16HIPCUB_304000_NS8EqualityEEEPlJS8_EEE10hipError_tPvRmT3_T4_T5_T6_T7_T9_mT8_P12ihipStream_tbDpT10_ENKUlT_T0_E_clISt17integral_constantIbLb0EES19_EEDaS14_S15_EUlS14_E_NS1_11comp_targetILNS1_3genE2ELNS1_11target_archE906ELNS1_3gpuE6ELNS1_3repE0EEENS1_30default_config_static_selectorELNS0_4arch9wavefront6targetE0EEEvT1_.kd
    .uniform_work_group_size: 1
    .uses_dynamic_stack: false
    .vgpr_count:     0
    .vgpr_spill_count: 0
    .wavefront_size: 32
  - .args:
      - .offset:         0
        .size:           112
        .value_kind:     by_value
    .group_segment_fixed_size: 0
    .kernarg_segment_align: 8
    .kernarg_segment_size: 112
    .language:       OpenCL C
    .language_version:
      - 2
      - 0
    .max_flat_workgroup_size: 256
    .name:           _ZN7rocprim17ROCPRIM_400000_NS6detail17trampoline_kernelINS0_14default_configENS1_25partition_config_selectorILNS1_17partition_subalgoE8EN3c108BFloat16ENS0_10empty_typeEbEEZZNS1_14partition_implILS5_8ELb0ES3_jPKS7_PS8_PKS8_NS0_5tupleIJPS7_S8_EEENSG_IJSD_SD_EEENS0_18inequality_wrapperIN6hipcub16HIPCUB_304000_NS8EqualityEEEPlJS8_EEE10hipError_tPvRmT3_T4_T5_T6_T7_T9_mT8_P12ihipStream_tbDpT10_ENKUlT_T0_E_clISt17integral_constantIbLb0EES19_EEDaS14_S15_EUlS14_E_NS1_11comp_targetILNS1_3genE10ELNS1_11target_archE1200ELNS1_3gpuE4ELNS1_3repE0EEENS1_30default_config_static_selectorELNS0_4arch9wavefront6targetE0EEEvT1_
    .private_segment_fixed_size: 0
    .sgpr_count:     0
    .sgpr_spill_count: 0
    .symbol:         _ZN7rocprim17ROCPRIM_400000_NS6detail17trampoline_kernelINS0_14default_configENS1_25partition_config_selectorILNS1_17partition_subalgoE8EN3c108BFloat16ENS0_10empty_typeEbEEZZNS1_14partition_implILS5_8ELb0ES3_jPKS7_PS8_PKS8_NS0_5tupleIJPS7_S8_EEENSG_IJSD_SD_EEENS0_18inequality_wrapperIN6hipcub16HIPCUB_304000_NS8EqualityEEEPlJS8_EEE10hipError_tPvRmT3_T4_T5_T6_T7_T9_mT8_P12ihipStream_tbDpT10_ENKUlT_T0_E_clISt17integral_constantIbLb0EES19_EEDaS14_S15_EUlS14_E_NS1_11comp_targetILNS1_3genE10ELNS1_11target_archE1200ELNS1_3gpuE4ELNS1_3repE0EEENS1_30default_config_static_selectorELNS0_4arch9wavefront6targetE0EEEvT1_.kd
    .uniform_work_group_size: 1
    .uses_dynamic_stack: false
    .vgpr_count:     0
    .vgpr_spill_count: 0
    .wavefront_size: 32
  - .args:
      - .offset:         0
        .size:           112
        .value_kind:     by_value
    .group_segment_fixed_size: 0
    .kernarg_segment_align: 8
    .kernarg_segment_size: 112
    .language:       OpenCL C
    .language_version:
      - 2
      - 0
    .max_flat_workgroup_size: 128
    .name:           _ZN7rocprim17ROCPRIM_400000_NS6detail17trampoline_kernelINS0_14default_configENS1_25partition_config_selectorILNS1_17partition_subalgoE8EN3c108BFloat16ENS0_10empty_typeEbEEZZNS1_14partition_implILS5_8ELb0ES3_jPKS7_PS8_PKS8_NS0_5tupleIJPS7_S8_EEENSG_IJSD_SD_EEENS0_18inequality_wrapperIN6hipcub16HIPCUB_304000_NS8EqualityEEEPlJS8_EEE10hipError_tPvRmT3_T4_T5_T6_T7_T9_mT8_P12ihipStream_tbDpT10_ENKUlT_T0_E_clISt17integral_constantIbLb0EES19_EEDaS14_S15_EUlS14_E_NS1_11comp_targetILNS1_3genE9ELNS1_11target_archE1100ELNS1_3gpuE3ELNS1_3repE0EEENS1_30default_config_static_selectorELNS0_4arch9wavefront6targetE0EEEvT1_
    .private_segment_fixed_size: 0
    .sgpr_count:     0
    .sgpr_spill_count: 0
    .symbol:         _ZN7rocprim17ROCPRIM_400000_NS6detail17trampoline_kernelINS0_14default_configENS1_25partition_config_selectorILNS1_17partition_subalgoE8EN3c108BFloat16ENS0_10empty_typeEbEEZZNS1_14partition_implILS5_8ELb0ES3_jPKS7_PS8_PKS8_NS0_5tupleIJPS7_S8_EEENSG_IJSD_SD_EEENS0_18inequality_wrapperIN6hipcub16HIPCUB_304000_NS8EqualityEEEPlJS8_EEE10hipError_tPvRmT3_T4_T5_T6_T7_T9_mT8_P12ihipStream_tbDpT10_ENKUlT_T0_E_clISt17integral_constantIbLb0EES19_EEDaS14_S15_EUlS14_E_NS1_11comp_targetILNS1_3genE9ELNS1_11target_archE1100ELNS1_3gpuE3ELNS1_3repE0EEENS1_30default_config_static_selectorELNS0_4arch9wavefront6targetE0EEEvT1_.kd
    .uniform_work_group_size: 1
    .uses_dynamic_stack: false
    .vgpr_count:     0
    .vgpr_spill_count: 0
    .wavefront_size: 32
  - .args:
      - .offset:         0
        .size:           112
        .value_kind:     by_value
    .group_segment_fixed_size: 0
    .kernarg_segment_align: 8
    .kernarg_segment_size: 112
    .language:       OpenCL C
    .language_version:
      - 2
      - 0
    .max_flat_workgroup_size: 384
    .name:           _ZN7rocprim17ROCPRIM_400000_NS6detail17trampoline_kernelINS0_14default_configENS1_25partition_config_selectorILNS1_17partition_subalgoE8EN3c108BFloat16ENS0_10empty_typeEbEEZZNS1_14partition_implILS5_8ELb0ES3_jPKS7_PS8_PKS8_NS0_5tupleIJPS7_S8_EEENSG_IJSD_SD_EEENS0_18inequality_wrapperIN6hipcub16HIPCUB_304000_NS8EqualityEEEPlJS8_EEE10hipError_tPvRmT3_T4_T5_T6_T7_T9_mT8_P12ihipStream_tbDpT10_ENKUlT_T0_E_clISt17integral_constantIbLb0EES19_EEDaS14_S15_EUlS14_E_NS1_11comp_targetILNS1_3genE8ELNS1_11target_archE1030ELNS1_3gpuE2ELNS1_3repE0EEENS1_30default_config_static_selectorELNS0_4arch9wavefront6targetE0EEEvT1_
    .private_segment_fixed_size: 0
    .sgpr_count:     0
    .sgpr_spill_count: 0
    .symbol:         _ZN7rocprim17ROCPRIM_400000_NS6detail17trampoline_kernelINS0_14default_configENS1_25partition_config_selectorILNS1_17partition_subalgoE8EN3c108BFloat16ENS0_10empty_typeEbEEZZNS1_14partition_implILS5_8ELb0ES3_jPKS7_PS8_PKS8_NS0_5tupleIJPS7_S8_EEENSG_IJSD_SD_EEENS0_18inequality_wrapperIN6hipcub16HIPCUB_304000_NS8EqualityEEEPlJS8_EEE10hipError_tPvRmT3_T4_T5_T6_T7_T9_mT8_P12ihipStream_tbDpT10_ENKUlT_T0_E_clISt17integral_constantIbLb0EES19_EEDaS14_S15_EUlS14_E_NS1_11comp_targetILNS1_3genE8ELNS1_11target_archE1030ELNS1_3gpuE2ELNS1_3repE0EEENS1_30default_config_static_selectorELNS0_4arch9wavefront6targetE0EEEvT1_.kd
    .uniform_work_group_size: 1
    .uses_dynamic_stack: false
    .vgpr_count:     0
    .vgpr_spill_count: 0
    .wavefront_size: 32
  - .args:
      - .offset:         0
        .size:           128
        .value_kind:     by_value
    .group_segment_fixed_size: 0
    .kernarg_segment_align: 8
    .kernarg_segment_size: 128
    .language:       OpenCL C
    .language_version:
      - 2
      - 0
    .max_flat_workgroup_size: 256
    .name:           _ZN7rocprim17ROCPRIM_400000_NS6detail17trampoline_kernelINS0_14default_configENS1_25partition_config_selectorILNS1_17partition_subalgoE8EN3c108BFloat16ENS0_10empty_typeEbEEZZNS1_14partition_implILS5_8ELb0ES3_jPKS7_PS8_PKS8_NS0_5tupleIJPS7_S8_EEENSG_IJSD_SD_EEENS0_18inequality_wrapperIN6hipcub16HIPCUB_304000_NS8EqualityEEEPlJS8_EEE10hipError_tPvRmT3_T4_T5_T6_T7_T9_mT8_P12ihipStream_tbDpT10_ENKUlT_T0_E_clISt17integral_constantIbLb1EES19_EEDaS14_S15_EUlS14_E_NS1_11comp_targetILNS1_3genE0ELNS1_11target_archE4294967295ELNS1_3gpuE0ELNS1_3repE0EEENS1_30default_config_static_selectorELNS0_4arch9wavefront6targetE0EEEvT1_
    .private_segment_fixed_size: 0
    .sgpr_count:     0
    .sgpr_spill_count: 0
    .symbol:         _ZN7rocprim17ROCPRIM_400000_NS6detail17trampoline_kernelINS0_14default_configENS1_25partition_config_selectorILNS1_17partition_subalgoE8EN3c108BFloat16ENS0_10empty_typeEbEEZZNS1_14partition_implILS5_8ELb0ES3_jPKS7_PS8_PKS8_NS0_5tupleIJPS7_S8_EEENSG_IJSD_SD_EEENS0_18inequality_wrapperIN6hipcub16HIPCUB_304000_NS8EqualityEEEPlJS8_EEE10hipError_tPvRmT3_T4_T5_T6_T7_T9_mT8_P12ihipStream_tbDpT10_ENKUlT_T0_E_clISt17integral_constantIbLb1EES19_EEDaS14_S15_EUlS14_E_NS1_11comp_targetILNS1_3genE0ELNS1_11target_archE4294967295ELNS1_3gpuE0ELNS1_3repE0EEENS1_30default_config_static_selectorELNS0_4arch9wavefront6targetE0EEEvT1_.kd
    .uniform_work_group_size: 1
    .uses_dynamic_stack: false
    .vgpr_count:     0
    .vgpr_spill_count: 0
    .wavefront_size: 32
  - .args:
      - .offset:         0
        .size:           128
        .value_kind:     by_value
    .group_segment_fixed_size: 0
    .kernarg_segment_align: 8
    .kernarg_segment_size: 128
    .language:       OpenCL C
    .language_version:
      - 2
      - 0
    .max_flat_workgroup_size: 512
    .name:           _ZN7rocprim17ROCPRIM_400000_NS6detail17trampoline_kernelINS0_14default_configENS1_25partition_config_selectorILNS1_17partition_subalgoE8EN3c108BFloat16ENS0_10empty_typeEbEEZZNS1_14partition_implILS5_8ELb0ES3_jPKS7_PS8_PKS8_NS0_5tupleIJPS7_S8_EEENSG_IJSD_SD_EEENS0_18inequality_wrapperIN6hipcub16HIPCUB_304000_NS8EqualityEEEPlJS8_EEE10hipError_tPvRmT3_T4_T5_T6_T7_T9_mT8_P12ihipStream_tbDpT10_ENKUlT_T0_E_clISt17integral_constantIbLb1EES19_EEDaS14_S15_EUlS14_E_NS1_11comp_targetILNS1_3genE5ELNS1_11target_archE942ELNS1_3gpuE9ELNS1_3repE0EEENS1_30default_config_static_selectorELNS0_4arch9wavefront6targetE0EEEvT1_
    .private_segment_fixed_size: 0
    .sgpr_count:     0
    .sgpr_spill_count: 0
    .symbol:         _ZN7rocprim17ROCPRIM_400000_NS6detail17trampoline_kernelINS0_14default_configENS1_25partition_config_selectorILNS1_17partition_subalgoE8EN3c108BFloat16ENS0_10empty_typeEbEEZZNS1_14partition_implILS5_8ELb0ES3_jPKS7_PS8_PKS8_NS0_5tupleIJPS7_S8_EEENSG_IJSD_SD_EEENS0_18inequality_wrapperIN6hipcub16HIPCUB_304000_NS8EqualityEEEPlJS8_EEE10hipError_tPvRmT3_T4_T5_T6_T7_T9_mT8_P12ihipStream_tbDpT10_ENKUlT_T0_E_clISt17integral_constantIbLb1EES19_EEDaS14_S15_EUlS14_E_NS1_11comp_targetILNS1_3genE5ELNS1_11target_archE942ELNS1_3gpuE9ELNS1_3repE0EEENS1_30default_config_static_selectorELNS0_4arch9wavefront6targetE0EEEvT1_.kd
    .uniform_work_group_size: 1
    .uses_dynamic_stack: false
    .vgpr_count:     0
    .vgpr_spill_count: 0
    .wavefront_size: 32
  - .args:
      - .offset:         0
        .size:           128
        .value_kind:     by_value
    .group_segment_fixed_size: 0
    .kernarg_segment_align: 8
    .kernarg_segment_size: 128
    .language:       OpenCL C
    .language_version:
      - 2
      - 0
    .max_flat_workgroup_size: 256
    .name:           _ZN7rocprim17ROCPRIM_400000_NS6detail17trampoline_kernelINS0_14default_configENS1_25partition_config_selectorILNS1_17partition_subalgoE8EN3c108BFloat16ENS0_10empty_typeEbEEZZNS1_14partition_implILS5_8ELb0ES3_jPKS7_PS8_PKS8_NS0_5tupleIJPS7_S8_EEENSG_IJSD_SD_EEENS0_18inequality_wrapperIN6hipcub16HIPCUB_304000_NS8EqualityEEEPlJS8_EEE10hipError_tPvRmT3_T4_T5_T6_T7_T9_mT8_P12ihipStream_tbDpT10_ENKUlT_T0_E_clISt17integral_constantIbLb1EES19_EEDaS14_S15_EUlS14_E_NS1_11comp_targetILNS1_3genE4ELNS1_11target_archE910ELNS1_3gpuE8ELNS1_3repE0EEENS1_30default_config_static_selectorELNS0_4arch9wavefront6targetE0EEEvT1_
    .private_segment_fixed_size: 0
    .sgpr_count:     0
    .sgpr_spill_count: 0
    .symbol:         _ZN7rocprim17ROCPRIM_400000_NS6detail17trampoline_kernelINS0_14default_configENS1_25partition_config_selectorILNS1_17partition_subalgoE8EN3c108BFloat16ENS0_10empty_typeEbEEZZNS1_14partition_implILS5_8ELb0ES3_jPKS7_PS8_PKS8_NS0_5tupleIJPS7_S8_EEENSG_IJSD_SD_EEENS0_18inequality_wrapperIN6hipcub16HIPCUB_304000_NS8EqualityEEEPlJS8_EEE10hipError_tPvRmT3_T4_T5_T6_T7_T9_mT8_P12ihipStream_tbDpT10_ENKUlT_T0_E_clISt17integral_constantIbLb1EES19_EEDaS14_S15_EUlS14_E_NS1_11comp_targetILNS1_3genE4ELNS1_11target_archE910ELNS1_3gpuE8ELNS1_3repE0EEENS1_30default_config_static_selectorELNS0_4arch9wavefront6targetE0EEEvT1_.kd
    .uniform_work_group_size: 1
    .uses_dynamic_stack: false
    .vgpr_count:     0
    .vgpr_spill_count: 0
    .wavefront_size: 32
  - .args:
      - .offset:         0
        .size:           128
        .value_kind:     by_value
    .group_segment_fixed_size: 0
    .kernarg_segment_align: 8
    .kernarg_segment_size: 128
    .language:       OpenCL C
    .language_version:
      - 2
      - 0
    .max_flat_workgroup_size: 256
    .name:           _ZN7rocprim17ROCPRIM_400000_NS6detail17trampoline_kernelINS0_14default_configENS1_25partition_config_selectorILNS1_17partition_subalgoE8EN3c108BFloat16ENS0_10empty_typeEbEEZZNS1_14partition_implILS5_8ELb0ES3_jPKS7_PS8_PKS8_NS0_5tupleIJPS7_S8_EEENSG_IJSD_SD_EEENS0_18inequality_wrapperIN6hipcub16HIPCUB_304000_NS8EqualityEEEPlJS8_EEE10hipError_tPvRmT3_T4_T5_T6_T7_T9_mT8_P12ihipStream_tbDpT10_ENKUlT_T0_E_clISt17integral_constantIbLb1EES19_EEDaS14_S15_EUlS14_E_NS1_11comp_targetILNS1_3genE3ELNS1_11target_archE908ELNS1_3gpuE7ELNS1_3repE0EEENS1_30default_config_static_selectorELNS0_4arch9wavefront6targetE0EEEvT1_
    .private_segment_fixed_size: 0
    .sgpr_count:     0
    .sgpr_spill_count: 0
    .symbol:         _ZN7rocprim17ROCPRIM_400000_NS6detail17trampoline_kernelINS0_14default_configENS1_25partition_config_selectorILNS1_17partition_subalgoE8EN3c108BFloat16ENS0_10empty_typeEbEEZZNS1_14partition_implILS5_8ELb0ES3_jPKS7_PS8_PKS8_NS0_5tupleIJPS7_S8_EEENSG_IJSD_SD_EEENS0_18inequality_wrapperIN6hipcub16HIPCUB_304000_NS8EqualityEEEPlJS8_EEE10hipError_tPvRmT3_T4_T5_T6_T7_T9_mT8_P12ihipStream_tbDpT10_ENKUlT_T0_E_clISt17integral_constantIbLb1EES19_EEDaS14_S15_EUlS14_E_NS1_11comp_targetILNS1_3genE3ELNS1_11target_archE908ELNS1_3gpuE7ELNS1_3repE0EEENS1_30default_config_static_selectorELNS0_4arch9wavefront6targetE0EEEvT1_.kd
    .uniform_work_group_size: 1
    .uses_dynamic_stack: false
    .vgpr_count:     0
    .vgpr_spill_count: 0
    .wavefront_size: 32
  - .args:
      - .offset:         0
        .size:           128
        .value_kind:     by_value
    .group_segment_fixed_size: 0
    .kernarg_segment_align: 8
    .kernarg_segment_size: 128
    .language:       OpenCL C
    .language_version:
      - 2
      - 0
    .max_flat_workgroup_size: 192
    .name:           _ZN7rocprim17ROCPRIM_400000_NS6detail17trampoline_kernelINS0_14default_configENS1_25partition_config_selectorILNS1_17partition_subalgoE8EN3c108BFloat16ENS0_10empty_typeEbEEZZNS1_14partition_implILS5_8ELb0ES3_jPKS7_PS8_PKS8_NS0_5tupleIJPS7_S8_EEENSG_IJSD_SD_EEENS0_18inequality_wrapperIN6hipcub16HIPCUB_304000_NS8EqualityEEEPlJS8_EEE10hipError_tPvRmT3_T4_T5_T6_T7_T9_mT8_P12ihipStream_tbDpT10_ENKUlT_T0_E_clISt17integral_constantIbLb1EES19_EEDaS14_S15_EUlS14_E_NS1_11comp_targetILNS1_3genE2ELNS1_11target_archE906ELNS1_3gpuE6ELNS1_3repE0EEENS1_30default_config_static_selectorELNS0_4arch9wavefront6targetE0EEEvT1_
    .private_segment_fixed_size: 0
    .sgpr_count:     0
    .sgpr_spill_count: 0
    .symbol:         _ZN7rocprim17ROCPRIM_400000_NS6detail17trampoline_kernelINS0_14default_configENS1_25partition_config_selectorILNS1_17partition_subalgoE8EN3c108BFloat16ENS0_10empty_typeEbEEZZNS1_14partition_implILS5_8ELb0ES3_jPKS7_PS8_PKS8_NS0_5tupleIJPS7_S8_EEENSG_IJSD_SD_EEENS0_18inequality_wrapperIN6hipcub16HIPCUB_304000_NS8EqualityEEEPlJS8_EEE10hipError_tPvRmT3_T4_T5_T6_T7_T9_mT8_P12ihipStream_tbDpT10_ENKUlT_T0_E_clISt17integral_constantIbLb1EES19_EEDaS14_S15_EUlS14_E_NS1_11comp_targetILNS1_3genE2ELNS1_11target_archE906ELNS1_3gpuE6ELNS1_3repE0EEENS1_30default_config_static_selectorELNS0_4arch9wavefront6targetE0EEEvT1_.kd
    .uniform_work_group_size: 1
    .uses_dynamic_stack: false
    .vgpr_count:     0
    .vgpr_spill_count: 0
    .wavefront_size: 32
  - .args:
      - .offset:         0
        .size:           128
        .value_kind:     by_value
    .group_segment_fixed_size: 0
    .kernarg_segment_align: 8
    .kernarg_segment_size: 128
    .language:       OpenCL C
    .language_version:
      - 2
      - 0
    .max_flat_workgroup_size: 256
    .name:           _ZN7rocprim17ROCPRIM_400000_NS6detail17trampoline_kernelINS0_14default_configENS1_25partition_config_selectorILNS1_17partition_subalgoE8EN3c108BFloat16ENS0_10empty_typeEbEEZZNS1_14partition_implILS5_8ELb0ES3_jPKS7_PS8_PKS8_NS0_5tupleIJPS7_S8_EEENSG_IJSD_SD_EEENS0_18inequality_wrapperIN6hipcub16HIPCUB_304000_NS8EqualityEEEPlJS8_EEE10hipError_tPvRmT3_T4_T5_T6_T7_T9_mT8_P12ihipStream_tbDpT10_ENKUlT_T0_E_clISt17integral_constantIbLb1EES19_EEDaS14_S15_EUlS14_E_NS1_11comp_targetILNS1_3genE10ELNS1_11target_archE1200ELNS1_3gpuE4ELNS1_3repE0EEENS1_30default_config_static_selectorELNS0_4arch9wavefront6targetE0EEEvT1_
    .private_segment_fixed_size: 0
    .sgpr_count:     0
    .sgpr_spill_count: 0
    .symbol:         _ZN7rocprim17ROCPRIM_400000_NS6detail17trampoline_kernelINS0_14default_configENS1_25partition_config_selectorILNS1_17partition_subalgoE8EN3c108BFloat16ENS0_10empty_typeEbEEZZNS1_14partition_implILS5_8ELb0ES3_jPKS7_PS8_PKS8_NS0_5tupleIJPS7_S8_EEENSG_IJSD_SD_EEENS0_18inequality_wrapperIN6hipcub16HIPCUB_304000_NS8EqualityEEEPlJS8_EEE10hipError_tPvRmT3_T4_T5_T6_T7_T9_mT8_P12ihipStream_tbDpT10_ENKUlT_T0_E_clISt17integral_constantIbLb1EES19_EEDaS14_S15_EUlS14_E_NS1_11comp_targetILNS1_3genE10ELNS1_11target_archE1200ELNS1_3gpuE4ELNS1_3repE0EEENS1_30default_config_static_selectorELNS0_4arch9wavefront6targetE0EEEvT1_.kd
    .uniform_work_group_size: 1
    .uses_dynamic_stack: false
    .vgpr_count:     0
    .vgpr_spill_count: 0
    .wavefront_size: 32
  - .args:
      - .offset:         0
        .size:           128
        .value_kind:     by_value
    .group_segment_fixed_size: 0
    .kernarg_segment_align: 8
    .kernarg_segment_size: 128
    .language:       OpenCL C
    .language_version:
      - 2
      - 0
    .max_flat_workgroup_size: 128
    .name:           _ZN7rocprim17ROCPRIM_400000_NS6detail17trampoline_kernelINS0_14default_configENS1_25partition_config_selectorILNS1_17partition_subalgoE8EN3c108BFloat16ENS0_10empty_typeEbEEZZNS1_14partition_implILS5_8ELb0ES3_jPKS7_PS8_PKS8_NS0_5tupleIJPS7_S8_EEENSG_IJSD_SD_EEENS0_18inequality_wrapperIN6hipcub16HIPCUB_304000_NS8EqualityEEEPlJS8_EEE10hipError_tPvRmT3_T4_T5_T6_T7_T9_mT8_P12ihipStream_tbDpT10_ENKUlT_T0_E_clISt17integral_constantIbLb1EES19_EEDaS14_S15_EUlS14_E_NS1_11comp_targetILNS1_3genE9ELNS1_11target_archE1100ELNS1_3gpuE3ELNS1_3repE0EEENS1_30default_config_static_selectorELNS0_4arch9wavefront6targetE0EEEvT1_
    .private_segment_fixed_size: 0
    .sgpr_count:     0
    .sgpr_spill_count: 0
    .symbol:         _ZN7rocprim17ROCPRIM_400000_NS6detail17trampoline_kernelINS0_14default_configENS1_25partition_config_selectorILNS1_17partition_subalgoE8EN3c108BFloat16ENS0_10empty_typeEbEEZZNS1_14partition_implILS5_8ELb0ES3_jPKS7_PS8_PKS8_NS0_5tupleIJPS7_S8_EEENSG_IJSD_SD_EEENS0_18inequality_wrapperIN6hipcub16HIPCUB_304000_NS8EqualityEEEPlJS8_EEE10hipError_tPvRmT3_T4_T5_T6_T7_T9_mT8_P12ihipStream_tbDpT10_ENKUlT_T0_E_clISt17integral_constantIbLb1EES19_EEDaS14_S15_EUlS14_E_NS1_11comp_targetILNS1_3genE9ELNS1_11target_archE1100ELNS1_3gpuE3ELNS1_3repE0EEENS1_30default_config_static_selectorELNS0_4arch9wavefront6targetE0EEEvT1_.kd
    .uniform_work_group_size: 1
    .uses_dynamic_stack: false
    .vgpr_count:     0
    .vgpr_spill_count: 0
    .wavefront_size: 32
  - .args:
      - .offset:         0
        .size:           128
        .value_kind:     by_value
    .group_segment_fixed_size: 0
    .kernarg_segment_align: 8
    .kernarg_segment_size: 128
    .language:       OpenCL C
    .language_version:
      - 2
      - 0
    .max_flat_workgroup_size: 384
    .name:           _ZN7rocprim17ROCPRIM_400000_NS6detail17trampoline_kernelINS0_14default_configENS1_25partition_config_selectorILNS1_17partition_subalgoE8EN3c108BFloat16ENS0_10empty_typeEbEEZZNS1_14partition_implILS5_8ELb0ES3_jPKS7_PS8_PKS8_NS0_5tupleIJPS7_S8_EEENSG_IJSD_SD_EEENS0_18inequality_wrapperIN6hipcub16HIPCUB_304000_NS8EqualityEEEPlJS8_EEE10hipError_tPvRmT3_T4_T5_T6_T7_T9_mT8_P12ihipStream_tbDpT10_ENKUlT_T0_E_clISt17integral_constantIbLb1EES19_EEDaS14_S15_EUlS14_E_NS1_11comp_targetILNS1_3genE8ELNS1_11target_archE1030ELNS1_3gpuE2ELNS1_3repE0EEENS1_30default_config_static_selectorELNS0_4arch9wavefront6targetE0EEEvT1_
    .private_segment_fixed_size: 0
    .sgpr_count:     0
    .sgpr_spill_count: 0
    .symbol:         _ZN7rocprim17ROCPRIM_400000_NS6detail17trampoline_kernelINS0_14default_configENS1_25partition_config_selectorILNS1_17partition_subalgoE8EN3c108BFloat16ENS0_10empty_typeEbEEZZNS1_14partition_implILS5_8ELb0ES3_jPKS7_PS8_PKS8_NS0_5tupleIJPS7_S8_EEENSG_IJSD_SD_EEENS0_18inequality_wrapperIN6hipcub16HIPCUB_304000_NS8EqualityEEEPlJS8_EEE10hipError_tPvRmT3_T4_T5_T6_T7_T9_mT8_P12ihipStream_tbDpT10_ENKUlT_T0_E_clISt17integral_constantIbLb1EES19_EEDaS14_S15_EUlS14_E_NS1_11comp_targetILNS1_3genE8ELNS1_11target_archE1030ELNS1_3gpuE2ELNS1_3repE0EEENS1_30default_config_static_selectorELNS0_4arch9wavefront6targetE0EEEvT1_.kd
    .uniform_work_group_size: 1
    .uses_dynamic_stack: false
    .vgpr_count:     0
    .vgpr_spill_count: 0
    .wavefront_size: 32
  - .args:
      - .offset:         0
        .size:           112
        .value_kind:     by_value
    .group_segment_fixed_size: 0
    .kernarg_segment_align: 8
    .kernarg_segment_size: 112
    .language:       OpenCL C
    .language_version:
      - 2
      - 0
    .max_flat_workgroup_size: 256
    .name:           _ZN7rocprim17ROCPRIM_400000_NS6detail17trampoline_kernelINS0_14default_configENS1_25partition_config_selectorILNS1_17partition_subalgoE8EN3c108BFloat16ENS0_10empty_typeEbEEZZNS1_14partition_implILS5_8ELb0ES3_jPKS7_PS8_PKS8_NS0_5tupleIJPS7_S8_EEENSG_IJSD_SD_EEENS0_18inequality_wrapperIN6hipcub16HIPCUB_304000_NS8EqualityEEEPlJS8_EEE10hipError_tPvRmT3_T4_T5_T6_T7_T9_mT8_P12ihipStream_tbDpT10_ENKUlT_T0_E_clISt17integral_constantIbLb1EES18_IbLb0EEEEDaS14_S15_EUlS14_E_NS1_11comp_targetILNS1_3genE0ELNS1_11target_archE4294967295ELNS1_3gpuE0ELNS1_3repE0EEENS1_30default_config_static_selectorELNS0_4arch9wavefront6targetE0EEEvT1_
    .private_segment_fixed_size: 0
    .sgpr_count:     0
    .sgpr_spill_count: 0
    .symbol:         _ZN7rocprim17ROCPRIM_400000_NS6detail17trampoline_kernelINS0_14default_configENS1_25partition_config_selectorILNS1_17partition_subalgoE8EN3c108BFloat16ENS0_10empty_typeEbEEZZNS1_14partition_implILS5_8ELb0ES3_jPKS7_PS8_PKS8_NS0_5tupleIJPS7_S8_EEENSG_IJSD_SD_EEENS0_18inequality_wrapperIN6hipcub16HIPCUB_304000_NS8EqualityEEEPlJS8_EEE10hipError_tPvRmT3_T4_T5_T6_T7_T9_mT8_P12ihipStream_tbDpT10_ENKUlT_T0_E_clISt17integral_constantIbLb1EES18_IbLb0EEEEDaS14_S15_EUlS14_E_NS1_11comp_targetILNS1_3genE0ELNS1_11target_archE4294967295ELNS1_3gpuE0ELNS1_3repE0EEENS1_30default_config_static_selectorELNS0_4arch9wavefront6targetE0EEEvT1_.kd
    .uniform_work_group_size: 1
    .uses_dynamic_stack: false
    .vgpr_count:     0
    .vgpr_spill_count: 0
    .wavefront_size: 32
  - .args:
      - .offset:         0
        .size:           112
        .value_kind:     by_value
    .group_segment_fixed_size: 0
    .kernarg_segment_align: 8
    .kernarg_segment_size: 112
    .language:       OpenCL C
    .language_version:
      - 2
      - 0
    .max_flat_workgroup_size: 512
    .name:           _ZN7rocprim17ROCPRIM_400000_NS6detail17trampoline_kernelINS0_14default_configENS1_25partition_config_selectorILNS1_17partition_subalgoE8EN3c108BFloat16ENS0_10empty_typeEbEEZZNS1_14partition_implILS5_8ELb0ES3_jPKS7_PS8_PKS8_NS0_5tupleIJPS7_S8_EEENSG_IJSD_SD_EEENS0_18inequality_wrapperIN6hipcub16HIPCUB_304000_NS8EqualityEEEPlJS8_EEE10hipError_tPvRmT3_T4_T5_T6_T7_T9_mT8_P12ihipStream_tbDpT10_ENKUlT_T0_E_clISt17integral_constantIbLb1EES18_IbLb0EEEEDaS14_S15_EUlS14_E_NS1_11comp_targetILNS1_3genE5ELNS1_11target_archE942ELNS1_3gpuE9ELNS1_3repE0EEENS1_30default_config_static_selectorELNS0_4arch9wavefront6targetE0EEEvT1_
    .private_segment_fixed_size: 0
    .sgpr_count:     0
    .sgpr_spill_count: 0
    .symbol:         _ZN7rocprim17ROCPRIM_400000_NS6detail17trampoline_kernelINS0_14default_configENS1_25partition_config_selectorILNS1_17partition_subalgoE8EN3c108BFloat16ENS0_10empty_typeEbEEZZNS1_14partition_implILS5_8ELb0ES3_jPKS7_PS8_PKS8_NS0_5tupleIJPS7_S8_EEENSG_IJSD_SD_EEENS0_18inequality_wrapperIN6hipcub16HIPCUB_304000_NS8EqualityEEEPlJS8_EEE10hipError_tPvRmT3_T4_T5_T6_T7_T9_mT8_P12ihipStream_tbDpT10_ENKUlT_T0_E_clISt17integral_constantIbLb1EES18_IbLb0EEEEDaS14_S15_EUlS14_E_NS1_11comp_targetILNS1_3genE5ELNS1_11target_archE942ELNS1_3gpuE9ELNS1_3repE0EEENS1_30default_config_static_selectorELNS0_4arch9wavefront6targetE0EEEvT1_.kd
    .uniform_work_group_size: 1
    .uses_dynamic_stack: false
    .vgpr_count:     0
    .vgpr_spill_count: 0
    .wavefront_size: 32
  - .args:
      - .offset:         0
        .size:           112
        .value_kind:     by_value
    .group_segment_fixed_size: 0
    .kernarg_segment_align: 8
    .kernarg_segment_size: 112
    .language:       OpenCL C
    .language_version:
      - 2
      - 0
    .max_flat_workgroup_size: 256
    .name:           _ZN7rocprim17ROCPRIM_400000_NS6detail17trampoline_kernelINS0_14default_configENS1_25partition_config_selectorILNS1_17partition_subalgoE8EN3c108BFloat16ENS0_10empty_typeEbEEZZNS1_14partition_implILS5_8ELb0ES3_jPKS7_PS8_PKS8_NS0_5tupleIJPS7_S8_EEENSG_IJSD_SD_EEENS0_18inequality_wrapperIN6hipcub16HIPCUB_304000_NS8EqualityEEEPlJS8_EEE10hipError_tPvRmT3_T4_T5_T6_T7_T9_mT8_P12ihipStream_tbDpT10_ENKUlT_T0_E_clISt17integral_constantIbLb1EES18_IbLb0EEEEDaS14_S15_EUlS14_E_NS1_11comp_targetILNS1_3genE4ELNS1_11target_archE910ELNS1_3gpuE8ELNS1_3repE0EEENS1_30default_config_static_selectorELNS0_4arch9wavefront6targetE0EEEvT1_
    .private_segment_fixed_size: 0
    .sgpr_count:     0
    .sgpr_spill_count: 0
    .symbol:         _ZN7rocprim17ROCPRIM_400000_NS6detail17trampoline_kernelINS0_14default_configENS1_25partition_config_selectorILNS1_17partition_subalgoE8EN3c108BFloat16ENS0_10empty_typeEbEEZZNS1_14partition_implILS5_8ELb0ES3_jPKS7_PS8_PKS8_NS0_5tupleIJPS7_S8_EEENSG_IJSD_SD_EEENS0_18inequality_wrapperIN6hipcub16HIPCUB_304000_NS8EqualityEEEPlJS8_EEE10hipError_tPvRmT3_T4_T5_T6_T7_T9_mT8_P12ihipStream_tbDpT10_ENKUlT_T0_E_clISt17integral_constantIbLb1EES18_IbLb0EEEEDaS14_S15_EUlS14_E_NS1_11comp_targetILNS1_3genE4ELNS1_11target_archE910ELNS1_3gpuE8ELNS1_3repE0EEENS1_30default_config_static_selectorELNS0_4arch9wavefront6targetE0EEEvT1_.kd
    .uniform_work_group_size: 1
    .uses_dynamic_stack: false
    .vgpr_count:     0
    .vgpr_spill_count: 0
    .wavefront_size: 32
  - .args:
      - .offset:         0
        .size:           112
        .value_kind:     by_value
    .group_segment_fixed_size: 0
    .kernarg_segment_align: 8
    .kernarg_segment_size: 112
    .language:       OpenCL C
    .language_version:
      - 2
      - 0
    .max_flat_workgroup_size: 256
    .name:           _ZN7rocprim17ROCPRIM_400000_NS6detail17trampoline_kernelINS0_14default_configENS1_25partition_config_selectorILNS1_17partition_subalgoE8EN3c108BFloat16ENS0_10empty_typeEbEEZZNS1_14partition_implILS5_8ELb0ES3_jPKS7_PS8_PKS8_NS0_5tupleIJPS7_S8_EEENSG_IJSD_SD_EEENS0_18inequality_wrapperIN6hipcub16HIPCUB_304000_NS8EqualityEEEPlJS8_EEE10hipError_tPvRmT3_T4_T5_T6_T7_T9_mT8_P12ihipStream_tbDpT10_ENKUlT_T0_E_clISt17integral_constantIbLb1EES18_IbLb0EEEEDaS14_S15_EUlS14_E_NS1_11comp_targetILNS1_3genE3ELNS1_11target_archE908ELNS1_3gpuE7ELNS1_3repE0EEENS1_30default_config_static_selectorELNS0_4arch9wavefront6targetE0EEEvT1_
    .private_segment_fixed_size: 0
    .sgpr_count:     0
    .sgpr_spill_count: 0
    .symbol:         _ZN7rocprim17ROCPRIM_400000_NS6detail17trampoline_kernelINS0_14default_configENS1_25partition_config_selectorILNS1_17partition_subalgoE8EN3c108BFloat16ENS0_10empty_typeEbEEZZNS1_14partition_implILS5_8ELb0ES3_jPKS7_PS8_PKS8_NS0_5tupleIJPS7_S8_EEENSG_IJSD_SD_EEENS0_18inequality_wrapperIN6hipcub16HIPCUB_304000_NS8EqualityEEEPlJS8_EEE10hipError_tPvRmT3_T4_T5_T6_T7_T9_mT8_P12ihipStream_tbDpT10_ENKUlT_T0_E_clISt17integral_constantIbLb1EES18_IbLb0EEEEDaS14_S15_EUlS14_E_NS1_11comp_targetILNS1_3genE3ELNS1_11target_archE908ELNS1_3gpuE7ELNS1_3repE0EEENS1_30default_config_static_selectorELNS0_4arch9wavefront6targetE0EEEvT1_.kd
    .uniform_work_group_size: 1
    .uses_dynamic_stack: false
    .vgpr_count:     0
    .vgpr_spill_count: 0
    .wavefront_size: 32
  - .args:
      - .offset:         0
        .size:           112
        .value_kind:     by_value
    .group_segment_fixed_size: 0
    .kernarg_segment_align: 8
    .kernarg_segment_size: 112
    .language:       OpenCL C
    .language_version:
      - 2
      - 0
    .max_flat_workgroup_size: 192
    .name:           _ZN7rocprim17ROCPRIM_400000_NS6detail17trampoline_kernelINS0_14default_configENS1_25partition_config_selectorILNS1_17partition_subalgoE8EN3c108BFloat16ENS0_10empty_typeEbEEZZNS1_14partition_implILS5_8ELb0ES3_jPKS7_PS8_PKS8_NS0_5tupleIJPS7_S8_EEENSG_IJSD_SD_EEENS0_18inequality_wrapperIN6hipcub16HIPCUB_304000_NS8EqualityEEEPlJS8_EEE10hipError_tPvRmT3_T4_T5_T6_T7_T9_mT8_P12ihipStream_tbDpT10_ENKUlT_T0_E_clISt17integral_constantIbLb1EES18_IbLb0EEEEDaS14_S15_EUlS14_E_NS1_11comp_targetILNS1_3genE2ELNS1_11target_archE906ELNS1_3gpuE6ELNS1_3repE0EEENS1_30default_config_static_selectorELNS0_4arch9wavefront6targetE0EEEvT1_
    .private_segment_fixed_size: 0
    .sgpr_count:     0
    .sgpr_spill_count: 0
    .symbol:         _ZN7rocprim17ROCPRIM_400000_NS6detail17trampoline_kernelINS0_14default_configENS1_25partition_config_selectorILNS1_17partition_subalgoE8EN3c108BFloat16ENS0_10empty_typeEbEEZZNS1_14partition_implILS5_8ELb0ES3_jPKS7_PS8_PKS8_NS0_5tupleIJPS7_S8_EEENSG_IJSD_SD_EEENS0_18inequality_wrapperIN6hipcub16HIPCUB_304000_NS8EqualityEEEPlJS8_EEE10hipError_tPvRmT3_T4_T5_T6_T7_T9_mT8_P12ihipStream_tbDpT10_ENKUlT_T0_E_clISt17integral_constantIbLb1EES18_IbLb0EEEEDaS14_S15_EUlS14_E_NS1_11comp_targetILNS1_3genE2ELNS1_11target_archE906ELNS1_3gpuE6ELNS1_3repE0EEENS1_30default_config_static_selectorELNS0_4arch9wavefront6targetE0EEEvT1_.kd
    .uniform_work_group_size: 1
    .uses_dynamic_stack: false
    .vgpr_count:     0
    .vgpr_spill_count: 0
    .wavefront_size: 32
  - .args:
      - .offset:         0
        .size:           112
        .value_kind:     by_value
    .group_segment_fixed_size: 0
    .kernarg_segment_align: 8
    .kernarg_segment_size: 112
    .language:       OpenCL C
    .language_version:
      - 2
      - 0
    .max_flat_workgroup_size: 256
    .name:           _ZN7rocprim17ROCPRIM_400000_NS6detail17trampoline_kernelINS0_14default_configENS1_25partition_config_selectorILNS1_17partition_subalgoE8EN3c108BFloat16ENS0_10empty_typeEbEEZZNS1_14partition_implILS5_8ELb0ES3_jPKS7_PS8_PKS8_NS0_5tupleIJPS7_S8_EEENSG_IJSD_SD_EEENS0_18inequality_wrapperIN6hipcub16HIPCUB_304000_NS8EqualityEEEPlJS8_EEE10hipError_tPvRmT3_T4_T5_T6_T7_T9_mT8_P12ihipStream_tbDpT10_ENKUlT_T0_E_clISt17integral_constantIbLb1EES18_IbLb0EEEEDaS14_S15_EUlS14_E_NS1_11comp_targetILNS1_3genE10ELNS1_11target_archE1200ELNS1_3gpuE4ELNS1_3repE0EEENS1_30default_config_static_selectorELNS0_4arch9wavefront6targetE0EEEvT1_
    .private_segment_fixed_size: 0
    .sgpr_count:     0
    .sgpr_spill_count: 0
    .symbol:         _ZN7rocprim17ROCPRIM_400000_NS6detail17trampoline_kernelINS0_14default_configENS1_25partition_config_selectorILNS1_17partition_subalgoE8EN3c108BFloat16ENS0_10empty_typeEbEEZZNS1_14partition_implILS5_8ELb0ES3_jPKS7_PS8_PKS8_NS0_5tupleIJPS7_S8_EEENSG_IJSD_SD_EEENS0_18inequality_wrapperIN6hipcub16HIPCUB_304000_NS8EqualityEEEPlJS8_EEE10hipError_tPvRmT3_T4_T5_T6_T7_T9_mT8_P12ihipStream_tbDpT10_ENKUlT_T0_E_clISt17integral_constantIbLb1EES18_IbLb0EEEEDaS14_S15_EUlS14_E_NS1_11comp_targetILNS1_3genE10ELNS1_11target_archE1200ELNS1_3gpuE4ELNS1_3repE0EEENS1_30default_config_static_selectorELNS0_4arch9wavefront6targetE0EEEvT1_.kd
    .uniform_work_group_size: 1
    .uses_dynamic_stack: false
    .vgpr_count:     0
    .vgpr_spill_count: 0
    .wavefront_size: 32
  - .args:
      - .offset:         0
        .size:           112
        .value_kind:     by_value
    .group_segment_fixed_size: 0
    .kernarg_segment_align: 8
    .kernarg_segment_size: 112
    .language:       OpenCL C
    .language_version:
      - 2
      - 0
    .max_flat_workgroup_size: 128
    .name:           _ZN7rocprim17ROCPRIM_400000_NS6detail17trampoline_kernelINS0_14default_configENS1_25partition_config_selectorILNS1_17partition_subalgoE8EN3c108BFloat16ENS0_10empty_typeEbEEZZNS1_14partition_implILS5_8ELb0ES3_jPKS7_PS8_PKS8_NS0_5tupleIJPS7_S8_EEENSG_IJSD_SD_EEENS0_18inequality_wrapperIN6hipcub16HIPCUB_304000_NS8EqualityEEEPlJS8_EEE10hipError_tPvRmT3_T4_T5_T6_T7_T9_mT8_P12ihipStream_tbDpT10_ENKUlT_T0_E_clISt17integral_constantIbLb1EES18_IbLb0EEEEDaS14_S15_EUlS14_E_NS1_11comp_targetILNS1_3genE9ELNS1_11target_archE1100ELNS1_3gpuE3ELNS1_3repE0EEENS1_30default_config_static_selectorELNS0_4arch9wavefront6targetE0EEEvT1_
    .private_segment_fixed_size: 0
    .sgpr_count:     0
    .sgpr_spill_count: 0
    .symbol:         _ZN7rocprim17ROCPRIM_400000_NS6detail17trampoline_kernelINS0_14default_configENS1_25partition_config_selectorILNS1_17partition_subalgoE8EN3c108BFloat16ENS0_10empty_typeEbEEZZNS1_14partition_implILS5_8ELb0ES3_jPKS7_PS8_PKS8_NS0_5tupleIJPS7_S8_EEENSG_IJSD_SD_EEENS0_18inequality_wrapperIN6hipcub16HIPCUB_304000_NS8EqualityEEEPlJS8_EEE10hipError_tPvRmT3_T4_T5_T6_T7_T9_mT8_P12ihipStream_tbDpT10_ENKUlT_T0_E_clISt17integral_constantIbLb1EES18_IbLb0EEEEDaS14_S15_EUlS14_E_NS1_11comp_targetILNS1_3genE9ELNS1_11target_archE1100ELNS1_3gpuE3ELNS1_3repE0EEENS1_30default_config_static_selectorELNS0_4arch9wavefront6targetE0EEEvT1_.kd
    .uniform_work_group_size: 1
    .uses_dynamic_stack: false
    .vgpr_count:     0
    .vgpr_spill_count: 0
    .wavefront_size: 32
  - .args:
      - .offset:         0
        .size:           112
        .value_kind:     by_value
    .group_segment_fixed_size: 0
    .kernarg_segment_align: 8
    .kernarg_segment_size: 112
    .language:       OpenCL C
    .language_version:
      - 2
      - 0
    .max_flat_workgroup_size: 384
    .name:           _ZN7rocprim17ROCPRIM_400000_NS6detail17trampoline_kernelINS0_14default_configENS1_25partition_config_selectorILNS1_17partition_subalgoE8EN3c108BFloat16ENS0_10empty_typeEbEEZZNS1_14partition_implILS5_8ELb0ES3_jPKS7_PS8_PKS8_NS0_5tupleIJPS7_S8_EEENSG_IJSD_SD_EEENS0_18inequality_wrapperIN6hipcub16HIPCUB_304000_NS8EqualityEEEPlJS8_EEE10hipError_tPvRmT3_T4_T5_T6_T7_T9_mT8_P12ihipStream_tbDpT10_ENKUlT_T0_E_clISt17integral_constantIbLb1EES18_IbLb0EEEEDaS14_S15_EUlS14_E_NS1_11comp_targetILNS1_3genE8ELNS1_11target_archE1030ELNS1_3gpuE2ELNS1_3repE0EEENS1_30default_config_static_selectorELNS0_4arch9wavefront6targetE0EEEvT1_
    .private_segment_fixed_size: 0
    .sgpr_count:     0
    .sgpr_spill_count: 0
    .symbol:         _ZN7rocprim17ROCPRIM_400000_NS6detail17trampoline_kernelINS0_14default_configENS1_25partition_config_selectorILNS1_17partition_subalgoE8EN3c108BFloat16ENS0_10empty_typeEbEEZZNS1_14partition_implILS5_8ELb0ES3_jPKS7_PS8_PKS8_NS0_5tupleIJPS7_S8_EEENSG_IJSD_SD_EEENS0_18inequality_wrapperIN6hipcub16HIPCUB_304000_NS8EqualityEEEPlJS8_EEE10hipError_tPvRmT3_T4_T5_T6_T7_T9_mT8_P12ihipStream_tbDpT10_ENKUlT_T0_E_clISt17integral_constantIbLb1EES18_IbLb0EEEEDaS14_S15_EUlS14_E_NS1_11comp_targetILNS1_3genE8ELNS1_11target_archE1030ELNS1_3gpuE2ELNS1_3repE0EEENS1_30default_config_static_selectorELNS0_4arch9wavefront6targetE0EEEvT1_.kd
    .uniform_work_group_size: 1
    .uses_dynamic_stack: false
    .vgpr_count:     0
    .vgpr_spill_count: 0
    .wavefront_size: 32
  - .args:
      - .offset:         0
        .size:           128
        .value_kind:     by_value
    .group_segment_fixed_size: 15368
    .kernarg_segment_align: 8
    .kernarg_segment_size: 128
    .language:       OpenCL C
    .language_version:
      - 2
      - 0
    .max_flat_workgroup_size: 256
    .name:           _ZN7rocprim17ROCPRIM_400000_NS6detail17trampoline_kernelINS0_14default_configENS1_25partition_config_selectorILNS1_17partition_subalgoE8EN3c108BFloat16ENS0_10empty_typeEbEEZZNS1_14partition_implILS5_8ELb0ES3_jPKS7_PS8_PKS8_NS0_5tupleIJPS7_S8_EEENSG_IJSD_SD_EEENS0_18inequality_wrapperIN6hipcub16HIPCUB_304000_NS8EqualityEEEPlJS8_EEE10hipError_tPvRmT3_T4_T5_T6_T7_T9_mT8_P12ihipStream_tbDpT10_ENKUlT_T0_E_clISt17integral_constantIbLb0EES18_IbLb1EEEEDaS14_S15_EUlS14_E_NS1_11comp_targetILNS1_3genE0ELNS1_11target_archE4294967295ELNS1_3gpuE0ELNS1_3repE0EEENS1_30default_config_static_selectorELNS0_4arch9wavefront6targetE0EEEvT1_
    .private_segment_fixed_size: 0
    .sgpr_count:     53
    .sgpr_spill_count: 0
    .symbol:         _ZN7rocprim17ROCPRIM_400000_NS6detail17trampoline_kernelINS0_14default_configENS1_25partition_config_selectorILNS1_17partition_subalgoE8EN3c108BFloat16ENS0_10empty_typeEbEEZZNS1_14partition_implILS5_8ELb0ES3_jPKS7_PS8_PKS8_NS0_5tupleIJPS7_S8_EEENSG_IJSD_SD_EEENS0_18inequality_wrapperIN6hipcub16HIPCUB_304000_NS8EqualityEEEPlJS8_EEE10hipError_tPvRmT3_T4_T5_T6_T7_T9_mT8_P12ihipStream_tbDpT10_ENKUlT_T0_E_clISt17integral_constantIbLb0EES18_IbLb1EEEEDaS14_S15_EUlS14_E_NS1_11comp_targetILNS1_3genE0ELNS1_11target_archE4294967295ELNS1_3gpuE0ELNS1_3repE0EEENS1_30default_config_static_selectorELNS0_4arch9wavefront6targetE0EEEvT1_.kd
    .uniform_work_group_size: 1
    .uses_dynamic_stack: false
    .vgpr_count:     115
    .vgpr_spill_count: 0
    .wavefront_size: 32
  - .args:
      - .offset:         0
        .size:           128
        .value_kind:     by_value
    .group_segment_fixed_size: 0
    .kernarg_segment_align: 8
    .kernarg_segment_size: 128
    .language:       OpenCL C
    .language_version:
      - 2
      - 0
    .max_flat_workgroup_size: 512
    .name:           _ZN7rocprim17ROCPRIM_400000_NS6detail17trampoline_kernelINS0_14default_configENS1_25partition_config_selectorILNS1_17partition_subalgoE8EN3c108BFloat16ENS0_10empty_typeEbEEZZNS1_14partition_implILS5_8ELb0ES3_jPKS7_PS8_PKS8_NS0_5tupleIJPS7_S8_EEENSG_IJSD_SD_EEENS0_18inequality_wrapperIN6hipcub16HIPCUB_304000_NS8EqualityEEEPlJS8_EEE10hipError_tPvRmT3_T4_T5_T6_T7_T9_mT8_P12ihipStream_tbDpT10_ENKUlT_T0_E_clISt17integral_constantIbLb0EES18_IbLb1EEEEDaS14_S15_EUlS14_E_NS1_11comp_targetILNS1_3genE5ELNS1_11target_archE942ELNS1_3gpuE9ELNS1_3repE0EEENS1_30default_config_static_selectorELNS0_4arch9wavefront6targetE0EEEvT1_
    .private_segment_fixed_size: 0
    .sgpr_count:     0
    .sgpr_spill_count: 0
    .symbol:         _ZN7rocprim17ROCPRIM_400000_NS6detail17trampoline_kernelINS0_14default_configENS1_25partition_config_selectorILNS1_17partition_subalgoE8EN3c108BFloat16ENS0_10empty_typeEbEEZZNS1_14partition_implILS5_8ELb0ES3_jPKS7_PS8_PKS8_NS0_5tupleIJPS7_S8_EEENSG_IJSD_SD_EEENS0_18inequality_wrapperIN6hipcub16HIPCUB_304000_NS8EqualityEEEPlJS8_EEE10hipError_tPvRmT3_T4_T5_T6_T7_T9_mT8_P12ihipStream_tbDpT10_ENKUlT_T0_E_clISt17integral_constantIbLb0EES18_IbLb1EEEEDaS14_S15_EUlS14_E_NS1_11comp_targetILNS1_3genE5ELNS1_11target_archE942ELNS1_3gpuE9ELNS1_3repE0EEENS1_30default_config_static_selectorELNS0_4arch9wavefront6targetE0EEEvT1_.kd
    .uniform_work_group_size: 1
    .uses_dynamic_stack: false
    .vgpr_count:     0
    .vgpr_spill_count: 0
    .wavefront_size: 32
  - .args:
      - .offset:         0
        .size:           128
        .value_kind:     by_value
    .group_segment_fixed_size: 0
    .kernarg_segment_align: 8
    .kernarg_segment_size: 128
    .language:       OpenCL C
    .language_version:
      - 2
      - 0
    .max_flat_workgroup_size: 256
    .name:           _ZN7rocprim17ROCPRIM_400000_NS6detail17trampoline_kernelINS0_14default_configENS1_25partition_config_selectorILNS1_17partition_subalgoE8EN3c108BFloat16ENS0_10empty_typeEbEEZZNS1_14partition_implILS5_8ELb0ES3_jPKS7_PS8_PKS8_NS0_5tupleIJPS7_S8_EEENSG_IJSD_SD_EEENS0_18inequality_wrapperIN6hipcub16HIPCUB_304000_NS8EqualityEEEPlJS8_EEE10hipError_tPvRmT3_T4_T5_T6_T7_T9_mT8_P12ihipStream_tbDpT10_ENKUlT_T0_E_clISt17integral_constantIbLb0EES18_IbLb1EEEEDaS14_S15_EUlS14_E_NS1_11comp_targetILNS1_3genE4ELNS1_11target_archE910ELNS1_3gpuE8ELNS1_3repE0EEENS1_30default_config_static_selectorELNS0_4arch9wavefront6targetE0EEEvT1_
    .private_segment_fixed_size: 0
    .sgpr_count:     0
    .sgpr_spill_count: 0
    .symbol:         _ZN7rocprim17ROCPRIM_400000_NS6detail17trampoline_kernelINS0_14default_configENS1_25partition_config_selectorILNS1_17partition_subalgoE8EN3c108BFloat16ENS0_10empty_typeEbEEZZNS1_14partition_implILS5_8ELb0ES3_jPKS7_PS8_PKS8_NS0_5tupleIJPS7_S8_EEENSG_IJSD_SD_EEENS0_18inequality_wrapperIN6hipcub16HIPCUB_304000_NS8EqualityEEEPlJS8_EEE10hipError_tPvRmT3_T4_T5_T6_T7_T9_mT8_P12ihipStream_tbDpT10_ENKUlT_T0_E_clISt17integral_constantIbLb0EES18_IbLb1EEEEDaS14_S15_EUlS14_E_NS1_11comp_targetILNS1_3genE4ELNS1_11target_archE910ELNS1_3gpuE8ELNS1_3repE0EEENS1_30default_config_static_selectorELNS0_4arch9wavefront6targetE0EEEvT1_.kd
    .uniform_work_group_size: 1
    .uses_dynamic_stack: false
    .vgpr_count:     0
    .vgpr_spill_count: 0
    .wavefront_size: 32
  - .args:
      - .offset:         0
        .size:           128
        .value_kind:     by_value
    .group_segment_fixed_size: 0
    .kernarg_segment_align: 8
    .kernarg_segment_size: 128
    .language:       OpenCL C
    .language_version:
      - 2
      - 0
    .max_flat_workgroup_size: 256
    .name:           _ZN7rocprim17ROCPRIM_400000_NS6detail17trampoline_kernelINS0_14default_configENS1_25partition_config_selectorILNS1_17partition_subalgoE8EN3c108BFloat16ENS0_10empty_typeEbEEZZNS1_14partition_implILS5_8ELb0ES3_jPKS7_PS8_PKS8_NS0_5tupleIJPS7_S8_EEENSG_IJSD_SD_EEENS0_18inequality_wrapperIN6hipcub16HIPCUB_304000_NS8EqualityEEEPlJS8_EEE10hipError_tPvRmT3_T4_T5_T6_T7_T9_mT8_P12ihipStream_tbDpT10_ENKUlT_T0_E_clISt17integral_constantIbLb0EES18_IbLb1EEEEDaS14_S15_EUlS14_E_NS1_11comp_targetILNS1_3genE3ELNS1_11target_archE908ELNS1_3gpuE7ELNS1_3repE0EEENS1_30default_config_static_selectorELNS0_4arch9wavefront6targetE0EEEvT1_
    .private_segment_fixed_size: 0
    .sgpr_count:     0
    .sgpr_spill_count: 0
    .symbol:         _ZN7rocprim17ROCPRIM_400000_NS6detail17trampoline_kernelINS0_14default_configENS1_25partition_config_selectorILNS1_17partition_subalgoE8EN3c108BFloat16ENS0_10empty_typeEbEEZZNS1_14partition_implILS5_8ELb0ES3_jPKS7_PS8_PKS8_NS0_5tupleIJPS7_S8_EEENSG_IJSD_SD_EEENS0_18inequality_wrapperIN6hipcub16HIPCUB_304000_NS8EqualityEEEPlJS8_EEE10hipError_tPvRmT3_T4_T5_T6_T7_T9_mT8_P12ihipStream_tbDpT10_ENKUlT_T0_E_clISt17integral_constantIbLb0EES18_IbLb1EEEEDaS14_S15_EUlS14_E_NS1_11comp_targetILNS1_3genE3ELNS1_11target_archE908ELNS1_3gpuE7ELNS1_3repE0EEENS1_30default_config_static_selectorELNS0_4arch9wavefront6targetE0EEEvT1_.kd
    .uniform_work_group_size: 1
    .uses_dynamic_stack: false
    .vgpr_count:     0
    .vgpr_spill_count: 0
    .wavefront_size: 32
  - .args:
      - .offset:         0
        .size:           128
        .value_kind:     by_value
    .group_segment_fixed_size: 0
    .kernarg_segment_align: 8
    .kernarg_segment_size: 128
    .language:       OpenCL C
    .language_version:
      - 2
      - 0
    .max_flat_workgroup_size: 192
    .name:           _ZN7rocprim17ROCPRIM_400000_NS6detail17trampoline_kernelINS0_14default_configENS1_25partition_config_selectorILNS1_17partition_subalgoE8EN3c108BFloat16ENS0_10empty_typeEbEEZZNS1_14partition_implILS5_8ELb0ES3_jPKS7_PS8_PKS8_NS0_5tupleIJPS7_S8_EEENSG_IJSD_SD_EEENS0_18inequality_wrapperIN6hipcub16HIPCUB_304000_NS8EqualityEEEPlJS8_EEE10hipError_tPvRmT3_T4_T5_T6_T7_T9_mT8_P12ihipStream_tbDpT10_ENKUlT_T0_E_clISt17integral_constantIbLb0EES18_IbLb1EEEEDaS14_S15_EUlS14_E_NS1_11comp_targetILNS1_3genE2ELNS1_11target_archE906ELNS1_3gpuE6ELNS1_3repE0EEENS1_30default_config_static_selectorELNS0_4arch9wavefront6targetE0EEEvT1_
    .private_segment_fixed_size: 0
    .sgpr_count:     0
    .sgpr_spill_count: 0
    .symbol:         _ZN7rocprim17ROCPRIM_400000_NS6detail17trampoline_kernelINS0_14default_configENS1_25partition_config_selectorILNS1_17partition_subalgoE8EN3c108BFloat16ENS0_10empty_typeEbEEZZNS1_14partition_implILS5_8ELb0ES3_jPKS7_PS8_PKS8_NS0_5tupleIJPS7_S8_EEENSG_IJSD_SD_EEENS0_18inequality_wrapperIN6hipcub16HIPCUB_304000_NS8EqualityEEEPlJS8_EEE10hipError_tPvRmT3_T4_T5_T6_T7_T9_mT8_P12ihipStream_tbDpT10_ENKUlT_T0_E_clISt17integral_constantIbLb0EES18_IbLb1EEEEDaS14_S15_EUlS14_E_NS1_11comp_targetILNS1_3genE2ELNS1_11target_archE906ELNS1_3gpuE6ELNS1_3repE0EEENS1_30default_config_static_selectorELNS0_4arch9wavefront6targetE0EEEvT1_.kd
    .uniform_work_group_size: 1
    .uses_dynamic_stack: false
    .vgpr_count:     0
    .vgpr_spill_count: 0
    .wavefront_size: 32
  - .args:
      - .offset:         0
        .size:           128
        .value_kind:     by_value
    .group_segment_fixed_size: 0
    .kernarg_segment_align: 8
    .kernarg_segment_size: 128
    .language:       OpenCL C
    .language_version:
      - 2
      - 0
    .max_flat_workgroup_size: 256
    .name:           _ZN7rocprim17ROCPRIM_400000_NS6detail17trampoline_kernelINS0_14default_configENS1_25partition_config_selectorILNS1_17partition_subalgoE8EN3c108BFloat16ENS0_10empty_typeEbEEZZNS1_14partition_implILS5_8ELb0ES3_jPKS7_PS8_PKS8_NS0_5tupleIJPS7_S8_EEENSG_IJSD_SD_EEENS0_18inequality_wrapperIN6hipcub16HIPCUB_304000_NS8EqualityEEEPlJS8_EEE10hipError_tPvRmT3_T4_T5_T6_T7_T9_mT8_P12ihipStream_tbDpT10_ENKUlT_T0_E_clISt17integral_constantIbLb0EES18_IbLb1EEEEDaS14_S15_EUlS14_E_NS1_11comp_targetILNS1_3genE10ELNS1_11target_archE1200ELNS1_3gpuE4ELNS1_3repE0EEENS1_30default_config_static_selectorELNS0_4arch9wavefront6targetE0EEEvT1_
    .private_segment_fixed_size: 0
    .sgpr_count:     0
    .sgpr_spill_count: 0
    .symbol:         _ZN7rocprim17ROCPRIM_400000_NS6detail17trampoline_kernelINS0_14default_configENS1_25partition_config_selectorILNS1_17partition_subalgoE8EN3c108BFloat16ENS0_10empty_typeEbEEZZNS1_14partition_implILS5_8ELb0ES3_jPKS7_PS8_PKS8_NS0_5tupleIJPS7_S8_EEENSG_IJSD_SD_EEENS0_18inequality_wrapperIN6hipcub16HIPCUB_304000_NS8EqualityEEEPlJS8_EEE10hipError_tPvRmT3_T4_T5_T6_T7_T9_mT8_P12ihipStream_tbDpT10_ENKUlT_T0_E_clISt17integral_constantIbLb0EES18_IbLb1EEEEDaS14_S15_EUlS14_E_NS1_11comp_targetILNS1_3genE10ELNS1_11target_archE1200ELNS1_3gpuE4ELNS1_3repE0EEENS1_30default_config_static_selectorELNS0_4arch9wavefront6targetE0EEEvT1_.kd
    .uniform_work_group_size: 1
    .uses_dynamic_stack: false
    .vgpr_count:     0
    .vgpr_spill_count: 0
    .wavefront_size: 32
  - .args:
      - .offset:         0
        .size:           128
        .value_kind:     by_value
    .group_segment_fixed_size: 0
    .kernarg_segment_align: 8
    .kernarg_segment_size: 128
    .language:       OpenCL C
    .language_version:
      - 2
      - 0
    .max_flat_workgroup_size: 128
    .name:           _ZN7rocprim17ROCPRIM_400000_NS6detail17trampoline_kernelINS0_14default_configENS1_25partition_config_selectorILNS1_17partition_subalgoE8EN3c108BFloat16ENS0_10empty_typeEbEEZZNS1_14partition_implILS5_8ELb0ES3_jPKS7_PS8_PKS8_NS0_5tupleIJPS7_S8_EEENSG_IJSD_SD_EEENS0_18inequality_wrapperIN6hipcub16HIPCUB_304000_NS8EqualityEEEPlJS8_EEE10hipError_tPvRmT3_T4_T5_T6_T7_T9_mT8_P12ihipStream_tbDpT10_ENKUlT_T0_E_clISt17integral_constantIbLb0EES18_IbLb1EEEEDaS14_S15_EUlS14_E_NS1_11comp_targetILNS1_3genE9ELNS1_11target_archE1100ELNS1_3gpuE3ELNS1_3repE0EEENS1_30default_config_static_selectorELNS0_4arch9wavefront6targetE0EEEvT1_
    .private_segment_fixed_size: 0
    .sgpr_count:     0
    .sgpr_spill_count: 0
    .symbol:         _ZN7rocprim17ROCPRIM_400000_NS6detail17trampoline_kernelINS0_14default_configENS1_25partition_config_selectorILNS1_17partition_subalgoE8EN3c108BFloat16ENS0_10empty_typeEbEEZZNS1_14partition_implILS5_8ELb0ES3_jPKS7_PS8_PKS8_NS0_5tupleIJPS7_S8_EEENSG_IJSD_SD_EEENS0_18inequality_wrapperIN6hipcub16HIPCUB_304000_NS8EqualityEEEPlJS8_EEE10hipError_tPvRmT3_T4_T5_T6_T7_T9_mT8_P12ihipStream_tbDpT10_ENKUlT_T0_E_clISt17integral_constantIbLb0EES18_IbLb1EEEEDaS14_S15_EUlS14_E_NS1_11comp_targetILNS1_3genE9ELNS1_11target_archE1100ELNS1_3gpuE3ELNS1_3repE0EEENS1_30default_config_static_selectorELNS0_4arch9wavefront6targetE0EEEvT1_.kd
    .uniform_work_group_size: 1
    .uses_dynamic_stack: false
    .vgpr_count:     0
    .vgpr_spill_count: 0
    .wavefront_size: 32
  - .args:
      - .offset:         0
        .size:           128
        .value_kind:     by_value
    .group_segment_fixed_size: 0
    .kernarg_segment_align: 8
    .kernarg_segment_size: 128
    .language:       OpenCL C
    .language_version:
      - 2
      - 0
    .max_flat_workgroup_size: 384
    .name:           _ZN7rocprim17ROCPRIM_400000_NS6detail17trampoline_kernelINS0_14default_configENS1_25partition_config_selectorILNS1_17partition_subalgoE8EN3c108BFloat16ENS0_10empty_typeEbEEZZNS1_14partition_implILS5_8ELb0ES3_jPKS7_PS8_PKS8_NS0_5tupleIJPS7_S8_EEENSG_IJSD_SD_EEENS0_18inequality_wrapperIN6hipcub16HIPCUB_304000_NS8EqualityEEEPlJS8_EEE10hipError_tPvRmT3_T4_T5_T6_T7_T9_mT8_P12ihipStream_tbDpT10_ENKUlT_T0_E_clISt17integral_constantIbLb0EES18_IbLb1EEEEDaS14_S15_EUlS14_E_NS1_11comp_targetILNS1_3genE8ELNS1_11target_archE1030ELNS1_3gpuE2ELNS1_3repE0EEENS1_30default_config_static_selectorELNS0_4arch9wavefront6targetE0EEEvT1_
    .private_segment_fixed_size: 0
    .sgpr_count:     0
    .sgpr_spill_count: 0
    .symbol:         _ZN7rocprim17ROCPRIM_400000_NS6detail17trampoline_kernelINS0_14default_configENS1_25partition_config_selectorILNS1_17partition_subalgoE8EN3c108BFloat16ENS0_10empty_typeEbEEZZNS1_14partition_implILS5_8ELb0ES3_jPKS7_PS8_PKS8_NS0_5tupleIJPS7_S8_EEENSG_IJSD_SD_EEENS0_18inequality_wrapperIN6hipcub16HIPCUB_304000_NS8EqualityEEEPlJS8_EEE10hipError_tPvRmT3_T4_T5_T6_T7_T9_mT8_P12ihipStream_tbDpT10_ENKUlT_T0_E_clISt17integral_constantIbLb0EES18_IbLb1EEEEDaS14_S15_EUlS14_E_NS1_11comp_targetILNS1_3genE8ELNS1_11target_archE1030ELNS1_3gpuE2ELNS1_3repE0EEENS1_30default_config_static_selectorELNS0_4arch9wavefront6targetE0EEEvT1_.kd
    .uniform_work_group_size: 1
    .uses_dynamic_stack: false
    .vgpr_count:     0
    .vgpr_spill_count: 0
    .wavefront_size: 32
  - .args:
      - .offset:         0
        .size:           128
        .value_kind:     by_value
    .group_segment_fixed_size: 15360
    .kernarg_segment_align: 8
    .kernarg_segment_size: 128
    .language:       OpenCL C
    .language_version:
      - 2
      - 0
    .max_flat_workgroup_size: 256
    .name:           _ZN7rocprim17ROCPRIM_400000_NS6detail17trampoline_kernelINS0_14default_configENS1_33run_length_encode_config_selectorIN3c108BFloat16EjNS0_4plusIjEEEEZZNS1_33reduce_by_key_impl_wrapped_configILNS1_25lookback_scan_determinismE0ES3_S9_PKS6_NS0_17constant_iteratorIjlEEPS6_PlSH_S8_NS0_8equal_toIS6_EEEE10hipError_tPvRmT2_T3_mT4_T5_T6_T7_T8_P12ihipStream_tbENKUlT_T0_E_clISt17integral_constantIbLb0EES11_EEDaSW_SX_EUlSW_E_NS1_11comp_targetILNS1_3genE0ELNS1_11target_archE4294967295ELNS1_3gpuE0ELNS1_3repE0EEENS1_30default_config_static_selectorELNS0_4arch9wavefront6targetE0EEEvT1_
    .private_segment_fixed_size: 0
    .sgpr_count:     50
    .sgpr_spill_count: 0
    .symbol:         _ZN7rocprim17ROCPRIM_400000_NS6detail17trampoline_kernelINS0_14default_configENS1_33run_length_encode_config_selectorIN3c108BFloat16EjNS0_4plusIjEEEEZZNS1_33reduce_by_key_impl_wrapped_configILNS1_25lookback_scan_determinismE0ES3_S9_PKS6_NS0_17constant_iteratorIjlEEPS6_PlSH_S8_NS0_8equal_toIS6_EEEE10hipError_tPvRmT2_T3_mT4_T5_T6_T7_T8_P12ihipStream_tbENKUlT_T0_E_clISt17integral_constantIbLb0EES11_EEDaSW_SX_EUlSW_E_NS1_11comp_targetILNS1_3genE0ELNS1_11target_archE4294967295ELNS1_3gpuE0ELNS1_3repE0EEENS1_30default_config_static_selectorELNS0_4arch9wavefront6targetE0EEEvT1_.kd
    .uniform_work_group_size: 1
    .uses_dynamic_stack: false
    .vgpr_count:     108
    .vgpr_spill_count: 0
    .wavefront_size: 32
  - .args:
      - .offset:         0
        .size:           128
        .value_kind:     by_value
    .group_segment_fixed_size: 0
    .kernarg_segment_align: 8
    .kernarg_segment_size: 128
    .language:       OpenCL C
    .language_version:
      - 2
      - 0
    .max_flat_workgroup_size: 256
    .name:           _ZN7rocprim17ROCPRIM_400000_NS6detail17trampoline_kernelINS0_14default_configENS1_33run_length_encode_config_selectorIN3c108BFloat16EjNS0_4plusIjEEEEZZNS1_33reduce_by_key_impl_wrapped_configILNS1_25lookback_scan_determinismE0ES3_S9_PKS6_NS0_17constant_iteratorIjlEEPS6_PlSH_S8_NS0_8equal_toIS6_EEEE10hipError_tPvRmT2_T3_mT4_T5_T6_T7_T8_P12ihipStream_tbENKUlT_T0_E_clISt17integral_constantIbLb0EES11_EEDaSW_SX_EUlSW_E_NS1_11comp_targetILNS1_3genE5ELNS1_11target_archE942ELNS1_3gpuE9ELNS1_3repE0EEENS1_30default_config_static_selectorELNS0_4arch9wavefront6targetE0EEEvT1_
    .private_segment_fixed_size: 0
    .sgpr_count:     0
    .sgpr_spill_count: 0
    .symbol:         _ZN7rocprim17ROCPRIM_400000_NS6detail17trampoline_kernelINS0_14default_configENS1_33run_length_encode_config_selectorIN3c108BFloat16EjNS0_4plusIjEEEEZZNS1_33reduce_by_key_impl_wrapped_configILNS1_25lookback_scan_determinismE0ES3_S9_PKS6_NS0_17constant_iteratorIjlEEPS6_PlSH_S8_NS0_8equal_toIS6_EEEE10hipError_tPvRmT2_T3_mT4_T5_T6_T7_T8_P12ihipStream_tbENKUlT_T0_E_clISt17integral_constantIbLb0EES11_EEDaSW_SX_EUlSW_E_NS1_11comp_targetILNS1_3genE5ELNS1_11target_archE942ELNS1_3gpuE9ELNS1_3repE0EEENS1_30default_config_static_selectorELNS0_4arch9wavefront6targetE0EEEvT1_.kd
    .uniform_work_group_size: 1
    .uses_dynamic_stack: false
    .vgpr_count:     0
    .vgpr_spill_count: 0
    .wavefront_size: 32
  - .args:
      - .offset:         0
        .size:           128
        .value_kind:     by_value
    .group_segment_fixed_size: 0
    .kernarg_segment_align: 8
    .kernarg_segment_size: 128
    .language:       OpenCL C
    .language_version:
      - 2
      - 0
    .max_flat_workgroup_size: 256
    .name:           _ZN7rocprim17ROCPRIM_400000_NS6detail17trampoline_kernelINS0_14default_configENS1_33run_length_encode_config_selectorIN3c108BFloat16EjNS0_4plusIjEEEEZZNS1_33reduce_by_key_impl_wrapped_configILNS1_25lookback_scan_determinismE0ES3_S9_PKS6_NS0_17constant_iteratorIjlEEPS6_PlSH_S8_NS0_8equal_toIS6_EEEE10hipError_tPvRmT2_T3_mT4_T5_T6_T7_T8_P12ihipStream_tbENKUlT_T0_E_clISt17integral_constantIbLb0EES11_EEDaSW_SX_EUlSW_E_NS1_11comp_targetILNS1_3genE4ELNS1_11target_archE910ELNS1_3gpuE8ELNS1_3repE0EEENS1_30default_config_static_selectorELNS0_4arch9wavefront6targetE0EEEvT1_
    .private_segment_fixed_size: 0
    .sgpr_count:     0
    .sgpr_spill_count: 0
    .symbol:         _ZN7rocprim17ROCPRIM_400000_NS6detail17trampoline_kernelINS0_14default_configENS1_33run_length_encode_config_selectorIN3c108BFloat16EjNS0_4plusIjEEEEZZNS1_33reduce_by_key_impl_wrapped_configILNS1_25lookback_scan_determinismE0ES3_S9_PKS6_NS0_17constant_iteratorIjlEEPS6_PlSH_S8_NS0_8equal_toIS6_EEEE10hipError_tPvRmT2_T3_mT4_T5_T6_T7_T8_P12ihipStream_tbENKUlT_T0_E_clISt17integral_constantIbLb0EES11_EEDaSW_SX_EUlSW_E_NS1_11comp_targetILNS1_3genE4ELNS1_11target_archE910ELNS1_3gpuE8ELNS1_3repE0EEENS1_30default_config_static_selectorELNS0_4arch9wavefront6targetE0EEEvT1_.kd
    .uniform_work_group_size: 1
    .uses_dynamic_stack: false
    .vgpr_count:     0
    .vgpr_spill_count: 0
    .wavefront_size: 32
  - .args:
      - .offset:         0
        .size:           128
        .value_kind:     by_value
    .group_segment_fixed_size: 0
    .kernarg_segment_align: 8
    .kernarg_segment_size: 128
    .language:       OpenCL C
    .language_version:
      - 2
      - 0
    .max_flat_workgroup_size: 256
    .name:           _ZN7rocprim17ROCPRIM_400000_NS6detail17trampoline_kernelINS0_14default_configENS1_33run_length_encode_config_selectorIN3c108BFloat16EjNS0_4plusIjEEEEZZNS1_33reduce_by_key_impl_wrapped_configILNS1_25lookback_scan_determinismE0ES3_S9_PKS6_NS0_17constant_iteratorIjlEEPS6_PlSH_S8_NS0_8equal_toIS6_EEEE10hipError_tPvRmT2_T3_mT4_T5_T6_T7_T8_P12ihipStream_tbENKUlT_T0_E_clISt17integral_constantIbLb0EES11_EEDaSW_SX_EUlSW_E_NS1_11comp_targetILNS1_3genE3ELNS1_11target_archE908ELNS1_3gpuE7ELNS1_3repE0EEENS1_30default_config_static_selectorELNS0_4arch9wavefront6targetE0EEEvT1_
    .private_segment_fixed_size: 0
    .sgpr_count:     0
    .sgpr_spill_count: 0
    .symbol:         _ZN7rocprim17ROCPRIM_400000_NS6detail17trampoline_kernelINS0_14default_configENS1_33run_length_encode_config_selectorIN3c108BFloat16EjNS0_4plusIjEEEEZZNS1_33reduce_by_key_impl_wrapped_configILNS1_25lookback_scan_determinismE0ES3_S9_PKS6_NS0_17constant_iteratorIjlEEPS6_PlSH_S8_NS0_8equal_toIS6_EEEE10hipError_tPvRmT2_T3_mT4_T5_T6_T7_T8_P12ihipStream_tbENKUlT_T0_E_clISt17integral_constantIbLb0EES11_EEDaSW_SX_EUlSW_E_NS1_11comp_targetILNS1_3genE3ELNS1_11target_archE908ELNS1_3gpuE7ELNS1_3repE0EEENS1_30default_config_static_selectorELNS0_4arch9wavefront6targetE0EEEvT1_.kd
    .uniform_work_group_size: 1
    .uses_dynamic_stack: false
    .vgpr_count:     0
    .vgpr_spill_count: 0
    .wavefront_size: 32
  - .args:
      - .offset:         0
        .size:           128
        .value_kind:     by_value
    .group_segment_fixed_size: 0
    .kernarg_segment_align: 8
    .kernarg_segment_size: 128
    .language:       OpenCL C
    .language_version:
      - 2
      - 0
    .max_flat_workgroup_size: 256
    .name:           _ZN7rocprim17ROCPRIM_400000_NS6detail17trampoline_kernelINS0_14default_configENS1_33run_length_encode_config_selectorIN3c108BFloat16EjNS0_4plusIjEEEEZZNS1_33reduce_by_key_impl_wrapped_configILNS1_25lookback_scan_determinismE0ES3_S9_PKS6_NS0_17constant_iteratorIjlEEPS6_PlSH_S8_NS0_8equal_toIS6_EEEE10hipError_tPvRmT2_T3_mT4_T5_T6_T7_T8_P12ihipStream_tbENKUlT_T0_E_clISt17integral_constantIbLb0EES11_EEDaSW_SX_EUlSW_E_NS1_11comp_targetILNS1_3genE2ELNS1_11target_archE906ELNS1_3gpuE6ELNS1_3repE0EEENS1_30default_config_static_selectorELNS0_4arch9wavefront6targetE0EEEvT1_
    .private_segment_fixed_size: 0
    .sgpr_count:     0
    .sgpr_spill_count: 0
    .symbol:         _ZN7rocprim17ROCPRIM_400000_NS6detail17trampoline_kernelINS0_14default_configENS1_33run_length_encode_config_selectorIN3c108BFloat16EjNS0_4plusIjEEEEZZNS1_33reduce_by_key_impl_wrapped_configILNS1_25lookback_scan_determinismE0ES3_S9_PKS6_NS0_17constant_iteratorIjlEEPS6_PlSH_S8_NS0_8equal_toIS6_EEEE10hipError_tPvRmT2_T3_mT4_T5_T6_T7_T8_P12ihipStream_tbENKUlT_T0_E_clISt17integral_constantIbLb0EES11_EEDaSW_SX_EUlSW_E_NS1_11comp_targetILNS1_3genE2ELNS1_11target_archE906ELNS1_3gpuE6ELNS1_3repE0EEENS1_30default_config_static_selectorELNS0_4arch9wavefront6targetE0EEEvT1_.kd
    .uniform_work_group_size: 1
    .uses_dynamic_stack: false
    .vgpr_count:     0
    .vgpr_spill_count: 0
    .wavefront_size: 32
  - .args:
      - .offset:         0
        .size:           128
        .value_kind:     by_value
    .group_segment_fixed_size: 0
    .kernarg_segment_align: 8
    .kernarg_segment_size: 128
    .language:       OpenCL C
    .language_version:
      - 2
      - 0
    .max_flat_workgroup_size: 256
    .name:           _ZN7rocprim17ROCPRIM_400000_NS6detail17trampoline_kernelINS0_14default_configENS1_33run_length_encode_config_selectorIN3c108BFloat16EjNS0_4plusIjEEEEZZNS1_33reduce_by_key_impl_wrapped_configILNS1_25lookback_scan_determinismE0ES3_S9_PKS6_NS0_17constant_iteratorIjlEEPS6_PlSH_S8_NS0_8equal_toIS6_EEEE10hipError_tPvRmT2_T3_mT4_T5_T6_T7_T8_P12ihipStream_tbENKUlT_T0_E_clISt17integral_constantIbLb0EES11_EEDaSW_SX_EUlSW_E_NS1_11comp_targetILNS1_3genE10ELNS1_11target_archE1201ELNS1_3gpuE5ELNS1_3repE0EEENS1_30default_config_static_selectorELNS0_4arch9wavefront6targetE0EEEvT1_
    .private_segment_fixed_size: 0
    .sgpr_count:     0
    .sgpr_spill_count: 0
    .symbol:         _ZN7rocprim17ROCPRIM_400000_NS6detail17trampoline_kernelINS0_14default_configENS1_33run_length_encode_config_selectorIN3c108BFloat16EjNS0_4plusIjEEEEZZNS1_33reduce_by_key_impl_wrapped_configILNS1_25lookback_scan_determinismE0ES3_S9_PKS6_NS0_17constant_iteratorIjlEEPS6_PlSH_S8_NS0_8equal_toIS6_EEEE10hipError_tPvRmT2_T3_mT4_T5_T6_T7_T8_P12ihipStream_tbENKUlT_T0_E_clISt17integral_constantIbLb0EES11_EEDaSW_SX_EUlSW_E_NS1_11comp_targetILNS1_3genE10ELNS1_11target_archE1201ELNS1_3gpuE5ELNS1_3repE0EEENS1_30default_config_static_selectorELNS0_4arch9wavefront6targetE0EEEvT1_.kd
    .uniform_work_group_size: 1
    .uses_dynamic_stack: false
    .vgpr_count:     0
    .vgpr_spill_count: 0
    .wavefront_size: 32
  - .args:
      - .offset:         0
        .size:           128
        .value_kind:     by_value
    .group_segment_fixed_size: 0
    .kernarg_segment_align: 8
    .kernarg_segment_size: 128
    .language:       OpenCL C
    .language_version:
      - 2
      - 0
    .max_flat_workgroup_size: 256
    .name:           _ZN7rocprim17ROCPRIM_400000_NS6detail17trampoline_kernelINS0_14default_configENS1_33run_length_encode_config_selectorIN3c108BFloat16EjNS0_4plusIjEEEEZZNS1_33reduce_by_key_impl_wrapped_configILNS1_25lookback_scan_determinismE0ES3_S9_PKS6_NS0_17constant_iteratorIjlEEPS6_PlSH_S8_NS0_8equal_toIS6_EEEE10hipError_tPvRmT2_T3_mT4_T5_T6_T7_T8_P12ihipStream_tbENKUlT_T0_E_clISt17integral_constantIbLb0EES11_EEDaSW_SX_EUlSW_E_NS1_11comp_targetILNS1_3genE10ELNS1_11target_archE1200ELNS1_3gpuE4ELNS1_3repE0EEENS1_30default_config_static_selectorELNS0_4arch9wavefront6targetE0EEEvT1_
    .private_segment_fixed_size: 0
    .sgpr_count:     0
    .sgpr_spill_count: 0
    .symbol:         _ZN7rocprim17ROCPRIM_400000_NS6detail17trampoline_kernelINS0_14default_configENS1_33run_length_encode_config_selectorIN3c108BFloat16EjNS0_4plusIjEEEEZZNS1_33reduce_by_key_impl_wrapped_configILNS1_25lookback_scan_determinismE0ES3_S9_PKS6_NS0_17constant_iteratorIjlEEPS6_PlSH_S8_NS0_8equal_toIS6_EEEE10hipError_tPvRmT2_T3_mT4_T5_T6_T7_T8_P12ihipStream_tbENKUlT_T0_E_clISt17integral_constantIbLb0EES11_EEDaSW_SX_EUlSW_E_NS1_11comp_targetILNS1_3genE10ELNS1_11target_archE1200ELNS1_3gpuE4ELNS1_3repE0EEENS1_30default_config_static_selectorELNS0_4arch9wavefront6targetE0EEEvT1_.kd
    .uniform_work_group_size: 1
    .uses_dynamic_stack: false
    .vgpr_count:     0
    .vgpr_spill_count: 0
    .wavefront_size: 32
  - .args:
      - .offset:         0
        .size:           128
        .value_kind:     by_value
    .group_segment_fixed_size: 0
    .kernarg_segment_align: 8
    .kernarg_segment_size: 128
    .language:       OpenCL C
    .language_version:
      - 2
      - 0
    .max_flat_workgroup_size: 256
    .name:           _ZN7rocprim17ROCPRIM_400000_NS6detail17trampoline_kernelINS0_14default_configENS1_33run_length_encode_config_selectorIN3c108BFloat16EjNS0_4plusIjEEEEZZNS1_33reduce_by_key_impl_wrapped_configILNS1_25lookback_scan_determinismE0ES3_S9_PKS6_NS0_17constant_iteratorIjlEEPS6_PlSH_S8_NS0_8equal_toIS6_EEEE10hipError_tPvRmT2_T3_mT4_T5_T6_T7_T8_P12ihipStream_tbENKUlT_T0_E_clISt17integral_constantIbLb0EES11_EEDaSW_SX_EUlSW_E_NS1_11comp_targetILNS1_3genE9ELNS1_11target_archE1100ELNS1_3gpuE3ELNS1_3repE0EEENS1_30default_config_static_selectorELNS0_4arch9wavefront6targetE0EEEvT1_
    .private_segment_fixed_size: 0
    .sgpr_count:     0
    .sgpr_spill_count: 0
    .symbol:         _ZN7rocprim17ROCPRIM_400000_NS6detail17trampoline_kernelINS0_14default_configENS1_33run_length_encode_config_selectorIN3c108BFloat16EjNS0_4plusIjEEEEZZNS1_33reduce_by_key_impl_wrapped_configILNS1_25lookback_scan_determinismE0ES3_S9_PKS6_NS0_17constant_iteratorIjlEEPS6_PlSH_S8_NS0_8equal_toIS6_EEEE10hipError_tPvRmT2_T3_mT4_T5_T6_T7_T8_P12ihipStream_tbENKUlT_T0_E_clISt17integral_constantIbLb0EES11_EEDaSW_SX_EUlSW_E_NS1_11comp_targetILNS1_3genE9ELNS1_11target_archE1100ELNS1_3gpuE3ELNS1_3repE0EEENS1_30default_config_static_selectorELNS0_4arch9wavefront6targetE0EEEvT1_.kd
    .uniform_work_group_size: 1
    .uses_dynamic_stack: false
    .vgpr_count:     0
    .vgpr_spill_count: 0
    .wavefront_size: 32
  - .args:
      - .offset:         0
        .size:           128
        .value_kind:     by_value
    .group_segment_fixed_size: 0
    .kernarg_segment_align: 8
    .kernarg_segment_size: 128
    .language:       OpenCL C
    .language_version:
      - 2
      - 0
    .max_flat_workgroup_size: 256
    .name:           _ZN7rocprim17ROCPRIM_400000_NS6detail17trampoline_kernelINS0_14default_configENS1_33run_length_encode_config_selectorIN3c108BFloat16EjNS0_4plusIjEEEEZZNS1_33reduce_by_key_impl_wrapped_configILNS1_25lookback_scan_determinismE0ES3_S9_PKS6_NS0_17constant_iteratorIjlEEPS6_PlSH_S8_NS0_8equal_toIS6_EEEE10hipError_tPvRmT2_T3_mT4_T5_T6_T7_T8_P12ihipStream_tbENKUlT_T0_E_clISt17integral_constantIbLb0EES11_EEDaSW_SX_EUlSW_E_NS1_11comp_targetILNS1_3genE8ELNS1_11target_archE1030ELNS1_3gpuE2ELNS1_3repE0EEENS1_30default_config_static_selectorELNS0_4arch9wavefront6targetE0EEEvT1_
    .private_segment_fixed_size: 0
    .sgpr_count:     0
    .sgpr_spill_count: 0
    .symbol:         _ZN7rocprim17ROCPRIM_400000_NS6detail17trampoline_kernelINS0_14default_configENS1_33run_length_encode_config_selectorIN3c108BFloat16EjNS0_4plusIjEEEEZZNS1_33reduce_by_key_impl_wrapped_configILNS1_25lookback_scan_determinismE0ES3_S9_PKS6_NS0_17constant_iteratorIjlEEPS6_PlSH_S8_NS0_8equal_toIS6_EEEE10hipError_tPvRmT2_T3_mT4_T5_T6_T7_T8_P12ihipStream_tbENKUlT_T0_E_clISt17integral_constantIbLb0EES11_EEDaSW_SX_EUlSW_E_NS1_11comp_targetILNS1_3genE8ELNS1_11target_archE1030ELNS1_3gpuE2ELNS1_3repE0EEENS1_30default_config_static_selectorELNS0_4arch9wavefront6targetE0EEEvT1_.kd
    .uniform_work_group_size: 1
    .uses_dynamic_stack: false
    .vgpr_count:     0
    .vgpr_spill_count: 0
    .wavefront_size: 32
  - .args:
      - .offset:         0
        .size:           128
        .value_kind:     by_value
    .group_segment_fixed_size: 0
    .kernarg_segment_align: 8
    .kernarg_segment_size: 128
    .language:       OpenCL C
    .language_version:
      - 2
      - 0
    .max_flat_workgroup_size: 256
    .name:           _ZN7rocprim17ROCPRIM_400000_NS6detail17trampoline_kernelINS0_14default_configENS1_33run_length_encode_config_selectorIN3c108BFloat16EjNS0_4plusIjEEEEZZNS1_33reduce_by_key_impl_wrapped_configILNS1_25lookback_scan_determinismE0ES3_S9_PKS6_NS0_17constant_iteratorIjlEEPS6_PlSH_S8_NS0_8equal_toIS6_EEEE10hipError_tPvRmT2_T3_mT4_T5_T6_T7_T8_P12ihipStream_tbENKUlT_T0_E_clISt17integral_constantIbLb1EES11_EEDaSW_SX_EUlSW_E_NS1_11comp_targetILNS1_3genE0ELNS1_11target_archE4294967295ELNS1_3gpuE0ELNS1_3repE0EEENS1_30default_config_static_selectorELNS0_4arch9wavefront6targetE0EEEvT1_
    .private_segment_fixed_size: 0
    .sgpr_count:     0
    .sgpr_spill_count: 0
    .symbol:         _ZN7rocprim17ROCPRIM_400000_NS6detail17trampoline_kernelINS0_14default_configENS1_33run_length_encode_config_selectorIN3c108BFloat16EjNS0_4plusIjEEEEZZNS1_33reduce_by_key_impl_wrapped_configILNS1_25lookback_scan_determinismE0ES3_S9_PKS6_NS0_17constant_iteratorIjlEEPS6_PlSH_S8_NS0_8equal_toIS6_EEEE10hipError_tPvRmT2_T3_mT4_T5_T6_T7_T8_P12ihipStream_tbENKUlT_T0_E_clISt17integral_constantIbLb1EES11_EEDaSW_SX_EUlSW_E_NS1_11comp_targetILNS1_3genE0ELNS1_11target_archE4294967295ELNS1_3gpuE0ELNS1_3repE0EEENS1_30default_config_static_selectorELNS0_4arch9wavefront6targetE0EEEvT1_.kd
    .uniform_work_group_size: 1
    .uses_dynamic_stack: false
    .vgpr_count:     0
    .vgpr_spill_count: 0
    .wavefront_size: 32
  - .args:
      - .offset:         0
        .size:           128
        .value_kind:     by_value
    .group_segment_fixed_size: 0
    .kernarg_segment_align: 8
    .kernarg_segment_size: 128
    .language:       OpenCL C
    .language_version:
      - 2
      - 0
    .max_flat_workgroup_size: 256
    .name:           _ZN7rocprim17ROCPRIM_400000_NS6detail17trampoline_kernelINS0_14default_configENS1_33run_length_encode_config_selectorIN3c108BFloat16EjNS0_4plusIjEEEEZZNS1_33reduce_by_key_impl_wrapped_configILNS1_25lookback_scan_determinismE0ES3_S9_PKS6_NS0_17constant_iteratorIjlEEPS6_PlSH_S8_NS0_8equal_toIS6_EEEE10hipError_tPvRmT2_T3_mT4_T5_T6_T7_T8_P12ihipStream_tbENKUlT_T0_E_clISt17integral_constantIbLb1EES11_EEDaSW_SX_EUlSW_E_NS1_11comp_targetILNS1_3genE5ELNS1_11target_archE942ELNS1_3gpuE9ELNS1_3repE0EEENS1_30default_config_static_selectorELNS0_4arch9wavefront6targetE0EEEvT1_
    .private_segment_fixed_size: 0
    .sgpr_count:     0
    .sgpr_spill_count: 0
    .symbol:         _ZN7rocprim17ROCPRIM_400000_NS6detail17trampoline_kernelINS0_14default_configENS1_33run_length_encode_config_selectorIN3c108BFloat16EjNS0_4plusIjEEEEZZNS1_33reduce_by_key_impl_wrapped_configILNS1_25lookback_scan_determinismE0ES3_S9_PKS6_NS0_17constant_iteratorIjlEEPS6_PlSH_S8_NS0_8equal_toIS6_EEEE10hipError_tPvRmT2_T3_mT4_T5_T6_T7_T8_P12ihipStream_tbENKUlT_T0_E_clISt17integral_constantIbLb1EES11_EEDaSW_SX_EUlSW_E_NS1_11comp_targetILNS1_3genE5ELNS1_11target_archE942ELNS1_3gpuE9ELNS1_3repE0EEENS1_30default_config_static_selectorELNS0_4arch9wavefront6targetE0EEEvT1_.kd
    .uniform_work_group_size: 1
    .uses_dynamic_stack: false
    .vgpr_count:     0
    .vgpr_spill_count: 0
    .wavefront_size: 32
  - .args:
      - .offset:         0
        .size:           128
        .value_kind:     by_value
    .group_segment_fixed_size: 0
    .kernarg_segment_align: 8
    .kernarg_segment_size: 128
    .language:       OpenCL C
    .language_version:
      - 2
      - 0
    .max_flat_workgroup_size: 256
    .name:           _ZN7rocprim17ROCPRIM_400000_NS6detail17trampoline_kernelINS0_14default_configENS1_33run_length_encode_config_selectorIN3c108BFloat16EjNS0_4plusIjEEEEZZNS1_33reduce_by_key_impl_wrapped_configILNS1_25lookback_scan_determinismE0ES3_S9_PKS6_NS0_17constant_iteratorIjlEEPS6_PlSH_S8_NS0_8equal_toIS6_EEEE10hipError_tPvRmT2_T3_mT4_T5_T6_T7_T8_P12ihipStream_tbENKUlT_T0_E_clISt17integral_constantIbLb1EES11_EEDaSW_SX_EUlSW_E_NS1_11comp_targetILNS1_3genE4ELNS1_11target_archE910ELNS1_3gpuE8ELNS1_3repE0EEENS1_30default_config_static_selectorELNS0_4arch9wavefront6targetE0EEEvT1_
    .private_segment_fixed_size: 0
    .sgpr_count:     0
    .sgpr_spill_count: 0
    .symbol:         _ZN7rocprim17ROCPRIM_400000_NS6detail17trampoline_kernelINS0_14default_configENS1_33run_length_encode_config_selectorIN3c108BFloat16EjNS0_4plusIjEEEEZZNS1_33reduce_by_key_impl_wrapped_configILNS1_25lookback_scan_determinismE0ES3_S9_PKS6_NS0_17constant_iteratorIjlEEPS6_PlSH_S8_NS0_8equal_toIS6_EEEE10hipError_tPvRmT2_T3_mT4_T5_T6_T7_T8_P12ihipStream_tbENKUlT_T0_E_clISt17integral_constantIbLb1EES11_EEDaSW_SX_EUlSW_E_NS1_11comp_targetILNS1_3genE4ELNS1_11target_archE910ELNS1_3gpuE8ELNS1_3repE0EEENS1_30default_config_static_selectorELNS0_4arch9wavefront6targetE0EEEvT1_.kd
    .uniform_work_group_size: 1
    .uses_dynamic_stack: false
    .vgpr_count:     0
    .vgpr_spill_count: 0
    .wavefront_size: 32
  - .args:
      - .offset:         0
        .size:           128
        .value_kind:     by_value
    .group_segment_fixed_size: 0
    .kernarg_segment_align: 8
    .kernarg_segment_size: 128
    .language:       OpenCL C
    .language_version:
      - 2
      - 0
    .max_flat_workgroup_size: 256
    .name:           _ZN7rocprim17ROCPRIM_400000_NS6detail17trampoline_kernelINS0_14default_configENS1_33run_length_encode_config_selectorIN3c108BFloat16EjNS0_4plusIjEEEEZZNS1_33reduce_by_key_impl_wrapped_configILNS1_25lookback_scan_determinismE0ES3_S9_PKS6_NS0_17constant_iteratorIjlEEPS6_PlSH_S8_NS0_8equal_toIS6_EEEE10hipError_tPvRmT2_T3_mT4_T5_T6_T7_T8_P12ihipStream_tbENKUlT_T0_E_clISt17integral_constantIbLb1EES11_EEDaSW_SX_EUlSW_E_NS1_11comp_targetILNS1_3genE3ELNS1_11target_archE908ELNS1_3gpuE7ELNS1_3repE0EEENS1_30default_config_static_selectorELNS0_4arch9wavefront6targetE0EEEvT1_
    .private_segment_fixed_size: 0
    .sgpr_count:     0
    .sgpr_spill_count: 0
    .symbol:         _ZN7rocprim17ROCPRIM_400000_NS6detail17trampoline_kernelINS0_14default_configENS1_33run_length_encode_config_selectorIN3c108BFloat16EjNS0_4plusIjEEEEZZNS1_33reduce_by_key_impl_wrapped_configILNS1_25lookback_scan_determinismE0ES3_S9_PKS6_NS0_17constant_iteratorIjlEEPS6_PlSH_S8_NS0_8equal_toIS6_EEEE10hipError_tPvRmT2_T3_mT4_T5_T6_T7_T8_P12ihipStream_tbENKUlT_T0_E_clISt17integral_constantIbLb1EES11_EEDaSW_SX_EUlSW_E_NS1_11comp_targetILNS1_3genE3ELNS1_11target_archE908ELNS1_3gpuE7ELNS1_3repE0EEENS1_30default_config_static_selectorELNS0_4arch9wavefront6targetE0EEEvT1_.kd
    .uniform_work_group_size: 1
    .uses_dynamic_stack: false
    .vgpr_count:     0
    .vgpr_spill_count: 0
    .wavefront_size: 32
  - .args:
      - .offset:         0
        .size:           128
        .value_kind:     by_value
    .group_segment_fixed_size: 0
    .kernarg_segment_align: 8
    .kernarg_segment_size: 128
    .language:       OpenCL C
    .language_version:
      - 2
      - 0
    .max_flat_workgroup_size: 256
    .name:           _ZN7rocprim17ROCPRIM_400000_NS6detail17trampoline_kernelINS0_14default_configENS1_33run_length_encode_config_selectorIN3c108BFloat16EjNS0_4plusIjEEEEZZNS1_33reduce_by_key_impl_wrapped_configILNS1_25lookback_scan_determinismE0ES3_S9_PKS6_NS0_17constant_iteratorIjlEEPS6_PlSH_S8_NS0_8equal_toIS6_EEEE10hipError_tPvRmT2_T3_mT4_T5_T6_T7_T8_P12ihipStream_tbENKUlT_T0_E_clISt17integral_constantIbLb1EES11_EEDaSW_SX_EUlSW_E_NS1_11comp_targetILNS1_3genE2ELNS1_11target_archE906ELNS1_3gpuE6ELNS1_3repE0EEENS1_30default_config_static_selectorELNS0_4arch9wavefront6targetE0EEEvT1_
    .private_segment_fixed_size: 0
    .sgpr_count:     0
    .sgpr_spill_count: 0
    .symbol:         _ZN7rocprim17ROCPRIM_400000_NS6detail17trampoline_kernelINS0_14default_configENS1_33run_length_encode_config_selectorIN3c108BFloat16EjNS0_4plusIjEEEEZZNS1_33reduce_by_key_impl_wrapped_configILNS1_25lookback_scan_determinismE0ES3_S9_PKS6_NS0_17constant_iteratorIjlEEPS6_PlSH_S8_NS0_8equal_toIS6_EEEE10hipError_tPvRmT2_T3_mT4_T5_T6_T7_T8_P12ihipStream_tbENKUlT_T0_E_clISt17integral_constantIbLb1EES11_EEDaSW_SX_EUlSW_E_NS1_11comp_targetILNS1_3genE2ELNS1_11target_archE906ELNS1_3gpuE6ELNS1_3repE0EEENS1_30default_config_static_selectorELNS0_4arch9wavefront6targetE0EEEvT1_.kd
    .uniform_work_group_size: 1
    .uses_dynamic_stack: false
    .vgpr_count:     0
    .vgpr_spill_count: 0
    .wavefront_size: 32
  - .args:
      - .offset:         0
        .size:           128
        .value_kind:     by_value
    .group_segment_fixed_size: 0
    .kernarg_segment_align: 8
    .kernarg_segment_size: 128
    .language:       OpenCL C
    .language_version:
      - 2
      - 0
    .max_flat_workgroup_size: 256
    .name:           _ZN7rocprim17ROCPRIM_400000_NS6detail17trampoline_kernelINS0_14default_configENS1_33run_length_encode_config_selectorIN3c108BFloat16EjNS0_4plusIjEEEEZZNS1_33reduce_by_key_impl_wrapped_configILNS1_25lookback_scan_determinismE0ES3_S9_PKS6_NS0_17constant_iteratorIjlEEPS6_PlSH_S8_NS0_8equal_toIS6_EEEE10hipError_tPvRmT2_T3_mT4_T5_T6_T7_T8_P12ihipStream_tbENKUlT_T0_E_clISt17integral_constantIbLb1EES11_EEDaSW_SX_EUlSW_E_NS1_11comp_targetILNS1_3genE10ELNS1_11target_archE1201ELNS1_3gpuE5ELNS1_3repE0EEENS1_30default_config_static_selectorELNS0_4arch9wavefront6targetE0EEEvT1_
    .private_segment_fixed_size: 0
    .sgpr_count:     0
    .sgpr_spill_count: 0
    .symbol:         _ZN7rocprim17ROCPRIM_400000_NS6detail17trampoline_kernelINS0_14default_configENS1_33run_length_encode_config_selectorIN3c108BFloat16EjNS0_4plusIjEEEEZZNS1_33reduce_by_key_impl_wrapped_configILNS1_25lookback_scan_determinismE0ES3_S9_PKS6_NS0_17constant_iteratorIjlEEPS6_PlSH_S8_NS0_8equal_toIS6_EEEE10hipError_tPvRmT2_T3_mT4_T5_T6_T7_T8_P12ihipStream_tbENKUlT_T0_E_clISt17integral_constantIbLb1EES11_EEDaSW_SX_EUlSW_E_NS1_11comp_targetILNS1_3genE10ELNS1_11target_archE1201ELNS1_3gpuE5ELNS1_3repE0EEENS1_30default_config_static_selectorELNS0_4arch9wavefront6targetE0EEEvT1_.kd
    .uniform_work_group_size: 1
    .uses_dynamic_stack: false
    .vgpr_count:     0
    .vgpr_spill_count: 0
    .wavefront_size: 32
  - .args:
      - .offset:         0
        .size:           128
        .value_kind:     by_value
    .group_segment_fixed_size: 0
    .kernarg_segment_align: 8
    .kernarg_segment_size: 128
    .language:       OpenCL C
    .language_version:
      - 2
      - 0
    .max_flat_workgroup_size: 256
    .name:           _ZN7rocprim17ROCPRIM_400000_NS6detail17trampoline_kernelINS0_14default_configENS1_33run_length_encode_config_selectorIN3c108BFloat16EjNS0_4plusIjEEEEZZNS1_33reduce_by_key_impl_wrapped_configILNS1_25lookback_scan_determinismE0ES3_S9_PKS6_NS0_17constant_iteratorIjlEEPS6_PlSH_S8_NS0_8equal_toIS6_EEEE10hipError_tPvRmT2_T3_mT4_T5_T6_T7_T8_P12ihipStream_tbENKUlT_T0_E_clISt17integral_constantIbLb1EES11_EEDaSW_SX_EUlSW_E_NS1_11comp_targetILNS1_3genE10ELNS1_11target_archE1200ELNS1_3gpuE4ELNS1_3repE0EEENS1_30default_config_static_selectorELNS0_4arch9wavefront6targetE0EEEvT1_
    .private_segment_fixed_size: 0
    .sgpr_count:     0
    .sgpr_spill_count: 0
    .symbol:         _ZN7rocprim17ROCPRIM_400000_NS6detail17trampoline_kernelINS0_14default_configENS1_33run_length_encode_config_selectorIN3c108BFloat16EjNS0_4plusIjEEEEZZNS1_33reduce_by_key_impl_wrapped_configILNS1_25lookback_scan_determinismE0ES3_S9_PKS6_NS0_17constant_iteratorIjlEEPS6_PlSH_S8_NS0_8equal_toIS6_EEEE10hipError_tPvRmT2_T3_mT4_T5_T6_T7_T8_P12ihipStream_tbENKUlT_T0_E_clISt17integral_constantIbLb1EES11_EEDaSW_SX_EUlSW_E_NS1_11comp_targetILNS1_3genE10ELNS1_11target_archE1200ELNS1_3gpuE4ELNS1_3repE0EEENS1_30default_config_static_selectorELNS0_4arch9wavefront6targetE0EEEvT1_.kd
    .uniform_work_group_size: 1
    .uses_dynamic_stack: false
    .vgpr_count:     0
    .vgpr_spill_count: 0
    .wavefront_size: 32
  - .args:
      - .offset:         0
        .size:           128
        .value_kind:     by_value
    .group_segment_fixed_size: 0
    .kernarg_segment_align: 8
    .kernarg_segment_size: 128
    .language:       OpenCL C
    .language_version:
      - 2
      - 0
    .max_flat_workgroup_size: 256
    .name:           _ZN7rocprim17ROCPRIM_400000_NS6detail17trampoline_kernelINS0_14default_configENS1_33run_length_encode_config_selectorIN3c108BFloat16EjNS0_4plusIjEEEEZZNS1_33reduce_by_key_impl_wrapped_configILNS1_25lookback_scan_determinismE0ES3_S9_PKS6_NS0_17constant_iteratorIjlEEPS6_PlSH_S8_NS0_8equal_toIS6_EEEE10hipError_tPvRmT2_T3_mT4_T5_T6_T7_T8_P12ihipStream_tbENKUlT_T0_E_clISt17integral_constantIbLb1EES11_EEDaSW_SX_EUlSW_E_NS1_11comp_targetILNS1_3genE9ELNS1_11target_archE1100ELNS1_3gpuE3ELNS1_3repE0EEENS1_30default_config_static_selectorELNS0_4arch9wavefront6targetE0EEEvT1_
    .private_segment_fixed_size: 0
    .sgpr_count:     0
    .sgpr_spill_count: 0
    .symbol:         _ZN7rocprim17ROCPRIM_400000_NS6detail17trampoline_kernelINS0_14default_configENS1_33run_length_encode_config_selectorIN3c108BFloat16EjNS0_4plusIjEEEEZZNS1_33reduce_by_key_impl_wrapped_configILNS1_25lookback_scan_determinismE0ES3_S9_PKS6_NS0_17constant_iteratorIjlEEPS6_PlSH_S8_NS0_8equal_toIS6_EEEE10hipError_tPvRmT2_T3_mT4_T5_T6_T7_T8_P12ihipStream_tbENKUlT_T0_E_clISt17integral_constantIbLb1EES11_EEDaSW_SX_EUlSW_E_NS1_11comp_targetILNS1_3genE9ELNS1_11target_archE1100ELNS1_3gpuE3ELNS1_3repE0EEENS1_30default_config_static_selectorELNS0_4arch9wavefront6targetE0EEEvT1_.kd
    .uniform_work_group_size: 1
    .uses_dynamic_stack: false
    .vgpr_count:     0
    .vgpr_spill_count: 0
    .wavefront_size: 32
  - .args:
      - .offset:         0
        .size:           128
        .value_kind:     by_value
    .group_segment_fixed_size: 0
    .kernarg_segment_align: 8
    .kernarg_segment_size: 128
    .language:       OpenCL C
    .language_version:
      - 2
      - 0
    .max_flat_workgroup_size: 256
    .name:           _ZN7rocprim17ROCPRIM_400000_NS6detail17trampoline_kernelINS0_14default_configENS1_33run_length_encode_config_selectorIN3c108BFloat16EjNS0_4plusIjEEEEZZNS1_33reduce_by_key_impl_wrapped_configILNS1_25lookback_scan_determinismE0ES3_S9_PKS6_NS0_17constant_iteratorIjlEEPS6_PlSH_S8_NS0_8equal_toIS6_EEEE10hipError_tPvRmT2_T3_mT4_T5_T6_T7_T8_P12ihipStream_tbENKUlT_T0_E_clISt17integral_constantIbLb1EES11_EEDaSW_SX_EUlSW_E_NS1_11comp_targetILNS1_3genE8ELNS1_11target_archE1030ELNS1_3gpuE2ELNS1_3repE0EEENS1_30default_config_static_selectorELNS0_4arch9wavefront6targetE0EEEvT1_
    .private_segment_fixed_size: 0
    .sgpr_count:     0
    .sgpr_spill_count: 0
    .symbol:         _ZN7rocprim17ROCPRIM_400000_NS6detail17trampoline_kernelINS0_14default_configENS1_33run_length_encode_config_selectorIN3c108BFloat16EjNS0_4plusIjEEEEZZNS1_33reduce_by_key_impl_wrapped_configILNS1_25lookback_scan_determinismE0ES3_S9_PKS6_NS0_17constant_iteratorIjlEEPS6_PlSH_S8_NS0_8equal_toIS6_EEEE10hipError_tPvRmT2_T3_mT4_T5_T6_T7_T8_P12ihipStream_tbENKUlT_T0_E_clISt17integral_constantIbLb1EES11_EEDaSW_SX_EUlSW_E_NS1_11comp_targetILNS1_3genE8ELNS1_11target_archE1030ELNS1_3gpuE2ELNS1_3repE0EEENS1_30default_config_static_selectorELNS0_4arch9wavefront6targetE0EEEvT1_.kd
    .uniform_work_group_size: 1
    .uses_dynamic_stack: false
    .vgpr_count:     0
    .vgpr_spill_count: 0
    .wavefront_size: 32
  - .args:
      - .offset:         0
        .size:           128
        .value_kind:     by_value
    .group_segment_fixed_size: 0
    .kernarg_segment_align: 8
    .kernarg_segment_size: 128
    .language:       OpenCL C
    .language_version:
      - 2
      - 0
    .max_flat_workgroup_size: 256
    .name:           _ZN7rocprim17ROCPRIM_400000_NS6detail17trampoline_kernelINS0_14default_configENS1_33run_length_encode_config_selectorIN3c108BFloat16EjNS0_4plusIjEEEEZZNS1_33reduce_by_key_impl_wrapped_configILNS1_25lookback_scan_determinismE0ES3_S9_PKS6_NS0_17constant_iteratorIjlEEPS6_PlSH_S8_NS0_8equal_toIS6_EEEE10hipError_tPvRmT2_T3_mT4_T5_T6_T7_T8_P12ihipStream_tbENKUlT_T0_E_clISt17integral_constantIbLb1EES10_IbLb0EEEEDaSW_SX_EUlSW_E_NS1_11comp_targetILNS1_3genE0ELNS1_11target_archE4294967295ELNS1_3gpuE0ELNS1_3repE0EEENS1_30default_config_static_selectorELNS0_4arch9wavefront6targetE0EEEvT1_
    .private_segment_fixed_size: 0
    .sgpr_count:     0
    .sgpr_spill_count: 0
    .symbol:         _ZN7rocprim17ROCPRIM_400000_NS6detail17trampoline_kernelINS0_14default_configENS1_33run_length_encode_config_selectorIN3c108BFloat16EjNS0_4plusIjEEEEZZNS1_33reduce_by_key_impl_wrapped_configILNS1_25lookback_scan_determinismE0ES3_S9_PKS6_NS0_17constant_iteratorIjlEEPS6_PlSH_S8_NS0_8equal_toIS6_EEEE10hipError_tPvRmT2_T3_mT4_T5_T6_T7_T8_P12ihipStream_tbENKUlT_T0_E_clISt17integral_constantIbLb1EES10_IbLb0EEEEDaSW_SX_EUlSW_E_NS1_11comp_targetILNS1_3genE0ELNS1_11target_archE4294967295ELNS1_3gpuE0ELNS1_3repE0EEENS1_30default_config_static_selectorELNS0_4arch9wavefront6targetE0EEEvT1_.kd
    .uniform_work_group_size: 1
    .uses_dynamic_stack: false
    .vgpr_count:     0
    .vgpr_spill_count: 0
    .wavefront_size: 32
  - .args:
      - .offset:         0
        .size:           128
        .value_kind:     by_value
    .group_segment_fixed_size: 0
    .kernarg_segment_align: 8
    .kernarg_segment_size: 128
    .language:       OpenCL C
    .language_version:
      - 2
      - 0
    .max_flat_workgroup_size: 256
    .name:           _ZN7rocprim17ROCPRIM_400000_NS6detail17trampoline_kernelINS0_14default_configENS1_33run_length_encode_config_selectorIN3c108BFloat16EjNS0_4plusIjEEEEZZNS1_33reduce_by_key_impl_wrapped_configILNS1_25lookback_scan_determinismE0ES3_S9_PKS6_NS0_17constant_iteratorIjlEEPS6_PlSH_S8_NS0_8equal_toIS6_EEEE10hipError_tPvRmT2_T3_mT4_T5_T6_T7_T8_P12ihipStream_tbENKUlT_T0_E_clISt17integral_constantIbLb1EES10_IbLb0EEEEDaSW_SX_EUlSW_E_NS1_11comp_targetILNS1_3genE5ELNS1_11target_archE942ELNS1_3gpuE9ELNS1_3repE0EEENS1_30default_config_static_selectorELNS0_4arch9wavefront6targetE0EEEvT1_
    .private_segment_fixed_size: 0
    .sgpr_count:     0
    .sgpr_spill_count: 0
    .symbol:         _ZN7rocprim17ROCPRIM_400000_NS6detail17trampoline_kernelINS0_14default_configENS1_33run_length_encode_config_selectorIN3c108BFloat16EjNS0_4plusIjEEEEZZNS1_33reduce_by_key_impl_wrapped_configILNS1_25lookback_scan_determinismE0ES3_S9_PKS6_NS0_17constant_iteratorIjlEEPS6_PlSH_S8_NS0_8equal_toIS6_EEEE10hipError_tPvRmT2_T3_mT4_T5_T6_T7_T8_P12ihipStream_tbENKUlT_T0_E_clISt17integral_constantIbLb1EES10_IbLb0EEEEDaSW_SX_EUlSW_E_NS1_11comp_targetILNS1_3genE5ELNS1_11target_archE942ELNS1_3gpuE9ELNS1_3repE0EEENS1_30default_config_static_selectorELNS0_4arch9wavefront6targetE0EEEvT1_.kd
    .uniform_work_group_size: 1
    .uses_dynamic_stack: false
    .vgpr_count:     0
    .vgpr_spill_count: 0
    .wavefront_size: 32
  - .args:
      - .offset:         0
        .size:           128
        .value_kind:     by_value
    .group_segment_fixed_size: 0
    .kernarg_segment_align: 8
    .kernarg_segment_size: 128
    .language:       OpenCL C
    .language_version:
      - 2
      - 0
    .max_flat_workgroup_size: 256
    .name:           _ZN7rocprim17ROCPRIM_400000_NS6detail17trampoline_kernelINS0_14default_configENS1_33run_length_encode_config_selectorIN3c108BFloat16EjNS0_4plusIjEEEEZZNS1_33reduce_by_key_impl_wrapped_configILNS1_25lookback_scan_determinismE0ES3_S9_PKS6_NS0_17constant_iteratorIjlEEPS6_PlSH_S8_NS0_8equal_toIS6_EEEE10hipError_tPvRmT2_T3_mT4_T5_T6_T7_T8_P12ihipStream_tbENKUlT_T0_E_clISt17integral_constantIbLb1EES10_IbLb0EEEEDaSW_SX_EUlSW_E_NS1_11comp_targetILNS1_3genE4ELNS1_11target_archE910ELNS1_3gpuE8ELNS1_3repE0EEENS1_30default_config_static_selectorELNS0_4arch9wavefront6targetE0EEEvT1_
    .private_segment_fixed_size: 0
    .sgpr_count:     0
    .sgpr_spill_count: 0
    .symbol:         _ZN7rocprim17ROCPRIM_400000_NS6detail17trampoline_kernelINS0_14default_configENS1_33run_length_encode_config_selectorIN3c108BFloat16EjNS0_4plusIjEEEEZZNS1_33reduce_by_key_impl_wrapped_configILNS1_25lookback_scan_determinismE0ES3_S9_PKS6_NS0_17constant_iteratorIjlEEPS6_PlSH_S8_NS0_8equal_toIS6_EEEE10hipError_tPvRmT2_T3_mT4_T5_T6_T7_T8_P12ihipStream_tbENKUlT_T0_E_clISt17integral_constantIbLb1EES10_IbLb0EEEEDaSW_SX_EUlSW_E_NS1_11comp_targetILNS1_3genE4ELNS1_11target_archE910ELNS1_3gpuE8ELNS1_3repE0EEENS1_30default_config_static_selectorELNS0_4arch9wavefront6targetE0EEEvT1_.kd
    .uniform_work_group_size: 1
    .uses_dynamic_stack: false
    .vgpr_count:     0
    .vgpr_spill_count: 0
    .wavefront_size: 32
  - .args:
      - .offset:         0
        .size:           128
        .value_kind:     by_value
    .group_segment_fixed_size: 0
    .kernarg_segment_align: 8
    .kernarg_segment_size: 128
    .language:       OpenCL C
    .language_version:
      - 2
      - 0
    .max_flat_workgroup_size: 256
    .name:           _ZN7rocprim17ROCPRIM_400000_NS6detail17trampoline_kernelINS0_14default_configENS1_33run_length_encode_config_selectorIN3c108BFloat16EjNS0_4plusIjEEEEZZNS1_33reduce_by_key_impl_wrapped_configILNS1_25lookback_scan_determinismE0ES3_S9_PKS6_NS0_17constant_iteratorIjlEEPS6_PlSH_S8_NS0_8equal_toIS6_EEEE10hipError_tPvRmT2_T3_mT4_T5_T6_T7_T8_P12ihipStream_tbENKUlT_T0_E_clISt17integral_constantIbLb1EES10_IbLb0EEEEDaSW_SX_EUlSW_E_NS1_11comp_targetILNS1_3genE3ELNS1_11target_archE908ELNS1_3gpuE7ELNS1_3repE0EEENS1_30default_config_static_selectorELNS0_4arch9wavefront6targetE0EEEvT1_
    .private_segment_fixed_size: 0
    .sgpr_count:     0
    .sgpr_spill_count: 0
    .symbol:         _ZN7rocprim17ROCPRIM_400000_NS6detail17trampoline_kernelINS0_14default_configENS1_33run_length_encode_config_selectorIN3c108BFloat16EjNS0_4plusIjEEEEZZNS1_33reduce_by_key_impl_wrapped_configILNS1_25lookback_scan_determinismE0ES3_S9_PKS6_NS0_17constant_iteratorIjlEEPS6_PlSH_S8_NS0_8equal_toIS6_EEEE10hipError_tPvRmT2_T3_mT4_T5_T6_T7_T8_P12ihipStream_tbENKUlT_T0_E_clISt17integral_constantIbLb1EES10_IbLb0EEEEDaSW_SX_EUlSW_E_NS1_11comp_targetILNS1_3genE3ELNS1_11target_archE908ELNS1_3gpuE7ELNS1_3repE0EEENS1_30default_config_static_selectorELNS0_4arch9wavefront6targetE0EEEvT1_.kd
    .uniform_work_group_size: 1
    .uses_dynamic_stack: false
    .vgpr_count:     0
    .vgpr_spill_count: 0
    .wavefront_size: 32
  - .args:
      - .offset:         0
        .size:           128
        .value_kind:     by_value
    .group_segment_fixed_size: 0
    .kernarg_segment_align: 8
    .kernarg_segment_size: 128
    .language:       OpenCL C
    .language_version:
      - 2
      - 0
    .max_flat_workgroup_size: 256
    .name:           _ZN7rocprim17ROCPRIM_400000_NS6detail17trampoline_kernelINS0_14default_configENS1_33run_length_encode_config_selectorIN3c108BFloat16EjNS0_4plusIjEEEEZZNS1_33reduce_by_key_impl_wrapped_configILNS1_25lookback_scan_determinismE0ES3_S9_PKS6_NS0_17constant_iteratorIjlEEPS6_PlSH_S8_NS0_8equal_toIS6_EEEE10hipError_tPvRmT2_T3_mT4_T5_T6_T7_T8_P12ihipStream_tbENKUlT_T0_E_clISt17integral_constantIbLb1EES10_IbLb0EEEEDaSW_SX_EUlSW_E_NS1_11comp_targetILNS1_3genE2ELNS1_11target_archE906ELNS1_3gpuE6ELNS1_3repE0EEENS1_30default_config_static_selectorELNS0_4arch9wavefront6targetE0EEEvT1_
    .private_segment_fixed_size: 0
    .sgpr_count:     0
    .sgpr_spill_count: 0
    .symbol:         _ZN7rocprim17ROCPRIM_400000_NS6detail17trampoline_kernelINS0_14default_configENS1_33run_length_encode_config_selectorIN3c108BFloat16EjNS0_4plusIjEEEEZZNS1_33reduce_by_key_impl_wrapped_configILNS1_25lookback_scan_determinismE0ES3_S9_PKS6_NS0_17constant_iteratorIjlEEPS6_PlSH_S8_NS0_8equal_toIS6_EEEE10hipError_tPvRmT2_T3_mT4_T5_T6_T7_T8_P12ihipStream_tbENKUlT_T0_E_clISt17integral_constantIbLb1EES10_IbLb0EEEEDaSW_SX_EUlSW_E_NS1_11comp_targetILNS1_3genE2ELNS1_11target_archE906ELNS1_3gpuE6ELNS1_3repE0EEENS1_30default_config_static_selectorELNS0_4arch9wavefront6targetE0EEEvT1_.kd
    .uniform_work_group_size: 1
    .uses_dynamic_stack: false
    .vgpr_count:     0
    .vgpr_spill_count: 0
    .wavefront_size: 32
  - .args:
      - .offset:         0
        .size:           128
        .value_kind:     by_value
    .group_segment_fixed_size: 0
    .kernarg_segment_align: 8
    .kernarg_segment_size: 128
    .language:       OpenCL C
    .language_version:
      - 2
      - 0
    .max_flat_workgroup_size: 256
    .name:           _ZN7rocprim17ROCPRIM_400000_NS6detail17trampoline_kernelINS0_14default_configENS1_33run_length_encode_config_selectorIN3c108BFloat16EjNS0_4plusIjEEEEZZNS1_33reduce_by_key_impl_wrapped_configILNS1_25lookback_scan_determinismE0ES3_S9_PKS6_NS0_17constant_iteratorIjlEEPS6_PlSH_S8_NS0_8equal_toIS6_EEEE10hipError_tPvRmT2_T3_mT4_T5_T6_T7_T8_P12ihipStream_tbENKUlT_T0_E_clISt17integral_constantIbLb1EES10_IbLb0EEEEDaSW_SX_EUlSW_E_NS1_11comp_targetILNS1_3genE10ELNS1_11target_archE1201ELNS1_3gpuE5ELNS1_3repE0EEENS1_30default_config_static_selectorELNS0_4arch9wavefront6targetE0EEEvT1_
    .private_segment_fixed_size: 0
    .sgpr_count:     0
    .sgpr_spill_count: 0
    .symbol:         _ZN7rocprim17ROCPRIM_400000_NS6detail17trampoline_kernelINS0_14default_configENS1_33run_length_encode_config_selectorIN3c108BFloat16EjNS0_4plusIjEEEEZZNS1_33reduce_by_key_impl_wrapped_configILNS1_25lookback_scan_determinismE0ES3_S9_PKS6_NS0_17constant_iteratorIjlEEPS6_PlSH_S8_NS0_8equal_toIS6_EEEE10hipError_tPvRmT2_T3_mT4_T5_T6_T7_T8_P12ihipStream_tbENKUlT_T0_E_clISt17integral_constantIbLb1EES10_IbLb0EEEEDaSW_SX_EUlSW_E_NS1_11comp_targetILNS1_3genE10ELNS1_11target_archE1201ELNS1_3gpuE5ELNS1_3repE0EEENS1_30default_config_static_selectorELNS0_4arch9wavefront6targetE0EEEvT1_.kd
    .uniform_work_group_size: 1
    .uses_dynamic_stack: false
    .vgpr_count:     0
    .vgpr_spill_count: 0
    .wavefront_size: 32
  - .args:
      - .offset:         0
        .size:           128
        .value_kind:     by_value
    .group_segment_fixed_size: 0
    .kernarg_segment_align: 8
    .kernarg_segment_size: 128
    .language:       OpenCL C
    .language_version:
      - 2
      - 0
    .max_flat_workgroup_size: 256
    .name:           _ZN7rocprim17ROCPRIM_400000_NS6detail17trampoline_kernelINS0_14default_configENS1_33run_length_encode_config_selectorIN3c108BFloat16EjNS0_4plusIjEEEEZZNS1_33reduce_by_key_impl_wrapped_configILNS1_25lookback_scan_determinismE0ES3_S9_PKS6_NS0_17constant_iteratorIjlEEPS6_PlSH_S8_NS0_8equal_toIS6_EEEE10hipError_tPvRmT2_T3_mT4_T5_T6_T7_T8_P12ihipStream_tbENKUlT_T0_E_clISt17integral_constantIbLb1EES10_IbLb0EEEEDaSW_SX_EUlSW_E_NS1_11comp_targetILNS1_3genE10ELNS1_11target_archE1200ELNS1_3gpuE4ELNS1_3repE0EEENS1_30default_config_static_selectorELNS0_4arch9wavefront6targetE0EEEvT1_
    .private_segment_fixed_size: 0
    .sgpr_count:     0
    .sgpr_spill_count: 0
    .symbol:         _ZN7rocprim17ROCPRIM_400000_NS6detail17trampoline_kernelINS0_14default_configENS1_33run_length_encode_config_selectorIN3c108BFloat16EjNS0_4plusIjEEEEZZNS1_33reduce_by_key_impl_wrapped_configILNS1_25lookback_scan_determinismE0ES3_S9_PKS6_NS0_17constant_iteratorIjlEEPS6_PlSH_S8_NS0_8equal_toIS6_EEEE10hipError_tPvRmT2_T3_mT4_T5_T6_T7_T8_P12ihipStream_tbENKUlT_T0_E_clISt17integral_constantIbLb1EES10_IbLb0EEEEDaSW_SX_EUlSW_E_NS1_11comp_targetILNS1_3genE10ELNS1_11target_archE1200ELNS1_3gpuE4ELNS1_3repE0EEENS1_30default_config_static_selectorELNS0_4arch9wavefront6targetE0EEEvT1_.kd
    .uniform_work_group_size: 1
    .uses_dynamic_stack: false
    .vgpr_count:     0
    .vgpr_spill_count: 0
    .wavefront_size: 32
  - .args:
      - .offset:         0
        .size:           128
        .value_kind:     by_value
    .group_segment_fixed_size: 0
    .kernarg_segment_align: 8
    .kernarg_segment_size: 128
    .language:       OpenCL C
    .language_version:
      - 2
      - 0
    .max_flat_workgroup_size: 256
    .name:           _ZN7rocprim17ROCPRIM_400000_NS6detail17trampoline_kernelINS0_14default_configENS1_33run_length_encode_config_selectorIN3c108BFloat16EjNS0_4plusIjEEEEZZNS1_33reduce_by_key_impl_wrapped_configILNS1_25lookback_scan_determinismE0ES3_S9_PKS6_NS0_17constant_iteratorIjlEEPS6_PlSH_S8_NS0_8equal_toIS6_EEEE10hipError_tPvRmT2_T3_mT4_T5_T6_T7_T8_P12ihipStream_tbENKUlT_T0_E_clISt17integral_constantIbLb1EES10_IbLb0EEEEDaSW_SX_EUlSW_E_NS1_11comp_targetILNS1_3genE9ELNS1_11target_archE1100ELNS1_3gpuE3ELNS1_3repE0EEENS1_30default_config_static_selectorELNS0_4arch9wavefront6targetE0EEEvT1_
    .private_segment_fixed_size: 0
    .sgpr_count:     0
    .sgpr_spill_count: 0
    .symbol:         _ZN7rocprim17ROCPRIM_400000_NS6detail17trampoline_kernelINS0_14default_configENS1_33run_length_encode_config_selectorIN3c108BFloat16EjNS0_4plusIjEEEEZZNS1_33reduce_by_key_impl_wrapped_configILNS1_25lookback_scan_determinismE0ES3_S9_PKS6_NS0_17constant_iteratorIjlEEPS6_PlSH_S8_NS0_8equal_toIS6_EEEE10hipError_tPvRmT2_T3_mT4_T5_T6_T7_T8_P12ihipStream_tbENKUlT_T0_E_clISt17integral_constantIbLb1EES10_IbLb0EEEEDaSW_SX_EUlSW_E_NS1_11comp_targetILNS1_3genE9ELNS1_11target_archE1100ELNS1_3gpuE3ELNS1_3repE0EEENS1_30default_config_static_selectorELNS0_4arch9wavefront6targetE0EEEvT1_.kd
    .uniform_work_group_size: 1
    .uses_dynamic_stack: false
    .vgpr_count:     0
    .vgpr_spill_count: 0
    .wavefront_size: 32
  - .args:
      - .offset:         0
        .size:           128
        .value_kind:     by_value
    .group_segment_fixed_size: 0
    .kernarg_segment_align: 8
    .kernarg_segment_size: 128
    .language:       OpenCL C
    .language_version:
      - 2
      - 0
    .max_flat_workgroup_size: 256
    .name:           _ZN7rocprim17ROCPRIM_400000_NS6detail17trampoline_kernelINS0_14default_configENS1_33run_length_encode_config_selectorIN3c108BFloat16EjNS0_4plusIjEEEEZZNS1_33reduce_by_key_impl_wrapped_configILNS1_25lookback_scan_determinismE0ES3_S9_PKS6_NS0_17constant_iteratorIjlEEPS6_PlSH_S8_NS0_8equal_toIS6_EEEE10hipError_tPvRmT2_T3_mT4_T5_T6_T7_T8_P12ihipStream_tbENKUlT_T0_E_clISt17integral_constantIbLb1EES10_IbLb0EEEEDaSW_SX_EUlSW_E_NS1_11comp_targetILNS1_3genE8ELNS1_11target_archE1030ELNS1_3gpuE2ELNS1_3repE0EEENS1_30default_config_static_selectorELNS0_4arch9wavefront6targetE0EEEvT1_
    .private_segment_fixed_size: 0
    .sgpr_count:     0
    .sgpr_spill_count: 0
    .symbol:         _ZN7rocprim17ROCPRIM_400000_NS6detail17trampoline_kernelINS0_14default_configENS1_33run_length_encode_config_selectorIN3c108BFloat16EjNS0_4plusIjEEEEZZNS1_33reduce_by_key_impl_wrapped_configILNS1_25lookback_scan_determinismE0ES3_S9_PKS6_NS0_17constant_iteratorIjlEEPS6_PlSH_S8_NS0_8equal_toIS6_EEEE10hipError_tPvRmT2_T3_mT4_T5_T6_T7_T8_P12ihipStream_tbENKUlT_T0_E_clISt17integral_constantIbLb1EES10_IbLb0EEEEDaSW_SX_EUlSW_E_NS1_11comp_targetILNS1_3genE8ELNS1_11target_archE1030ELNS1_3gpuE2ELNS1_3repE0EEENS1_30default_config_static_selectorELNS0_4arch9wavefront6targetE0EEEvT1_.kd
    .uniform_work_group_size: 1
    .uses_dynamic_stack: false
    .vgpr_count:     0
    .vgpr_spill_count: 0
    .wavefront_size: 32
  - .args:
      - .offset:         0
        .size:           128
        .value_kind:     by_value
    .group_segment_fixed_size: 15360
    .kernarg_segment_align: 8
    .kernarg_segment_size: 128
    .language:       OpenCL C
    .language_version:
      - 2
      - 0
    .max_flat_workgroup_size: 256
    .name:           _ZN7rocprim17ROCPRIM_400000_NS6detail17trampoline_kernelINS0_14default_configENS1_33run_length_encode_config_selectorIN3c108BFloat16EjNS0_4plusIjEEEEZZNS1_33reduce_by_key_impl_wrapped_configILNS1_25lookback_scan_determinismE0ES3_S9_PKS6_NS0_17constant_iteratorIjlEEPS6_PlSH_S8_NS0_8equal_toIS6_EEEE10hipError_tPvRmT2_T3_mT4_T5_T6_T7_T8_P12ihipStream_tbENKUlT_T0_E_clISt17integral_constantIbLb0EES10_IbLb1EEEEDaSW_SX_EUlSW_E_NS1_11comp_targetILNS1_3genE0ELNS1_11target_archE4294967295ELNS1_3gpuE0ELNS1_3repE0EEENS1_30default_config_static_selectorELNS0_4arch9wavefront6targetE0EEEvT1_
    .private_segment_fixed_size: 0
    .sgpr_count:     53
    .sgpr_spill_count: 0
    .symbol:         _ZN7rocprim17ROCPRIM_400000_NS6detail17trampoline_kernelINS0_14default_configENS1_33run_length_encode_config_selectorIN3c108BFloat16EjNS0_4plusIjEEEEZZNS1_33reduce_by_key_impl_wrapped_configILNS1_25lookback_scan_determinismE0ES3_S9_PKS6_NS0_17constant_iteratorIjlEEPS6_PlSH_S8_NS0_8equal_toIS6_EEEE10hipError_tPvRmT2_T3_mT4_T5_T6_T7_T8_P12ihipStream_tbENKUlT_T0_E_clISt17integral_constantIbLb0EES10_IbLb1EEEEDaSW_SX_EUlSW_E_NS1_11comp_targetILNS1_3genE0ELNS1_11target_archE4294967295ELNS1_3gpuE0ELNS1_3repE0EEENS1_30default_config_static_selectorELNS0_4arch9wavefront6targetE0EEEvT1_.kd
    .uniform_work_group_size: 1
    .uses_dynamic_stack: false
    .vgpr_count:     108
    .vgpr_spill_count: 0
    .wavefront_size: 32
  - .args:
      - .offset:         0
        .size:           128
        .value_kind:     by_value
    .group_segment_fixed_size: 0
    .kernarg_segment_align: 8
    .kernarg_segment_size: 128
    .language:       OpenCL C
    .language_version:
      - 2
      - 0
    .max_flat_workgroup_size: 256
    .name:           _ZN7rocprim17ROCPRIM_400000_NS6detail17trampoline_kernelINS0_14default_configENS1_33run_length_encode_config_selectorIN3c108BFloat16EjNS0_4plusIjEEEEZZNS1_33reduce_by_key_impl_wrapped_configILNS1_25lookback_scan_determinismE0ES3_S9_PKS6_NS0_17constant_iteratorIjlEEPS6_PlSH_S8_NS0_8equal_toIS6_EEEE10hipError_tPvRmT2_T3_mT4_T5_T6_T7_T8_P12ihipStream_tbENKUlT_T0_E_clISt17integral_constantIbLb0EES10_IbLb1EEEEDaSW_SX_EUlSW_E_NS1_11comp_targetILNS1_3genE5ELNS1_11target_archE942ELNS1_3gpuE9ELNS1_3repE0EEENS1_30default_config_static_selectorELNS0_4arch9wavefront6targetE0EEEvT1_
    .private_segment_fixed_size: 0
    .sgpr_count:     0
    .sgpr_spill_count: 0
    .symbol:         _ZN7rocprim17ROCPRIM_400000_NS6detail17trampoline_kernelINS0_14default_configENS1_33run_length_encode_config_selectorIN3c108BFloat16EjNS0_4plusIjEEEEZZNS1_33reduce_by_key_impl_wrapped_configILNS1_25lookback_scan_determinismE0ES3_S9_PKS6_NS0_17constant_iteratorIjlEEPS6_PlSH_S8_NS0_8equal_toIS6_EEEE10hipError_tPvRmT2_T3_mT4_T5_T6_T7_T8_P12ihipStream_tbENKUlT_T0_E_clISt17integral_constantIbLb0EES10_IbLb1EEEEDaSW_SX_EUlSW_E_NS1_11comp_targetILNS1_3genE5ELNS1_11target_archE942ELNS1_3gpuE9ELNS1_3repE0EEENS1_30default_config_static_selectorELNS0_4arch9wavefront6targetE0EEEvT1_.kd
    .uniform_work_group_size: 1
    .uses_dynamic_stack: false
    .vgpr_count:     0
    .vgpr_spill_count: 0
    .wavefront_size: 32
  - .args:
      - .offset:         0
        .size:           128
        .value_kind:     by_value
    .group_segment_fixed_size: 0
    .kernarg_segment_align: 8
    .kernarg_segment_size: 128
    .language:       OpenCL C
    .language_version:
      - 2
      - 0
    .max_flat_workgroup_size: 256
    .name:           _ZN7rocprim17ROCPRIM_400000_NS6detail17trampoline_kernelINS0_14default_configENS1_33run_length_encode_config_selectorIN3c108BFloat16EjNS0_4plusIjEEEEZZNS1_33reduce_by_key_impl_wrapped_configILNS1_25lookback_scan_determinismE0ES3_S9_PKS6_NS0_17constant_iteratorIjlEEPS6_PlSH_S8_NS0_8equal_toIS6_EEEE10hipError_tPvRmT2_T3_mT4_T5_T6_T7_T8_P12ihipStream_tbENKUlT_T0_E_clISt17integral_constantIbLb0EES10_IbLb1EEEEDaSW_SX_EUlSW_E_NS1_11comp_targetILNS1_3genE4ELNS1_11target_archE910ELNS1_3gpuE8ELNS1_3repE0EEENS1_30default_config_static_selectorELNS0_4arch9wavefront6targetE0EEEvT1_
    .private_segment_fixed_size: 0
    .sgpr_count:     0
    .sgpr_spill_count: 0
    .symbol:         _ZN7rocprim17ROCPRIM_400000_NS6detail17trampoline_kernelINS0_14default_configENS1_33run_length_encode_config_selectorIN3c108BFloat16EjNS0_4plusIjEEEEZZNS1_33reduce_by_key_impl_wrapped_configILNS1_25lookback_scan_determinismE0ES3_S9_PKS6_NS0_17constant_iteratorIjlEEPS6_PlSH_S8_NS0_8equal_toIS6_EEEE10hipError_tPvRmT2_T3_mT4_T5_T6_T7_T8_P12ihipStream_tbENKUlT_T0_E_clISt17integral_constantIbLb0EES10_IbLb1EEEEDaSW_SX_EUlSW_E_NS1_11comp_targetILNS1_3genE4ELNS1_11target_archE910ELNS1_3gpuE8ELNS1_3repE0EEENS1_30default_config_static_selectorELNS0_4arch9wavefront6targetE0EEEvT1_.kd
    .uniform_work_group_size: 1
    .uses_dynamic_stack: false
    .vgpr_count:     0
    .vgpr_spill_count: 0
    .wavefront_size: 32
  - .args:
      - .offset:         0
        .size:           128
        .value_kind:     by_value
    .group_segment_fixed_size: 0
    .kernarg_segment_align: 8
    .kernarg_segment_size: 128
    .language:       OpenCL C
    .language_version:
      - 2
      - 0
    .max_flat_workgroup_size: 256
    .name:           _ZN7rocprim17ROCPRIM_400000_NS6detail17trampoline_kernelINS0_14default_configENS1_33run_length_encode_config_selectorIN3c108BFloat16EjNS0_4plusIjEEEEZZNS1_33reduce_by_key_impl_wrapped_configILNS1_25lookback_scan_determinismE0ES3_S9_PKS6_NS0_17constant_iteratorIjlEEPS6_PlSH_S8_NS0_8equal_toIS6_EEEE10hipError_tPvRmT2_T3_mT4_T5_T6_T7_T8_P12ihipStream_tbENKUlT_T0_E_clISt17integral_constantIbLb0EES10_IbLb1EEEEDaSW_SX_EUlSW_E_NS1_11comp_targetILNS1_3genE3ELNS1_11target_archE908ELNS1_3gpuE7ELNS1_3repE0EEENS1_30default_config_static_selectorELNS0_4arch9wavefront6targetE0EEEvT1_
    .private_segment_fixed_size: 0
    .sgpr_count:     0
    .sgpr_spill_count: 0
    .symbol:         _ZN7rocprim17ROCPRIM_400000_NS6detail17trampoline_kernelINS0_14default_configENS1_33run_length_encode_config_selectorIN3c108BFloat16EjNS0_4plusIjEEEEZZNS1_33reduce_by_key_impl_wrapped_configILNS1_25lookback_scan_determinismE0ES3_S9_PKS6_NS0_17constant_iteratorIjlEEPS6_PlSH_S8_NS0_8equal_toIS6_EEEE10hipError_tPvRmT2_T3_mT4_T5_T6_T7_T8_P12ihipStream_tbENKUlT_T0_E_clISt17integral_constantIbLb0EES10_IbLb1EEEEDaSW_SX_EUlSW_E_NS1_11comp_targetILNS1_3genE3ELNS1_11target_archE908ELNS1_3gpuE7ELNS1_3repE0EEENS1_30default_config_static_selectorELNS0_4arch9wavefront6targetE0EEEvT1_.kd
    .uniform_work_group_size: 1
    .uses_dynamic_stack: false
    .vgpr_count:     0
    .vgpr_spill_count: 0
    .wavefront_size: 32
  - .args:
      - .offset:         0
        .size:           128
        .value_kind:     by_value
    .group_segment_fixed_size: 0
    .kernarg_segment_align: 8
    .kernarg_segment_size: 128
    .language:       OpenCL C
    .language_version:
      - 2
      - 0
    .max_flat_workgroup_size: 256
    .name:           _ZN7rocprim17ROCPRIM_400000_NS6detail17trampoline_kernelINS0_14default_configENS1_33run_length_encode_config_selectorIN3c108BFloat16EjNS0_4plusIjEEEEZZNS1_33reduce_by_key_impl_wrapped_configILNS1_25lookback_scan_determinismE0ES3_S9_PKS6_NS0_17constant_iteratorIjlEEPS6_PlSH_S8_NS0_8equal_toIS6_EEEE10hipError_tPvRmT2_T3_mT4_T5_T6_T7_T8_P12ihipStream_tbENKUlT_T0_E_clISt17integral_constantIbLb0EES10_IbLb1EEEEDaSW_SX_EUlSW_E_NS1_11comp_targetILNS1_3genE2ELNS1_11target_archE906ELNS1_3gpuE6ELNS1_3repE0EEENS1_30default_config_static_selectorELNS0_4arch9wavefront6targetE0EEEvT1_
    .private_segment_fixed_size: 0
    .sgpr_count:     0
    .sgpr_spill_count: 0
    .symbol:         _ZN7rocprim17ROCPRIM_400000_NS6detail17trampoline_kernelINS0_14default_configENS1_33run_length_encode_config_selectorIN3c108BFloat16EjNS0_4plusIjEEEEZZNS1_33reduce_by_key_impl_wrapped_configILNS1_25lookback_scan_determinismE0ES3_S9_PKS6_NS0_17constant_iteratorIjlEEPS6_PlSH_S8_NS0_8equal_toIS6_EEEE10hipError_tPvRmT2_T3_mT4_T5_T6_T7_T8_P12ihipStream_tbENKUlT_T0_E_clISt17integral_constantIbLb0EES10_IbLb1EEEEDaSW_SX_EUlSW_E_NS1_11comp_targetILNS1_3genE2ELNS1_11target_archE906ELNS1_3gpuE6ELNS1_3repE0EEENS1_30default_config_static_selectorELNS0_4arch9wavefront6targetE0EEEvT1_.kd
    .uniform_work_group_size: 1
    .uses_dynamic_stack: false
    .vgpr_count:     0
    .vgpr_spill_count: 0
    .wavefront_size: 32
  - .args:
      - .offset:         0
        .size:           128
        .value_kind:     by_value
    .group_segment_fixed_size: 0
    .kernarg_segment_align: 8
    .kernarg_segment_size: 128
    .language:       OpenCL C
    .language_version:
      - 2
      - 0
    .max_flat_workgroup_size: 256
    .name:           _ZN7rocprim17ROCPRIM_400000_NS6detail17trampoline_kernelINS0_14default_configENS1_33run_length_encode_config_selectorIN3c108BFloat16EjNS0_4plusIjEEEEZZNS1_33reduce_by_key_impl_wrapped_configILNS1_25lookback_scan_determinismE0ES3_S9_PKS6_NS0_17constant_iteratorIjlEEPS6_PlSH_S8_NS0_8equal_toIS6_EEEE10hipError_tPvRmT2_T3_mT4_T5_T6_T7_T8_P12ihipStream_tbENKUlT_T0_E_clISt17integral_constantIbLb0EES10_IbLb1EEEEDaSW_SX_EUlSW_E_NS1_11comp_targetILNS1_3genE10ELNS1_11target_archE1201ELNS1_3gpuE5ELNS1_3repE0EEENS1_30default_config_static_selectorELNS0_4arch9wavefront6targetE0EEEvT1_
    .private_segment_fixed_size: 0
    .sgpr_count:     0
    .sgpr_spill_count: 0
    .symbol:         _ZN7rocprim17ROCPRIM_400000_NS6detail17trampoline_kernelINS0_14default_configENS1_33run_length_encode_config_selectorIN3c108BFloat16EjNS0_4plusIjEEEEZZNS1_33reduce_by_key_impl_wrapped_configILNS1_25lookback_scan_determinismE0ES3_S9_PKS6_NS0_17constant_iteratorIjlEEPS6_PlSH_S8_NS0_8equal_toIS6_EEEE10hipError_tPvRmT2_T3_mT4_T5_T6_T7_T8_P12ihipStream_tbENKUlT_T0_E_clISt17integral_constantIbLb0EES10_IbLb1EEEEDaSW_SX_EUlSW_E_NS1_11comp_targetILNS1_3genE10ELNS1_11target_archE1201ELNS1_3gpuE5ELNS1_3repE0EEENS1_30default_config_static_selectorELNS0_4arch9wavefront6targetE0EEEvT1_.kd
    .uniform_work_group_size: 1
    .uses_dynamic_stack: false
    .vgpr_count:     0
    .vgpr_spill_count: 0
    .wavefront_size: 32
  - .args:
      - .offset:         0
        .size:           128
        .value_kind:     by_value
    .group_segment_fixed_size: 0
    .kernarg_segment_align: 8
    .kernarg_segment_size: 128
    .language:       OpenCL C
    .language_version:
      - 2
      - 0
    .max_flat_workgroup_size: 256
    .name:           _ZN7rocprim17ROCPRIM_400000_NS6detail17trampoline_kernelINS0_14default_configENS1_33run_length_encode_config_selectorIN3c108BFloat16EjNS0_4plusIjEEEEZZNS1_33reduce_by_key_impl_wrapped_configILNS1_25lookback_scan_determinismE0ES3_S9_PKS6_NS0_17constant_iteratorIjlEEPS6_PlSH_S8_NS0_8equal_toIS6_EEEE10hipError_tPvRmT2_T3_mT4_T5_T6_T7_T8_P12ihipStream_tbENKUlT_T0_E_clISt17integral_constantIbLb0EES10_IbLb1EEEEDaSW_SX_EUlSW_E_NS1_11comp_targetILNS1_3genE10ELNS1_11target_archE1200ELNS1_3gpuE4ELNS1_3repE0EEENS1_30default_config_static_selectorELNS0_4arch9wavefront6targetE0EEEvT1_
    .private_segment_fixed_size: 0
    .sgpr_count:     0
    .sgpr_spill_count: 0
    .symbol:         _ZN7rocprim17ROCPRIM_400000_NS6detail17trampoline_kernelINS0_14default_configENS1_33run_length_encode_config_selectorIN3c108BFloat16EjNS0_4plusIjEEEEZZNS1_33reduce_by_key_impl_wrapped_configILNS1_25lookback_scan_determinismE0ES3_S9_PKS6_NS0_17constant_iteratorIjlEEPS6_PlSH_S8_NS0_8equal_toIS6_EEEE10hipError_tPvRmT2_T3_mT4_T5_T6_T7_T8_P12ihipStream_tbENKUlT_T0_E_clISt17integral_constantIbLb0EES10_IbLb1EEEEDaSW_SX_EUlSW_E_NS1_11comp_targetILNS1_3genE10ELNS1_11target_archE1200ELNS1_3gpuE4ELNS1_3repE0EEENS1_30default_config_static_selectorELNS0_4arch9wavefront6targetE0EEEvT1_.kd
    .uniform_work_group_size: 1
    .uses_dynamic_stack: false
    .vgpr_count:     0
    .vgpr_spill_count: 0
    .wavefront_size: 32
  - .args:
      - .offset:         0
        .size:           128
        .value_kind:     by_value
    .group_segment_fixed_size: 0
    .kernarg_segment_align: 8
    .kernarg_segment_size: 128
    .language:       OpenCL C
    .language_version:
      - 2
      - 0
    .max_flat_workgroup_size: 256
    .name:           _ZN7rocprim17ROCPRIM_400000_NS6detail17trampoline_kernelINS0_14default_configENS1_33run_length_encode_config_selectorIN3c108BFloat16EjNS0_4plusIjEEEEZZNS1_33reduce_by_key_impl_wrapped_configILNS1_25lookback_scan_determinismE0ES3_S9_PKS6_NS0_17constant_iteratorIjlEEPS6_PlSH_S8_NS0_8equal_toIS6_EEEE10hipError_tPvRmT2_T3_mT4_T5_T6_T7_T8_P12ihipStream_tbENKUlT_T0_E_clISt17integral_constantIbLb0EES10_IbLb1EEEEDaSW_SX_EUlSW_E_NS1_11comp_targetILNS1_3genE9ELNS1_11target_archE1100ELNS1_3gpuE3ELNS1_3repE0EEENS1_30default_config_static_selectorELNS0_4arch9wavefront6targetE0EEEvT1_
    .private_segment_fixed_size: 0
    .sgpr_count:     0
    .sgpr_spill_count: 0
    .symbol:         _ZN7rocprim17ROCPRIM_400000_NS6detail17trampoline_kernelINS0_14default_configENS1_33run_length_encode_config_selectorIN3c108BFloat16EjNS0_4plusIjEEEEZZNS1_33reduce_by_key_impl_wrapped_configILNS1_25lookback_scan_determinismE0ES3_S9_PKS6_NS0_17constant_iteratorIjlEEPS6_PlSH_S8_NS0_8equal_toIS6_EEEE10hipError_tPvRmT2_T3_mT4_T5_T6_T7_T8_P12ihipStream_tbENKUlT_T0_E_clISt17integral_constantIbLb0EES10_IbLb1EEEEDaSW_SX_EUlSW_E_NS1_11comp_targetILNS1_3genE9ELNS1_11target_archE1100ELNS1_3gpuE3ELNS1_3repE0EEENS1_30default_config_static_selectorELNS0_4arch9wavefront6targetE0EEEvT1_.kd
    .uniform_work_group_size: 1
    .uses_dynamic_stack: false
    .vgpr_count:     0
    .vgpr_spill_count: 0
    .wavefront_size: 32
  - .args:
      - .offset:         0
        .size:           128
        .value_kind:     by_value
    .group_segment_fixed_size: 0
    .kernarg_segment_align: 8
    .kernarg_segment_size: 128
    .language:       OpenCL C
    .language_version:
      - 2
      - 0
    .max_flat_workgroup_size: 256
    .name:           _ZN7rocprim17ROCPRIM_400000_NS6detail17trampoline_kernelINS0_14default_configENS1_33run_length_encode_config_selectorIN3c108BFloat16EjNS0_4plusIjEEEEZZNS1_33reduce_by_key_impl_wrapped_configILNS1_25lookback_scan_determinismE0ES3_S9_PKS6_NS0_17constant_iteratorIjlEEPS6_PlSH_S8_NS0_8equal_toIS6_EEEE10hipError_tPvRmT2_T3_mT4_T5_T6_T7_T8_P12ihipStream_tbENKUlT_T0_E_clISt17integral_constantIbLb0EES10_IbLb1EEEEDaSW_SX_EUlSW_E_NS1_11comp_targetILNS1_3genE8ELNS1_11target_archE1030ELNS1_3gpuE2ELNS1_3repE0EEENS1_30default_config_static_selectorELNS0_4arch9wavefront6targetE0EEEvT1_
    .private_segment_fixed_size: 0
    .sgpr_count:     0
    .sgpr_spill_count: 0
    .symbol:         _ZN7rocprim17ROCPRIM_400000_NS6detail17trampoline_kernelINS0_14default_configENS1_33run_length_encode_config_selectorIN3c108BFloat16EjNS0_4plusIjEEEEZZNS1_33reduce_by_key_impl_wrapped_configILNS1_25lookback_scan_determinismE0ES3_S9_PKS6_NS0_17constant_iteratorIjlEEPS6_PlSH_S8_NS0_8equal_toIS6_EEEE10hipError_tPvRmT2_T3_mT4_T5_T6_T7_T8_P12ihipStream_tbENKUlT_T0_E_clISt17integral_constantIbLb0EES10_IbLb1EEEEDaSW_SX_EUlSW_E_NS1_11comp_targetILNS1_3genE8ELNS1_11target_archE1030ELNS1_3gpuE2ELNS1_3repE0EEENS1_30default_config_static_selectorELNS0_4arch9wavefront6targetE0EEEvT1_.kd
    .uniform_work_group_size: 1
    .uses_dynamic_stack: false
    .vgpr_count:     0
    .vgpr_spill_count: 0
    .wavefront_size: 32
  - .args:
      - .offset:         0
        .size:           8
        .value_kind:     by_value
      - .address_space:  global
        .offset:         8
        .size:           8
        .value_kind:     global_buffer
      - .address_space:  global
        .offset:         16
        .size:           8
        .value_kind:     global_buffer
      - .offset:         24
        .size:           4
        .value_kind:     hidden_block_count_x
      - .offset:         28
        .size:           4
        .value_kind:     hidden_block_count_y
      - .offset:         32
        .size:           4
        .value_kind:     hidden_block_count_z
      - .offset:         36
        .size:           2
        .value_kind:     hidden_group_size_x
      - .offset:         38
        .size:           2
        .value_kind:     hidden_group_size_y
      - .offset:         40
        .size:           2
        .value_kind:     hidden_group_size_z
      - .offset:         42
        .size:           2
        .value_kind:     hidden_remainder_x
      - .offset:         44
        .size:           2
        .value_kind:     hidden_remainder_y
      - .offset:         46
        .size:           2
        .value_kind:     hidden_remainder_z
      - .offset:         64
        .size:           8
        .value_kind:     hidden_global_offset_x
      - .offset:         72
        .size:           8
        .value_kind:     hidden_global_offset_y
      - .offset:         80
        .size:           8
        .value_kind:     hidden_global_offset_z
      - .offset:         88
        .size:           2
        .value_kind:     hidden_grid_dims
    .group_segment_fixed_size: 0
    .kernarg_segment_align: 8
    .kernarg_segment_size: 280
    .language:       OpenCL C
    .language_version:
      - 2
      - 0
    .max_flat_workgroup_size: 1024
    .name:           _ZN2at6native8internal12_GLOBAL__N_126adjacent_difference_kernelIPKN3c104HalfEEEvlT_Pi
    .private_segment_fixed_size: 0
    .sgpr_count:     20
    .sgpr_spill_count: 0
    .symbol:         _ZN2at6native8internal12_GLOBAL__N_126adjacent_difference_kernelIPKN3c104HalfEEEvlT_Pi.kd
    .uniform_work_group_size: 1
    .uses_dynamic_stack: false
    .vgpr_count:     10
    .vgpr_spill_count: 0
    .wavefront_size: 32
  - .args:
      - .offset:         0
        .size:           112
        .value_kind:     by_value
    .group_segment_fixed_size: 15368
    .kernarg_segment_align: 8
    .kernarg_segment_size: 112
    .language:       OpenCL C
    .language_version:
      - 2
      - 0
    .max_flat_workgroup_size: 256
    .name:           _ZN7rocprim17ROCPRIM_400000_NS6detail17trampoline_kernelINS0_14default_configENS1_25partition_config_selectorILNS1_17partition_subalgoE8EN3c104HalfENS0_10empty_typeEbEEZZNS1_14partition_implILS5_8ELb0ES3_jPKS7_PS8_PKS8_NS0_5tupleIJPS7_S8_EEENSG_IJSD_SD_EEENS0_18inequality_wrapperIN6hipcub16HIPCUB_304000_NS8EqualityEEEPlJS8_EEE10hipError_tPvRmT3_T4_T5_T6_T7_T9_mT8_P12ihipStream_tbDpT10_ENKUlT_T0_E_clISt17integral_constantIbLb0EES19_EEDaS14_S15_EUlS14_E_NS1_11comp_targetILNS1_3genE0ELNS1_11target_archE4294967295ELNS1_3gpuE0ELNS1_3repE0EEENS1_30default_config_static_selectorELNS0_4arch9wavefront6targetE0EEEvT1_
    .private_segment_fixed_size: 0
    .sgpr_count:     51
    .sgpr_spill_count: 0
    .symbol:         _ZN7rocprim17ROCPRIM_400000_NS6detail17trampoline_kernelINS0_14default_configENS1_25partition_config_selectorILNS1_17partition_subalgoE8EN3c104HalfENS0_10empty_typeEbEEZZNS1_14partition_implILS5_8ELb0ES3_jPKS7_PS8_PKS8_NS0_5tupleIJPS7_S8_EEENSG_IJSD_SD_EEENS0_18inequality_wrapperIN6hipcub16HIPCUB_304000_NS8EqualityEEEPlJS8_EEE10hipError_tPvRmT3_T4_T5_T6_T7_T9_mT8_P12ihipStream_tbDpT10_ENKUlT_T0_E_clISt17integral_constantIbLb0EES19_EEDaS14_S15_EUlS14_E_NS1_11comp_targetILNS1_3genE0ELNS1_11target_archE4294967295ELNS1_3gpuE0ELNS1_3repE0EEENS1_30default_config_static_selectorELNS0_4arch9wavefront6targetE0EEEvT1_.kd
    .uniform_work_group_size: 1
    .uses_dynamic_stack: false
    .vgpr_count:     115
    .vgpr_spill_count: 0
    .wavefront_size: 32
  - .args:
      - .offset:         0
        .size:           112
        .value_kind:     by_value
    .group_segment_fixed_size: 0
    .kernarg_segment_align: 8
    .kernarg_segment_size: 112
    .language:       OpenCL C
    .language_version:
      - 2
      - 0
    .max_flat_workgroup_size: 512
    .name:           _ZN7rocprim17ROCPRIM_400000_NS6detail17trampoline_kernelINS0_14default_configENS1_25partition_config_selectorILNS1_17partition_subalgoE8EN3c104HalfENS0_10empty_typeEbEEZZNS1_14partition_implILS5_8ELb0ES3_jPKS7_PS8_PKS8_NS0_5tupleIJPS7_S8_EEENSG_IJSD_SD_EEENS0_18inequality_wrapperIN6hipcub16HIPCUB_304000_NS8EqualityEEEPlJS8_EEE10hipError_tPvRmT3_T4_T5_T6_T7_T9_mT8_P12ihipStream_tbDpT10_ENKUlT_T0_E_clISt17integral_constantIbLb0EES19_EEDaS14_S15_EUlS14_E_NS1_11comp_targetILNS1_3genE5ELNS1_11target_archE942ELNS1_3gpuE9ELNS1_3repE0EEENS1_30default_config_static_selectorELNS0_4arch9wavefront6targetE0EEEvT1_
    .private_segment_fixed_size: 0
    .sgpr_count:     0
    .sgpr_spill_count: 0
    .symbol:         _ZN7rocprim17ROCPRIM_400000_NS6detail17trampoline_kernelINS0_14default_configENS1_25partition_config_selectorILNS1_17partition_subalgoE8EN3c104HalfENS0_10empty_typeEbEEZZNS1_14partition_implILS5_8ELb0ES3_jPKS7_PS8_PKS8_NS0_5tupleIJPS7_S8_EEENSG_IJSD_SD_EEENS0_18inequality_wrapperIN6hipcub16HIPCUB_304000_NS8EqualityEEEPlJS8_EEE10hipError_tPvRmT3_T4_T5_T6_T7_T9_mT8_P12ihipStream_tbDpT10_ENKUlT_T0_E_clISt17integral_constantIbLb0EES19_EEDaS14_S15_EUlS14_E_NS1_11comp_targetILNS1_3genE5ELNS1_11target_archE942ELNS1_3gpuE9ELNS1_3repE0EEENS1_30default_config_static_selectorELNS0_4arch9wavefront6targetE0EEEvT1_.kd
    .uniform_work_group_size: 1
    .uses_dynamic_stack: false
    .vgpr_count:     0
    .vgpr_spill_count: 0
    .wavefront_size: 32
  - .args:
      - .offset:         0
        .size:           112
        .value_kind:     by_value
    .group_segment_fixed_size: 0
    .kernarg_segment_align: 8
    .kernarg_segment_size: 112
    .language:       OpenCL C
    .language_version:
      - 2
      - 0
    .max_flat_workgroup_size: 256
    .name:           _ZN7rocprim17ROCPRIM_400000_NS6detail17trampoline_kernelINS0_14default_configENS1_25partition_config_selectorILNS1_17partition_subalgoE8EN3c104HalfENS0_10empty_typeEbEEZZNS1_14partition_implILS5_8ELb0ES3_jPKS7_PS8_PKS8_NS0_5tupleIJPS7_S8_EEENSG_IJSD_SD_EEENS0_18inequality_wrapperIN6hipcub16HIPCUB_304000_NS8EqualityEEEPlJS8_EEE10hipError_tPvRmT3_T4_T5_T6_T7_T9_mT8_P12ihipStream_tbDpT10_ENKUlT_T0_E_clISt17integral_constantIbLb0EES19_EEDaS14_S15_EUlS14_E_NS1_11comp_targetILNS1_3genE4ELNS1_11target_archE910ELNS1_3gpuE8ELNS1_3repE0EEENS1_30default_config_static_selectorELNS0_4arch9wavefront6targetE0EEEvT1_
    .private_segment_fixed_size: 0
    .sgpr_count:     0
    .sgpr_spill_count: 0
    .symbol:         _ZN7rocprim17ROCPRIM_400000_NS6detail17trampoline_kernelINS0_14default_configENS1_25partition_config_selectorILNS1_17partition_subalgoE8EN3c104HalfENS0_10empty_typeEbEEZZNS1_14partition_implILS5_8ELb0ES3_jPKS7_PS8_PKS8_NS0_5tupleIJPS7_S8_EEENSG_IJSD_SD_EEENS0_18inequality_wrapperIN6hipcub16HIPCUB_304000_NS8EqualityEEEPlJS8_EEE10hipError_tPvRmT3_T4_T5_T6_T7_T9_mT8_P12ihipStream_tbDpT10_ENKUlT_T0_E_clISt17integral_constantIbLb0EES19_EEDaS14_S15_EUlS14_E_NS1_11comp_targetILNS1_3genE4ELNS1_11target_archE910ELNS1_3gpuE8ELNS1_3repE0EEENS1_30default_config_static_selectorELNS0_4arch9wavefront6targetE0EEEvT1_.kd
    .uniform_work_group_size: 1
    .uses_dynamic_stack: false
    .vgpr_count:     0
    .vgpr_spill_count: 0
    .wavefront_size: 32
  - .args:
      - .offset:         0
        .size:           112
        .value_kind:     by_value
    .group_segment_fixed_size: 0
    .kernarg_segment_align: 8
    .kernarg_segment_size: 112
    .language:       OpenCL C
    .language_version:
      - 2
      - 0
    .max_flat_workgroup_size: 256
    .name:           _ZN7rocprim17ROCPRIM_400000_NS6detail17trampoline_kernelINS0_14default_configENS1_25partition_config_selectorILNS1_17partition_subalgoE8EN3c104HalfENS0_10empty_typeEbEEZZNS1_14partition_implILS5_8ELb0ES3_jPKS7_PS8_PKS8_NS0_5tupleIJPS7_S8_EEENSG_IJSD_SD_EEENS0_18inequality_wrapperIN6hipcub16HIPCUB_304000_NS8EqualityEEEPlJS8_EEE10hipError_tPvRmT3_T4_T5_T6_T7_T9_mT8_P12ihipStream_tbDpT10_ENKUlT_T0_E_clISt17integral_constantIbLb0EES19_EEDaS14_S15_EUlS14_E_NS1_11comp_targetILNS1_3genE3ELNS1_11target_archE908ELNS1_3gpuE7ELNS1_3repE0EEENS1_30default_config_static_selectorELNS0_4arch9wavefront6targetE0EEEvT1_
    .private_segment_fixed_size: 0
    .sgpr_count:     0
    .sgpr_spill_count: 0
    .symbol:         _ZN7rocprim17ROCPRIM_400000_NS6detail17trampoline_kernelINS0_14default_configENS1_25partition_config_selectorILNS1_17partition_subalgoE8EN3c104HalfENS0_10empty_typeEbEEZZNS1_14partition_implILS5_8ELb0ES3_jPKS7_PS8_PKS8_NS0_5tupleIJPS7_S8_EEENSG_IJSD_SD_EEENS0_18inequality_wrapperIN6hipcub16HIPCUB_304000_NS8EqualityEEEPlJS8_EEE10hipError_tPvRmT3_T4_T5_T6_T7_T9_mT8_P12ihipStream_tbDpT10_ENKUlT_T0_E_clISt17integral_constantIbLb0EES19_EEDaS14_S15_EUlS14_E_NS1_11comp_targetILNS1_3genE3ELNS1_11target_archE908ELNS1_3gpuE7ELNS1_3repE0EEENS1_30default_config_static_selectorELNS0_4arch9wavefront6targetE0EEEvT1_.kd
    .uniform_work_group_size: 1
    .uses_dynamic_stack: false
    .vgpr_count:     0
    .vgpr_spill_count: 0
    .wavefront_size: 32
  - .args:
      - .offset:         0
        .size:           112
        .value_kind:     by_value
    .group_segment_fixed_size: 0
    .kernarg_segment_align: 8
    .kernarg_segment_size: 112
    .language:       OpenCL C
    .language_version:
      - 2
      - 0
    .max_flat_workgroup_size: 192
    .name:           _ZN7rocprim17ROCPRIM_400000_NS6detail17trampoline_kernelINS0_14default_configENS1_25partition_config_selectorILNS1_17partition_subalgoE8EN3c104HalfENS0_10empty_typeEbEEZZNS1_14partition_implILS5_8ELb0ES3_jPKS7_PS8_PKS8_NS0_5tupleIJPS7_S8_EEENSG_IJSD_SD_EEENS0_18inequality_wrapperIN6hipcub16HIPCUB_304000_NS8EqualityEEEPlJS8_EEE10hipError_tPvRmT3_T4_T5_T6_T7_T9_mT8_P12ihipStream_tbDpT10_ENKUlT_T0_E_clISt17integral_constantIbLb0EES19_EEDaS14_S15_EUlS14_E_NS1_11comp_targetILNS1_3genE2ELNS1_11target_archE906ELNS1_3gpuE6ELNS1_3repE0EEENS1_30default_config_static_selectorELNS0_4arch9wavefront6targetE0EEEvT1_
    .private_segment_fixed_size: 0
    .sgpr_count:     0
    .sgpr_spill_count: 0
    .symbol:         _ZN7rocprim17ROCPRIM_400000_NS6detail17trampoline_kernelINS0_14default_configENS1_25partition_config_selectorILNS1_17partition_subalgoE8EN3c104HalfENS0_10empty_typeEbEEZZNS1_14partition_implILS5_8ELb0ES3_jPKS7_PS8_PKS8_NS0_5tupleIJPS7_S8_EEENSG_IJSD_SD_EEENS0_18inequality_wrapperIN6hipcub16HIPCUB_304000_NS8EqualityEEEPlJS8_EEE10hipError_tPvRmT3_T4_T5_T6_T7_T9_mT8_P12ihipStream_tbDpT10_ENKUlT_T0_E_clISt17integral_constantIbLb0EES19_EEDaS14_S15_EUlS14_E_NS1_11comp_targetILNS1_3genE2ELNS1_11target_archE906ELNS1_3gpuE6ELNS1_3repE0EEENS1_30default_config_static_selectorELNS0_4arch9wavefront6targetE0EEEvT1_.kd
    .uniform_work_group_size: 1
    .uses_dynamic_stack: false
    .vgpr_count:     0
    .vgpr_spill_count: 0
    .wavefront_size: 32
  - .args:
      - .offset:         0
        .size:           112
        .value_kind:     by_value
    .group_segment_fixed_size: 0
    .kernarg_segment_align: 8
    .kernarg_segment_size: 112
    .language:       OpenCL C
    .language_version:
      - 2
      - 0
    .max_flat_workgroup_size: 256
    .name:           _ZN7rocprim17ROCPRIM_400000_NS6detail17trampoline_kernelINS0_14default_configENS1_25partition_config_selectorILNS1_17partition_subalgoE8EN3c104HalfENS0_10empty_typeEbEEZZNS1_14partition_implILS5_8ELb0ES3_jPKS7_PS8_PKS8_NS0_5tupleIJPS7_S8_EEENSG_IJSD_SD_EEENS0_18inequality_wrapperIN6hipcub16HIPCUB_304000_NS8EqualityEEEPlJS8_EEE10hipError_tPvRmT3_T4_T5_T6_T7_T9_mT8_P12ihipStream_tbDpT10_ENKUlT_T0_E_clISt17integral_constantIbLb0EES19_EEDaS14_S15_EUlS14_E_NS1_11comp_targetILNS1_3genE10ELNS1_11target_archE1200ELNS1_3gpuE4ELNS1_3repE0EEENS1_30default_config_static_selectorELNS0_4arch9wavefront6targetE0EEEvT1_
    .private_segment_fixed_size: 0
    .sgpr_count:     0
    .sgpr_spill_count: 0
    .symbol:         _ZN7rocprim17ROCPRIM_400000_NS6detail17trampoline_kernelINS0_14default_configENS1_25partition_config_selectorILNS1_17partition_subalgoE8EN3c104HalfENS0_10empty_typeEbEEZZNS1_14partition_implILS5_8ELb0ES3_jPKS7_PS8_PKS8_NS0_5tupleIJPS7_S8_EEENSG_IJSD_SD_EEENS0_18inequality_wrapperIN6hipcub16HIPCUB_304000_NS8EqualityEEEPlJS8_EEE10hipError_tPvRmT3_T4_T5_T6_T7_T9_mT8_P12ihipStream_tbDpT10_ENKUlT_T0_E_clISt17integral_constantIbLb0EES19_EEDaS14_S15_EUlS14_E_NS1_11comp_targetILNS1_3genE10ELNS1_11target_archE1200ELNS1_3gpuE4ELNS1_3repE0EEENS1_30default_config_static_selectorELNS0_4arch9wavefront6targetE0EEEvT1_.kd
    .uniform_work_group_size: 1
    .uses_dynamic_stack: false
    .vgpr_count:     0
    .vgpr_spill_count: 0
    .wavefront_size: 32
  - .args:
      - .offset:         0
        .size:           112
        .value_kind:     by_value
    .group_segment_fixed_size: 0
    .kernarg_segment_align: 8
    .kernarg_segment_size: 112
    .language:       OpenCL C
    .language_version:
      - 2
      - 0
    .max_flat_workgroup_size: 128
    .name:           _ZN7rocprim17ROCPRIM_400000_NS6detail17trampoline_kernelINS0_14default_configENS1_25partition_config_selectorILNS1_17partition_subalgoE8EN3c104HalfENS0_10empty_typeEbEEZZNS1_14partition_implILS5_8ELb0ES3_jPKS7_PS8_PKS8_NS0_5tupleIJPS7_S8_EEENSG_IJSD_SD_EEENS0_18inequality_wrapperIN6hipcub16HIPCUB_304000_NS8EqualityEEEPlJS8_EEE10hipError_tPvRmT3_T4_T5_T6_T7_T9_mT8_P12ihipStream_tbDpT10_ENKUlT_T0_E_clISt17integral_constantIbLb0EES19_EEDaS14_S15_EUlS14_E_NS1_11comp_targetILNS1_3genE9ELNS1_11target_archE1100ELNS1_3gpuE3ELNS1_3repE0EEENS1_30default_config_static_selectorELNS0_4arch9wavefront6targetE0EEEvT1_
    .private_segment_fixed_size: 0
    .sgpr_count:     0
    .sgpr_spill_count: 0
    .symbol:         _ZN7rocprim17ROCPRIM_400000_NS6detail17trampoline_kernelINS0_14default_configENS1_25partition_config_selectorILNS1_17partition_subalgoE8EN3c104HalfENS0_10empty_typeEbEEZZNS1_14partition_implILS5_8ELb0ES3_jPKS7_PS8_PKS8_NS0_5tupleIJPS7_S8_EEENSG_IJSD_SD_EEENS0_18inequality_wrapperIN6hipcub16HIPCUB_304000_NS8EqualityEEEPlJS8_EEE10hipError_tPvRmT3_T4_T5_T6_T7_T9_mT8_P12ihipStream_tbDpT10_ENKUlT_T0_E_clISt17integral_constantIbLb0EES19_EEDaS14_S15_EUlS14_E_NS1_11comp_targetILNS1_3genE9ELNS1_11target_archE1100ELNS1_3gpuE3ELNS1_3repE0EEENS1_30default_config_static_selectorELNS0_4arch9wavefront6targetE0EEEvT1_.kd
    .uniform_work_group_size: 1
    .uses_dynamic_stack: false
    .vgpr_count:     0
    .vgpr_spill_count: 0
    .wavefront_size: 32
  - .args:
      - .offset:         0
        .size:           112
        .value_kind:     by_value
    .group_segment_fixed_size: 0
    .kernarg_segment_align: 8
    .kernarg_segment_size: 112
    .language:       OpenCL C
    .language_version:
      - 2
      - 0
    .max_flat_workgroup_size: 384
    .name:           _ZN7rocprim17ROCPRIM_400000_NS6detail17trampoline_kernelINS0_14default_configENS1_25partition_config_selectorILNS1_17partition_subalgoE8EN3c104HalfENS0_10empty_typeEbEEZZNS1_14partition_implILS5_8ELb0ES3_jPKS7_PS8_PKS8_NS0_5tupleIJPS7_S8_EEENSG_IJSD_SD_EEENS0_18inequality_wrapperIN6hipcub16HIPCUB_304000_NS8EqualityEEEPlJS8_EEE10hipError_tPvRmT3_T4_T5_T6_T7_T9_mT8_P12ihipStream_tbDpT10_ENKUlT_T0_E_clISt17integral_constantIbLb0EES19_EEDaS14_S15_EUlS14_E_NS1_11comp_targetILNS1_3genE8ELNS1_11target_archE1030ELNS1_3gpuE2ELNS1_3repE0EEENS1_30default_config_static_selectorELNS0_4arch9wavefront6targetE0EEEvT1_
    .private_segment_fixed_size: 0
    .sgpr_count:     0
    .sgpr_spill_count: 0
    .symbol:         _ZN7rocprim17ROCPRIM_400000_NS6detail17trampoline_kernelINS0_14default_configENS1_25partition_config_selectorILNS1_17partition_subalgoE8EN3c104HalfENS0_10empty_typeEbEEZZNS1_14partition_implILS5_8ELb0ES3_jPKS7_PS8_PKS8_NS0_5tupleIJPS7_S8_EEENSG_IJSD_SD_EEENS0_18inequality_wrapperIN6hipcub16HIPCUB_304000_NS8EqualityEEEPlJS8_EEE10hipError_tPvRmT3_T4_T5_T6_T7_T9_mT8_P12ihipStream_tbDpT10_ENKUlT_T0_E_clISt17integral_constantIbLb0EES19_EEDaS14_S15_EUlS14_E_NS1_11comp_targetILNS1_3genE8ELNS1_11target_archE1030ELNS1_3gpuE2ELNS1_3repE0EEENS1_30default_config_static_selectorELNS0_4arch9wavefront6targetE0EEEvT1_.kd
    .uniform_work_group_size: 1
    .uses_dynamic_stack: false
    .vgpr_count:     0
    .vgpr_spill_count: 0
    .wavefront_size: 32
  - .args:
      - .offset:         0
        .size:           128
        .value_kind:     by_value
    .group_segment_fixed_size: 0
    .kernarg_segment_align: 8
    .kernarg_segment_size: 128
    .language:       OpenCL C
    .language_version:
      - 2
      - 0
    .max_flat_workgroup_size: 256
    .name:           _ZN7rocprim17ROCPRIM_400000_NS6detail17trampoline_kernelINS0_14default_configENS1_25partition_config_selectorILNS1_17partition_subalgoE8EN3c104HalfENS0_10empty_typeEbEEZZNS1_14partition_implILS5_8ELb0ES3_jPKS7_PS8_PKS8_NS0_5tupleIJPS7_S8_EEENSG_IJSD_SD_EEENS0_18inequality_wrapperIN6hipcub16HIPCUB_304000_NS8EqualityEEEPlJS8_EEE10hipError_tPvRmT3_T4_T5_T6_T7_T9_mT8_P12ihipStream_tbDpT10_ENKUlT_T0_E_clISt17integral_constantIbLb1EES19_EEDaS14_S15_EUlS14_E_NS1_11comp_targetILNS1_3genE0ELNS1_11target_archE4294967295ELNS1_3gpuE0ELNS1_3repE0EEENS1_30default_config_static_selectorELNS0_4arch9wavefront6targetE0EEEvT1_
    .private_segment_fixed_size: 0
    .sgpr_count:     0
    .sgpr_spill_count: 0
    .symbol:         _ZN7rocprim17ROCPRIM_400000_NS6detail17trampoline_kernelINS0_14default_configENS1_25partition_config_selectorILNS1_17partition_subalgoE8EN3c104HalfENS0_10empty_typeEbEEZZNS1_14partition_implILS5_8ELb0ES3_jPKS7_PS8_PKS8_NS0_5tupleIJPS7_S8_EEENSG_IJSD_SD_EEENS0_18inequality_wrapperIN6hipcub16HIPCUB_304000_NS8EqualityEEEPlJS8_EEE10hipError_tPvRmT3_T4_T5_T6_T7_T9_mT8_P12ihipStream_tbDpT10_ENKUlT_T0_E_clISt17integral_constantIbLb1EES19_EEDaS14_S15_EUlS14_E_NS1_11comp_targetILNS1_3genE0ELNS1_11target_archE4294967295ELNS1_3gpuE0ELNS1_3repE0EEENS1_30default_config_static_selectorELNS0_4arch9wavefront6targetE0EEEvT1_.kd
    .uniform_work_group_size: 1
    .uses_dynamic_stack: false
    .vgpr_count:     0
    .vgpr_spill_count: 0
    .wavefront_size: 32
  - .args:
      - .offset:         0
        .size:           128
        .value_kind:     by_value
    .group_segment_fixed_size: 0
    .kernarg_segment_align: 8
    .kernarg_segment_size: 128
    .language:       OpenCL C
    .language_version:
      - 2
      - 0
    .max_flat_workgroup_size: 512
    .name:           _ZN7rocprim17ROCPRIM_400000_NS6detail17trampoline_kernelINS0_14default_configENS1_25partition_config_selectorILNS1_17partition_subalgoE8EN3c104HalfENS0_10empty_typeEbEEZZNS1_14partition_implILS5_8ELb0ES3_jPKS7_PS8_PKS8_NS0_5tupleIJPS7_S8_EEENSG_IJSD_SD_EEENS0_18inequality_wrapperIN6hipcub16HIPCUB_304000_NS8EqualityEEEPlJS8_EEE10hipError_tPvRmT3_T4_T5_T6_T7_T9_mT8_P12ihipStream_tbDpT10_ENKUlT_T0_E_clISt17integral_constantIbLb1EES19_EEDaS14_S15_EUlS14_E_NS1_11comp_targetILNS1_3genE5ELNS1_11target_archE942ELNS1_3gpuE9ELNS1_3repE0EEENS1_30default_config_static_selectorELNS0_4arch9wavefront6targetE0EEEvT1_
    .private_segment_fixed_size: 0
    .sgpr_count:     0
    .sgpr_spill_count: 0
    .symbol:         _ZN7rocprim17ROCPRIM_400000_NS6detail17trampoline_kernelINS0_14default_configENS1_25partition_config_selectorILNS1_17partition_subalgoE8EN3c104HalfENS0_10empty_typeEbEEZZNS1_14partition_implILS5_8ELb0ES3_jPKS7_PS8_PKS8_NS0_5tupleIJPS7_S8_EEENSG_IJSD_SD_EEENS0_18inequality_wrapperIN6hipcub16HIPCUB_304000_NS8EqualityEEEPlJS8_EEE10hipError_tPvRmT3_T4_T5_T6_T7_T9_mT8_P12ihipStream_tbDpT10_ENKUlT_T0_E_clISt17integral_constantIbLb1EES19_EEDaS14_S15_EUlS14_E_NS1_11comp_targetILNS1_3genE5ELNS1_11target_archE942ELNS1_3gpuE9ELNS1_3repE0EEENS1_30default_config_static_selectorELNS0_4arch9wavefront6targetE0EEEvT1_.kd
    .uniform_work_group_size: 1
    .uses_dynamic_stack: false
    .vgpr_count:     0
    .vgpr_spill_count: 0
    .wavefront_size: 32
  - .args:
      - .offset:         0
        .size:           128
        .value_kind:     by_value
    .group_segment_fixed_size: 0
    .kernarg_segment_align: 8
    .kernarg_segment_size: 128
    .language:       OpenCL C
    .language_version:
      - 2
      - 0
    .max_flat_workgroup_size: 256
    .name:           _ZN7rocprim17ROCPRIM_400000_NS6detail17trampoline_kernelINS0_14default_configENS1_25partition_config_selectorILNS1_17partition_subalgoE8EN3c104HalfENS0_10empty_typeEbEEZZNS1_14partition_implILS5_8ELb0ES3_jPKS7_PS8_PKS8_NS0_5tupleIJPS7_S8_EEENSG_IJSD_SD_EEENS0_18inequality_wrapperIN6hipcub16HIPCUB_304000_NS8EqualityEEEPlJS8_EEE10hipError_tPvRmT3_T4_T5_T6_T7_T9_mT8_P12ihipStream_tbDpT10_ENKUlT_T0_E_clISt17integral_constantIbLb1EES19_EEDaS14_S15_EUlS14_E_NS1_11comp_targetILNS1_3genE4ELNS1_11target_archE910ELNS1_3gpuE8ELNS1_3repE0EEENS1_30default_config_static_selectorELNS0_4arch9wavefront6targetE0EEEvT1_
    .private_segment_fixed_size: 0
    .sgpr_count:     0
    .sgpr_spill_count: 0
    .symbol:         _ZN7rocprim17ROCPRIM_400000_NS6detail17trampoline_kernelINS0_14default_configENS1_25partition_config_selectorILNS1_17partition_subalgoE8EN3c104HalfENS0_10empty_typeEbEEZZNS1_14partition_implILS5_8ELb0ES3_jPKS7_PS8_PKS8_NS0_5tupleIJPS7_S8_EEENSG_IJSD_SD_EEENS0_18inequality_wrapperIN6hipcub16HIPCUB_304000_NS8EqualityEEEPlJS8_EEE10hipError_tPvRmT3_T4_T5_T6_T7_T9_mT8_P12ihipStream_tbDpT10_ENKUlT_T0_E_clISt17integral_constantIbLb1EES19_EEDaS14_S15_EUlS14_E_NS1_11comp_targetILNS1_3genE4ELNS1_11target_archE910ELNS1_3gpuE8ELNS1_3repE0EEENS1_30default_config_static_selectorELNS0_4arch9wavefront6targetE0EEEvT1_.kd
    .uniform_work_group_size: 1
    .uses_dynamic_stack: false
    .vgpr_count:     0
    .vgpr_spill_count: 0
    .wavefront_size: 32
  - .args:
      - .offset:         0
        .size:           128
        .value_kind:     by_value
    .group_segment_fixed_size: 0
    .kernarg_segment_align: 8
    .kernarg_segment_size: 128
    .language:       OpenCL C
    .language_version:
      - 2
      - 0
    .max_flat_workgroup_size: 256
    .name:           _ZN7rocprim17ROCPRIM_400000_NS6detail17trampoline_kernelINS0_14default_configENS1_25partition_config_selectorILNS1_17partition_subalgoE8EN3c104HalfENS0_10empty_typeEbEEZZNS1_14partition_implILS5_8ELb0ES3_jPKS7_PS8_PKS8_NS0_5tupleIJPS7_S8_EEENSG_IJSD_SD_EEENS0_18inequality_wrapperIN6hipcub16HIPCUB_304000_NS8EqualityEEEPlJS8_EEE10hipError_tPvRmT3_T4_T5_T6_T7_T9_mT8_P12ihipStream_tbDpT10_ENKUlT_T0_E_clISt17integral_constantIbLb1EES19_EEDaS14_S15_EUlS14_E_NS1_11comp_targetILNS1_3genE3ELNS1_11target_archE908ELNS1_3gpuE7ELNS1_3repE0EEENS1_30default_config_static_selectorELNS0_4arch9wavefront6targetE0EEEvT1_
    .private_segment_fixed_size: 0
    .sgpr_count:     0
    .sgpr_spill_count: 0
    .symbol:         _ZN7rocprim17ROCPRIM_400000_NS6detail17trampoline_kernelINS0_14default_configENS1_25partition_config_selectorILNS1_17partition_subalgoE8EN3c104HalfENS0_10empty_typeEbEEZZNS1_14partition_implILS5_8ELb0ES3_jPKS7_PS8_PKS8_NS0_5tupleIJPS7_S8_EEENSG_IJSD_SD_EEENS0_18inequality_wrapperIN6hipcub16HIPCUB_304000_NS8EqualityEEEPlJS8_EEE10hipError_tPvRmT3_T4_T5_T6_T7_T9_mT8_P12ihipStream_tbDpT10_ENKUlT_T0_E_clISt17integral_constantIbLb1EES19_EEDaS14_S15_EUlS14_E_NS1_11comp_targetILNS1_3genE3ELNS1_11target_archE908ELNS1_3gpuE7ELNS1_3repE0EEENS1_30default_config_static_selectorELNS0_4arch9wavefront6targetE0EEEvT1_.kd
    .uniform_work_group_size: 1
    .uses_dynamic_stack: false
    .vgpr_count:     0
    .vgpr_spill_count: 0
    .wavefront_size: 32
  - .args:
      - .offset:         0
        .size:           128
        .value_kind:     by_value
    .group_segment_fixed_size: 0
    .kernarg_segment_align: 8
    .kernarg_segment_size: 128
    .language:       OpenCL C
    .language_version:
      - 2
      - 0
    .max_flat_workgroup_size: 192
    .name:           _ZN7rocprim17ROCPRIM_400000_NS6detail17trampoline_kernelINS0_14default_configENS1_25partition_config_selectorILNS1_17partition_subalgoE8EN3c104HalfENS0_10empty_typeEbEEZZNS1_14partition_implILS5_8ELb0ES3_jPKS7_PS8_PKS8_NS0_5tupleIJPS7_S8_EEENSG_IJSD_SD_EEENS0_18inequality_wrapperIN6hipcub16HIPCUB_304000_NS8EqualityEEEPlJS8_EEE10hipError_tPvRmT3_T4_T5_T6_T7_T9_mT8_P12ihipStream_tbDpT10_ENKUlT_T0_E_clISt17integral_constantIbLb1EES19_EEDaS14_S15_EUlS14_E_NS1_11comp_targetILNS1_3genE2ELNS1_11target_archE906ELNS1_3gpuE6ELNS1_3repE0EEENS1_30default_config_static_selectorELNS0_4arch9wavefront6targetE0EEEvT1_
    .private_segment_fixed_size: 0
    .sgpr_count:     0
    .sgpr_spill_count: 0
    .symbol:         _ZN7rocprim17ROCPRIM_400000_NS6detail17trampoline_kernelINS0_14default_configENS1_25partition_config_selectorILNS1_17partition_subalgoE8EN3c104HalfENS0_10empty_typeEbEEZZNS1_14partition_implILS5_8ELb0ES3_jPKS7_PS8_PKS8_NS0_5tupleIJPS7_S8_EEENSG_IJSD_SD_EEENS0_18inequality_wrapperIN6hipcub16HIPCUB_304000_NS8EqualityEEEPlJS8_EEE10hipError_tPvRmT3_T4_T5_T6_T7_T9_mT8_P12ihipStream_tbDpT10_ENKUlT_T0_E_clISt17integral_constantIbLb1EES19_EEDaS14_S15_EUlS14_E_NS1_11comp_targetILNS1_3genE2ELNS1_11target_archE906ELNS1_3gpuE6ELNS1_3repE0EEENS1_30default_config_static_selectorELNS0_4arch9wavefront6targetE0EEEvT1_.kd
    .uniform_work_group_size: 1
    .uses_dynamic_stack: false
    .vgpr_count:     0
    .vgpr_spill_count: 0
    .wavefront_size: 32
  - .args:
      - .offset:         0
        .size:           128
        .value_kind:     by_value
    .group_segment_fixed_size: 0
    .kernarg_segment_align: 8
    .kernarg_segment_size: 128
    .language:       OpenCL C
    .language_version:
      - 2
      - 0
    .max_flat_workgroup_size: 256
    .name:           _ZN7rocprim17ROCPRIM_400000_NS6detail17trampoline_kernelINS0_14default_configENS1_25partition_config_selectorILNS1_17partition_subalgoE8EN3c104HalfENS0_10empty_typeEbEEZZNS1_14partition_implILS5_8ELb0ES3_jPKS7_PS8_PKS8_NS0_5tupleIJPS7_S8_EEENSG_IJSD_SD_EEENS0_18inequality_wrapperIN6hipcub16HIPCUB_304000_NS8EqualityEEEPlJS8_EEE10hipError_tPvRmT3_T4_T5_T6_T7_T9_mT8_P12ihipStream_tbDpT10_ENKUlT_T0_E_clISt17integral_constantIbLb1EES19_EEDaS14_S15_EUlS14_E_NS1_11comp_targetILNS1_3genE10ELNS1_11target_archE1200ELNS1_3gpuE4ELNS1_3repE0EEENS1_30default_config_static_selectorELNS0_4arch9wavefront6targetE0EEEvT1_
    .private_segment_fixed_size: 0
    .sgpr_count:     0
    .sgpr_spill_count: 0
    .symbol:         _ZN7rocprim17ROCPRIM_400000_NS6detail17trampoline_kernelINS0_14default_configENS1_25partition_config_selectorILNS1_17partition_subalgoE8EN3c104HalfENS0_10empty_typeEbEEZZNS1_14partition_implILS5_8ELb0ES3_jPKS7_PS8_PKS8_NS0_5tupleIJPS7_S8_EEENSG_IJSD_SD_EEENS0_18inequality_wrapperIN6hipcub16HIPCUB_304000_NS8EqualityEEEPlJS8_EEE10hipError_tPvRmT3_T4_T5_T6_T7_T9_mT8_P12ihipStream_tbDpT10_ENKUlT_T0_E_clISt17integral_constantIbLb1EES19_EEDaS14_S15_EUlS14_E_NS1_11comp_targetILNS1_3genE10ELNS1_11target_archE1200ELNS1_3gpuE4ELNS1_3repE0EEENS1_30default_config_static_selectorELNS0_4arch9wavefront6targetE0EEEvT1_.kd
    .uniform_work_group_size: 1
    .uses_dynamic_stack: false
    .vgpr_count:     0
    .vgpr_spill_count: 0
    .wavefront_size: 32
  - .args:
      - .offset:         0
        .size:           128
        .value_kind:     by_value
    .group_segment_fixed_size: 0
    .kernarg_segment_align: 8
    .kernarg_segment_size: 128
    .language:       OpenCL C
    .language_version:
      - 2
      - 0
    .max_flat_workgroup_size: 128
    .name:           _ZN7rocprim17ROCPRIM_400000_NS6detail17trampoline_kernelINS0_14default_configENS1_25partition_config_selectorILNS1_17partition_subalgoE8EN3c104HalfENS0_10empty_typeEbEEZZNS1_14partition_implILS5_8ELb0ES3_jPKS7_PS8_PKS8_NS0_5tupleIJPS7_S8_EEENSG_IJSD_SD_EEENS0_18inequality_wrapperIN6hipcub16HIPCUB_304000_NS8EqualityEEEPlJS8_EEE10hipError_tPvRmT3_T4_T5_T6_T7_T9_mT8_P12ihipStream_tbDpT10_ENKUlT_T0_E_clISt17integral_constantIbLb1EES19_EEDaS14_S15_EUlS14_E_NS1_11comp_targetILNS1_3genE9ELNS1_11target_archE1100ELNS1_3gpuE3ELNS1_3repE0EEENS1_30default_config_static_selectorELNS0_4arch9wavefront6targetE0EEEvT1_
    .private_segment_fixed_size: 0
    .sgpr_count:     0
    .sgpr_spill_count: 0
    .symbol:         _ZN7rocprim17ROCPRIM_400000_NS6detail17trampoline_kernelINS0_14default_configENS1_25partition_config_selectorILNS1_17partition_subalgoE8EN3c104HalfENS0_10empty_typeEbEEZZNS1_14partition_implILS5_8ELb0ES3_jPKS7_PS8_PKS8_NS0_5tupleIJPS7_S8_EEENSG_IJSD_SD_EEENS0_18inequality_wrapperIN6hipcub16HIPCUB_304000_NS8EqualityEEEPlJS8_EEE10hipError_tPvRmT3_T4_T5_T6_T7_T9_mT8_P12ihipStream_tbDpT10_ENKUlT_T0_E_clISt17integral_constantIbLb1EES19_EEDaS14_S15_EUlS14_E_NS1_11comp_targetILNS1_3genE9ELNS1_11target_archE1100ELNS1_3gpuE3ELNS1_3repE0EEENS1_30default_config_static_selectorELNS0_4arch9wavefront6targetE0EEEvT1_.kd
    .uniform_work_group_size: 1
    .uses_dynamic_stack: false
    .vgpr_count:     0
    .vgpr_spill_count: 0
    .wavefront_size: 32
  - .args:
      - .offset:         0
        .size:           128
        .value_kind:     by_value
    .group_segment_fixed_size: 0
    .kernarg_segment_align: 8
    .kernarg_segment_size: 128
    .language:       OpenCL C
    .language_version:
      - 2
      - 0
    .max_flat_workgroup_size: 384
    .name:           _ZN7rocprim17ROCPRIM_400000_NS6detail17trampoline_kernelINS0_14default_configENS1_25partition_config_selectorILNS1_17partition_subalgoE8EN3c104HalfENS0_10empty_typeEbEEZZNS1_14partition_implILS5_8ELb0ES3_jPKS7_PS8_PKS8_NS0_5tupleIJPS7_S8_EEENSG_IJSD_SD_EEENS0_18inequality_wrapperIN6hipcub16HIPCUB_304000_NS8EqualityEEEPlJS8_EEE10hipError_tPvRmT3_T4_T5_T6_T7_T9_mT8_P12ihipStream_tbDpT10_ENKUlT_T0_E_clISt17integral_constantIbLb1EES19_EEDaS14_S15_EUlS14_E_NS1_11comp_targetILNS1_3genE8ELNS1_11target_archE1030ELNS1_3gpuE2ELNS1_3repE0EEENS1_30default_config_static_selectorELNS0_4arch9wavefront6targetE0EEEvT1_
    .private_segment_fixed_size: 0
    .sgpr_count:     0
    .sgpr_spill_count: 0
    .symbol:         _ZN7rocprim17ROCPRIM_400000_NS6detail17trampoline_kernelINS0_14default_configENS1_25partition_config_selectorILNS1_17partition_subalgoE8EN3c104HalfENS0_10empty_typeEbEEZZNS1_14partition_implILS5_8ELb0ES3_jPKS7_PS8_PKS8_NS0_5tupleIJPS7_S8_EEENSG_IJSD_SD_EEENS0_18inequality_wrapperIN6hipcub16HIPCUB_304000_NS8EqualityEEEPlJS8_EEE10hipError_tPvRmT3_T4_T5_T6_T7_T9_mT8_P12ihipStream_tbDpT10_ENKUlT_T0_E_clISt17integral_constantIbLb1EES19_EEDaS14_S15_EUlS14_E_NS1_11comp_targetILNS1_3genE8ELNS1_11target_archE1030ELNS1_3gpuE2ELNS1_3repE0EEENS1_30default_config_static_selectorELNS0_4arch9wavefront6targetE0EEEvT1_.kd
    .uniform_work_group_size: 1
    .uses_dynamic_stack: false
    .vgpr_count:     0
    .vgpr_spill_count: 0
    .wavefront_size: 32
  - .args:
      - .offset:         0
        .size:           112
        .value_kind:     by_value
    .group_segment_fixed_size: 0
    .kernarg_segment_align: 8
    .kernarg_segment_size: 112
    .language:       OpenCL C
    .language_version:
      - 2
      - 0
    .max_flat_workgroup_size: 256
    .name:           _ZN7rocprim17ROCPRIM_400000_NS6detail17trampoline_kernelINS0_14default_configENS1_25partition_config_selectorILNS1_17partition_subalgoE8EN3c104HalfENS0_10empty_typeEbEEZZNS1_14partition_implILS5_8ELb0ES3_jPKS7_PS8_PKS8_NS0_5tupleIJPS7_S8_EEENSG_IJSD_SD_EEENS0_18inequality_wrapperIN6hipcub16HIPCUB_304000_NS8EqualityEEEPlJS8_EEE10hipError_tPvRmT3_T4_T5_T6_T7_T9_mT8_P12ihipStream_tbDpT10_ENKUlT_T0_E_clISt17integral_constantIbLb1EES18_IbLb0EEEEDaS14_S15_EUlS14_E_NS1_11comp_targetILNS1_3genE0ELNS1_11target_archE4294967295ELNS1_3gpuE0ELNS1_3repE0EEENS1_30default_config_static_selectorELNS0_4arch9wavefront6targetE0EEEvT1_
    .private_segment_fixed_size: 0
    .sgpr_count:     0
    .sgpr_spill_count: 0
    .symbol:         _ZN7rocprim17ROCPRIM_400000_NS6detail17trampoline_kernelINS0_14default_configENS1_25partition_config_selectorILNS1_17partition_subalgoE8EN3c104HalfENS0_10empty_typeEbEEZZNS1_14partition_implILS5_8ELb0ES3_jPKS7_PS8_PKS8_NS0_5tupleIJPS7_S8_EEENSG_IJSD_SD_EEENS0_18inequality_wrapperIN6hipcub16HIPCUB_304000_NS8EqualityEEEPlJS8_EEE10hipError_tPvRmT3_T4_T5_T6_T7_T9_mT8_P12ihipStream_tbDpT10_ENKUlT_T0_E_clISt17integral_constantIbLb1EES18_IbLb0EEEEDaS14_S15_EUlS14_E_NS1_11comp_targetILNS1_3genE0ELNS1_11target_archE4294967295ELNS1_3gpuE0ELNS1_3repE0EEENS1_30default_config_static_selectorELNS0_4arch9wavefront6targetE0EEEvT1_.kd
    .uniform_work_group_size: 1
    .uses_dynamic_stack: false
    .vgpr_count:     0
    .vgpr_spill_count: 0
    .wavefront_size: 32
  - .args:
      - .offset:         0
        .size:           112
        .value_kind:     by_value
    .group_segment_fixed_size: 0
    .kernarg_segment_align: 8
    .kernarg_segment_size: 112
    .language:       OpenCL C
    .language_version:
      - 2
      - 0
    .max_flat_workgroup_size: 512
    .name:           _ZN7rocprim17ROCPRIM_400000_NS6detail17trampoline_kernelINS0_14default_configENS1_25partition_config_selectorILNS1_17partition_subalgoE8EN3c104HalfENS0_10empty_typeEbEEZZNS1_14partition_implILS5_8ELb0ES3_jPKS7_PS8_PKS8_NS0_5tupleIJPS7_S8_EEENSG_IJSD_SD_EEENS0_18inequality_wrapperIN6hipcub16HIPCUB_304000_NS8EqualityEEEPlJS8_EEE10hipError_tPvRmT3_T4_T5_T6_T7_T9_mT8_P12ihipStream_tbDpT10_ENKUlT_T0_E_clISt17integral_constantIbLb1EES18_IbLb0EEEEDaS14_S15_EUlS14_E_NS1_11comp_targetILNS1_3genE5ELNS1_11target_archE942ELNS1_3gpuE9ELNS1_3repE0EEENS1_30default_config_static_selectorELNS0_4arch9wavefront6targetE0EEEvT1_
    .private_segment_fixed_size: 0
    .sgpr_count:     0
    .sgpr_spill_count: 0
    .symbol:         _ZN7rocprim17ROCPRIM_400000_NS6detail17trampoline_kernelINS0_14default_configENS1_25partition_config_selectorILNS1_17partition_subalgoE8EN3c104HalfENS0_10empty_typeEbEEZZNS1_14partition_implILS5_8ELb0ES3_jPKS7_PS8_PKS8_NS0_5tupleIJPS7_S8_EEENSG_IJSD_SD_EEENS0_18inequality_wrapperIN6hipcub16HIPCUB_304000_NS8EqualityEEEPlJS8_EEE10hipError_tPvRmT3_T4_T5_T6_T7_T9_mT8_P12ihipStream_tbDpT10_ENKUlT_T0_E_clISt17integral_constantIbLb1EES18_IbLb0EEEEDaS14_S15_EUlS14_E_NS1_11comp_targetILNS1_3genE5ELNS1_11target_archE942ELNS1_3gpuE9ELNS1_3repE0EEENS1_30default_config_static_selectorELNS0_4arch9wavefront6targetE0EEEvT1_.kd
    .uniform_work_group_size: 1
    .uses_dynamic_stack: false
    .vgpr_count:     0
    .vgpr_spill_count: 0
    .wavefront_size: 32
  - .args:
      - .offset:         0
        .size:           112
        .value_kind:     by_value
    .group_segment_fixed_size: 0
    .kernarg_segment_align: 8
    .kernarg_segment_size: 112
    .language:       OpenCL C
    .language_version:
      - 2
      - 0
    .max_flat_workgroup_size: 256
    .name:           _ZN7rocprim17ROCPRIM_400000_NS6detail17trampoline_kernelINS0_14default_configENS1_25partition_config_selectorILNS1_17partition_subalgoE8EN3c104HalfENS0_10empty_typeEbEEZZNS1_14partition_implILS5_8ELb0ES3_jPKS7_PS8_PKS8_NS0_5tupleIJPS7_S8_EEENSG_IJSD_SD_EEENS0_18inequality_wrapperIN6hipcub16HIPCUB_304000_NS8EqualityEEEPlJS8_EEE10hipError_tPvRmT3_T4_T5_T6_T7_T9_mT8_P12ihipStream_tbDpT10_ENKUlT_T0_E_clISt17integral_constantIbLb1EES18_IbLb0EEEEDaS14_S15_EUlS14_E_NS1_11comp_targetILNS1_3genE4ELNS1_11target_archE910ELNS1_3gpuE8ELNS1_3repE0EEENS1_30default_config_static_selectorELNS0_4arch9wavefront6targetE0EEEvT1_
    .private_segment_fixed_size: 0
    .sgpr_count:     0
    .sgpr_spill_count: 0
    .symbol:         _ZN7rocprim17ROCPRIM_400000_NS6detail17trampoline_kernelINS0_14default_configENS1_25partition_config_selectorILNS1_17partition_subalgoE8EN3c104HalfENS0_10empty_typeEbEEZZNS1_14partition_implILS5_8ELb0ES3_jPKS7_PS8_PKS8_NS0_5tupleIJPS7_S8_EEENSG_IJSD_SD_EEENS0_18inequality_wrapperIN6hipcub16HIPCUB_304000_NS8EqualityEEEPlJS8_EEE10hipError_tPvRmT3_T4_T5_T6_T7_T9_mT8_P12ihipStream_tbDpT10_ENKUlT_T0_E_clISt17integral_constantIbLb1EES18_IbLb0EEEEDaS14_S15_EUlS14_E_NS1_11comp_targetILNS1_3genE4ELNS1_11target_archE910ELNS1_3gpuE8ELNS1_3repE0EEENS1_30default_config_static_selectorELNS0_4arch9wavefront6targetE0EEEvT1_.kd
    .uniform_work_group_size: 1
    .uses_dynamic_stack: false
    .vgpr_count:     0
    .vgpr_spill_count: 0
    .wavefront_size: 32
  - .args:
      - .offset:         0
        .size:           112
        .value_kind:     by_value
    .group_segment_fixed_size: 0
    .kernarg_segment_align: 8
    .kernarg_segment_size: 112
    .language:       OpenCL C
    .language_version:
      - 2
      - 0
    .max_flat_workgroup_size: 256
    .name:           _ZN7rocprim17ROCPRIM_400000_NS6detail17trampoline_kernelINS0_14default_configENS1_25partition_config_selectorILNS1_17partition_subalgoE8EN3c104HalfENS0_10empty_typeEbEEZZNS1_14partition_implILS5_8ELb0ES3_jPKS7_PS8_PKS8_NS0_5tupleIJPS7_S8_EEENSG_IJSD_SD_EEENS0_18inequality_wrapperIN6hipcub16HIPCUB_304000_NS8EqualityEEEPlJS8_EEE10hipError_tPvRmT3_T4_T5_T6_T7_T9_mT8_P12ihipStream_tbDpT10_ENKUlT_T0_E_clISt17integral_constantIbLb1EES18_IbLb0EEEEDaS14_S15_EUlS14_E_NS1_11comp_targetILNS1_3genE3ELNS1_11target_archE908ELNS1_3gpuE7ELNS1_3repE0EEENS1_30default_config_static_selectorELNS0_4arch9wavefront6targetE0EEEvT1_
    .private_segment_fixed_size: 0
    .sgpr_count:     0
    .sgpr_spill_count: 0
    .symbol:         _ZN7rocprim17ROCPRIM_400000_NS6detail17trampoline_kernelINS0_14default_configENS1_25partition_config_selectorILNS1_17partition_subalgoE8EN3c104HalfENS0_10empty_typeEbEEZZNS1_14partition_implILS5_8ELb0ES3_jPKS7_PS8_PKS8_NS0_5tupleIJPS7_S8_EEENSG_IJSD_SD_EEENS0_18inequality_wrapperIN6hipcub16HIPCUB_304000_NS8EqualityEEEPlJS8_EEE10hipError_tPvRmT3_T4_T5_T6_T7_T9_mT8_P12ihipStream_tbDpT10_ENKUlT_T0_E_clISt17integral_constantIbLb1EES18_IbLb0EEEEDaS14_S15_EUlS14_E_NS1_11comp_targetILNS1_3genE3ELNS1_11target_archE908ELNS1_3gpuE7ELNS1_3repE0EEENS1_30default_config_static_selectorELNS0_4arch9wavefront6targetE0EEEvT1_.kd
    .uniform_work_group_size: 1
    .uses_dynamic_stack: false
    .vgpr_count:     0
    .vgpr_spill_count: 0
    .wavefront_size: 32
  - .args:
      - .offset:         0
        .size:           112
        .value_kind:     by_value
    .group_segment_fixed_size: 0
    .kernarg_segment_align: 8
    .kernarg_segment_size: 112
    .language:       OpenCL C
    .language_version:
      - 2
      - 0
    .max_flat_workgroup_size: 192
    .name:           _ZN7rocprim17ROCPRIM_400000_NS6detail17trampoline_kernelINS0_14default_configENS1_25partition_config_selectorILNS1_17partition_subalgoE8EN3c104HalfENS0_10empty_typeEbEEZZNS1_14partition_implILS5_8ELb0ES3_jPKS7_PS8_PKS8_NS0_5tupleIJPS7_S8_EEENSG_IJSD_SD_EEENS0_18inequality_wrapperIN6hipcub16HIPCUB_304000_NS8EqualityEEEPlJS8_EEE10hipError_tPvRmT3_T4_T5_T6_T7_T9_mT8_P12ihipStream_tbDpT10_ENKUlT_T0_E_clISt17integral_constantIbLb1EES18_IbLb0EEEEDaS14_S15_EUlS14_E_NS1_11comp_targetILNS1_3genE2ELNS1_11target_archE906ELNS1_3gpuE6ELNS1_3repE0EEENS1_30default_config_static_selectorELNS0_4arch9wavefront6targetE0EEEvT1_
    .private_segment_fixed_size: 0
    .sgpr_count:     0
    .sgpr_spill_count: 0
    .symbol:         _ZN7rocprim17ROCPRIM_400000_NS6detail17trampoline_kernelINS0_14default_configENS1_25partition_config_selectorILNS1_17partition_subalgoE8EN3c104HalfENS0_10empty_typeEbEEZZNS1_14partition_implILS5_8ELb0ES3_jPKS7_PS8_PKS8_NS0_5tupleIJPS7_S8_EEENSG_IJSD_SD_EEENS0_18inequality_wrapperIN6hipcub16HIPCUB_304000_NS8EqualityEEEPlJS8_EEE10hipError_tPvRmT3_T4_T5_T6_T7_T9_mT8_P12ihipStream_tbDpT10_ENKUlT_T0_E_clISt17integral_constantIbLb1EES18_IbLb0EEEEDaS14_S15_EUlS14_E_NS1_11comp_targetILNS1_3genE2ELNS1_11target_archE906ELNS1_3gpuE6ELNS1_3repE0EEENS1_30default_config_static_selectorELNS0_4arch9wavefront6targetE0EEEvT1_.kd
    .uniform_work_group_size: 1
    .uses_dynamic_stack: false
    .vgpr_count:     0
    .vgpr_spill_count: 0
    .wavefront_size: 32
  - .args:
      - .offset:         0
        .size:           112
        .value_kind:     by_value
    .group_segment_fixed_size: 0
    .kernarg_segment_align: 8
    .kernarg_segment_size: 112
    .language:       OpenCL C
    .language_version:
      - 2
      - 0
    .max_flat_workgroup_size: 256
    .name:           _ZN7rocprim17ROCPRIM_400000_NS6detail17trampoline_kernelINS0_14default_configENS1_25partition_config_selectorILNS1_17partition_subalgoE8EN3c104HalfENS0_10empty_typeEbEEZZNS1_14partition_implILS5_8ELb0ES3_jPKS7_PS8_PKS8_NS0_5tupleIJPS7_S8_EEENSG_IJSD_SD_EEENS0_18inequality_wrapperIN6hipcub16HIPCUB_304000_NS8EqualityEEEPlJS8_EEE10hipError_tPvRmT3_T4_T5_T6_T7_T9_mT8_P12ihipStream_tbDpT10_ENKUlT_T0_E_clISt17integral_constantIbLb1EES18_IbLb0EEEEDaS14_S15_EUlS14_E_NS1_11comp_targetILNS1_3genE10ELNS1_11target_archE1200ELNS1_3gpuE4ELNS1_3repE0EEENS1_30default_config_static_selectorELNS0_4arch9wavefront6targetE0EEEvT1_
    .private_segment_fixed_size: 0
    .sgpr_count:     0
    .sgpr_spill_count: 0
    .symbol:         _ZN7rocprim17ROCPRIM_400000_NS6detail17trampoline_kernelINS0_14default_configENS1_25partition_config_selectorILNS1_17partition_subalgoE8EN3c104HalfENS0_10empty_typeEbEEZZNS1_14partition_implILS5_8ELb0ES3_jPKS7_PS8_PKS8_NS0_5tupleIJPS7_S8_EEENSG_IJSD_SD_EEENS0_18inequality_wrapperIN6hipcub16HIPCUB_304000_NS8EqualityEEEPlJS8_EEE10hipError_tPvRmT3_T4_T5_T6_T7_T9_mT8_P12ihipStream_tbDpT10_ENKUlT_T0_E_clISt17integral_constantIbLb1EES18_IbLb0EEEEDaS14_S15_EUlS14_E_NS1_11comp_targetILNS1_3genE10ELNS1_11target_archE1200ELNS1_3gpuE4ELNS1_3repE0EEENS1_30default_config_static_selectorELNS0_4arch9wavefront6targetE0EEEvT1_.kd
    .uniform_work_group_size: 1
    .uses_dynamic_stack: false
    .vgpr_count:     0
    .vgpr_spill_count: 0
    .wavefront_size: 32
  - .args:
      - .offset:         0
        .size:           112
        .value_kind:     by_value
    .group_segment_fixed_size: 0
    .kernarg_segment_align: 8
    .kernarg_segment_size: 112
    .language:       OpenCL C
    .language_version:
      - 2
      - 0
    .max_flat_workgroup_size: 128
    .name:           _ZN7rocprim17ROCPRIM_400000_NS6detail17trampoline_kernelINS0_14default_configENS1_25partition_config_selectorILNS1_17partition_subalgoE8EN3c104HalfENS0_10empty_typeEbEEZZNS1_14partition_implILS5_8ELb0ES3_jPKS7_PS8_PKS8_NS0_5tupleIJPS7_S8_EEENSG_IJSD_SD_EEENS0_18inequality_wrapperIN6hipcub16HIPCUB_304000_NS8EqualityEEEPlJS8_EEE10hipError_tPvRmT3_T4_T5_T6_T7_T9_mT8_P12ihipStream_tbDpT10_ENKUlT_T0_E_clISt17integral_constantIbLb1EES18_IbLb0EEEEDaS14_S15_EUlS14_E_NS1_11comp_targetILNS1_3genE9ELNS1_11target_archE1100ELNS1_3gpuE3ELNS1_3repE0EEENS1_30default_config_static_selectorELNS0_4arch9wavefront6targetE0EEEvT1_
    .private_segment_fixed_size: 0
    .sgpr_count:     0
    .sgpr_spill_count: 0
    .symbol:         _ZN7rocprim17ROCPRIM_400000_NS6detail17trampoline_kernelINS0_14default_configENS1_25partition_config_selectorILNS1_17partition_subalgoE8EN3c104HalfENS0_10empty_typeEbEEZZNS1_14partition_implILS5_8ELb0ES3_jPKS7_PS8_PKS8_NS0_5tupleIJPS7_S8_EEENSG_IJSD_SD_EEENS0_18inequality_wrapperIN6hipcub16HIPCUB_304000_NS8EqualityEEEPlJS8_EEE10hipError_tPvRmT3_T4_T5_T6_T7_T9_mT8_P12ihipStream_tbDpT10_ENKUlT_T0_E_clISt17integral_constantIbLb1EES18_IbLb0EEEEDaS14_S15_EUlS14_E_NS1_11comp_targetILNS1_3genE9ELNS1_11target_archE1100ELNS1_3gpuE3ELNS1_3repE0EEENS1_30default_config_static_selectorELNS0_4arch9wavefront6targetE0EEEvT1_.kd
    .uniform_work_group_size: 1
    .uses_dynamic_stack: false
    .vgpr_count:     0
    .vgpr_spill_count: 0
    .wavefront_size: 32
  - .args:
      - .offset:         0
        .size:           112
        .value_kind:     by_value
    .group_segment_fixed_size: 0
    .kernarg_segment_align: 8
    .kernarg_segment_size: 112
    .language:       OpenCL C
    .language_version:
      - 2
      - 0
    .max_flat_workgroup_size: 384
    .name:           _ZN7rocprim17ROCPRIM_400000_NS6detail17trampoline_kernelINS0_14default_configENS1_25partition_config_selectorILNS1_17partition_subalgoE8EN3c104HalfENS0_10empty_typeEbEEZZNS1_14partition_implILS5_8ELb0ES3_jPKS7_PS8_PKS8_NS0_5tupleIJPS7_S8_EEENSG_IJSD_SD_EEENS0_18inequality_wrapperIN6hipcub16HIPCUB_304000_NS8EqualityEEEPlJS8_EEE10hipError_tPvRmT3_T4_T5_T6_T7_T9_mT8_P12ihipStream_tbDpT10_ENKUlT_T0_E_clISt17integral_constantIbLb1EES18_IbLb0EEEEDaS14_S15_EUlS14_E_NS1_11comp_targetILNS1_3genE8ELNS1_11target_archE1030ELNS1_3gpuE2ELNS1_3repE0EEENS1_30default_config_static_selectorELNS0_4arch9wavefront6targetE0EEEvT1_
    .private_segment_fixed_size: 0
    .sgpr_count:     0
    .sgpr_spill_count: 0
    .symbol:         _ZN7rocprim17ROCPRIM_400000_NS6detail17trampoline_kernelINS0_14default_configENS1_25partition_config_selectorILNS1_17partition_subalgoE8EN3c104HalfENS0_10empty_typeEbEEZZNS1_14partition_implILS5_8ELb0ES3_jPKS7_PS8_PKS8_NS0_5tupleIJPS7_S8_EEENSG_IJSD_SD_EEENS0_18inequality_wrapperIN6hipcub16HIPCUB_304000_NS8EqualityEEEPlJS8_EEE10hipError_tPvRmT3_T4_T5_T6_T7_T9_mT8_P12ihipStream_tbDpT10_ENKUlT_T0_E_clISt17integral_constantIbLb1EES18_IbLb0EEEEDaS14_S15_EUlS14_E_NS1_11comp_targetILNS1_3genE8ELNS1_11target_archE1030ELNS1_3gpuE2ELNS1_3repE0EEENS1_30default_config_static_selectorELNS0_4arch9wavefront6targetE0EEEvT1_.kd
    .uniform_work_group_size: 1
    .uses_dynamic_stack: false
    .vgpr_count:     0
    .vgpr_spill_count: 0
    .wavefront_size: 32
  - .args:
      - .offset:         0
        .size:           128
        .value_kind:     by_value
    .group_segment_fixed_size: 15368
    .kernarg_segment_align: 8
    .kernarg_segment_size: 128
    .language:       OpenCL C
    .language_version:
      - 2
      - 0
    .max_flat_workgroup_size: 256
    .name:           _ZN7rocprim17ROCPRIM_400000_NS6detail17trampoline_kernelINS0_14default_configENS1_25partition_config_selectorILNS1_17partition_subalgoE8EN3c104HalfENS0_10empty_typeEbEEZZNS1_14partition_implILS5_8ELb0ES3_jPKS7_PS8_PKS8_NS0_5tupleIJPS7_S8_EEENSG_IJSD_SD_EEENS0_18inequality_wrapperIN6hipcub16HIPCUB_304000_NS8EqualityEEEPlJS8_EEE10hipError_tPvRmT3_T4_T5_T6_T7_T9_mT8_P12ihipStream_tbDpT10_ENKUlT_T0_E_clISt17integral_constantIbLb0EES18_IbLb1EEEEDaS14_S15_EUlS14_E_NS1_11comp_targetILNS1_3genE0ELNS1_11target_archE4294967295ELNS1_3gpuE0ELNS1_3repE0EEENS1_30default_config_static_selectorELNS0_4arch9wavefront6targetE0EEEvT1_
    .private_segment_fixed_size: 0
    .sgpr_count:     53
    .sgpr_spill_count: 0
    .symbol:         _ZN7rocprim17ROCPRIM_400000_NS6detail17trampoline_kernelINS0_14default_configENS1_25partition_config_selectorILNS1_17partition_subalgoE8EN3c104HalfENS0_10empty_typeEbEEZZNS1_14partition_implILS5_8ELb0ES3_jPKS7_PS8_PKS8_NS0_5tupleIJPS7_S8_EEENSG_IJSD_SD_EEENS0_18inequality_wrapperIN6hipcub16HIPCUB_304000_NS8EqualityEEEPlJS8_EEE10hipError_tPvRmT3_T4_T5_T6_T7_T9_mT8_P12ihipStream_tbDpT10_ENKUlT_T0_E_clISt17integral_constantIbLb0EES18_IbLb1EEEEDaS14_S15_EUlS14_E_NS1_11comp_targetILNS1_3genE0ELNS1_11target_archE4294967295ELNS1_3gpuE0ELNS1_3repE0EEENS1_30default_config_static_selectorELNS0_4arch9wavefront6targetE0EEEvT1_.kd
    .uniform_work_group_size: 1
    .uses_dynamic_stack: false
    .vgpr_count:     116
    .vgpr_spill_count: 0
    .wavefront_size: 32
  - .args:
      - .offset:         0
        .size:           128
        .value_kind:     by_value
    .group_segment_fixed_size: 0
    .kernarg_segment_align: 8
    .kernarg_segment_size: 128
    .language:       OpenCL C
    .language_version:
      - 2
      - 0
    .max_flat_workgroup_size: 512
    .name:           _ZN7rocprim17ROCPRIM_400000_NS6detail17trampoline_kernelINS0_14default_configENS1_25partition_config_selectorILNS1_17partition_subalgoE8EN3c104HalfENS0_10empty_typeEbEEZZNS1_14partition_implILS5_8ELb0ES3_jPKS7_PS8_PKS8_NS0_5tupleIJPS7_S8_EEENSG_IJSD_SD_EEENS0_18inequality_wrapperIN6hipcub16HIPCUB_304000_NS8EqualityEEEPlJS8_EEE10hipError_tPvRmT3_T4_T5_T6_T7_T9_mT8_P12ihipStream_tbDpT10_ENKUlT_T0_E_clISt17integral_constantIbLb0EES18_IbLb1EEEEDaS14_S15_EUlS14_E_NS1_11comp_targetILNS1_3genE5ELNS1_11target_archE942ELNS1_3gpuE9ELNS1_3repE0EEENS1_30default_config_static_selectorELNS0_4arch9wavefront6targetE0EEEvT1_
    .private_segment_fixed_size: 0
    .sgpr_count:     0
    .sgpr_spill_count: 0
    .symbol:         _ZN7rocprim17ROCPRIM_400000_NS6detail17trampoline_kernelINS0_14default_configENS1_25partition_config_selectorILNS1_17partition_subalgoE8EN3c104HalfENS0_10empty_typeEbEEZZNS1_14partition_implILS5_8ELb0ES3_jPKS7_PS8_PKS8_NS0_5tupleIJPS7_S8_EEENSG_IJSD_SD_EEENS0_18inequality_wrapperIN6hipcub16HIPCUB_304000_NS8EqualityEEEPlJS8_EEE10hipError_tPvRmT3_T4_T5_T6_T7_T9_mT8_P12ihipStream_tbDpT10_ENKUlT_T0_E_clISt17integral_constantIbLb0EES18_IbLb1EEEEDaS14_S15_EUlS14_E_NS1_11comp_targetILNS1_3genE5ELNS1_11target_archE942ELNS1_3gpuE9ELNS1_3repE0EEENS1_30default_config_static_selectorELNS0_4arch9wavefront6targetE0EEEvT1_.kd
    .uniform_work_group_size: 1
    .uses_dynamic_stack: false
    .vgpr_count:     0
    .vgpr_spill_count: 0
    .wavefront_size: 32
  - .args:
      - .offset:         0
        .size:           128
        .value_kind:     by_value
    .group_segment_fixed_size: 0
    .kernarg_segment_align: 8
    .kernarg_segment_size: 128
    .language:       OpenCL C
    .language_version:
      - 2
      - 0
    .max_flat_workgroup_size: 256
    .name:           _ZN7rocprim17ROCPRIM_400000_NS6detail17trampoline_kernelINS0_14default_configENS1_25partition_config_selectorILNS1_17partition_subalgoE8EN3c104HalfENS0_10empty_typeEbEEZZNS1_14partition_implILS5_8ELb0ES3_jPKS7_PS8_PKS8_NS0_5tupleIJPS7_S8_EEENSG_IJSD_SD_EEENS0_18inequality_wrapperIN6hipcub16HIPCUB_304000_NS8EqualityEEEPlJS8_EEE10hipError_tPvRmT3_T4_T5_T6_T7_T9_mT8_P12ihipStream_tbDpT10_ENKUlT_T0_E_clISt17integral_constantIbLb0EES18_IbLb1EEEEDaS14_S15_EUlS14_E_NS1_11comp_targetILNS1_3genE4ELNS1_11target_archE910ELNS1_3gpuE8ELNS1_3repE0EEENS1_30default_config_static_selectorELNS0_4arch9wavefront6targetE0EEEvT1_
    .private_segment_fixed_size: 0
    .sgpr_count:     0
    .sgpr_spill_count: 0
    .symbol:         _ZN7rocprim17ROCPRIM_400000_NS6detail17trampoline_kernelINS0_14default_configENS1_25partition_config_selectorILNS1_17partition_subalgoE8EN3c104HalfENS0_10empty_typeEbEEZZNS1_14partition_implILS5_8ELb0ES3_jPKS7_PS8_PKS8_NS0_5tupleIJPS7_S8_EEENSG_IJSD_SD_EEENS0_18inequality_wrapperIN6hipcub16HIPCUB_304000_NS8EqualityEEEPlJS8_EEE10hipError_tPvRmT3_T4_T5_T6_T7_T9_mT8_P12ihipStream_tbDpT10_ENKUlT_T0_E_clISt17integral_constantIbLb0EES18_IbLb1EEEEDaS14_S15_EUlS14_E_NS1_11comp_targetILNS1_3genE4ELNS1_11target_archE910ELNS1_3gpuE8ELNS1_3repE0EEENS1_30default_config_static_selectorELNS0_4arch9wavefront6targetE0EEEvT1_.kd
    .uniform_work_group_size: 1
    .uses_dynamic_stack: false
    .vgpr_count:     0
    .vgpr_spill_count: 0
    .wavefront_size: 32
  - .args:
      - .offset:         0
        .size:           128
        .value_kind:     by_value
    .group_segment_fixed_size: 0
    .kernarg_segment_align: 8
    .kernarg_segment_size: 128
    .language:       OpenCL C
    .language_version:
      - 2
      - 0
    .max_flat_workgroup_size: 256
    .name:           _ZN7rocprim17ROCPRIM_400000_NS6detail17trampoline_kernelINS0_14default_configENS1_25partition_config_selectorILNS1_17partition_subalgoE8EN3c104HalfENS0_10empty_typeEbEEZZNS1_14partition_implILS5_8ELb0ES3_jPKS7_PS8_PKS8_NS0_5tupleIJPS7_S8_EEENSG_IJSD_SD_EEENS0_18inequality_wrapperIN6hipcub16HIPCUB_304000_NS8EqualityEEEPlJS8_EEE10hipError_tPvRmT3_T4_T5_T6_T7_T9_mT8_P12ihipStream_tbDpT10_ENKUlT_T0_E_clISt17integral_constantIbLb0EES18_IbLb1EEEEDaS14_S15_EUlS14_E_NS1_11comp_targetILNS1_3genE3ELNS1_11target_archE908ELNS1_3gpuE7ELNS1_3repE0EEENS1_30default_config_static_selectorELNS0_4arch9wavefront6targetE0EEEvT1_
    .private_segment_fixed_size: 0
    .sgpr_count:     0
    .sgpr_spill_count: 0
    .symbol:         _ZN7rocprim17ROCPRIM_400000_NS6detail17trampoline_kernelINS0_14default_configENS1_25partition_config_selectorILNS1_17partition_subalgoE8EN3c104HalfENS0_10empty_typeEbEEZZNS1_14partition_implILS5_8ELb0ES3_jPKS7_PS8_PKS8_NS0_5tupleIJPS7_S8_EEENSG_IJSD_SD_EEENS0_18inequality_wrapperIN6hipcub16HIPCUB_304000_NS8EqualityEEEPlJS8_EEE10hipError_tPvRmT3_T4_T5_T6_T7_T9_mT8_P12ihipStream_tbDpT10_ENKUlT_T0_E_clISt17integral_constantIbLb0EES18_IbLb1EEEEDaS14_S15_EUlS14_E_NS1_11comp_targetILNS1_3genE3ELNS1_11target_archE908ELNS1_3gpuE7ELNS1_3repE0EEENS1_30default_config_static_selectorELNS0_4arch9wavefront6targetE0EEEvT1_.kd
    .uniform_work_group_size: 1
    .uses_dynamic_stack: false
    .vgpr_count:     0
    .vgpr_spill_count: 0
    .wavefront_size: 32
  - .args:
      - .offset:         0
        .size:           128
        .value_kind:     by_value
    .group_segment_fixed_size: 0
    .kernarg_segment_align: 8
    .kernarg_segment_size: 128
    .language:       OpenCL C
    .language_version:
      - 2
      - 0
    .max_flat_workgroup_size: 192
    .name:           _ZN7rocprim17ROCPRIM_400000_NS6detail17trampoline_kernelINS0_14default_configENS1_25partition_config_selectorILNS1_17partition_subalgoE8EN3c104HalfENS0_10empty_typeEbEEZZNS1_14partition_implILS5_8ELb0ES3_jPKS7_PS8_PKS8_NS0_5tupleIJPS7_S8_EEENSG_IJSD_SD_EEENS0_18inequality_wrapperIN6hipcub16HIPCUB_304000_NS8EqualityEEEPlJS8_EEE10hipError_tPvRmT3_T4_T5_T6_T7_T9_mT8_P12ihipStream_tbDpT10_ENKUlT_T0_E_clISt17integral_constantIbLb0EES18_IbLb1EEEEDaS14_S15_EUlS14_E_NS1_11comp_targetILNS1_3genE2ELNS1_11target_archE906ELNS1_3gpuE6ELNS1_3repE0EEENS1_30default_config_static_selectorELNS0_4arch9wavefront6targetE0EEEvT1_
    .private_segment_fixed_size: 0
    .sgpr_count:     0
    .sgpr_spill_count: 0
    .symbol:         _ZN7rocprim17ROCPRIM_400000_NS6detail17trampoline_kernelINS0_14default_configENS1_25partition_config_selectorILNS1_17partition_subalgoE8EN3c104HalfENS0_10empty_typeEbEEZZNS1_14partition_implILS5_8ELb0ES3_jPKS7_PS8_PKS8_NS0_5tupleIJPS7_S8_EEENSG_IJSD_SD_EEENS0_18inequality_wrapperIN6hipcub16HIPCUB_304000_NS8EqualityEEEPlJS8_EEE10hipError_tPvRmT3_T4_T5_T6_T7_T9_mT8_P12ihipStream_tbDpT10_ENKUlT_T0_E_clISt17integral_constantIbLb0EES18_IbLb1EEEEDaS14_S15_EUlS14_E_NS1_11comp_targetILNS1_3genE2ELNS1_11target_archE906ELNS1_3gpuE6ELNS1_3repE0EEENS1_30default_config_static_selectorELNS0_4arch9wavefront6targetE0EEEvT1_.kd
    .uniform_work_group_size: 1
    .uses_dynamic_stack: false
    .vgpr_count:     0
    .vgpr_spill_count: 0
    .wavefront_size: 32
  - .args:
      - .offset:         0
        .size:           128
        .value_kind:     by_value
    .group_segment_fixed_size: 0
    .kernarg_segment_align: 8
    .kernarg_segment_size: 128
    .language:       OpenCL C
    .language_version:
      - 2
      - 0
    .max_flat_workgroup_size: 256
    .name:           _ZN7rocprim17ROCPRIM_400000_NS6detail17trampoline_kernelINS0_14default_configENS1_25partition_config_selectorILNS1_17partition_subalgoE8EN3c104HalfENS0_10empty_typeEbEEZZNS1_14partition_implILS5_8ELb0ES3_jPKS7_PS8_PKS8_NS0_5tupleIJPS7_S8_EEENSG_IJSD_SD_EEENS0_18inequality_wrapperIN6hipcub16HIPCUB_304000_NS8EqualityEEEPlJS8_EEE10hipError_tPvRmT3_T4_T5_T6_T7_T9_mT8_P12ihipStream_tbDpT10_ENKUlT_T0_E_clISt17integral_constantIbLb0EES18_IbLb1EEEEDaS14_S15_EUlS14_E_NS1_11comp_targetILNS1_3genE10ELNS1_11target_archE1200ELNS1_3gpuE4ELNS1_3repE0EEENS1_30default_config_static_selectorELNS0_4arch9wavefront6targetE0EEEvT1_
    .private_segment_fixed_size: 0
    .sgpr_count:     0
    .sgpr_spill_count: 0
    .symbol:         _ZN7rocprim17ROCPRIM_400000_NS6detail17trampoline_kernelINS0_14default_configENS1_25partition_config_selectorILNS1_17partition_subalgoE8EN3c104HalfENS0_10empty_typeEbEEZZNS1_14partition_implILS5_8ELb0ES3_jPKS7_PS8_PKS8_NS0_5tupleIJPS7_S8_EEENSG_IJSD_SD_EEENS0_18inequality_wrapperIN6hipcub16HIPCUB_304000_NS8EqualityEEEPlJS8_EEE10hipError_tPvRmT3_T4_T5_T6_T7_T9_mT8_P12ihipStream_tbDpT10_ENKUlT_T0_E_clISt17integral_constantIbLb0EES18_IbLb1EEEEDaS14_S15_EUlS14_E_NS1_11comp_targetILNS1_3genE10ELNS1_11target_archE1200ELNS1_3gpuE4ELNS1_3repE0EEENS1_30default_config_static_selectorELNS0_4arch9wavefront6targetE0EEEvT1_.kd
    .uniform_work_group_size: 1
    .uses_dynamic_stack: false
    .vgpr_count:     0
    .vgpr_spill_count: 0
    .wavefront_size: 32
  - .args:
      - .offset:         0
        .size:           128
        .value_kind:     by_value
    .group_segment_fixed_size: 0
    .kernarg_segment_align: 8
    .kernarg_segment_size: 128
    .language:       OpenCL C
    .language_version:
      - 2
      - 0
    .max_flat_workgroup_size: 128
    .name:           _ZN7rocprim17ROCPRIM_400000_NS6detail17trampoline_kernelINS0_14default_configENS1_25partition_config_selectorILNS1_17partition_subalgoE8EN3c104HalfENS0_10empty_typeEbEEZZNS1_14partition_implILS5_8ELb0ES3_jPKS7_PS8_PKS8_NS0_5tupleIJPS7_S8_EEENSG_IJSD_SD_EEENS0_18inequality_wrapperIN6hipcub16HIPCUB_304000_NS8EqualityEEEPlJS8_EEE10hipError_tPvRmT3_T4_T5_T6_T7_T9_mT8_P12ihipStream_tbDpT10_ENKUlT_T0_E_clISt17integral_constantIbLb0EES18_IbLb1EEEEDaS14_S15_EUlS14_E_NS1_11comp_targetILNS1_3genE9ELNS1_11target_archE1100ELNS1_3gpuE3ELNS1_3repE0EEENS1_30default_config_static_selectorELNS0_4arch9wavefront6targetE0EEEvT1_
    .private_segment_fixed_size: 0
    .sgpr_count:     0
    .sgpr_spill_count: 0
    .symbol:         _ZN7rocprim17ROCPRIM_400000_NS6detail17trampoline_kernelINS0_14default_configENS1_25partition_config_selectorILNS1_17partition_subalgoE8EN3c104HalfENS0_10empty_typeEbEEZZNS1_14partition_implILS5_8ELb0ES3_jPKS7_PS8_PKS8_NS0_5tupleIJPS7_S8_EEENSG_IJSD_SD_EEENS0_18inequality_wrapperIN6hipcub16HIPCUB_304000_NS8EqualityEEEPlJS8_EEE10hipError_tPvRmT3_T4_T5_T6_T7_T9_mT8_P12ihipStream_tbDpT10_ENKUlT_T0_E_clISt17integral_constantIbLb0EES18_IbLb1EEEEDaS14_S15_EUlS14_E_NS1_11comp_targetILNS1_3genE9ELNS1_11target_archE1100ELNS1_3gpuE3ELNS1_3repE0EEENS1_30default_config_static_selectorELNS0_4arch9wavefront6targetE0EEEvT1_.kd
    .uniform_work_group_size: 1
    .uses_dynamic_stack: false
    .vgpr_count:     0
    .vgpr_spill_count: 0
    .wavefront_size: 32
  - .args:
      - .offset:         0
        .size:           128
        .value_kind:     by_value
    .group_segment_fixed_size: 0
    .kernarg_segment_align: 8
    .kernarg_segment_size: 128
    .language:       OpenCL C
    .language_version:
      - 2
      - 0
    .max_flat_workgroup_size: 384
    .name:           _ZN7rocprim17ROCPRIM_400000_NS6detail17trampoline_kernelINS0_14default_configENS1_25partition_config_selectorILNS1_17partition_subalgoE8EN3c104HalfENS0_10empty_typeEbEEZZNS1_14partition_implILS5_8ELb0ES3_jPKS7_PS8_PKS8_NS0_5tupleIJPS7_S8_EEENSG_IJSD_SD_EEENS0_18inequality_wrapperIN6hipcub16HIPCUB_304000_NS8EqualityEEEPlJS8_EEE10hipError_tPvRmT3_T4_T5_T6_T7_T9_mT8_P12ihipStream_tbDpT10_ENKUlT_T0_E_clISt17integral_constantIbLb0EES18_IbLb1EEEEDaS14_S15_EUlS14_E_NS1_11comp_targetILNS1_3genE8ELNS1_11target_archE1030ELNS1_3gpuE2ELNS1_3repE0EEENS1_30default_config_static_selectorELNS0_4arch9wavefront6targetE0EEEvT1_
    .private_segment_fixed_size: 0
    .sgpr_count:     0
    .sgpr_spill_count: 0
    .symbol:         _ZN7rocprim17ROCPRIM_400000_NS6detail17trampoline_kernelINS0_14default_configENS1_25partition_config_selectorILNS1_17partition_subalgoE8EN3c104HalfENS0_10empty_typeEbEEZZNS1_14partition_implILS5_8ELb0ES3_jPKS7_PS8_PKS8_NS0_5tupleIJPS7_S8_EEENSG_IJSD_SD_EEENS0_18inequality_wrapperIN6hipcub16HIPCUB_304000_NS8EqualityEEEPlJS8_EEE10hipError_tPvRmT3_T4_T5_T6_T7_T9_mT8_P12ihipStream_tbDpT10_ENKUlT_T0_E_clISt17integral_constantIbLb0EES18_IbLb1EEEEDaS14_S15_EUlS14_E_NS1_11comp_targetILNS1_3genE8ELNS1_11target_archE1030ELNS1_3gpuE2ELNS1_3repE0EEENS1_30default_config_static_selectorELNS0_4arch9wavefront6targetE0EEEvT1_.kd
    .uniform_work_group_size: 1
    .uses_dynamic_stack: false
    .vgpr_count:     0
    .vgpr_spill_count: 0
    .wavefront_size: 32
  - .args:
      - .offset:         0
        .size:           128
        .value_kind:     by_value
    .group_segment_fixed_size: 15360
    .kernarg_segment_align: 8
    .kernarg_segment_size: 128
    .language:       OpenCL C
    .language_version:
      - 2
      - 0
    .max_flat_workgroup_size: 256
    .name:           _ZN7rocprim17ROCPRIM_400000_NS6detail17trampoline_kernelINS0_14default_configENS1_33run_length_encode_config_selectorIN3c104HalfEjNS0_4plusIjEEEEZZNS1_33reduce_by_key_impl_wrapped_configILNS1_25lookback_scan_determinismE0ES3_S9_PKS6_NS0_17constant_iteratorIjlEEPS6_PlSH_S8_NS0_8equal_toIS6_EEEE10hipError_tPvRmT2_T3_mT4_T5_T6_T7_T8_P12ihipStream_tbENKUlT_T0_E_clISt17integral_constantIbLb0EES11_EEDaSW_SX_EUlSW_E_NS1_11comp_targetILNS1_3genE0ELNS1_11target_archE4294967295ELNS1_3gpuE0ELNS1_3repE0EEENS1_30default_config_static_selectorELNS0_4arch9wavefront6targetE0EEEvT1_
    .private_segment_fixed_size: 0
    .sgpr_count:     46
    .sgpr_spill_count: 0
    .symbol:         _ZN7rocprim17ROCPRIM_400000_NS6detail17trampoline_kernelINS0_14default_configENS1_33run_length_encode_config_selectorIN3c104HalfEjNS0_4plusIjEEEEZZNS1_33reduce_by_key_impl_wrapped_configILNS1_25lookback_scan_determinismE0ES3_S9_PKS6_NS0_17constant_iteratorIjlEEPS6_PlSH_S8_NS0_8equal_toIS6_EEEE10hipError_tPvRmT2_T3_mT4_T5_T6_T7_T8_P12ihipStream_tbENKUlT_T0_E_clISt17integral_constantIbLb0EES11_EEDaSW_SX_EUlSW_E_NS1_11comp_targetILNS1_3genE0ELNS1_11target_archE4294967295ELNS1_3gpuE0ELNS1_3repE0EEENS1_30default_config_static_selectorELNS0_4arch9wavefront6targetE0EEEvT1_.kd
    .uniform_work_group_size: 1
    .uses_dynamic_stack: false
    .vgpr_count:     108
    .vgpr_spill_count: 0
    .wavefront_size: 32
  - .args:
      - .offset:         0
        .size:           128
        .value_kind:     by_value
    .group_segment_fixed_size: 0
    .kernarg_segment_align: 8
    .kernarg_segment_size: 128
    .language:       OpenCL C
    .language_version:
      - 2
      - 0
    .max_flat_workgroup_size: 256
    .name:           _ZN7rocprim17ROCPRIM_400000_NS6detail17trampoline_kernelINS0_14default_configENS1_33run_length_encode_config_selectorIN3c104HalfEjNS0_4plusIjEEEEZZNS1_33reduce_by_key_impl_wrapped_configILNS1_25lookback_scan_determinismE0ES3_S9_PKS6_NS0_17constant_iteratorIjlEEPS6_PlSH_S8_NS0_8equal_toIS6_EEEE10hipError_tPvRmT2_T3_mT4_T5_T6_T7_T8_P12ihipStream_tbENKUlT_T0_E_clISt17integral_constantIbLb0EES11_EEDaSW_SX_EUlSW_E_NS1_11comp_targetILNS1_3genE5ELNS1_11target_archE942ELNS1_3gpuE9ELNS1_3repE0EEENS1_30default_config_static_selectorELNS0_4arch9wavefront6targetE0EEEvT1_
    .private_segment_fixed_size: 0
    .sgpr_count:     0
    .sgpr_spill_count: 0
    .symbol:         _ZN7rocprim17ROCPRIM_400000_NS6detail17trampoline_kernelINS0_14default_configENS1_33run_length_encode_config_selectorIN3c104HalfEjNS0_4plusIjEEEEZZNS1_33reduce_by_key_impl_wrapped_configILNS1_25lookback_scan_determinismE0ES3_S9_PKS6_NS0_17constant_iteratorIjlEEPS6_PlSH_S8_NS0_8equal_toIS6_EEEE10hipError_tPvRmT2_T3_mT4_T5_T6_T7_T8_P12ihipStream_tbENKUlT_T0_E_clISt17integral_constantIbLb0EES11_EEDaSW_SX_EUlSW_E_NS1_11comp_targetILNS1_3genE5ELNS1_11target_archE942ELNS1_3gpuE9ELNS1_3repE0EEENS1_30default_config_static_selectorELNS0_4arch9wavefront6targetE0EEEvT1_.kd
    .uniform_work_group_size: 1
    .uses_dynamic_stack: false
    .vgpr_count:     0
    .vgpr_spill_count: 0
    .wavefront_size: 32
  - .args:
      - .offset:         0
        .size:           128
        .value_kind:     by_value
    .group_segment_fixed_size: 0
    .kernarg_segment_align: 8
    .kernarg_segment_size: 128
    .language:       OpenCL C
    .language_version:
      - 2
      - 0
    .max_flat_workgroup_size: 256
    .name:           _ZN7rocprim17ROCPRIM_400000_NS6detail17trampoline_kernelINS0_14default_configENS1_33run_length_encode_config_selectorIN3c104HalfEjNS0_4plusIjEEEEZZNS1_33reduce_by_key_impl_wrapped_configILNS1_25lookback_scan_determinismE0ES3_S9_PKS6_NS0_17constant_iteratorIjlEEPS6_PlSH_S8_NS0_8equal_toIS6_EEEE10hipError_tPvRmT2_T3_mT4_T5_T6_T7_T8_P12ihipStream_tbENKUlT_T0_E_clISt17integral_constantIbLb0EES11_EEDaSW_SX_EUlSW_E_NS1_11comp_targetILNS1_3genE4ELNS1_11target_archE910ELNS1_3gpuE8ELNS1_3repE0EEENS1_30default_config_static_selectorELNS0_4arch9wavefront6targetE0EEEvT1_
    .private_segment_fixed_size: 0
    .sgpr_count:     0
    .sgpr_spill_count: 0
    .symbol:         _ZN7rocprim17ROCPRIM_400000_NS6detail17trampoline_kernelINS0_14default_configENS1_33run_length_encode_config_selectorIN3c104HalfEjNS0_4plusIjEEEEZZNS1_33reduce_by_key_impl_wrapped_configILNS1_25lookback_scan_determinismE0ES3_S9_PKS6_NS0_17constant_iteratorIjlEEPS6_PlSH_S8_NS0_8equal_toIS6_EEEE10hipError_tPvRmT2_T3_mT4_T5_T6_T7_T8_P12ihipStream_tbENKUlT_T0_E_clISt17integral_constantIbLb0EES11_EEDaSW_SX_EUlSW_E_NS1_11comp_targetILNS1_3genE4ELNS1_11target_archE910ELNS1_3gpuE8ELNS1_3repE0EEENS1_30default_config_static_selectorELNS0_4arch9wavefront6targetE0EEEvT1_.kd
    .uniform_work_group_size: 1
    .uses_dynamic_stack: false
    .vgpr_count:     0
    .vgpr_spill_count: 0
    .wavefront_size: 32
  - .args:
      - .offset:         0
        .size:           128
        .value_kind:     by_value
    .group_segment_fixed_size: 0
    .kernarg_segment_align: 8
    .kernarg_segment_size: 128
    .language:       OpenCL C
    .language_version:
      - 2
      - 0
    .max_flat_workgroup_size: 256
    .name:           _ZN7rocprim17ROCPRIM_400000_NS6detail17trampoline_kernelINS0_14default_configENS1_33run_length_encode_config_selectorIN3c104HalfEjNS0_4plusIjEEEEZZNS1_33reduce_by_key_impl_wrapped_configILNS1_25lookback_scan_determinismE0ES3_S9_PKS6_NS0_17constant_iteratorIjlEEPS6_PlSH_S8_NS0_8equal_toIS6_EEEE10hipError_tPvRmT2_T3_mT4_T5_T6_T7_T8_P12ihipStream_tbENKUlT_T0_E_clISt17integral_constantIbLb0EES11_EEDaSW_SX_EUlSW_E_NS1_11comp_targetILNS1_3genE3ELNS1_11target_archE908ELNS1_3gpuE7ELNS1_3repE0EEENS1_30default_config_static_selectorELNS0_4arch9wavefront6targetE0EEEvT1_
    .private_segment_fixed_size: 0
    .sgpr_count:     0
    .sgpr_spill_count: 0
    .symbol:         _ZN7rocprim17ROCPRIM_400000_NS6detail17trampoline_kernelINS0_14default_configENS1_33run_length_encode_config_selectorIN3c104HalfEjNS0_4plusIjEEEEZZNS1_33reduce_by_key_impl_wrapped_configILNS1_25lookback_scan_determinismE0ES3_S9_PKS6_NS0_17constant_iteratorIjlEEPS6_PlSH_S8_NS0_8equal_toIS6_EEEE10hipError_tPvRmT2_T3_mT4_T5_T6_T7_T8_P12ihipStream_tbENKUlT_T0_E_clISt17integral_constantIbLb0EES11_EEDaSW_SX_EUlSW_E_NS1_11comp_targetILNS1_3genE3ELNS1_11target_archE908ELNS1_3gpuE7ELNS1_3repE0EEENS1_30default_config_static_selectorELNS0_4arch9wavefront6targetE0EEEvT1_.kd
    .uniform_work_group_size: 1
    .uses_dynamic_stack: false
    .vgpr_count:     0
    .vgpr_spill_count: 0
    .wavefront_size: 32
  - .args:
      - .offset:         0
        .size:           128
        .value_kind:     by_value
    .group_segment_fixed_size: 0
    .kernarg_segment_align: 8
    .kernarg_segment_size: 128
    .language:       OpenCL C
    .language_version:
      - 2
      - 0
    .max_flat_workgroup_size: 256
    .name:           _ZN7rocprim17ROCPRIM_400000_NS6detail17trampoline_kernelINS0_14default_configENS1_33run_length_encode_config_selectorIN3c104HalfEjNS0_4plusIjEEEEZZNS1_33reduce_by_key_impl_wrapped_configILNS1_25lookback_scan_determinismE0ES3_S9_PKS6_NS0_17constant_iteratorIjlEEPS6_PlSH_S8_NS0_8equal_toIS6_EEEE10hipError_tPvRmT2_T3_mT4_T5_T6_T7_T8_P12ihipStream_tbENKUlT_T0_E_clISt17integral_constantIbLb0EES11_EEDaSW_SX_EUlSW_E_NS1_11comp_targetILNS1_3genE2ELNS1_11target_archE906ELNS1_3gpuE6ELNS1_3repE0EEENS1_30default_config_static_selectorELNS0_4arch9wavefront6targetE0EEEvT1_
    .private_segment_fixed_size: 0
    .sgpr_count:     0
    .sgpr_spill_count: 0
    .symbol:         _ZN7rocprim17ROCPRIM_400000_NS6detail17trampoline_kernelINS0_14default_configENS1_33run_length_encode_config_selectorIN3c104HalfEjNS0_4plusIjEEEEZZNS1_33reduce_by_key_impl_wrapped_configILNS1_25lookback_scan_determinismE0ES3_S9_PKS6_NS0_17constant_iteratorIjlEEPS6_PlSH_S8_NS0_8equal_toIS6_EEEE10hipError_tPvRmT2_T3_mT4_T5_T6_T7_T8_P12ihipStream_tbENKUlT_T0_E_clISt17integral_constantIbLb0EES11_EEDaSW_SX_EUlSW_E_NS1_11comp_targetILNS1_3genE2ELNS1_11target_archE906ELNS1_3gpuE6ELNS1_3repE0EEENS1_30default_config_static_selectorELNS0_4arch9wavefront6targetE0EEEvT1_.kd
    .uniform_work_group_size: 1
    .uses_dynamic_stack: false
    .vgpr_count:     0
    .vgpr_spill_count: 0
    .wavefront_size: 32
  - .args:
      - .offset:         0
        .size:           128
        .value_kind:     by_value
    .group_segment_fixed_size: 0
    .kernarg_segment_align: 8
    .kernarg_segment_size: 128
    .language:       OpenCL C
    .language_version:
      - 2
      - 0
    .max_flat_workgroup_size: 256
    .name:           _ZN7rocprim17ROCPRIM_400000_NS6detail17trampoline_kernelINS0_14default_configENS1_33run_length_encode_config_selectorIN3c104HalfEjNS0_4plusIjEEEEZZNS1_33reduce_by_key_impl_wrapped_configILNS1_25lookback_scan_determinismE0ES3_S9_PKS6_NS0_17constant_iteratorIjlEEPS6_PlSH_S8_NS0_8equal_toIS6_EEEE10hipError_tPvRmT2_T3_mT4_T5_T6_T7_T8_P12ihipStream_tbENKUlT_T0_E_clISt17integral_constantIbLb0EES11_EEDaSW_SX_EUlSW_E_NS1_11comp_targetILNS1_3genE10ELNS1_11target_archE1201ELNS1_3gpuE5ELNS1_3repE0EEENS1_30default_config_static_selectorELNS0_4arch9wavefront6targetE0EEEvT1_
    .private_segment_fixed_size: 0
    .sgpr_count:     0
    .sgpr_spill_count: 0
    .symbol:         _ZN7rocprim17ROCPRIM_400000_NS6detail17trampoline_kernelINS0_14default_configENS1_33run_length_encode_config_selectorIN3c104HalfEjNS0_4plusIjEEEEZZNS1_33reduce_by_key_impl_wrapped_configILNS1_25lookback_scan_determinismE0ES3_S9_PKS6_NS0_17constant_iteratorIjlEEPS6_PlSH_S8_NS0_8equal_toIS6_EEEE10hipError_tPvRmT2_T3_mT4_T5_T6_T7_T8_P12ihipStream_tbENKUlT_T0_E_clISt17integral_constantIbLb0EES11_EEDaSW_SX_EUlSW_E_NS1_11comp_targetILNS1_3genE10ELNS1_11target_archE1201ELNS1_3gpuE5ELNS1_3repE0EEENS1_30default_config_static_selectorELNS0_4arch9wavefront6targetE0EEEvT1_.kd
    .uniform_work_group_size: 1
    .uses_dynamic_stack: false
    .vgpr_count:     0
    .vgpr_spill_count: 0
    .wavefront_size: 32
  - .args:
      - .offset:         0
        .size:           128
        .value_kind:     by_value
    .group_segment_fixed_size: 0
    .kernarg_segment_align: 8
    .kernarg_segment_size: 128
    .language:       OpenCL C
    .language_version:
      - 2
      - 0
    .max_flat_workgroup_size: 256
    .name:           _ZN7rocprim17ROCPRIM_400000_NS6detail17trampoline_kernelINS0_14default_configENS1_33run_length_encode_config_selectorIN3c104HalfEjNS0_4plusIjEEEEZZNS1_33reduce_by_key_impl_wrapped_configILNS1_25lookback_scan_determinismE0ES3_S9_PKS6_NS0_17constant_iteratorIjlEEPS6_PlSH_S8_NS0_8equal_toIS6_EEEE10hipError_tPvRmT2_T3_mT4_T5_T6_T7_T8_P12ihipStream_tbENKUlT_T0_E_clISt17integral_constantIbLb0EES11_EEDaSW_SX_EUlSW_E_NS1_11comp_targetILNS1_3genE10ELNS1_11target_archE1200ELNS1_3gpuE4ELNS1_3repE0EEENS1_30default_config_static_selectorELNS0_4arch9wavefront6targetE0EEEvT1_
    .private_segment_fixed_size: 0
    .sgpr_count:     0
    .sgpr_spill_count: 0
    .symbol:         _ZN7rocprim17ROCPRIM_400000_NS6detail17trampoline_kernelINS0_14default_configENS1_33run_length_encode_config_selectorIN3c104HalfEjNS0_4plusIjEEEEZZNS1_33reduce_by_key_impl_wrapped_configILNS1_25lookback_scan_determinismE0ES3_S9_PKS6_NS0_17constant_iteratorIjlEEPS6_PlSH_S8_NS0_8equal_toIS6_EEEE10hipError_tPvRmT2_T3_mT4_T5_T6_T7_T8_P12ihipStream_tbENKUlT_T0_E_clISt17integral_constantIbLb0EES11_EEDaSW_SX_EUlSW_E_NS1_11comp_targetILNS1_3genE10ELNS1_11target_archE1200ELNS1_3gpuE4ELNS1_3repE0EEENS1_30default_config_static_selectorELNS0_4arch9wavefront6targetE0EEEvT1_.kd
    .uniform_work_group_size: 1
    .uses_dynamic_stack: false
    .vgpr_count:     0
    .vgpr_spill_count: 0
    .wavefront_size: 32
  - .args:
      - .offset:         0
        .size:           128
        .value_kind:     by_value
    .group_segment_fixed_size: 0
    .kernarg_segment_align: 8
    .kernarg_segment_size: 128
    .language:       OpenCL C
    .language_version:
      - 2
      - 0
    .max_flat_workgroup_size: 256
    .name:           _ZN7rocprim17ROCPRIM_400000_NS6detail17trampoline_kernelINS0_14default_configENS1_33run_length_encode_config_selectorIN3c104HalfEjNS0_4plusIjEEEEZZNS1_33reduce_by_key_impl_wrapped_configILNS1_25lookback_scan_determinismE0ES3_S9_PKS6_NS0_17constant_iteratorIjlEEPS6_PlSH_S8_NS0_8equal_toIS6_EEEE10hipError_tPvRmT2_T3_mT4_T5_T6_T7_T8_P12ihipStream_tbENKUlT_T0_E_clISt17integral_constantIbLb0EES11_EEDaSW_SX_EUlSW_E_NS1_11comp_targetILNS1_3genE9ELNS1_11target_archE1100ELNS1_3gpuE3ELNS1_3repE0EEENS1_30default_config_static_selectorELNS0_4arch9wavefront6targetE0EEEvT1_
    .private_segment_fixed_size: 0
    .sgpr_count:     0
    .sgpr_spill_count: 0
    .symbol:         _ZN7rocprim17ROCPRIM_400000_NS6detail17trampoline_kernelINS0_14default_configENS1_33run_length_encode_config_selectorIN3c104HalfEjNS0_4plusIjEEEEZZNS1_33reduce_by_key_impl_wrapped_configILNS1_25lookback_scan_determinismE0ES3_S9_PKS6_NS0_17constant_iteratorIjlEEPS6_PlSH_S8_NS0_8equal_toIS6_EEEE10hipError_tPvRmT2_T3_mT4_T5_T6_T7_T8_P12ihipStream_tbENKUlT_T0_E_clISt17integral_constantIbLb0EES11_EEDaSW_SX_EUlSW_E_NS1_11comp_targetILNS1_3genE9ELNS1_11target_archE1100ELNS1_3gpuE3ELNS1_3repE0EEENS1_30default_config_static_selectorELNS0_4arch9wavefront6targetE0EEEvT1_.kd
    .uniform_work_group_size: 1
    .uses_dynamic_stack: false
    .vgpr_count:     0
    .vgpr_spill_count: 0
    .wavefront_size: 32
  - .args:
      - .offset:         0
        .size:           128
        .value_kind:     by_value
    .group_segment_fixed_size: 0
    .kernarg_segment_align: 8
    .kernarg_segment_size: 128
    .language:       OpenCL C
    .language_version:
      - 2
      - 0
    .max_flat_workgroup_size: 256
    .name:           _ZN7rocprim17ROCPRIM_400000_NS6detail17trampoline_kernelINS0_14default_configENS1_33run_length_encode_config_selectorIN3c104HalfEjNS0_4plusIjEEEEZZNS1_33reduce_by_key_impl_wrapped_configILNS1_25lookback_scan_determinismE0ES3_S9_PKS6_NS0_17constant_iteratorIjlEEPS6_PlSH_S8_NS0_8equal_toIS6_EEEE10hipError_tPvRmT2_T3_mT4_T5_T6_T7_T8_P12ihipStream_tbENKUlT_T0_E_clISt17integral_constantIbLb0EES11_EEDaSW_SX_EUlSW_E_NS1_11comp_targetILNS1_3genE8ELNS1_11target_archE1030ELNS1_3gpuE2ELNS1_3repE0EEENS1_30default_config_static_selectorELNS0_4arch9wavefront6targetE0EEEvT1_
    .private_segment_fixed_size: 0
    .sgpr_count:     0
    .sgpr_spill_count: 0
    .symbol:         _ZN7rocprim17ROCPRIM_400000_NS6detail17trampoline_kernelINS0_14default_configENS1_33run_length_encode_config_selectorIN3c104HalfEjNS0_4plusIjEEEEZZNS1_33reduce_by_key_impl_wrapped_configILNS1_25lookback_scan_determinismE0ES3_S9_PKS6_NS0_17constant_iteratorIjlEEPS6_PlSH_S8_NS0_8equal_toIS6_EEEE10hipError_tPvRmT2_T3_mT4_T5_T6_T7_T8_P12ihipStream_tbENKUlT_T0_E_clISt17integral_constantIbLb0EES11_EEDaSW_SX_EUlSW_E_NS1_11comp_targetILNS1_3genE8ELNS1_11target_archE1030ELNS1_3gpuE2ELNS1_3repE0EEENS1_30default_config_static_selectorELNS0_4arch9wavefront6targetE0EEEvT1_.kd
    .uniform_work_group_size: 1
    .uses_dynamic_stack: false
    .vgpr_count:     0
    .vgpr_spill_count: 0
    .wavefront_size: 32
  - .args:
      - .offset:         0
        .size:           128
        .value_kind:     by_value
    .group_segment_fixed_size: 0
    .kernarg_segment_align: 8
    .kernarg_segment_size: 128
    .language:       OpenCL C
    .language_version:
      - 2
      - 0
    .max_flat_workgroup_size: 256
    .name:           _ZN7rocprim17ROCPRIM_400000_NS6detail17trampoline_kernelINS0_14default_configENS1_33run_length_encode_config_selectorIN3c104HalfEjNS0_4plusIjEEEEZZNS1_33reduce_by_key_impl_wrapped_configILNS1_25lookback_scan_determinismE0ES3_S9_PKS6_NS0_17constant_iteratorIjlEEPS6_PlSH_S8_NS0_8equal_toIS6_EEEE10hipError_tPvRmT2_T3_mT4_T5_T6_T7_T8_P12ihipStream_tbENKUlT_T0_E_clISt17integral_constantIbLb1EES11_EEDaSW_SX_EUlSW_E_NS1_11comp_targetILNS1_3genE0ELNS1_11target_archE4294967295ELNS1_3gpuE0ELNS1_3repE0EEENS1_30default_config_static_selectorELNS0_4arch9wavefront6targetE0EEEvT1_
    .private_segment_fixed_size: 0
    .sgpr_count:     0
    .sgpr_spill_count: 0
    .symbol:         _ZN7rocprim17ROCPRIM_400000_NS6detail17trampoline_kernelINS0_14default_configENS1_33run_length_encode_config_selectorIN3c104HalfEjNS0_4plusIjEEEEZZNS1_33reduce_by_key_impl_wrapped_configILNS1_25lookback_scan_determinismE0ES3_S9_PKS6_NS0_17constant_iteratorIjlEEPS6_PlSH_S8_NS0_8equal_toIS6_EEEE10hipError_tPvRmT2_T3_mT4_T5_T6_T7_T8_P12ihipStream_tbENKUlT_T0_E_clISt17integral_constantIbLb1EES11_EEDaSW_SX_EUlSW_E_NS1_11comp_targetILNS1_3genE0ELNS1_11target_archE4294967295ELNS1_3gpuE0ELNS1_3repE0EEENS1_30default_config_static_selectorELNS0_4arch9wavefront6targetE0EEEvT1_.kd
    .uniform_work_group_size: 1
    .uses_dynamic_stack: false
    .vgpr_count:     0
    .vgpr_spill_count: 0
    .wavefront_size: 32
  - .args:
      - .offset:         0
        .size:           128
        .value_kind:     by_value
    .group_segment_fixed_size: 0
    .kernarg_segment_align: 8
    .kernarg_segment_size: 128
    .language:       OpenCL C
    .language_version:
      - 2
      - 0
    .max_flat_workgroup_size: 256
    .name:           _ZN7rocprim17ROCPRIM_400000_NS6detail17trampoline_kernelINS0_14default_configENS1_33run_length_encode_config_selectorIN3c104HalfEjNS0_4plusIjEEEEZZNS1_33reduce_by_key_impl_wrapped_configILNS1_25lookback_scan_determinismE0ES3_S9_PKS6_NS0_17constant_iteratorIjlEEPS6_PlSH_S8_NS0_8equal_toIS6_EEEE10hipError_tPvRmT2_T3_mT4_T5_T6_T7_T8_P12ihipStream_tbENKUlT_T0_E_clISt17integral_constantIbLb1EES11_EEDaSW_SX_EUlSW_E_NS1_11comp_targetILNS1_3genE5ELNS1_11target_archE942ELNS1_3gpuE9ELNS1_3repE0EEENS1_30default_config_static_selectorELNS0_4arch9wavefront6targetE0EEEvT1_
    .private_segment_fixed_size: 0
    .sgpr_count:     0
    .sgpr_spill_count: 0
    .symbol:         _ZN7rocprim17ROCPRIM_400000_NS6detail17trampoline_kernelINS0_14default_configENS1_33run_length_encode_config_selectorIN3c104HalfEjNS0_4plusIjEEEEZZNS1_33reduce_by_key_impl_wrapped_configILNS1_25lookback_scan_determinismE0ES3_S9_PKS6_NS0_17constant_iteratorIjlEEPS6_PlSH_S8_NS0_8equal_toIS6_EEEE10hipError_tPvRmT2_T3_mT4_T5_T6_T7_T8_P12ihipStream_tbENKUlT_T0_E_clISt17integral_constantIbLb1EES11_EEDaSW_SX_EUlSW_E_NS1_11comp_targetILNS1_3genE5ELNS1_11target_archE942ELNS1_3gpuE9ELNS1_3repE0EEENS1_30default_config_static_selectorELNS0_4arch9wavefront6targetE0EEEvT1_.kd
    .uniform_work_group_size: 1
    .uses_dynamic_stack: false
    .vgpr_count:     0
    .vgpr_spill_count: 0
    .wavefront_size: 32
  - .args:
      - .offset:         0
        .size:           128
        .value_kind:     by_value
    .group_segment_fixed_size: 0
    .kernarg_segment_align: 8
    .kernarg_segment_size: 128
    .language:       OpenCL C
    .language_version:
      - 2
      - 0
    .max_flat_workgroup_size: 256
    .name:           _ZN7rocprim17ROCPRIM_400000_NS6detail17trampoline_kernelINS0_14default_configENS1_33run_length_encode_config_selectorIN3c104HalfEjNS0_4plusIjEEEEZZNS1_33reduce_by_key_impl_wrapped_configILNS1_25lookback_scan_determinismE0ES3_S9_PKS6_NS0_17constant_iteratorIjlEEPS6_PlSH_S8_NS0_8equal_toIS6_EEEE10hipError_tPvRmT2_T3_mT4_T5_T6_T7_T8_P12ihipStream_tbENKUlT_T0_E_clISt17integral_constantIbLb1EES11_EEDaSW_SX_EUlSW_E_NS1_11comp_targetILNS1_3genE4ELNS1_11target_archE910ELNS1_3gpuE8ELNS1_3repE0EEENS1_30default_config_static_selectorELNS0_4arch9wavefront6targetE0EEEvT1_
    .private_segment_fixed_size: 0
    .sgpr_count:     0
    .sgpr_spill_count: 0
    .symbol:         _ZN7rocprim17ROCPRIM_400000_NS6detail17trampoline_kernelINS0_14default_configENS1_33run_length_encode_config_selectorIN3c104HalfEjNS0_4plusIjEEEEZZNS1_33reduce_by_key_impl_wrapped_configILNS1_25lookback_scan_determinismE0ES3_S9_PKS6_NS0_17constant_iteratorIjlEEPS6_PlSH_S8_NS0_8equal_toIS6_EEEE10hipError_tPvRmT2_T3_mT4_T5_T6_T7_T8_P12ihipStream_tbENKUlT_T0_E_clISt17integral_constantIbLb1EES11_EEDaSW_SX_EUlSW_E_NS1_11comp_targetILNS1_3genE4ELNS1_11target_archE910ELNS1_3gpuE8ELNS1_3repE0EEENS1_30default_config_static_selectorELNS0_4arch9wavefront6targetE0EEEvT1_.kd
    .uniform_work_group_size: 1
    .uses_dynamic_stack: false
    .vgpr_count:     0
    .vgpr_spill_count: 0
    .wavefront_size: 32
  - .args:
      - .offset:         0
        .size:           128
        .value_kind:     by_value
    .group_segment_fixed_size: 0
    .kernarg_segment_align: 8
    .kernarg_segment_size: 128
    .language:       OpenCL C
    .language_version:
      - 2
      - 0
    .max_flat_workgroup_size: 256
    .name:           _ZN7rocprim17ROCPRIM_400000_NS6detail17trampoline_kernelINS0_14default_configENS1_33run_length_encode_config_selectorIN3c104HalfEjNS0_4plusIjEEEEZZNS1_33reduce_by_key_impl_wrapped_configILNS1_25lookback_scan_determinismE0ES3_S9_PKS6_NS0_17constant_iteratorIjlEEPS6_PlSH_S8_NS0_8equal_toIS6_EEEE10hipError_tPvRmT2_T3_mT4_T5_T6_T7_T8_P12ihipStream_tbENKUlT_T0_E_clISt17integral_constantIbLb1EES11_EEDaSW_SX_EUlSW_E_NS1_11comp_targetILNS1_3genE3ELNS1_11target_archE908ELNS1_3gpuE7ELNS1_3repE0EEENS1_30default_config_static_selectorELNS0_4arch9wavefront6targetE0EEEvT1_
    .private_segment_fixed_size: 0
    .sgpr_count:     0
    .sgpr_spill_count: 0
    .symbol:         _ZN7rocprim17ROCPRIM_400000_NS6detail17trampoline_kernelINS0_14default_configENS1_33run_length_encode_config_selectorIN3c104HalfEjNS0_4plusIjEEEEZZNS1_33reduce_by_key_impl_wrapped_configILNS1_25lookback_scan_determinismE0ES3_S9_PKS6_NS0_17constant_iteratorIjlEEPS6_PlSH_S8_NS0_8equal_toIS6_EEEE10hipError_tPvRmT2_T3_mT4_T5_T6_T7_T8_P12ihipStream_tbENKUlT_T0_E_clISt17integral_constantIbLb1EES11_EEDaSW_SX_EUlSW_E_NS1_11comp_targetILNS1_3genE3ELNS1_11target_archE908ELNS1_3gpuE7ELNS1_3repE0EEENS1_30default_config_static_selectorELNS0_4arch9wavefront6targetE0EEEvT1_.kd
    .uniform_work_group_size: 1
    .uses_dynamic_stack: false
    .vgpr_count:     0
    .vgpr_spill_count: 0
    .wavefront_size: 32
  - .args:
      - .offset:         0
        .size:           128
        .value_kind:     by_value
    .group_segment_fixed_size: 0
    .kernarg_segment_align: 8
    .kernarg_segment_size: 128
    .language:       OpenCL C
    .language_version:
      - 2
      - 0
    .max_flat_workgroup_size: 256
    .name:           _ZN7rocprim17ROCPRIM_400000_NS6detail17trampoline_kernelINS0_14default_configENS1_33run_length_encode_config_selectorIN3c104HalfEjNS0_4plusIjEEEEZZNS1_33reduce_by_key_impl_wrapped_configILNS1_25lookback_scan_determinismE0ES3_S9_PKS6_NS0_17constant_iteratorIjlEEPS6_PlSH_S8_NS0_8equal_toIS6_EEEE10hipError_tPvRmT2_T3_mT4_T5_T6_T7_T8_P12ihipStream_tbENKUlT_T0_E_clISt17integral_constantIbLb1EES11_EEDaSW_SX_EUlSW_E_NS1_11comp_targetILNS1_3genE2ELNS1_11target_archE906ELNS1_3gpuE6ELNS1_3repE0EEENS1_30default_config_static_selectorELNS0_4arch9wavefront6targetE0EEEvT1_
    .private_segment_fixed_size: 0
    .sgpr_count:     0
    .sgpr_spill_count: 0
    .symbol:         _ZN7rocprim17ROCPRIM_400000_NS6detail17trampoline_kernelINS0_14default_configENS1_33run_length_encode_config_selectorIN3c104HalfEjNS0_4plusIjEEEEZZNS1_33reduce_by_key_impl_wrapped_configILNS1_25lookback_scan_determinismE0ES3_S9_PKS6_NS0_17constant_iteratorIjlEEPS6_PlSH_S8_NS0_8equal_toIS6_EEEE10hipError_tPvRmT2_T3_mT4_T5_T6_T7_T8_P12ihipStream_tbENKUlT_T0_E_clISt17integral_constantIbLb1EES11_EEDaSW_SX_EUlSW_E_NS1_11comp_targetILNS1_3genE2ELNS1_11target_archE906ELNS1_3gpuE6ELNS1_3repE0EEENS1_30default_config_static_selectorELNS0_4arch9wavefront6targetE0EEEvT1_.kd
    .uniform_work_group_size: 1
    .uses_dynamic_stack: false
    .vgpr_count:     0
    .vgpr_spill_count: 0
    .wavefront_size: 32
  - .args:
      - .offset:         0
        .size:           128
        .value_kind:     by_value
    .group_segment_fixed_size: 0
    .kernarg_segment_align: 8
    .kernarg_segment_size: 128
    .language:       OpenCL C
    .language_version:
      - 2
      - 0
    .max_flat_workgroup_size: 256
    .name:           _ZN7rocprim17ROCPRIM_400000_NS6detail17trampoline_kernelINS0_14default_configENS1_33run_length_encode_config_selectorIN3c104HalfEjNS0_4plusIjEEEEZZNS1_33reduce_by_key_impl_wrapped_configILNS1_25lookback_scan_determinismE0ES3_S9_PKS6_NS0_17constant_iteratorIjlEEPS6_PlSH_S8_NS0_8equal_toIS6_EEEE10hipError_tPvRmT2_T3_mT4_T5_T6_T7_T8_P12ihipStream_tbENKUlT_T0_E_clISt17integral_constantIbLb1EES11_EEDaSW_SX_EUlSW_E_NS1_11comp_targetILNS1_3genE10ELNS1_11target_archE1201ELNS1_3gpuE5ELNS1_3repE0EEENS1_30default_config_static_selectorELNS0_4arch9wavefront6targetE0EEEvT1_
    .private_segment_fixed_size: 0
    .sgpr_count:     0
    .sgpr_spill_count: 0
    .symbol:         _ZN7rocprim17ROCPRIM_400000_NS6detail17trampoline_kernelINS0_14default_configENS1_33run_length_encode_config_selectorIN3c104HalfEjNS0_4plusIjEEEEZZNS1_33reduce_by_key_impl_wrapped_configILNS1_25lookback_scan_determinismE0ES3_S9_PKS6_NS0_17constant_iteratorIjlEEPS6_PlSH_S8_NS0_8equal_toIS6_EEEE10hipError_tPvRmT2_T3_mT4_T5_T6_T7_T8_P12ihipStream_tbENKUlT_T0_E_clISt17integral_constantIbLb1EES11_EEDaSW_SX_EUlSW_E_NS1_11comp_targetILNS1_3genE10ELNS1_11target_archE1201ELNS1_3gpuE5ELNS1_3repE0EEENS1_30default_config_static_selectorELNS0_4arch9wavefront6targetE0EEEvT1_.kd
    .uniform_work_group_size: 1
    .uses_dynamic_stack: false
    .vgpr_count:     0
    .vgpr_spill_count: 0
    .wavefront_size: 32
  - .args:
      - .offset:         0
        .size:           128
        .value_kind:     by_value
    .group_segment_fixed_size: 0
    .kernarg_segment_align: 8
    .kernarg_segment_size: 128
    .language:       OpenCL C
    .language_version:
      - 2
      - 0
    .max_flat_workgroup_size: 256
    .name:           _ZN7rocprim17ROCPRIM_400000_NS6detail17trampoline_kernelINS0_14default_configENS1_33run_length_encode_config_selectorIN3c104HalfEjNS0_4plusIjEEEEZZNS1_33reduce_by_key_impl_wrapped_configILNS1_25lookback_scan_determinismE0ES3_S9_PKS6_NS0_17constant_iteratorIjlEEPS6_PlSH_S8_NS0_8equal_toIS6_EEEE10hipError_tPvRmT2_T3_mT4_T5_T6_T7_T8_P12ihipStream_tbENKUlT_T0_E_clISt17integral_constantIbLb1EES11_EEDaSW_SX_EUlSW_E_NS1_11comp_targetILNS1_3genE10ELNS1_11target_archE1200ELNS1_3gpuE4ELNS1_3repE0EEENS1_30default_config_static_selectorELNS0_4arch9wavefront6targetE0EEEvT1_
    .private_segment_fixed_size: 0
    .sgpr_count:     0
    .sgpr_spill_count: 0
    .symbol:         _ZN7rocprim17ROCPRIM_400000_NS6detail17trampoline_kernelINS0_14default_configENS1_33run_length_encode_config_selectorIN3c104HalfEjNS0_4plusIjEEEEZZNS1_33reduce_by_key_impl_wrapped_configILNS1_25lookback_scan_determinismE0ES3_S9_PKS6_NS0_17constant_iteratorIjlEEPS6_PlSH_S8_NS0_8equal_toIS6_EEEE10hipError_tPvRmT2_T3_mT4_T5_T6_T7_T8_P12ihipStream_tbENKUlT_T0_E_clISt17integral_constantIbLb1EES11_EEDaSW_SX_EUlSW_E_NS1_11comp_targetILNS1_3genE10ELNS1_11target_archE1200ELNS1_3gpuE4ELNS1_3repE0EEENS1_30default_config_static_selectorELNS0_4arch9wavefront6targetE0EEEvT1_.kd
    .uniform_work_group_size: 1
    .uses_dynamic_stack: false
    .vgpr_count:     0
    .vgpr_spill_count: 0
    .wavefront_size: 32
  - .args:
      - .offset:         0
        .size:           128
        .value_kind:     by_value
    .group_segment_fixed_size: 0
    .kernarg_segment_align: 8
    .kernarg_segment_size: 128
    .language:       OpenCL C
    .language_version:
      - 2
      - 0
    .max_flat_workgroup_size: 256
    .name:           _ZN7rocprim17ROCPRIM_400000_NS6detail17trampoline_kernelINS0_14default_configENS1_33run_length_encode_config_selectorIN3c104HalfEjNS0_4plusIjEEEEZZNS1_33reduce_by_key_impl_wrapped_configILNS1_25lookback_scan_determinismE0ES3_S9_PKS6_NS0_17constant_iteratorIjlEEPS6_PlSH_S8_NS0_8equal_toIS6_EEEE10hipError_tPvRmT2_T3_mT4_T5_T6_T7_T8_P12ihipStream_tbENKUlT_T0_E_clISt17integral_constantIbLb1EES11_EEDaSW_SX_EUlSW_E_NS1_11comp_targetILNS1_3genE9ELNS1_11target_archE1100ELNS1_3gpuE3ELNS1_3repE0EEENS1_30default_config_static_selectorELNS0_4arch9wavefront6targetE0EEEvT1_
    .private_segment_fixed_size: 0
    .sgpr_count:     0
    .sgpr_spill_count: 0
    .symbol:         _ZN7rocprim17ROCPRIM_400000_NS6detail17trampoline_kernelINS0_14default_configENS1_33run_length_encode_config_selectorIN3c104HalfEjNS0_4plusIjEEEEZZNS1_33reduce_by_key_impl_wrapped_configILNS1_25lookback_scan_determinismE0ES3_S9_PKS6_NS0_17constant_iteratorIjlEEPS6_PlSH_S8_NS0_8equal_toIS6_EEEE10hipError_tPvRmT2_T3_mT4_T5_T6_T7_T8_P12ihipStream_tbENKUlT_T0_E_clISt17integral_constantIbLb1EES11_EEDaSW_SX_EUlSW_E_NS1_11comp_targetILNS1_3genE9ELNS1_11target_archE1100ELNS1_3gpuE3ELNS1_3repE0EEENS1_30default_config_static_selectorELNS0_4arch9wavefront6targetE0EEEvT1_.kd
    .uniform_work_group_size: 1
    .uses_dynamic_stack: false
    .vgpr_count:     0
    .vgpr_spill_count: 0
    .wavefront_size: 32
  - .args:
      - .offset:         0
        .size:           128
        .value_kind:     by_value
    .group_segment_fixed_size: 0
    .kernarg_segment_align: 8
    .kernarg_segment_size: 128
    .language:       OpenCL C
    .language_version:
      - 2
      - 0
    .max_flat_workgroup_size: 256
    .name:           _ZN7rocprim17ROCPRIM_400000_NS6detail17trampoline_kernelINS0_14default_configENS1_33run_length_encode_config_selectorIN3c104HalfEjNS0_4plusIjEEEEZZNS1_33reduce_by_key_impl_wrapped_configILNS1_25lookback_scan_determinismE0ES3_S9_PKS6_NS0_17constant_iteratorIjlEEPS6_PlSH_S8_NS0_8equal_toIS6_EEEE10hipError_tPvRmT2_T3_mT4_T5_T6_T7_T8_P12ihipStream_tbENKUlT_T0_E_clISt17integral_constantIbLb1EES11_EEDaSW_SX_EUlSW_E_NS1_11comp_targetILNS1_3genE8ELNS1_11target_archE1030ELNS1_3gpuE2ELNS1_3repE0EEENS1_30default_config_static_selectorELNS0_4arch9wavefront6targetE0EEEvT1_
    .private_segment_fixed_size: 0
    .sgpr_count:     0
    .sgpr_spill_count: 0
    .symbol:         _ZN7rocprim17ROCPRIM_400000_NS6detail17trampoline_kernelINS0_14default_configENS1_33run_length_encode_config_selectorIN3c104HalfEjNS0_4plusIjEEEEZZNS1_33reduce_by_key_impl_wrapped_configILNS1_25lookback_scan_determinismE0ES3_S9_PKS6_NS0_17constant_iteratorIjlEEPS6_PlSH_S8_NS0_8equal_toIS6_EEEE10hipError_tPvRmT2_T3_mT4_T5_T6_T7_T8_P12ihipStream_tbENKUlT_T0_E_clISt17integral_constantIbLb1EES11_EEDaSW_SX_EUlSW_E_NS1_11comp_targetILNS1_3genE8ELNS1_11target_archE1030ELNS1_3gpuE2ELNS1_3repE0EEENS1_30default_config_static_selectorELNS0_4arch9wavefront6targetE0EEEvT1_.kd
    .uniform_work_group_size: 1
    .uses_dynamic_stack: false
    .vgpr_count:     0
    .vgpr_spill_count: 0
    .wavefront_size: 32
  - .args:
      - .offset:         0
        .size:           128
        .value_kind:     by_value
    .group_segment_fixed_size: 0
    .kernarg_segment_align: 8
    .kernarg_segment_size: 128
    .language:       OpenCL C
    .language_version:
      - 2
      - 0
    .max_flat_workgroup_size: 256
    .name:           _ZN7rocprim17ROCPRIM_400000_NS6detail17trampoline_kernelINS0_14default_configENS1_33run_length_encode_config_selectorIN3c104HalfEjNS0_4plusIjEEEEZZNS1_33reduce_by_key_impl_wrapped_configILNS1_25lookback_scan_determinismE0ES3_S9_PKS6_NS0_17constant_iteratorIjlEEPS6_PlSH_S8_NS0_8equal_toIS6_EEEE10hipError_tPvRmT2_T3_mT4_T5_T6_T7_T8_P12ihipStream_tbENKUlT_T0_E_clISt17integral_constantIbLb1EES10_IbLb0EEEEDaSW_SX_EUlSW_E_NS1_11comp_targetILNS1_3genE0ELNS1_11target_archE4294967295ELNS1_3gpuE0ELNS1_3repE0EEENS1_30default_config_static_selectorELNS0_4arch9wavefront6targetE0EEEvT1_
    .private_segment_fixed_size: 0
    .sgpr_count:     0
    .sgpr_spill_count: 0
    .symbol:         _ZN7rocprim17ROCPRIM_400000_NS6detail17trampoline_kernelINS0_14default_configENS1_33run_length_encode_config_selectorIN3c104HalfEjNS0_4plusIjEEEEZZNS1_33reduce_by_key_impl_wrapped_configILNS1_25lookback_scan_determinismE0ES3_S9_PKS6_NS0_17constant_iteratorIjlEEPS6_PlSH_S8_NS0_8equal_toIS6_EEEE10hipError_tPvRmT2_T3_mT4_T5_T6_T7_T8_P12ihipStream_tbENKUlT_T0_E_clISt17integral_constantIbLb1EES10_IbLb0EEEEDaSW_SX_EUlSW_E_NS1_11comp_targetILNS1_3genE0ELNS1_11target_archE4294967295ELNS1_3gpuE0ELNS1_3repE0EEENS1_30default_config_static_selectorELNS0_4arch9wavefront6targetE0EEEvT1_.kd
    .uniform_work_group_size: 1
    .uses_dynamic_stack: false
    .vgpr_count:     0
    .vgpr_spill_count: 0
    .wavefront_size: 32
  - .args:
      - .offset:         0
        .size:           128
        .value_kind:     by_value
    .group_segment_fixed_size: 0
    .kernarg_segment_align: 8
    .kernarg_segment_size: 128
    .language:       OpenCL C
    .language_version:
      - 2
      - 0
    .max_flat_workgroup_size: 256
    .name:           _ZN7rocprim17ROCPRIM_400000_NS6detail17trampoline_kernelINS0_14default_configENS1_33run_length_encode_config_selectorIN3c104HalfEjNS0_4plusIjEEEEZZNS1_33reduce_by_key_impl_wrapped_configILNS1_25lookback_scan_determinismE0ES3_S9_PKS6_NS0_17constant_iteratorIjlEEPS6_PlSH_S8_NS0_8equal_toIS6_EEEE10hipError_tPvRmT2_T3_mT4_T5_T6_T7_T8_P12ihipStream_tbENKUlT_T0_E_clISt17integral_constantIbLb1EES10_IbLb0EEEEDaSW_SX_EUlSW_E_NS1_11comp_targetILNS1_3genE5ELNS1_11target_archE942ELNS1_3gpuE9ELNS1_3repE0EEENS1_30default_config_static_selectorELNS0_4arch9wavefront6targetE0EEEvT1_
    .private_segment_fixed_size: 0
    .sgpr_count:     0
    .sgpr_spill_count: 0
    .symbol:         _ZN7rocprim17ROCPRIM_400000_NS6detail17trampoline_kernelINS0_14default_configENS1_33run_length_encode_config_selectorIN3c104HalfEjNS0_4plusIjEEEEZZNS1_33reduce_by_key_impl_wrapped_configILNS1_25lookback_scan_determinismE0ES3_S9_PKS6_NS0_17constant_iteratorIjlEEPS6_PlSH_S8_NS0_8equal_toIS6_EEEE10hipError_tPvRmT2_T3_mT4_T5_T6_T7_T8_P12ihipStream_tbENKUlT_T0_E_clISt17integral_constantIbLb1EES10_IbLb0EEEEDaSW_SX_EUlSW_E_NS1_11comp_targetILNS1_3genE5ELNS1_11target_archE942ELNS1_3gpuE9ELNS1_3repE0EEENS1_30default_config_static_selectorELNS0_4arch9wavefront6targetE0EEEvT1_.kd
    .uniform_work_group_size: 1
    .uses_dynamic_stack: false
    .vgpr_count:     0
    .vgpr_spill_count: 0
    .wavefront_size: 32
  - .args:
      - .offset:         0
        .size:           128
        .value_kind:     by_value
    .group_segment_fixed_size: 0
    .kernarg_segment_align: 8
    .kernarg_segment_size: 128
    .language:       OpenCL C
    .language_version:
      - 2
      - 0
    .max_flat_workgroup_size: 256
    .name:           _ZN7rocprim17ROCPRIM_400000_NS6detail17trampoline_kernelINS0_14default_configENS1_33run_length_encode_config_selectorIN3c104HalfEjNS0_4plusIjEEEEZZNS1_33reduce_by_key_impl_wrapped_configILNS1_25lookback_scan_determinismE0ES3_S9_PKS6_NS0_17constant_iteratorIjlEEPS6_PlSH_S8_NS0_8equal_toIS6_EEEE10hipError_tPvRmT2_T3_mT4_T5_T6_T7_T8_P12ihipStream_tbENKUlT_T0_E_clISt17integral_constantIbLb1EES10_IbLb0EEEEDaSW_SX_EUlSW_E_NS1_11comp_targetILNS1_3genE4ELNS1_11target_archE910ELNS1_3gpuE8ELNS1_3repE0EEENS1_30default_config_static_selectorELNS0_4arch9wavefront6targetE0EEEvT1_
    .private_segment_fixed_size: 0
    .sgpr_count:     0
    .sgpr_spill_count: 0
    .symbol:         _ZN7rocprim17ROCPRIM_400000_NS6detail17trampoline_kernelINS0_14default_configENS1_33run_length_encode_config_selectorIN3c104HalfEjNS0_4plusIjEEEEZZNS1_33reduce_by_key_impl_wrapped_configILNS1_25lookback_scan_determinismE0ES3_S9_PKS6_NS0_17constant_iteratorIjlEEPS6_PlSH_S8_NS0_8equal_toIS6_EEEE10hipError_tPvRmT2_T3_mT4_T5_T6_T7_T8_P12ihipStream_tbENKUlT_T0_E_clISt17integral_constantIbLb1EES10_IbLb0EEEEDaSW_SX_EUlSW_E_NS1_11comp_targetILNS1_3genE4ELNS1_11target_archE910ELNS1_3gpuE8ELNS1_3repE0EEENS1_30default_config_static_selectorELNS0_4arch9wavefront6targetE0EEEvT1_.kd
    .uniform_work_group_size: 1
    .uses_dynamic_stack: false
    .vgpr_count:     0
    .vgpr_spill_count: 0
    .wavefront_size: 32
  - .args:
      - .offset:         0
        .size:           128
        .value_kind:     by_value
    .group_segment_fixed_size: 0
    .kernarg_segment_align: 8
    .kernarg_segment_size: 128
    .language:       OpenCL C
    .language_version:
      - 2
      - 0
    .max_flat_workgroup_size: 256
    .name:           _ZN7rocprim17ROCPRIM_400000_NS6detail17trampoline_kernelINS0_14default_configENS1_33run_length_encode_config_selectorIN3c104HalfEjNS0_4plusIjEEEEZZNS1_33reduce_by_key_impl_wrapped_configILNS1_25lookback_scan_determinismE0ES3_S9_PKS6_NS0_17constant_iteratorIjlEEPS6_PlSH_S8_NS0_8equal_toIS6_EEEE10hipError_tPvRmT2_T3_mT4_T5_T6_T7_T8_P12ihipStream_tbENKUlT_T0_E_clISt17integral_constantIbLb1EES10_IbLb0EEEEDaSW_SX_EUlSW_E_NS1_11comp_targetILNS1_3genE3ELNS1_11target_archE908ELNS1_3gpuE7ELNS1_3repE0EEENS1_30default_config_static_selectorELNS0_4arch9wavefront6targetE0EEEvT1_
    .private_segment_fixed_size: 0
    .sgpr_count:     0
    .sgpr_spill_count: 0
    .symbol:         _ZN7rocprim17ROCPRIM_400000_NS6detail17trampoline_kernelINS0_14default_configENS1_33run_length_encode_config_selectorIN3c104HalfEjNS0_4plusIjEEEEZZNS1_33reduce_by_key_impl_wrapped_configILNS1_25lookback_scan_determinismE0ES3_S9_PKS6_NS0_17constant_iteratorIjlEEPS6_PlSH_S8_NS0_8equal_toIS6_EEEE10hipError_tPvRmT2_T3_mT4_T5_T6_T7_T8_P12ihipStream_tbENKUlT_T0_E_clISt17integral_constantIbLb1EES10_IbLb0EEEEDaSW_SX_EUlSW_E_NS1_11comp_targetILNS1_3genE3ELNS1_11target_archE908ELNS1_3gpuE7ELNS1_3repE0EEENS1_30default_config_static_selectorELNS0_4arch9wavefront6targetE0EEEvT1_.kd
    .uniform_work_group_size: 1
    .uses_dynamic_stack: false
    .vgpr_count:     0
    .vgpr_spill_count: 0
    .wavefront_size: 32
  - .args:
      - .offset:         0
        .size:           128
        .value_kind:     by_value
    .group_segment_fixed_size: 0
    .kernarg_segment_align: 8
    .kernarg_segment_size: 128
    .language:       OpenCL C
    .language_version:
      - 2
      - 0
    .max_flat_workgroup_size: 256
    .name:           _ZN7rocprim17ROCPRIM_400000_NS6detail17trampoline_kernelINS0_14default_configENS1_33run_length_encode_config_selectorIN3c104HalfEjNS0_4plusIjEEEEZZNS1_33reduce_by_key_impl_wrapped_configILNS1_25lookback_scan_determinismE0ES3_S9_PKS6_NS0_17constant_iteratorIjlEEPS6_PlSH_S8_NS0_8equal_toIS6_EEEE10hipError_tPvRmT2_T3_mT4_T5_T6_T7_T8_P12ihipStream_tbENKUlT_T0_E_clISt17integral_constantIbLb1EES10_IbLb0EEEEDaSW_SX_EUlSW_E_NS1_11comp_targetILNS1_3genE2ELNS1_11target_archE906ELNS1_3gpuE6ELNS1_3repE0EEENS1_30default_config_static_selectorELNS0_4arch9wavefront6targetE0EEEvT1_
    .private_segment_fixed_size: 0
    .sgpr_count:     0
    .sgpr_spill_count: 0
    .symbol:         _ZN7rocprim17ROCPRIM_400000_NS6detail17trampoline_kernelINS0_14default_configENS1_33run_length_encode_config_selectorIN3c104HalfEjNS0_4plusIjEEEEZZNS1_33reduce_by_key_impl_wrapped_configILNS1_25lookback_scan_determinismE0ES3_S9_PKS6_NS0_17constant_iteratorIjlEEPS6_PlSH_S8_NS0_8equal_toIS6_EEEE10hipError_tPvRmT2_T3_mT4_T5_T6_T7_T8_P12ihipStream_tbENKUlT_T0_E_clISt17integral_constantIbLb1EES10_IbLb0EEEEDaSW_SX_EUlSW_E_NS1_11comp_targetILNS1_3genE2ELNS1_11target_archE906ELNS1_3gpuE6ELNS1_3repE0EEENS1_30default_config_static_selectorELNS0_4arch9wavefront6targetE0EEEvT1_.kd
    .uniform_work_group_size: 1
    .uses_dynamic_stack: false
    .vgpr_count:     0
    .vgpr_spill_count: 0
    .wavefront_size: 32
  - .args:
      - .offset:         0
        .size:           128
        .value_kind:     by_value
    .group_segment_fixed_size: 0
    .kernarg_segment_align: 8
    .kernarg_segment_size: 128
    .language:       OpenCL C
    .language_version:
      - 2
      - 0
    .max_flat_workgroup_size: 256
    .name:           _ZN7rocprim17ROCPRIM_400000_NS6detail17trampoline_kernelINS0_14default_configENS1_33run_length_encode_config_selectorIN3c104HalfEjNS0_4plusIjEEEEZZNS1_33reduce_by_key_impl_wrapped_configILNS1_25lookback_scan_determinismE0ES3_S9_PKS6_NS0_17constant_iteratorIjlEEPS6_PlSH_S8_NS0_8equal_toIS6_EEEE10hipError_tPvRmT2_T3_mT4_T5_T6_T7_T8_P12ihipStream_tbENKUlT_T0_E_clISt17integral_constantIbLb1EES10_IbLb0EEEEDaSW_SX_EUlSW_E_NS1_11comp_targetILNS1_3genE10ELNS1_11target_archE1201ELNS1_3gpuE5ELNS1_3repE0EEENS1_30default_config_static_selectorELNS0_4arch9wavefront6targetE0EEEvT1_
    .private_segment_fixed_size: 0
    .sgpr_count:     0
    .sgpr_spill_count: 0
    .symbol:         _ZN7rocprim17ROCPRIM_400000_NS6detail17trampoline_kernelINS0_14default_configENS1_33run_length_encode_config_selectorIN3c104HalfEjNS0_4plusIjEEEEZZNS1_33reduce_by_key_impl_wrapped_configILNS1_25lookback_scan_determinismE0ES3_S9_PKS6_NS0_17constant_iteratorIjlEEPS6_PlSH_S8_NS0_8equal_toIS6_EEEE10hipError_tPvRmT2_T3_mT4_T5_T6_T7_T8_P12ihipStream_tbENKUlT_T0_E_clISt17integral_constantIbLb1EES10_IbLb0EEEEDaSW_SX_EUlSW_E_NS1_11comp_targetILNS1_3genE10ELNS1_11target_archE1201ELNS1_3gpuE5ELNS1_3repE0EEENS1_30default_config_static_selectorELNS0_4arch9wavefront6targetE0EEEvT1_.kd
    .uniform_work_group_size: 1
    .uses_dynamic_stack: false
    .vgpr_count:     0
    .vgpr_spill_count: 0
    .wavefront_size: 32
  - .args:
      - .offset:         0
        .size:           128
        .value_kind:     by_value
    .group_segment_fixed_size: 0
    .kernarg_segment_align: 8
    .kernarg_segment_size: 128
    .language:       OpenCL C
    .language_version:
      - 2
      - 0
    .max_flat_workgroup_size: 256
    .name:           _ZN7rocprim17ROCPRIM_400000_NS6detail17trampoline_kernelINS0_14default_configENS1_33run_length_encode_config_selectorIN3c104HalfEjNS0_4plusIjEEEEZZNS1_33reduce_by_key_impl_wrapped_configILNS1_25lookback_scan_determinismE0ES3_S9_PKS6_NS0_17constant_iteratorIjlEEPS6_PlSH_S8_NS0_8equal_toIS6_EEEE10hipError_tPvRmT2_T3_mT4_T5_T6_T7_T8_P12ihipStream_tbENKUlT_T0_E_clISt17integral_constantIbLb1EES10_IbLb0EEEEDaSW_SX_EUlSW_E_NS1_11comp_targetILNS1_3genE10ELNS1_11target_archE1200ELNS1_3gpuE4ELNS1_3repE0EEENS1_30default_config_static_selectorELNS0_4arch9wavefront6targetE0EEEvT1_
    .private_segment_fixed_size: 0
    .sgpr_count:     0
    .sgpr_spill_count: 0
    .symbol:         _ZN7rocprim17ROCPRIM_400000_NS6detail17trampoline_kernelINS0_14default_configENS1_33run_length_encode_config_selectorIN3c104HalfEjNS0_4plusIjEEEEZZNS1_33reduce_by_key_impl_wrapped_configILNS1_25lookback_scan_determinismE0ES3_S9_PKS6_NS0_17constant_iteratorIjlEEPS6_PlSH_S8_NS0_8equal_toIS6_EEEE10hipError_tPvRmT2_T3_mT4_T5_T6_T7_T8_P12ihipStream_tbENKUlT_T0_E_clISt17integral_constantIbLb1EES10_IbLb0EEEEDaSW_SX_EUlSW_E_NS1_11comp_targetILNS1_3genE10ELNS1_11target_archE1200ELNS1_3gpuE4ELNS1_3repE0EEENS1_30default_config_static_selectorELNS0_4arch9wavefront6targetE0EEEvT1_.kd
    .uniform_work_group_size: 1
    .uses_dynamic_stack: false
    .vgpr_count:     0
    .vgpr_spill_count: 0
    .wavefront_size: 32
  - .args:
      - .offset:         0
        .size:           128
        .value_kind:     by_value
    .group_segment_fixed_size: 0
    .kernarg_segment_align: 8
    .kernarg_segment_size: 128
    .language:       OpenCL C
    .language_version:
      - 2
      - 0
    .max_flat_workgroup_size: 256
    .name:           _ZN7rocprim17ROCPRIM_400000_NS6detail17trampoline_kernelINS0_14default_configENS1_33run_length_encode_config_selectorIN3c104HalfEjNS0_4plusIjEEEEZZNS1_33reduce_by_key_impl_wrapped_configILNS1_25lookback_scan_determinismE0ES3_S9_PKS6_NS0_17constant_iteratorIjlEEPS6_PlSH_S8_NS0_8equal_toIS6_EEEE10hipError_tPvRmT2_T3_mT4_T5_T6_T7_T8_P12ihipStream_tbENKUlT_T0_E_clISt17integral_constantIbLb1EES10_IbLb0EEEEDaSW_SX_EUlSW_E_NS1_11comp_targetILNS1_3genE9ELNS1_11target_archE1100ELNS1_3gpuE3ELNS1_3repE0EEENS1_30default_config_static_selectorELNS0_4arch9wavefront6targetE0EEEvT1_
    .private_segment_fixed_size: 0
    .sgpr_count:     0
    .sgpr_spill_count: 0
    .symbol:         _ZN7rocprim17ROCPRIM_400000_NS6detail17trampoline_kernelINS0_14default_configENS1_33run_length_encode_config_selectorIN3c104HalfEjNS0_4plusIjEEEEZZNS1_33reduce_by_key_impl_wrapped_configILNS1_25lookback_scan_determinismE0ES3_S9_PKS6_NS0_17constant_iteratorIjlEEPS6_PlSH_S8_NS0_8equal_toIS6_EEEE10hipError_tPvRmT2_T3_mT4_T5_T6_T7_T8_P12ihipStream_tbENKUlT_T0_E_clISt17integral_constantIbLb1EES10_IbLb0EEEEDaSW_SX_EUlSW_E_NS1_11comp_targetILNS1_3genE9ELNS1_11target_archE1100ELNS1_3gpuE3ELNS1_3repE0EEENS1_30default_config_static_selectorELNS0_4arch9wavefront6targetE0EEEvT1_.kd
    .uniform_work_group_size: 1
    .uses_dynamic_stack: false
    .vgpr_count:     0
    .vgpr_spill_count: 0
    .wavefront_size: 32
  - .args:
      - .offset:         0
        .size:           128
        .value_kind:     by_value
    .group_segment_fixed_size: 0
    .kernarg_segment_align: 8
    .kernarg_segment_size: 128
    .language:       OpenCL C
    .language_version:
      - 2
      - 0
    .max_flat_workgroup_size: 256
    .name:           _ZN7rocprim17ROCPRIM_400000_NS6detail17trampoline_kernelINS0_14default_configENS1_33run_length_encode_config_selectorIN3c104HalfEjNS0_4plusIjEEEEZZNS1_33reduce_by_key_impl_wrapped_configILNS1_25lookback_scan_determinismE0ES3_S9_PKS6_NS0_17constant_iteratorIjlEEPS6_PlSH_S8_NS0_8equal_toIS6_EEEE10hipError_tPvRmT2_T3_mT4_T5_T6_T7_T8_P12ihipStream_tbENKUlT_T0_E_clISt17integral_constantIbLb1EES10_IbLb0EEEEDaSW_SX_EUlSW_E_NS1_11comp_targetILNS1_3genE8ELNS1_11target_archE1030ELNS1_3gpuE2ELNS1_3repE0EEENS1_30default_config_static_selectorELNS0_4arch9wavefront6targetE0EEEvT1_
    .private_segment_fixed_size: 0
    .sgpr_count:     0
    .sgpr_spill_count: 0
    .symbol:         _ZN7rocprim17ROCPRIM_400000_NS6detail17trampoline_kernelINS0_14default_configENS1_33run_length_encode_config_selectorIN3c104HalfEjNS0_4plusIjEEEEZZNS1_33reduce_by_key_impl_wrapped_configILNS1_25lookback_scan_determinismE0ES3_S9_PKS6_NS0_17constant_iteratorIjlEEPS6_PlSH_S8_NS0_8equal_toIS6_EEEE10hipError_tPvRmT2_T3_mT4_T5_T6_T7_T8_P12ihipStream_tbENKUlT_T0_E_clISt17integral_constantIbLb1EES10_IbLb0EEEEDaSW_SX_EUlSW_E_NS1_11comp_targetILNS1_3genE8ELNS1_11target_archE1030ELNS1_3gpuE2ELNS1_3repE0EEENS1_30default_config_static_selectorELNS0_4arch9wavefront6targetE0EEEvT1_.kd
    .uniform_work_group_size: 1
    .uses_dynamic_stack: false
    .vgpr_count:     0
    .vgpr_spill_count: 0
    .wavefront_size: 32
  - .args:
      - .offset:         0
        .size:           128
        .value_kind:     by_value
    .group_segment_fixed_size: 15360
    .kernarg_segment_align: 8
    .kernarg_segment_size: 128
    .language:       OpenCL C
    .language_version:
      - 2
      - 0
    .max_flat_workgroup_size: 256
    .name:           _ZN7rocprim17ROCPRIM_400000_NS6detail17trampoline_kernelINS0_14default_configENS1_33run_length_encode_config_selectorIN3c104HalfEjNS0_4plusIjEEEEZZNS1_33reduce_by_key_impl_wrapped_configILNS1_25lookback_scan_determinismE0ES3_S9_PKS6_NS0_17constant_iteratorIjlEEPS6_PlSH_S8_NS0_8equal_toIS6_EEEE10hipError_tPvRmT2_T3_mT4_T5_T6_T7_T8_P12ihipStream_tbENKUlT_T0_E_clISt17integral_constantIbLb0EES10_IbLb1EEEEDaSW_SX_EUlSW_E_NS1_11comp_targetILNS1_3genE0ELNS1_11target_archE4294967295ELNS1_3gpuE0ELNS1_3repE0EEENS1_30default_config_static_selectorELNS0_4arch9wavefront6targetE0EEEvT1_
    .private_segment_fixed_size: 0
    .sgpr_count:     46
    .sgpr_spill_count: 0
    .symbol:         _ZN7rocprim17ROCPRIM_400000_NS6detail17trampoline_kernelINS0_14default_configENS1_33run_length_encode_config_selectorIN3c104HalfEjNS0_4plusIjEEEEZZNS1_33reduce_by_key_impl_wrapped_configILNS1_25lookback_scan_determinismE0ES3_S9_PKS6_NS0_17constant_iteratorIjlEEPS6_PlSH_S8_NS0_8equal_toIS6_EEEE10hipError_tPvRmT2_T3_mT4_T5_T6_T7_T8_P12ihipStream_tbENKUlT_T0_E_clISt17integral_constantIbLb0EES10_IbLb1EEEEDaSW_SX_EUlSW_E_NS1_11comp_targetILNS1_3genE0ELNS1_11target_archE4294967295ELNS1_3gpuE0ELNS1_3repE0EEENS1_30default_config_static_selectorELNS0_4arch9wavefront6targetE0EEEvT1_.kd
    .uniform_work_group_size: 1
    .uses_dynamic_stack: false
    .vgpr_count:     108
    .vgpr_spill_count: 0
    .wavefront_size: 32
  - .args:
      - .offset:         0
        .size:           128
        .value_kind:     by_value
    .group_segment_fixed_size: 0
    .kernarg_segment_align: 8
    .kernarg_segment_size: 128
    .language:       OpenCL C
    .language_version:
      - 2
      - 0
    .max_flat_workgroup_size: 256
    .name:           _ZN7rocprim17ROCPRIM_400000_NS6detail17trampoline_kernelINS0_14default_configENS1_33run_length_encode_config_selectorIN3c104HalfEjNS0_4plusIjEEEEZZNS1_33reduce_by_key_impl_wrapped_configILNS1_25lookback_scan_determinismE0ES3_S9_PKS6_NS0_17constant_iteratorIjlEEPS6_PlSH_S8_NS0_8equal_toIS6_EEEE10hipError_tPvRmT2_T3_mT4_T5_T6_T7_T8_P12ihipStream_tbENKUlT_T0_E_clISt17integral_constantIbLb0EES10_IbLb1EEEEDaSW_SX_EUlSW_E_NS1_11comp_targetILNS1_3genE5ELNS1_11target_archE942ELNS1_3gpuE9ELNS1_3repE0EEENS1_30default_config_static_selectorELNS0_4arch9wavefront6targetE0EEEvT1_
    .private_segment_fixed_size: 0
    .sgpr_count:     0
    .sgpr_spill_count: 0
    .symbol:         _ZN7rocprim17ROCPRIM_400000_NS6detail17trampoline_kernelINS0_14default_configENS1_33run_length_encode_config_selectorIN3c104HalfEjNS0_4plusIjEEEEZZNS1_33reduce_by_key_impl_wrapped_configILNS1_25lookback_scan_determinismE0ES3_S9_PKS6_NS0_17constant_iteratorIjlEEPS6_PlSH_S8_NS0_8equal_toIS6_EEEE10hipError_tPvRmT2_T3_mT4_T5_T6_T7_T8_P12ihipStream_tbENKUlT_T0_E_clISt17integral_constantIbLb0EES10_IbLb1EEEEDaSW_SX_EUlSW_E_NS1_11comp_targetILNS1_3genE5ELNS1_11target_archE942ELNS1_3gpuE9ELNS1_3repE0EEENS1_30default_config_static_selectorELNS0_4arch9wavefront6targetE0EEEvT1_.kd
    .uniform_work_group_size: 1
    .uses_dynamic_stack: false
    .vgpr_count:     0
    .vgpr_spill_count: 0
    .wavefront_size: 32
  - .args:
      - .offset:         0
        .size:           128
        .value_kind:     by_value
    .group_segment_fixed_size: 0
    .kernarg_segment_align: 8
    .kernarg_segment_size: 128
    .language:       OpenCL C
    .language_version:
      - 2
      - 0
    .max_flat_workgroup_size: 256
    .name:           _ZN7rocprim17ROCPRIM_400000_NS6detail17trampoline_kernelINS0_14default_configENS1_33run_length_encode_config_selectorIN3c104HalfEjNS0_4plusIjEEEEZZNS1_33reduce_by_key_impl_wrapped_configILNS1_25lookback_scan_determinismE0ES3_S9_PKS6_NS0_17constant_iteratorIjlEEPS6_PlSH_S8_NS0_8equal_toIS6_EEEE10hipError_tPvRmT2_T3_mT4_T5_T6_T7_T8_P12ihipStream_tbENKUlT_T0_E_clISt17integral_constantIbLb0EES10_IbLb1EEEEDaSW_SX_EUlSW_E_NS1_11comp_targetILNS1_3genE4ELNS1_11target_archE910ELNS1_3gpuE8ELNS1_3repE0EEENS1_30default_config_static_selectorELNS0_4arch9wavefront6targetE0EEEvT1_
    .private_segment_fixed_size: 0
    .sgpr_count:     0
    .sgpr_spill_count: 0
    .symbol:         _ZN7rocprim17ROCPRIM_400000_NS6detail17trampoline_kernelINS0_14default_configENS1_33run_length_encode_config_selectorIN3c104HalfEjNS0_4plusIjEEEEZZNS1_33reduce_by_key_impl_wrapped_configILNS1_25lookback_scan_determinismE0ES3_S9_PKS6_NS0_17constant_iteratorIjlEEPS6_PlSH_S8_NS0_8equal_toIS6_EEEE10hipError_tPvRmT2_T3_mT4_T5_T6_T7_T8_P12ihipStream_tbENKUlT_T0_E_clISt17integral_constantIbLb0EES10_IbLb1EEEEDaSW_SX_EUlSW_E_NS1_11comp_targetILNS1_3genE4ELNS1_11target_archE910ELNS1_3gpuE8ELNS1_3repE0EEENS1_30default_config_static_selectorELNS0_4arch9wavefront6targetE0EEEvT1_.kd
    .uniform_work_group_size: 1
    .uses_dynamic_stack: false
    .vgpr_count:     0
    .vgpr_spill_count: 0
    .wavefront_size: 32
  - .args:
      - .offset:         0
        .size:           128
        .value_kind:     by_value
    .group_segment_fixed_size: 0
    .kernarg_segment_align: 8
    .kernarg_segment_size: 128
    .language:       OpenCL C
    .language_version:
      - 2
      - 0
    .max_flat_workgroup_size: 256
    .name:           _ZN7rocprim17ROCPRIM_400000_NS6detail17trampoline_kernelINS0_14default_configENS1_33run_length_encode_config_selectorIN3c104HalfEjNS0_4plusIjEEEEZZNS1_33reduce_by_key_impl_wrapped_configILNS1_25lookback_scan_determinismE0ES3_S9_PKS6_NS0_17constant_iteratorIjlEEPS6_PlSH_S8_NS0_8equal_toIS6_EEEE10hipError_tPvRmT2_T3_mT4_T5_T6_T7_T8_P12ihipStream_tbENKUlT_T0_E_clISt17integral_constantIbLb0EES10_IbLb1EEEEDaSW_SX_EUlSW_E_NS1_11comp_targetILNS1_3genE3ELNS1_11target_archE908ELNS1_3gpuE7ELNS1_3repE0EEENS1_30default_config_static_selectorELNS0_4arch9wavefront6targetE0EEEvT1_
    .private_segment_fixed_size: 0
    .sgpr_count:     0
    .sgpr_spill_count: 0
    .symbol:         _ZN7rocprim17ROCPRIM_400000_NS6detail17trampoline_kernelINS0_14default_configENS1_33run_length_encode_config_selectorIN3c104HalfEjNS0_4plusIjEEEEZZNS1_33reduce_by_key_impl_wrapped_configILNS1_25lookback_scan_determinismE0ES3_S9_PKS6_NS0_17constant_iteratorIjlEEPS6_PlSH_S8_NS0_8equal_toIS6_EEEE10hipError_tPvRmT2_T3_mT4_T5_T6_T7_T8_P12ihipStream_tbENKUlT_T0_E_clISt17integral_constantIbLb0EES10_IbLb1EEEEDaSW_SX_EUlSW_E_NS1_11comp_targetILNS1_3genE3ELNS1_11target_archE908ELNS1_3gpuE7ELNS1_3repE0EEENS1_30default_config_static_selectorELNS0_4arch9wavefront6targetE0EEEvT1_.kd
    .uniform_work_group_size: 1
    .uses_dynamic_stack: false
    .vgpr_count:     0
    .vgpr_spill_count: 0
    .wavefront_size: 32
  - .args:
      - .offset:         0
        .size:           128
        .value_kind:     by_value
    .group_segment_fixed_size: 0
    .kernarg_segment_align: 8
    .kernarg_segment_size: 128
    .language:       OpenCL C
    .language_version:
      - 2
      - 0
    .max_flat_workgroup_size: 256
    .name:           _ZN7rocprim17ROCPRIM_400000_NS6detail17trampoline_kernelINS0_14default_configENS1_33run_length_encode_config_selectorIN3c104HalfEjNS0_4plusIjEEEEZZNS1_33reduce_by_key_impl_wrapped_configILNS1_25lookback_scan_determinismE0ES3_S9_PKS6_NS0_17constant_iteratorIjlEEPS6_PlSH_S8_NS0_8equal_toIS6_EEEE10hipError_tPvRmT2_T3_mT4_T5_T6_T7_T8_P12ihipStream_tbENKUlT_T0_E_clISt17integral_constantIbLb0EES10_IbLb1EEEEDaSW_SX_EUlSW_E_NS1_11comp_targetILNS1_3genE2ELNS1_11target_archE906ELNS1_3gpuE6ELNS1_3repE0EEENS1_30default_config_static_selectorELNS0_4arch9wavefront6targetE0EEEvT1_
    .private_segment_fixed_size: 0
    .sgpr_count:     0
    .sgpr_spill_count: 0
    .symbol:         _ZN7rocprim17ROCPRIM_400000_NS6detail17trampoline_kernelINS0_14default_configENS1_33run_length_encode_config_selectorIN3c104HalfEjNS0_4plusIjEEEEZZNS1_33reduce_by_key_impl_wrapped_configILNS1_25lookback_scan_determinismE0ES3_S9_PKS6_NS0_17constant_iteratorIjlEEPS6_PlSH_S8_NS0_8equal_toIS6_EEEE10hipError_tPvRmT2_T3_mT4_T5_T6_T7_T8_P12ihipStream_tbENKUlT_T0_E_clISt17integral_constantIbLb0EES10_IbLb1EEEEDaSW_SX_EUlSW_E_NS1_11comp_targetILNS1_3genE2ELNS1_11target_archE906ELNS1_3gpuE6ELNS1_3repE0EEENS1_30default_config_static_selectorELNS0_4arch9wavefront6targetE0EEEvT1_.kd
    .uniform_work_group_size: 1
    .uses_dynamic_stack: false
    .vgpr_count:     0
    .vgpr_spill_count: 0
    .wavefront_size: 32
  - .args:
      - .offset:         0
        .size:           128
        .value_kind:     by_value
    .group_segment_fixed_size: 0
    .kernarg_segment_align: 8
    .kernarg_segment_size: 128
    .language:       OpenCL C
    .language_version:
      - 2
      - 0
    .max_flat_workgroup_size: 256
    .name:           _ZN7rocprim17ROCPRIM_400000_NS6detail17trampoline_kernelINS0_14default_configENS1_33run_length_encode_config_selectorIN3c104HalfEjNS0_4plusIjEEEEZZNS1_33reduce_by_key_impl_wrapped_configILNS1_25lookback_scan_determinismE0ES3_S9_PKS6_NS0_17constant_iteratorIjlEEPS6_PlSH_S8_NS0_8equal_toIS6_EEEE10hipError_tPvRmT2_T3_mT4_T5_T6_T7_T8_P12ihipStream_tbENKUlT_T0_E_clISt17integral_constantIbLb0EES10_IbLb1EEEEDaSW_SX_EUlSW_E_NS1_11comp_targetILNS1_3genE10ELNS1_11target_archE1201ELNS1_3gpuE5ELNS1_3repE0EEENS1_30default_config_static_selectorELNS0_4arch9wavefront6targetE0EEEvT1_
    .private_segment_fixed_size: 0
    .sgpr_count:     0
    .sgpr_spill_count: 0
    .symbol:         _ZN7rocprim17ROCPRIM_400000_NS6detail17trampoline_kernelINS0_14default_configENS1_33run_length_encode_config_selectorIN3c104HalfEjNS0_4plusIjEEEEZZNS1_33reduce_by_key_impl_wrapped_configILNS1_25lookback_scan_determinismE0ES3_S9_PKS6_NS0_17constant_iteratorIjlEEPS6_PlSH_S8_NS0_8equal_toIS6_EEEE10hipError_tPvRmT2_T3_mT4_T5_T6_T7_T8_P12ihipStream_tbENKUlT_T0_E_clISt17integral_constantIbLb0EES10_IbLb1EEEEDaSW_SX_EUlSW_E_NS1_11comp_targetILNS1_3genE10ELNS1_11target_archE1201ELNS1_3gpuE5ELNS1_3repE0EEENS1_30default_config_static_selectorELNS0_4arch9wavefront6targetE0EEEvT1_.kd
    .uniform_work_group_size: 1
    .uses_dynamic_stack: false
    .vgpr_count:     0
    .vgpr_spill_count: 0
    .wavefront_size: 32
  - .args:
      - .offset:         0
        .size:           128
        .value_kind:     by_value
    .group_segment_fixed_size: 0
    .kernarg_segment_align: 8
    .kernarg_segment_size: 128
    .language:       OpenCL C
    .language_version:
      - 2
      - 0
    .max_flat_workgroup_size: 256
    .name:           _ZN7rocprim17ROCPRIM_400000_NS6detail17trampoline_kernelINS0_14default_configENS1_33run_length_encode_config_selectorIN3c104HalfEjNS0_4plusIjEEEEZZNS1_33reduce_by_key_impl_wrapped_configILNS1_25lookback_scan_determinismE0ES3_S9_PKS6_NS0_17constant_iteratorIjlEEPS6_PlSH_S8_NS0_8equal_toIS6_EEEE10hipError_tPvRmT2_T3_mT4_T5_T6_T7_T8_P12ihipStream_tbENKUlT_T0_E_clISt17integral_constantIbLb0EES10_IbLb1EEEEDaSW_SX_EUlSW_E_NS1_11comp_targetILNS1_3genE10ELNS1_11target_archE1200ELNS1_3gpuE4ELNS1_3repE0EEENS1_30default_config_static_selectorELNS0_4arch9wavefront6targetE0EEEvT1_
    .private_segment_fixed_size: 0
    .sgpr_count:     0
    .sgpr_spill_count: 0
    .symbol:         _ZN7rocprim17ROCPRIM_400000_NS6detail17trampoline_kernelINS0_14default_configENS1_33run_length_encode_config_selectorIN3c104HalfEjNS0_4plusIjEEEEZZNS1_33reduce_by_key_impl_wrapped_configILNS1_25lookback_scan_determinismE0ES3_S9_PKS6_NS0_17constant_iteratorIjlEEPS6_PlSH_S8_NS0_8equal_toIS6_EEEE10hipError_tPvRmT2_T3_mT4_T5_T6_T7_T8_P12ihipStream_tbENKUlT_T0_E_clISt17integral_constantIbLb0EES10_IbLb1EEEEDaSW_SX_EUlSW_E_NS1_11comp_targetILNS1_3genE10ELNS1_11target_archE1200ELNS1_3gpuE4ELNS1_3repE0EEENS1_30default_config_static_selectorELNS0_4arch9wavefront6targetE0EEEvT1_.kd
    .uniform_work_group_size: 1
    .uses_dynamic_stack: false
    .vgpr_count:     0
    .vgpr_spill_count: 0
    .wavefront_size: 32
  - .args:
      - .offset:         0
        .size:           128
        .value_kind:     by_value
    .group_segment_fixed_size: 0
    .kernarg_segment_align: 8
    .kernarg_segment_size: 128
    .language:       OpenCL C
    .language_version:
      - 2
      - 0
    .max_flat_workgroup_size: 256
    .name:           _ZN7rocprim17ROCPRIM_400000_NS6detail17trampoline_kernelINS0_14default_configENS1_33run_length_encode_config_selectorIN3c104HalfEjNS0_4plusIjEEEEZZNS1_33reduce_by_key_impl_wrapped_configILNS1_25lookback_scan_determinismE0ES3_S9_PKS6_NS0_17constant_iteratorIjlEEPS6_PlSH_S8_NS0_8equal_toIS6_EEEE10hipError_tPvRmT2_T3_mT4_T5_T6_T7_T8_P12ihipStream_tbENKUlT_T0_E_clISt17integral_constantIbLb0EES10_IbLb1EEEEDaSW_SX_EUlSW_E_NS1_11comp_targetILNS1_3genE9ELNS1_11target_archE1100ELNS1_3gpuE3ELNS1_3repE0EEENS1_30default_config_static_selectorELNS0_4arch9wavefront6targetE0EEEvT1_
    .private_segment_fixed_size: 0
    .sgpr_count:     0
    .sgpr_spill_count: 0
    .symbol:         _ZN7rocprim17ROCPRIM_400000_NS6detail17trampoline_kernelINS0_14default_configENS1_33run_length_encode_config_selectorIN3c104HalfEjNS0_4plusIjEEEEZZNS1_33reduce_by_key_impl_wrapped_configILNS1_25lookback_scan_determinismE0ES3_S9_PKS6_NS0_17constant_iteratorIjlEEPS6_PlSH_S8_NS0_8equal_toIS6_EEEE10hipError_tPvRmT2_T3_mT4_T5_T6_T7_T8_P12ihipStream_tbENKUlT_T0_E_clISt17integral_constantIbLb0EES10_IbLb1EEEEDaSW_SX_EUlSW_E_NS1_11comp_targetILNS1_3genE9ELNS1_11target_archE1100ELNS1_3gpuE3ELNS1_3repE0EEENS1_30default_config_static_selectorELNS0_4arch9wavefront6targetE0EEEvT1_.kd
    .uniform_work_group_size: 1
    .uses_dynamic_stack: false
    .vgpr_count:     0
    .vgpr_spill_count: 0
    .wavefront_size: 32
  - .args:
      - .offset:         0
        .size:           128
        .value_kind:     by_value
    .group_segment_fixed_size: 0
    .kernarg_segment_align: 8
    .kernarg_segment_size: 128
    .language:       OpenCL C
    .language_version:
      - 2
      - 0
    .max_flat_workgroup_size: 256
    .name:           _ZN7rocprim17ROCPRIM_400000_NS6detail17trampoline_kernelINS0_14default_configENS1_33run_length_encode_config_selectorIN3c104HalfEjNS0_4plusIjEEEEZZNS1_33reduce_by_key_impl_wrapped_configILNS1_25lookback_scan_determinismE0ES3_S9_PKS6_NS0_17constant_iteratorIjlEEPS6_PlSH_S8_NS0_8equal_toIS6_EEEE10hipError_tPvRmT2_T3_mT4_T5_T6_T7_T8_P12ihipStream_tbENKUlT_T0_E_clISt17integral_constantIbLb0EES10_IbLb1EEEEDaSW_SX_EUlSW_E_NS1_11comp_targetILNS1_3genE8ELNS1_11target_archE1030ELNS1_3gpuE2ELNS1_3repE0EEENS1_30default_config_static_selectorELNS0_4arch9wavefront6targetE0EEEvT1_
    .private_segment_fixed_size: 0
    .sgpr_count:     0
    .sgpr_spill_count: 0
    .symbol:         _ZN7rocprim17ROCPRIM_400000_NS6detail17trampoline_kernelINS0_14default_configENS1_33run_length_encode_config_selectorIN3c104HalfEjNS0_4plusIjEEEEZZNS1_33reduce_by_key_impl_wrapped_configILNS1_25lookback_scan_determinismE0ES3_S9_PKS6_NS0_17constant_iteratorIjlEEPS6_PlSH_S8_NS0_8equal_toIS6_EEEE10hipError_tPvRmT2_T3_mT4_T5_T6_T7_T8_P12ihipStream_tbENKUlT_T0_E_clISt17integral_constantIbLb0EES10_IbLb1EEEEDaSW_SX_EUlSW_E_NS1_11comp_targetILNS1_3genE8ELNS1_11target_archE1030ELNS1_3gpuE2ELNS1_3repE0EEENS1_30default_config_static_selectorELNS0_4arch9wavefront6targetE0EEEvT1_.kd
    .uniform_work_group_size: 1
    .uses_dynamic_stack: false
    .vgpr_count:     0
    .vgpr_spill_count: 0
    .wavefront_size: 32
amdhsa.target:   amdgcn-amd-amdhsa--gfx1250
amdhsa.version:
  - 1
  - 2
...

	.end_amdgpu_metadata
